;; amdgpu-corpus repo=ROCm/rocBLAS kind=compiled arch=gfx942 opt=O3
	.text
	.amdgcn_target "amdgcn-amd-amdhsa--gfx942"
	.amdhsa_code_object_version 6
	.section	.text._ZL34rocblas_gemvn_sm_mn_batched_kernelILi32ELi24EfPKffEviiT2_lPKT1_lilS5_lilS2_lPT3_lili,"axG",@progbits,_ZL34rocblas_gemvn_sm_mn_batched_kernelILi32ELi24EfPKffEviiT2_lPKT1_lilS5_lilS2_lPT3_lili,comdat
	.globl	_ZL34rocblas_gemvn_sm_mn_batched_kernelILi32ELi24EfPKffEviiT2_lPKT1_lilS5_lilS2_lPT3_lili ; -- Begin function _ZL34rocblas_gemvn_sm_mn_batched_kernelILi32ELi24EfPKffEviiT2_lPKT1_lilS5_lilS2_lPT3_lili
	.p2align	8
	.type	_ZL34rocblas_gemvn_sm_mn_batched_kernelILi32ELi24EfPKffEviiT2_lPKT1_lilS5_lilS2_lPT3_lili,@function
_ZL34rocblas_gemvn_sm_mn_batched_kernelILi32ELi24EfPKffEviiT2_lPKT1_lilS5_lilS2_lPT3_lili: ; @_ZL34rocblas_gemvn_sm_mn_batched_kernelILi32ELi24EfPKffEviiT2_lPKT1_lilS5_lilS2_lPT3_lili
; %bb.0:
	s_load_dword s3, s[0:1], 0x9c
	s_load_dword s4, s[0:1], 0x88
	v_bfe_u32 v7, v0, 10, 10
	s_waitcnt lgkmcnt(0)
	s_lshr_b32 s3, s3, 16
	s_mul_i32 s2, s2, s3
	v_add_u32_e32 v4, s2, v7
	v_cmp_gt_i32_e32 vcc, s4, v4
	s_and_saveexec_b64 s[2:3], vcc
	s_cbranch_execz .LBB0_117
; %bb.1:
	s_load_dwordx8 s[4:11], s[0:1], 0x8
	s_load_dwordx8 s[12:19], s[0:1], 0x50
	s_waitcnt lgkmcnt(0)
	v_mad_u64_u32 v[10:11], s[2:3], v4, s6, 0
	v_mov_b32_e32 v6, v11
	v_mad_u64_u32 v[12:13], s[2:3], v4, s7, v[6:7]
	v_mov_b32_e32 v2, s4
	v_mov_b32_e32 v3, s5
	;; [unrolled: 1-line block ×3, first 2 shown]
	v_lshl_add_u64 v[2:3], v[10:11], 2, v[2:3]
	global_load_dword v1, v[2:3], off
	v_mad_u64_u32 v[2:3], s[2:3], v4, s16, 0
	v_mov_b32_e32 v6, v3
	v_mad_u64_u32 v[10:11], s[2:3], v4, s17, v[6:7]
	v_mov_b32_e32 v8, s14
	v_mov_b32_e32 v9, s15
	v_mov_b32_e32 v3, v10
	v_lshl_add_u64 v[2:3], v[2:3], 2, v[8:9]
	global_load_dword v5, v[2:3], off
	s_waitcnt vmcnt(1)
	v_cmp_neq_f32_e32 vcc, 0, v1
	s_waitcnt vmcnt(0)
	v_cmp_neq_f32_e64 s[2:3], 1.0, v5
	s_or_b64 s[2:3], vcc, s[2:3]
	s_and_b64 exec, exec, s[2:3]
	s_cbranch_execz .LBB0_117
; %bb.2:
	s_load_dwordx2 s[2:3], s[0:1], 0x80
	s_load_dword s33, s[0:1], 0x78
	s_load_dwordx2 s[4:5], s[0:1], 0x70
	s_load_dwordx2 s[14:15], s[0:1], 0x0
	v_cmp_eq_f32_e32 vcc, 0, v1
	s_waitcnt lgkmcnt(0)
	v_mad_u64_u32 v[2:3], s[6:7], v4, s2, 0
	v_mov_b32_e32 v6, v3
	v_mad_u64_u32 v[8:9], s[2:3], v4, s3, v[6:7]
	s_lshl_b64 s[2:3], s[4:5], 2
	s_add_u32 s2, s2, s18
	v_mov_b32_e32 v3, v8
	s_addc_u32 s3, s3, s19
	v_lshl_add_u64 v[2:3], v[2:3], 2, s[2:3]
	v_and_b32_e32 v6, 0x3ff, v0
	s_and_saveexec_b64 s[2:3], vcc
	s_xor_b64 s[4:5], exec, s[2:3]
	s_cbranch_execz .LBB0_12
; %bb.3:
	v_cmp_eq_f32_e64 s[2:3], 0, v5
	v_cmp_gt_i32_e32 vcc, s14, v6
	s_and_saveexec_b64 s[6:7], s[2:3]
	s_xor_b64 s[2:3], exec, s[6:7]
	s_cbranch_execz .LBB0_7
; %bb.4:
	s_and_saveexec_b64 s[6:7], vcc
	s_cbranch_execz .LBB0_6
; %bb.5:
	v_mad_i64_i32 v[0:1], s[16:17], s33, v6, 0
	v_lshl_add_u64 v[0:1], v[0:1], 2, v[2:3]
	v_mov_b32_e32 v2, 0
	global_store_dword v[0:1], v2, off
.LBB0_6:
	s_or_b64 exec, exec, s[6:7]
                                        ; implicit-def: $vgpr6
                                        ; implicit-def: $vgpr2_vgpr3
                                        ; implicit-def: $vgpr5
.LBB0_7:
	s_andn2_saveexec_b64 s[2:3], s[2:3]
	s_cbranch_execz .LBB0_11
; %bb.8:
	s_and_saveexec_b64 s[6:7], vcc
	s_cbranch_execz .LBB0_10
; %bb.9:
	v_mad_i64_i32 v[0:1], s[16:17], s33, v6, 0
	v_lshl_add_u64 v[0:1], v[0:1], 2, v[2:3]
	global_load_dword v2, v[0:1], off
	s_waitcnt vmcnt(0)
	v_mul_f32_e32 v2, v5, v2
	global_store_dword v[0:1], v2, off
.LBB0_10:
	s_or_b64 exec, exec, s[6:7]
.LBB0_11:
	s_or_b64 exec, exec, s[2:3]
                                        ; implicit-def: $vgpr6
                                        ; implicit-def: $vgpr2_vgpr3
                                        ; implicit-def: $vgpr7
                                        ; implicit-def: $vgpr4
                                        ; implicit-def: $vgpr1
                                        ; implicit-def: $vgpr5
.LBB0_12:
	s_andn2_saveexec_b64 s[2:3], s[4:5]
	s_cbranch_execz .LBB0_117
; %bb.13:
	s_load_dwordx4 s[4:7], s[0:1], 0x30
	s_load_dwordx2 s[16:17], s[0:1], 0x40
	v_lshlrev_b32_e32 v7, 7, v7
	v_cmp_gt_i32_e32 vcc, s15, v6
	s_and_saveexec_b64 s[2:3], vcc
	s_cbranch_execz .LBB0_15
; %bb.14:
	v_mad_u64_u32 v[8:9], s[18:19], v4, s12, 0
	v_mov_b32_e32 v0, v9
	v_mad_u64_u32 v[10:11], s[12:13], v4, s13, v[0:1]
	s_waitcnt lgkmcnt(0)
	s_lshl_b64 s[12:13], s[16:17], 2
	s_load_dword s16, s[0:1], 0x48
	s_add_u32 s6, s12, s6
	v_mov_b32_e32 v9, v10
	s_addc_u32 s7, s13, s7
	v_lshl_add_u64 v[8:9], v[8:9], 2, s[6:7]
	s_waitcnt lgkmcnt(0)
	v_mad_i64_i32 v[10:11], s[6:7], s16, v6, 0
	v_lshl_add_u64 v[8:9], v[10:11], 2, v[8:9]
	global_load_dword v0, v[8:9], off
	s_waitcnt vmcnt(0)
	v_mul_f32_e32 v0, v1, v0
	v_lshl_add_u32 v1, v6, 2, v7
	ds_write_b32 v1, v0
.LBB0_15:
	s_or_b64 exec, exec, s[2:3]
	v_cmp_gt_i32_e32 vcc, s14, v6
	s_waitcnt lgkmcnt(0)
	s_barrier
	s_and_saveexec_b64 s[2:3], vcc
	s_cbranch_execz .LBB0_117
; %bb.16:
	v_cmp_neq_f32_e32 vcc, 0, v5
	v_mov_b32_e32 v1, 0
	v_mov_b32_e32 v8, 0
	s_and_saveexec_b64 s[2:3], vcc
	s_cbranch_execz .LBB0_18
; %bb.17:
	v_mad_i64_i32 v[8:9], s[6:7], s33, v6, 0
	v_lshl_add_u64 v[8:9], v[8:9], 2, v[2:3]
	global_load_dword v0, v[8:9], off
	s_waitcnt vmcnt(0)
	v_mul_f32_e32 v8, v5, v0
.LBB0_18:
	s_or_b64 exec, exec, s[2:3]
	v_mad_u64_u32 v[10:11], s[2:3], v4, s4, 0
	v_mov_b32_e32 v0, v11
	v_mad_u64_u32 v[4:5], s[2:3], v4, s5, v[0:1]
	s_lshl_b64 s[2:3], s[10:11], 2
	s_add_u32 s2, s2, s8
	v_mov_b32_e32 v11, v4
	s_addc_u32 s3, s3, s9
	v_lshl_add_u64 v[4:5], v[10:11], 2, s[2:3]
	v_lshlrev_b32_e32 v0, 2, v6
	s_cmp_gt_i32 s15, 0
	s_cselect_b64 s[2:3], -1, 0
	s_cmp_lt_i32 s15, 1
	v_lshl_add_u64 v[4:5], v[4:5], 0, v[0:1]
	s_cbranch_scc1 .LBB0_20
; %bb.19:
	global_load_dword v1, v[4:5], off
.LBB0_20:
	s_load_dword s62, s[0:1], 0x28
	v_mov_b32_e32 v0, 0
	v_mov_b32_e32 v21, 0
	s_waitcnt lgkmcnt(0)
	s_ashr_i32 s63, s62, 31
	s_cmp_gt_i32 s15, 1
	s_cselect_b64 s[0:1], -1, 0
	s_cmp_lt_i32 s15, 2
	s_cbranch_scc1 .LBB0_22
; %bb.21:
	v_lshl_add_u64 v[10:11], s[62:63], 2, v[4:5]
	global_load_dword v21, v[10:11], off
.LBB0_22:
	s_cmp_gt_i32 s15, 2
	s_cselect_b64 s[4:5], -1, 0
	s_cmp_lt_i32 s15, 3
	s_cbranch_scc1 .LBB0_24
; %bb.23:
	v_lshl_add_u64 v[10:11], s[62:63], 3, v[4:5]
	global_load_dword v0, v[10:11], off
.LBB0_24:
	s_cmp_gt_i32 s15, 3
	s_cselect_b64 s[6:7], -1, 0
	s_cmp_lt_i32 s15, 4
	v_mov_b32_e32 v9, 0
	v_mov_b32_e32 v22, 0
	s_cbranch_scc1 .LBB0_26
; %bb.25:
	v_mad_i64_i32 v[10:11], s[8:9], s62, 12, v[4:5]
	global_load_dword v22, v[10:11], off
.LBB0_26:
	s_cmp_gt_i32 s15, 4
	s_cselect_b64 s[8:9], -1, 0
	s_cmp_lt_i32 s15, 5
	s_cbranch_scc1 .LBB0_28
; %bb.27:
	v_lshl_add_u64 v[10:11], s[62:63], 4, v[4:5]
	global_load_dword v9, v[10:11], off
.LBB0_28:
	s_cmp_gt_i32 s15, 5
	s_cselect_b64 s[10:11], -1, 0
	s_cmp_lt_i32 s15, 6
	v_mov_b32_e32 v10, 0
	v_mov_b32_e32 v23, 0
	s_cbranch_scc1 .LBB0_30
; %bb.29:
	v_mad_i64_i32 v[12:13], s[12:13], s62, 20, v[4:5]
	global_load_dword v23, v[12:13], off
.LBB0_30:
	s_cmp_gt_i32 s15, 6
	s_cselect_b64 s[12:13], -1, 0
	s_cmp_lt_i32 s15, 7
	s_cbranch_scc1 .LBB0_32
; %bb.31:
	v_mad_i64_i32 v[10:11], s[16:17], s62, 24, v[4:5]
	global_load_dword v10, v[10:11], off
.LBB0_32:
	s_cmp_gt_i32 s15, 7
	s_cselect_b64 s[16:17], -1, 0
	s_cmp_lt_i32 s15, 8
	v_mov_b32_e32 v11, 0
	v_mov_b32_e32 v24, 0
	s_cbranch_scc1 .LBB0_34
; %bb.33:
	v_mad_i64_i32 v[12:13], s[18:19], s62, 28, v[4:5]
	global_load_dword v24, v[12:13], off
.LBB0_34:
	s_cmp_gt_i32 s15, 8
	s_cselect_b64 s[18:19], -1, 0
	s_cmp_lt_i32 s15, 9
	s_cbranch_scc1 .LBB0_36
; %bb.35:
	s_lshl_b64 s[20:21], s[62:63], 5
	v_lshl_add_u64 v[12:13], v[4:5], 0, s[20:21]
	global_load_dword v11, v[12:13], off
.LBB0_36:
	s_cmp_gt_i32 s15, 9
	s_cselect_b64 s[20:21], -1, 0
	s_cmp_lt_i32 s15, 10
	v_mov_b32_e32 v12, 0
	v_mov_b32_e32 v26, 0
	s_cbranch_scc1 .LBB0_38
; %bb.37:
	v_mad_i64_i32 v[14:15], s[22:23], s62, 36, v[4:5]
	global_load_dword v26, v[14:15], off
.LBB0_38:
	s_cmp_gt_i32 s15, 10
	s_cselect_b64 s[22:23], -1, 0
	s_cmp_lt_i32 s15, 11
	s_cbranch_scc1 .LBB0_40
; %bb.39:
	v_mad_i64_i32 v[12:13], s[24:25], s62, 40, v[4:5]
	global_load_dword v12, v[12:13], off
.LBB0_40:
	s_cmp_gt_i32 s15, 11
	s_cselect_b64 s[24:25], -1, 0
	s_cmp_lt_i32 s15, 12
	v_mov_b32_e32 v13, 0
	v_mov_b32_e32 v27, 0
	s_cbranch_scc1 .LBB0_42
; %bb.41:
	v_mad_i64_i32 v[14:15], s[26:27], s62, 44, v[4:5]
	global_load_dword v27, v[14:15], off
.LBB0_42:
	s_cmp_gt_i32 s15, 12
	s_cselect_b64 s[26:27], -1, 0
	s_cmp_lt_i32 s15, 13
	s_cbranch_scc1 .LBB0_44
; %bb.43:
	v_mad_i64_i32 v[14:15], s[28:29], s62, 48, v[4:5]
	global_load_dword v13, v[14:15], off
.LBB0_44:
	;; [unrolled: 18-line block ×3, first 2 shown]
	s_cmp_gt_i32 s15, 15
	s_cselect_b64 s[34:35], -1, 0
	s_cmp_lt_i32 s15, 16
	v_mov_b32_e32 v15, 0
	v_mov_b32_e32 v29, 0
	s_cbranch_scc1 .LBB0_50
; %bb.49:
	v_mad_i64_i32 v[16:17], s[36:37], s62, 60, v[4:5]
	global_load_dword v29, v[16:17], off
.LBB0_50:
	s_cmp_gt_i32 s15, 16
	s_cselect_b64 s[36:37], -1, 0
	s_cmp_lt_i32 s15, 17
	s_cbranch_scc1 .LBB0_52
; %bb.51:
	s_lshl_b64 s[38:39], s[62:63], 6
	v_lshl_add_u64 v[16:17], v[4:5], 0, s[38:39]
	global_load_dword v15, v[16:17], off
.LBB0_52:
	s_cmp_gt_i32 s15, 17
	s_cselect_b64 s[38:39], -1, 0
	s_cmp_lt_i32 s15, 18
	v_mov_b32_e32 v16, 0
	v_mov_b32_e32 v31, 0
	s_cbranch_scc1 .LBB0_54
; %bb.53:
	v_mov_b32_e32 v17, 0x44
	v_mad_i64_i32 v[18:19], s[40:41], s62, v17, v[4:5]
	global_load_dword v31, v[18:19], off
.LBB0_54:
	s_cmp_gt_i32 s15, 18
	s_cselect_b64 s[40:41], -1, 0
	s_cmp_lt_i32 s15, 19
	s_cbranch_scc1 .LBB0_56
; %bb.55:
	v_mov_b32_e32 v16, 0x48
	v_mad_i64_i32 v[16:17], s[42:43], s62, v16, v[4:5]
	global_load_dword v16, v[16:17], off
.LBB0_56:
	s_cmp_gt_i32 s15, 19
	s_cselect_b64 s[42:43], -1, 0
	s_cmp_lt_i32 s15, 20
	v_mov_b32_e32 v17, 0
	v_mov_b32_e32 v32, 0
	s_cbranch_scc1 .LBB0_58
; %bb.57:
	v_mov_b32_e32 v18, 0x4c
	v_mad_i64_i32 v[18:19], s[44:45], s62, v18, v[4:5]
	global_load_dword v32, v[18:19], off
.LBB0_58:
	s_cmp_gt_i32 s15, 20
	s_cselect_b64 s[44:45], -1, 0
	s_cmp_lt_i32 s15, 21
	s_cbranch_scc1 .LBB0_60
; %bb.59:
	v_mov_b32_e32 v17, 0x50
	v_mad_i64_i32 v[18:19], s[46:47], s62, v17, v[4:5]
	global_load_dword v17, v[18:19], off
.LBB0_60:
	;; [unrolled: 20-line block ×7, first 2 shown]
	s_cmp_gt_i32 s15, 31
	s_cselect_b64 s[68:69], -1, 0
	s_cmp_lt_i32 s15, 32
	v_mov_b32_e32 v36, 0
	v_mov_b32_e32 v39, 0
	s_cbranch_scc1 .LBB0_82
; %bb.81:
	v_mov_b32_e32 v39, 0x7c
	v_mad_i64_i32 v[4:5], s[14:15], s62, v39, v[4:5]
	global_load_dword v39, v[4:5], off
.LBB0_82:
	s_andn2_b64 vcc, exec, s[2:3]
	s_cbranch_vccnz .LBB0_84
; %bb.83:
	ds_read_b32 v4, v7
	s_waitcnt vmcnt(0) lgkmcnt(0)
	v_mul_f32_e32 v36, v1, v4
.LBB0_84:
	s_andn2_b64 vcc, exec, s[0:1]
	s_waitcnt vmcnt(0)
	v_mov_b32_e32 v1, 0
	v_mov_b32_e32 v4, 0
	s_cbranch_vccz .LBB0_118
; %bb.85:
	s_andn2_b64 vcc, exec, s[4:5]
	s_cbranch_vccz .LBB0_119
.LBB0_86:
	s_andn2_b64 vcc, exec, s[6:7]
	v_mov_b32_e32 v0, 0
	v_mov_b32_e32 v5, 0
	s_cbranch_vccz .LBB0_120
.LBB0_87:
	s_andn2_b64 vcc, exec, s[8:9]
	s_cbranch_vccz .LBB0_121
.LBB0_88:
	s_andn2_b64 vcc, exec, s[10:11]
	v_mov_b32_e32 v9, 0
	v_mov_b32_e32 v21, 0
	s_cbranch_vccz .LBB0_122
.LBB0_89:
	s_andn2_b64 vcc, exec, s[12:13]
	s_cbranch_vccz .LBB0_123
.LBB0_90:
	s_andn2_b64 vcc, exec, s[16:17]
	v_mov_b32_e32 v10, 0
	v_mov_b32_e32 v22, 0
	s_cbranch_vccz .LBB0_124
.LBB0_91:
	s_andn2_b64 vcc, exec, s[18:19]
	s_cbranch_vccz .LBB0_125
.LBB0_92:
	s_andn2_b64 vcc, exec, s[20:21]
	v_mov_b32_e32 v11, 0
	v_mov_b32_e32 v23, 0
	s_cbranch_vccz .LBB0_126
.LBB0_93:
	s_andn2_b64 vcc, exec, s[22:23]
	s_cbranch_vccz .LBB0_127
.LBB0_94:
	s_andn2_b64 vcc, exec, s[24:25]
	v_mov_b32_e32 v12, 0
	v_mov_b32_e32 v24, 0
	s_cbranch_vccz .LBB0_128
.LBB0_95:
	s_andn2_b64 vcc, exec, s[26:27]
	s_cbranch_vccz .LBB0_129
.LBB0_96:
	s_andn2_b64 vcc, exec, s[28:29]
	v_mov_b32_e32 v13, 0
	v_mov_b32_e32 v26, 0
	s_cbranch_vccz .LBB0_130
.LBB0_97:
	s_andn2_b64 vcc, exec, s[30:31]
	s_cbranch_vccz .LBB0_131
.LBB0_98:
	s_andn2_b64 vcc, exec, s[34:35]
	v_mov_b32_e32 v14, 0
	v_mov_b32_e32 v27, 0
	s_cbranch_vccz .LBB0_132
.LBB0_99:
	s_andn2_b64 vcc, exec, s[36:37]
	s_cbranch_vccz .LBB0_133
.LBB0_100:
	s_andn2_b64 vcc, exec, s[38:39]
	v_mov_b32_e32 v15, 0
	v_mov_b32_e32 v28, 0
	s_cbranch_vccz .LBB0_134
.LBB0_101:
	s_andn2_b64 vcc, exec, s[40:41]
	s_cbranch_vccz .LBB0_135
.LBB0_102:
	s_andn2_b64 vcc, exec, s[42:43]
	v_mov_b32_e32 v16, 0
	v_mov_b32_e32 v29, 0
	s_cbranch_vccz .LBB0_136
.LBB0_103:
	s_andn2_b64 vcc, exec, s[44:45]
	s_cbranch_vccz .LBB0_137
.LBB0_104:
	s_andn2_b64 vcc, exec, s[46:47]
	v_mov_b32_e32 v17, 0
	v_mov_b32_e32 v31, 0
	s_cbranch_vccz .LBB0_138
.LBB0_105:
	s_andn2_b64 vcc, exec, s[48:49]
	s_cbranch_vccz .LBB0_139
.LBB0_106:
	s_andn2_b64 vcc, exec, s[50:51]
	v_mov_b32_e32 v18, 0
	v_mov_b32_e32 v32, 0
	s_cbranch_vccz .LBB0_140
.LBB0_107:
	s_andn2_b64 vcc, exec, s[52:53]
	s_cbranch_vccz .LBB0_141
.LBB0_108:
	s_andn2_b64 vcc, exec, s[54:55]
	v_mov_b32_e32 v19, 0
	v_mov_b32_e32 v33, 0
	s_cbranch_vccz .LBB0_142
.LBB0_109:
	s_andn2_b64 vcc, exec, s[56:57]
	s_cbranch_vccz .LBB0_143
.LBB0_110:
	s_andn2_b64 vcc, exec, s[58:59]
	v_mov_b32_e32 v20, 0
	v_mov_b32_e32 v34, 0
	s_cbranch_vccz .LBB0_144
.LBB0_111:
	s_andn2_b64 vcc, exec, s[60:61]
	s_cbranch_vccz .LBB0_145
.LBB0_112:
	s_andn2_b64 vcc, exec, s[64:65]
	v_mov_b32_e32 v25, 0
	v_mov_b32_e32 v35, 0
	s_cbranch_vccz .LBB0_146
.LBB0_113:
	s_andn2_b64 vcc, exec, s[66:67]
	s_cbranch_vccz .LBB0_147
.LBB0_114:
	s_andn2_b64 vcc, exec, s[68:69]
	v_mov_b32_e32 v30, 0
	s_cbranch_vccnz .LBB0_116
.LBB0_115:
	ds_read_b32 v7, v7 offset:124
	s_waitcnt lgkmcnt(0)
	v_mul_f32_e32 v30, v39, v7
.LBB0_116:
	v_add_f32_e32 v7, v8, v36
	v_add_f32_e32 v4, v7, v4
	;; [unrolled: 1-line block ×32, first 2 shown]
	v_mad_i64_i32 v[0:1], s[0:1], s33, v6, 0
	v_lshl_add_u64 v[0:1], v[0:1], 2, v[2:3]
	global_store_dword v[0:1], v4, off
.LBB0_117:
	s_endpgm
.LBB0_118:
	ds_read_b32 v4, v7 offset:4
	s_waitcnt lgkmcnt(0)
	v_mul_f32_e32 v4, v21, v4
	s_andn2_b64 vcc, exec, s[4:5]
	s_cbranch_vccnz .LBB0_86
.LBB0_119:
	ds_read_b32 v1, v7 offset:8
	s_waitcnt lgkmcnt(0)
	v_mul_f32_e32 v1, v0, v1
	s_andn2_b64 vcc, exec, s[6:7]
	v_mov_b32_e32 v0, 0
	v_mov_b32_e32 v5, 0
	s_cbranch_vccnz .LBB0_87
.LBB0_120:
	ds_read_b32 v5, v7 offset:12
	s_waitcnt lgkmcnt(0)
	v_mul_f32_e32 v5, v22, v5
	s_andn2_b64 vcc, exec, s[8:9]
	s_cbranch_vccnz .LBB0_88
.LBB0_121:
	ds_read_b32 v0, v7 offset:16
	s_waitcnt lgkmcnt(0)
	v_mul_f32_e32 v0, v9, v0
	s_andn2_b64 vcc, exec, s[10:11]
	v_mov_b32_e32 v9, 0
	v_mov_b32_e32 v21, 0
	s_cbranch_vccnz .LBB0_89
.LBB0_122:
	ds_read_b32 v21, v7 offset:20
	s_waitcnt lgkmcnt(0)
	v_mul_f32_e32 v21, v23, v21
	s_andn2_b64 vcc, exec, s[12:13]
	s_cbranch_vccnz .LBB0_90
.LBB0_123:
	ds_read_b32 v9, v7 offset:24
	s_waitcnt lgkmcnt(0)
	v_mul_f32_e32 v9, v10, v9
	s_andn2_b64 vcc, exec, s[16:17]
	v_mov_b32_e32 v10, 0
	v_mov_b32_e32 v22, 0
	s_cbranch_vccnz .LBB0_91
.LBB0_124:
	ds_read_b32 v22, v7 offset:28
	s_waitcnt lgkmcnt(0)
	v_mul_f32_e32 v22, v24, v22
	s_andn2_b64 vcc, exec, s[18:19]
	s_cbranch_vccnz .LBB0_92
.LBB0_125:
	ds_read_b32 v10, v7 offset:32
	s_waitcnt lgkmcnt(0)
	v_mul_f32_e32 v10, v11, v10
	s_andn2_b64 vcc, exec, s[20:21]
	v_mov_b32_e32 v11, 0
	v_mov_b32_e32 v23, 0
	s_cbranch_vccnz .LBB0_93
.LBB0_126:
	ds_read_b32 v23, v7 offset:36
	s_waitcnt lgkmcnt(0)
	v_mul_f32_e32 v23, v26, v23
	s_andn2_b64 vcc, exec, s[22:23]
	s_cbranch_vccnz .LBB0_94
.LBB0_127:
	ds_read_b32 v11, v7 offset:40
	s_waitcnt lgkmcnt(0)
	v_mul_f32_e32 v11, v12, v11
	s_andn2_b64 vcc, exec, s[24:25]
	v_mov_b32_e32 v12, 0
	v_mov_b32_e32 v24, 0
	s_cbranch_vccnz .LBB0_95
.LBB0_128:
	ds_read_b32 v24, v7 offset:44
	s_waitcnt lgkmcnt(0)
	v_mul_f32_e32 v24, v27, v24
	s_andn2_b64 vcc, exec, s[26:27]
	s_cbranch_vccnz .LBB0_96
.LBB0_129:
	ds_read_b32 v12, v7 offset:48
	s_waitcnt lgkmcnt(0)
	v_mul_f32_e32 v12, v13, v12
	s_andn2_b64 vcc, exec, s[28:29]
	v_mov_b32_e32 v13, 0
	v_mov_b32_e32 v26, 0
	s_cbranch_vccnz .LBB0_97
.LBB0_130:
	ds_read_b32 v26, v7 offset:52
	s_waitcnt lgkmcnt(0)
	v_mul_f32_e32 v26, v28, v26
	s_andn2_b64 vcc, exec, s[30:31]
	s_cbranch_vccnz .LBB0_98
.LBB0_131:
	ds_read_b32 v13, v7 offset:56
	s_waitcnt lgkmcnt(0)
	v_mul_f32_e32 v13, v14, v13
	s_andn2_b64 vcc, exec, s[34:35]
	v_mov_b32_e32 v14, 0
	v_mov_b32_e32 v27, 0
	s_cbranch_vccnz .LBB0_99
.LBB0_132:
	ds_read_b32 v27, v7 offset:60
	s_waitcnt lgkmcnt(0)
	v_mul_f32_e32 v27, v29, v27
	s_andn2_b64 vcc, exec, s[36:37]
	s_cbranch_vccnz .LBB0_100
.LBB0_133:
	ds_read_b32 v14, v7 offset:64
	s_waitcnt lgkmcnt(0)
	v_mul_f32_e32 v14, v15, v14
	s_andn2_b64 vcc, exec, s[38:39]
	v_mov_b32_e32 v15, 0
	v_mov_b32_e32 v28, 0
	s_cbranch_vccnz .LBB0_101
.LBB0_134:
	ds_read_b32 v28, v7 offset:68
	s_waitcnt lgkmcnt(0)
	v_mul_f32_e32 v28, v31, v28
	s_andn2_b64 vcc, exec, s[40:41]
	s_cbranch_vccnz .LBB0_102
.LBB0_135:
	ds_read_b32 v15, v7 offset:72
	s_waitcnt lgkmcnt(0)
	v_mul_f32_e32 v15, v16, v15
	s_andn2_b64 vcc, exec, s[42:43]
	v_mov_b32_e32 v16, 0
	v_mov_b32_e32 v29, 0
	s_cbranch_vccnz .LBB0_103
.LBB0_136:
	ds_read_b32 v29, v7 offset:76
	s_waitcnt lgkmcnt(0)
	v_mul_f32_e32 v29, v32, v29
	s_andn2_b64 vcc, exec, s[44:45]
	s_cbranch_vccnz .LBB0_104
.LBB0_137:
	ds_read_b32 v16, v7 offset:80
	s_waitcnt lgkmcnt(0)
	v_mul_f32_e32 v16, v17, v16
	s_andn2_b64 vcc, exec, s[46:47]
	v_mov_b32_e32 v17, 0
	v_mov_b32_e32 v31, 0
	s_cbranch_vccnz .LBB0_105
.LBB0_138:
	ds_read_b32 v31, v7 offset:84
	s_waitcnt lgkmcnt(0)
	v_mul_f32_e32 v31, v33, v31
	s_andn2_b64 vcc, exec, s[48:49]
	s_cbranch_vccnz .LBB0_106
.LBB0_139:
	ds_read_b32 v17, v7 offset:88
	s_waitcnt lgkmcnt(0)
	v_mul_f32_e32 v17, v18, v17
	s_andn2_b64 vcc, exec, s[50:51]
	v_mov_b32_e32 v18, 0
	v_mov_b32_e32 v32, 0
	s_cbranch_vccnz .LBB0_107
.LBB0_140:
	ds_read_b32 v32, v7 offset:92
	s_waitcnt lgkmcnt(0)
	v_mul_f32_e32 v32, v34, v32
	s_andn2_b64 vcc, exec, s[52:53]
	s_cbranch_vccnz .LBB0_108
.LBB0_141:
	ds_read_b32 v18, v7 offset:96
	s_waitcnt lgkmcnt(0)
	v_mul_f32_e32 v18, v19, v18
	s_andn2_b64 vcc, exec, s[54:55]
	v_mov_b32_e32 v19, 0
	v_mov_b32_e32 v33, 0
	s_cbranch_vccnz .LBB0_109
.LBB0_142:
	ds_read_b32 v33, v7 offset:100
	s_waitcnt lgkmcnt(0)
	v_mul_f32_e32 v33, v35, v33
	s_andn2_b64 vcc, exec, s[56:57]
	s_cbranch_vccnz .LBB0_110
.LBB0_143:
	ds_read_b32 v19, v7 offset:104
	s_waitcnt lgkmcnt(0)
	v_mul_f32_e32 v19, v20, v19
	s_andn2_b64 vcc, exec, s[58:59]
	v_mov_b32_e32 v20, 0
	v_mov_b32_e32 v34, 0
	s_cbranch_vccnz .LBB0_111
.LBB0_144:
	ds_read_b32 v34, v7 offset:108
	s_waitcnt lgkmcnt(0)
	v_mul_f32_e32 v34, v37, v34
	s_andn2_b64 vcc, exec, s[60:61]
	s_cbranch_vccnz .LBB0_112
.LBB0_145:
	ds_read_b32 v20, v7 offset:112
	s_waitcnt lgkmcnt(0)
	v_mul_f32_e32 v20, v25, v20
	s_andn2_b64 vcc, exec, s[64:65]
	v_mov_b32_e32 v25, 0
	v_mov_b32_e32 v35, 0
	s_cbranch_vccnz .LBB0_113
.LBB0_146:
	ds_read_b32 v35, v7 offset:116
	s_waitcnt lgkmcnt(0)
	v_mul_f32_e32 v35, v38, v35
	s_andn2_b64 vcc, exec, s[66:67]
	s_cbranch_vccnz .LBB0_114
.LBB0_147:
	ds_read_b32 v25, v7 offset:120
	s_waitcnt lgkmcnt(0)
	v_mul_f32_e32 v25, v30, v25
	s_andn2_b64 vcc, exec, s[68:69]
	v_mov_b32_e32 v30, 0
	s_cbranch_vccz .LBB0_115
	s_branch .LBB0_116
	.section	.rodata,"a",@progbits
	.p2align	6, 0x0
	.amdhsa_kernel _ZL34rocblas_gemvn_sm_mn_batched_kernelILi32ELi24EfPKffEviiT2_lPKT1_lilS5_lilS2_lPT3_lili
		.amdhsa_group_segment_fixed_size 3072
		.amdhsa_private_segment_fixed_size 0
		.amdhsa_kernarg_size 400
		.amdhsa_user_sgpr_count 2
		.amdhsa_user_sgpr_dispatch_ptr 0
		.amdhsa_user_sgpr_queue_ptr 0
		.amdhsa_user_sgpr_kernarg_segment_ptr 1
		.amdhsa_user_sgpr_dispatch_id 0
		.amdhsa_user_sgpr_kernarg_preload_length 0
		.amdhsa_user_sgpr_kernarg_preload_offset 0
		.amdhsa_user_sgpr_private_segment_size 0
		.amdhsa_uses_dynamic_stack 0
		.amdhsa_enable_private_segment 0
		.amdhsa_system_sgpr_workgroup_id_x 1
		.amdhsa_system_sgpr_workgroup_id_y 0
		.amdhsa_system_sgpr_workgroup_id_z 0
		.amdhsa_system_sgpr_workgroup_info 0
		.amdhsa_system_vgpr_workitem_id 1
		.amdhsa_next_free_vgpr 42
		.amdhsa_next_free_sgpr 70
		.amdhsa_accum_offset 44
		.amdhsa_reserve_vcc 1
		.amdhsa_float_round_mode_32 0
		.amdhsa_float_round_mode_16_64 0
		.amdhsa_float_denorm_mode_32 3
		.amdhsa_float_denorm_mode_16_64 3
		.amdhsa_dx10_clamp 1
		.amdhsa_ieee_mode 1
		.amdhsa_fp16_overflow 0
		.amdhsa_tg_split 0
		.amdhsa_exception_fp_ieee_invalid_op 0
		.amdhsa_exception_fp_denorm_src 0
		.amdhsa_exception_fp_ieee_div_zero 0
		.amdhsa_exception_fp_ieee_overflow 0
		.amdhsa_exception_fp_ieee_underflow 0
		.amdhsa_exception_fp_ieee_inexact 0
		.amdhsa_exception_int_div_zero 0
	.end_amdhsa_kernel
	.section	.text._ZL34rocblas_gemvn_sm_mn_batched_kernelILi32ELi24EfPKffEviiT2_lPKT1_lilS5_lilS2_lPT3_lili,"axG",@progbits,_ZL34rocblas_gemvn_sm_mn_batched_kernelILi32ELi24EfPKffEviiT2_lPKT1_lilS5_lilS2_lPT3_lili,comdat
.Lfunc_end0:
	.size	_ZL34rocblas_gemvn_sm_mn_batched_kernelILi32ELi24EfPKffEviiT2_lPKT1_lilS5_lilS2_lPT3_lili, .Lfunc_end0-_ZL34rocblas_gemvn_sm_mn_batched_kernelILi32ELi24EfPKffEviiT2_lPKT1_lilS5_lilS2_lPT3_lili
                                        ; -- End function
	.section	.AMDGPU.csdata,"",@progbits
; Kernel info:
; codeLenInByte = 3416
; NumSgprs: 76
; NumVgprs: 42
; NumAgprs: 0
; TotalNumVgprs: 42
; ScratchSize: 0
; MemoryBound: 0
; FloatMode: 240
; IeeeMode: 1
; LDSByteSize: 3072 bytes/workgroup (compile time only)
; SGPRBlocks: 9
; VGPRBlocks: 5
; NumSGPRsForWavesPerEU: 76
; NumVGPRsForWavesPerEU: 42
; AccumOffset: 44
; Occupancy: 6
; WaveLimiterHint : 1
; COMPUTE_PGM_RSRC2:SCRATCH_EN: 0
; COMPUTE_PGM_RSRC2:USER_SGPR: 2
; COMPUTE_PGM_RSRC2:TRAP_HANDLER: 0
; COMPUTE_PGM_RSRC2:TGID_X_EN: 1
; COMPUTE_PGM_RSRC2:TGID_Y_EN: 0
; COMPUTE_PGM_RSRC2:TGID_Z_EN: 0
; COMPUTE_PGM_RSRC2:TIDIG_COMP_CNT: 1
; COMPUTE_PGM_RSRC3_GFX90A:ACCUM_OFFSET: 10
; COMPUTE_PGM_RSRC3_GFX90A:TG_SPLIT: 0
	.section	.text._ZL34rocblas_gemvn_sm_mn_batched_kernelILi32ELi24EfffEviiT2_lPKT1_lilS3_lilS0_lPT3_lili,"axG",@progbits,_ZL34rocblas_gemvn_sm_mn_batched_kernelILi32ELi24EfffEviiT2_lPKT1_lilS3_lilS0_lPT3_lili,comdat
	.globl	_ZL34rocblas_gemvn_sm_mn_batched_kernelILi32ELi24EfffEviiT2_lPKT1_lilS3_lilS0_lPT3_lili ; -- Begin function _ZL34rocblas_gemvn_sm_mn_batched_kernelILi32ELi24EfffEviiT2_lPKT1_lilS3_lilS0_lPT3_lili
	.p2align	8
	.type	_ZL34rocblas_gemvn_sm_mn_batched_kernelILi32ELi24EfffEviiT2_lPKT1_lilS3_lilS0_lPT3_lili,@function
_ZL34rocblas_gemvn_sm_mn_batched_kernelILi32ELi24EfffEviiT2_lPKT1_lilS3_lilS0_lPT3_lili: ; @_ZL34rocblas_gemvn_sm_mn_batched_kernelILi32ELi24EfffEviiT2_lPKT1_lilS3_lilS0_lPT3_lili
; %bb.0:
	s_load_dword s3, s[0:1], 0x9c
	s_load_dword s4, s[0:1], 0x88
	v_bfe_u32 v1, v0, 10, 10
	s_waitcnt lgkmcnt(0)
	s_lshr_b32 s3, s3, 16
	s_mul_i32 s2, s2, s3
	v_add_u32_e32 v4, s2, v1
	v_cmp_gt_i32_e32 vcc, s4, v4
	s_and_saveexec_b64 s[2:3], vcc
	s_cbranch_execz .LBB1_8
; %bb.1:
	s_load_dwordx4 s[4:7], s[0:1], 0x0
	s_waitcnt lgkmcnt(0)
	s_load_dword s7, s[0:1], 0x58
	v_cmp_eq_f32_e64 s[2:3], s6, 0
	s_waitcnt lgkmcnt(0)
	v_cmp_eq_f32_e64 s[8:9], s7, 1.0
	s_and_b64 s[2:3], s[2:3], s[8:9]
	s_and_b64 vcc, exec, s[2:3]
	s_cbranch_vccnz .LBB1_8
; %bb.2:
	s_load_dwordx2 s[2:3], s[0:1], 0x80
	s_load_dwordx4 s[8:11], s[0:1], 0x68
	s_load_dword s33, s[0:1], 0x78
	s_waitcnt lgkmcnt(0)
	v_mad_u64_u32 v[2:3], s[12:13], v4, s2, 0
	v_mov_b32_e32 v6, v3
	v_mad_u64_u32 v[6:7], s[2:3], v4, s3, v[6:7]
	s_lshl_b64 s[2:3], s[10:11], 2
	s_add_u32 s2, s2, s8
	v_mov_b32_e32 v3, v6
	s_addc_u32 s3, s3, s9
	v_lshl_add_u64 v[2:3], v[2:3], 2, s[2:3]
	v_and_b32_e32 v6, 0x3ff, v0
	v_cmp_neq_f32_e64 s[2:3], s6, 0
	s_and_b64 vcc, exec, s[2:3]
	v_cmp_gt_i32_e64 s[2:3], s4, v6
	s_cbranch_vccnz .LBB1_7
; %bb.3:
	v_cmp_eq_f32_e64 s[8:9], s7, 0
	s_and_b64 vcc, exec, s[8:9]
	s_cbranch_vccz .LBB1_9
; %bb.4:
	s_and_saveexec_b64 s[8:9], s[2:3]
	s_cbranch_execz .LBB1_6
; %bb.5:
	v_mad_i64_i32 v[8:9], s[10:11], s33, v6, 0
	v_lshl_add_u64 v[8:9], v[8:9], 2, v[2:3]
	v_mov_b32_e32 v0, 0
	global_store_dword v[8:9], v0, off
.LBB1_6:
	s_or_b64 exec, exec, s[8:9]
	s_cbranch_execz .LBB1_10
	s_branch .LBB1_13
.LBB1_7:
	s_branch .LBB1_14
.LBB1_8:
	s_endpgm
.LBB1_9:
.LBB1_10:
	s_and_saveexec_b64 s[8:9], s[2:3]
	s_cbranch_execz .LBB1_12
; %bb.11:
	v_mad_i64_i32 v[8:9], s[2:3], s33, v6, 0
	v_lshl_add_u64 v[8:9], v[8:9], 2, v[2:3]
	global_load_dword v0, v[8:9], off
	s_waitcnt vmcnt(0)
	v_mul_f32_e32 v0, s7, v0
	global_store_dword v[8:9], v0, off
.LBB1_12:
	s_or_b64 exec, exec, s[8:9]
.LBB1_13:
	s_cbranch_execnz .LBB1_8
.LBB1_14:
	s_load_dwordx4 s[8:11], s[0:1], 0x30
	s_load_dwordx2 s[12:13], s[0:1], 0x40
	v_lshlrev_b32_e32 v7, 7, v1
	v_cmp_gt_i32_e32 vcc, s5, v6
	s_and_saveexec_b64 s[2:3], vcc
	s_cbranch_execz .LBB1_16
; %bb.15:
	s_load_dwordx2 s[14:15], s[0:1], 0x50
	s_load_dword s18, s[0:1], 0x48
	s_waitcnt lgkmcnt(0)
	s_lshl_b64 s[12:13], s[12:13], 2
	s_add_u32 s10, s12, s10
	s_addc_u32 s11, s13, s11
	v_mad_u64_u32 v[0:1], s[16:17], v4, s14, 0
	v_mov_b32_e32 v8, v1
	v_mad_u64_u32 v[8:9], s[14:15], v4, s15, v[8:9]
	v_mov_b32_e32 v1, v8
	v_lshl_add_u64 v[0:1], v[0:1], 2, s[10:11]
	v_mad_i64_i32 v[8:9], s[10:11], s18, v6, 0
	v_lshl_add_u64 v[0:1], v[8:9], 2, v[0:1]
	global_load_dword v0, v[0:1], off
	v_lshl_add_u32 v1, v6, 2, v7
	s_waitcnt vmcnt(0)
	v_mul_f32_e32 v0, s6, v0
	ds_write_b32 v1, v0
.LBB1_16:
	s_or_b64 exec, exec, s[2:3]
	v_cmp_gt_i32_e32 vcc, s4, v6
	s_waitcnt lgkmcnt(0)
	s_barrier
	s_and_b64 exec, exec, vcc
	s_cbranch_execz .LBB1_8
; %bb.17:
	v_cmp_eq_f32_e64 s[2:3], s7, 0
	v_mov_b32_e32 v8, 0
	v_mov_b32_e32 v1, 0
	s_and_b64 vcc, exec, s[2:3]
	s_cbranch_vccnz .LBB1_19
; %bb.18:
	v_mad_i64_i32 v[8:9], s[2:3], s33, v6, 0
	v_lshl_add_u64 v[8:9], v[8:9], 2, v[2:3]
	global_load_dword v0, v[8:9], off
	s_waitcnt vmcnt(0)
	v_mul_f32_e32 v8, s7, v0
.LBB1_19:
	s_load_dwordx4 s[12:15], s[0:1], 0x18
	v_mad_u64_u32 v[10:11], s[2:3], v4, s8, 0
	v_mov_b32_e32 v0, v11
	v_mad_u64_u32 v[4:5], s[2:3], v4, s9, v[0:1]
	s_waitcnt lgkmcnt(0)
	s_lshl_b64 s[2:3], s[14:15], 2
	s_add_u32 s2, s2, s12
	v_mov_b32_e32 v11, v4
	s_addc_u32 s3, s3, s13
	v_lshl_add_u64 v[4:5], v[10:11], 2, s[2:3]
	v_lshlrev_b32_e32 v0, 2, v6
	s_cmp_gt_i32 s5, 0
	s_cselect_b64 s[2:3], -1, 0
	s_cmp_lt_i32 s5, 1
	v_lshl_add_u64 v[4:5], v[4:5], 0, v[0:1]
	s_cbranch_scc1 .LBB1_21
; %bb.20:
	global_load_dword v1, v[4:5], off
.LBB1_21:
	s_load_dword s62, s[0:1], 0x28
	v_mov_b32_e32 v0, 0
	v_mov_b32_e32 v21, 0
	s_waitcnt lgkmcnt(0)
	s_ashr_i32 s63, s62, 31
	s_cmp_gt_i32 s5, 1
	s_cselect_b64 s[0:1], -1, 0
	s_cmp_lt_i32 s5, 2
	s_cbranch_scc1 .LBB1_23
; %bb.22:
	v_lshl_add_u64 v[10:11], s[62:63], 2, v[4:5]
	global_load_dword v21, v[10:11], off
.LBB1_23:
	s_cmp_gt_i32 s5, 2
	s_cselect_b64 s[6:7], -1, 0
	s_cmp_lt_i32 s5, 3
	s_cbranch_scc1 .LBB1_25
; %bb.24:
	v_lshl_add_u64 v[10:11], s[62:63], 3, v[4:5]
	global_load_dword v0, v[10:11], off
.LBB1_25:
	s_cmp_gt_i32 s5, 3
	s_cselect_b64 s[8:9], -1, 0
	s_cmp_lt_i32 s5, 4
	v_mov_b32_e32 v9, 0
	v_mov_b32_e32 v22, 0
	s_cbranch_scc1 .LBB1_27
; %bb.26:
	v_mad_i64_i32 v[10:11], s[10:11], s62, 12, v[4:5]
	global_load_dword v22, v[10:11], off
.LBB1_27:
	s_cmp_gt_i32 s5, 4
	s_cselect_b64 s[10:11], -1, 0
	s_cmp_lt_i32 s5, 5
	s_cbranch_scc1 .LBB1_29
; %bb.28:
	v_lshl_add_u64 v[10:11], s[62:63], 4, v[4:5]
	global_load_dword v9, v[10:11], off
.LBB1_29:
	s_cmp_gt_i32 s5, 5
	s_cselect_b64 s[12:13], -1, 0
	s_cmp_lt_i32 s5, 6
	v_mov_b32_e32 v10, 0
	v_mov_b32_e32 v23, 0
	s_cbranch_scc1 .LBB1_31
; %bb.30:
	v_mad_i64_i32 v[12:13], s[14:15], s62, 20, v[4:5]
	global_load_dword v23, v[12:13], off
.LBB1_31:
	s_cmp_gt_i32 s5, 6
	s_cselect_b64 s[14:15], -1, 0
	s_cmp_lt_i32 s5, 7
	s_cbranch_scc1 .LBB1_33
; %bb.32:
	v_mad_i64_i32 v[10:11], s[16:17], s62, 24, v[4:5]
	global_load_dword v10, v[10:11], off
.LBB1_33:
	s_cmp_gt_i32 s5, 7
	s_cselect_b64 s[16:17], -1, 0
	s_cmp_lt_i32 s5, 8
	v_mov_b32_e32 v11, 0
	v_mov_b32_e32 v24, 0
	s_cbranch_scc1 .LBB1_35
; %bb.34:
	v_mad_i64_i32 v[12:13], s[18:19], s62, 28, v[4:5]
	global_load_dword v24, v[12:13], off
.LBB1_35:
	s_cmp_gt_i32 s5, 8
	s_cselect_b64 s[18:19], -1, 0
	s_cmp_lt_i32 s5, 9
	s_cbranch_scc1 .LBB1_37
; %bb.36:
	s_lshl_b64 s[20:21], s[62:63], 5
	v_lshl_add_u64 v[12:13], v[4:5], 0, s[20:21]
	global_load_dword v11, v[12:13], off
.LBB1_37:
	s_cmp_gt_i32 s5, 9
	s_cselect_b64 s[20:21], -1, 0
	s_cmp_lt_i32 s5, 10
	v_mov_b32_e32 v12, 0
	v_mov_b32_e32 v26, 0
	s_cbranch_scc1 .LBB1_39
; %bb.38:
	v_mad_i64_i32 v[14:15], s[22:23], s62, 36, v[4:5]
	global_load_dword v26, v[14:15], off
.LBB1_39:
	s_cmp_gt_i32 s5, 10
	s_cselect_b64 s[22:23], -1, 0
	s_cmp_lt_i32 s5, 11
	s_cbranch_scc1 .LBB1_41
; %bb.40:
	v_mad_i64_i32 v[12:13], s[24:25], s62, 40, v[4:5]
	global_load_dword v12, v[12:13], off
.LBB1_41:
	s_cmp_gt_i32 s5, 11
	s_cselect_b64 s[24:25], -1, 0
	s_cmp_lt_i32 s5, 12
	v_mov_b32_e32 v13, 0
	v_mov_b32_e32 v27, 0
	s_cbranch_scc1 .LBB1_43
; %bb.42:
	v_mad_i64_i32 v[14:15], s[26:27], s62, 44, v[4:5]
	global_load_dword v27, v[14:15], off
.LBB1_43:
	s_cmp_gt_i32 s5, 12
	s_cselect_b64 s[26:27], -1, 0
	s_cmp_lt_i32 s5, 13
	s_cbranch_scc1 .LBB1_45
; %bb.44:
	v_mad_i64_i32 v[14:15], s[28:29], s62, 48, v[4:5]
	global_load_dword v13, v[14:15], off
.LBB1_45:
	;; [unrolled: 18-line block ×3, first 2 shown]
	s_cmp_gt_i32 s5, 15
	s_cselect_b64 s[34:35], -1, 0
	s_cmp_lt_i32 s5, 16
	v_mov_b32_e32 v15, 0
	v_mov_b32_e32 v29, 0
	s_cbranch_scc1 .LBB1_51
; %bb.50:
	v_mad_i64_i32 v[16:17], s[36:37], s62, 60, v[4:5]
	global_load_dword v29, v[16:17], off
.LBB1_51:
	s_cmp_gt_i32 s5, 16
	s_cselect_b64 s[36:37], -1, 0
	s_cmp_lt_i32 s5, 17
	s_cbranch_scc1 .LBB1_53
; %bb.52:
	s_lshl_b64 s[38:39], s[62:63], 6
	v_lshl_add_u64 v[16:17], v[4:5], 0, s[38:39]
	global_load_dword v15, v[16:17], off
.LBB1_53:
	s_cmp_gt_i32 s5, 17
	s_cselect_b64 s[38:39], -1, 0
	s_cmp_lt_i32 s5, 18
	v_mov_b32_e32 v16, 0
	v_mov_b32_e32 v31, 0
	s_cbranch_scc1 .LBB1_55
; %bb.54:
	v_mov_b32_e32 v17, 0x44
	v_mad_i64_i32 v[18:19], s[40:41], s62, v17, v[4:5]
	global_load_dword v31, v[18:19], off
.LBB1_55:
	s_cmp_gt_i32 s5, 18
	s_cselect_b64 s[40:41], -1, 0
	s_cmp_lt_i32 s5, 19
	s_cbranch_scc1 .LBB1_57
; %bb.56:
	v_mov_b32_e32 v16, 0x48
	v_mad_i64_i32 v[16:17], s[42:43], s62, v16, v[4:5]
	global_load_dword v16, v[16:17], off
.LBB1_57:
	s_cmp_gt_i32 s5, 19
	s_cselect_b64 s[42:43], -1, 0
	s_cmp_lt_i32 s5, 20
	v_mov_b32_e32 v17, 0
	v_mov_b32_e32 v32, 0
	s_cbranch_scc1 .LBB1_59
; %bb.58:
	v_mov_b32_e32 v18, 0x4c
	v_mad_i64_i32 v[18:19], s[44:45], s62, v18, v[4:5]
	global_load_dword v32, v[18:19], off
.LBB1_59:
	s_cmp_gt_i32 s5, 20
	s_cselect_b64 s[44:45], -1, 0
	s_cmp_lt_i32 s5, 21
	s_cbranch_scc1 .LBB1_61
; %bb.60:
	v_mov_b32_e32 v17, 0x50
	v_mad_i64_i32 v[18:19], s[46:47], s62, v17, v[4:5]
	global_load_dword v17, v[18:19], off
.LBB1_61:
	;; [unrolled: 20-line block ×7, first 2 shown]
	s_cmp_gt_i32 s5, 31
	s_cselect_b64 s[68:69], -1, 0
	s_cmp_lt_i32 s5, 32
	v_mov_b32_e32 v36, 0
	v_mov_b32_e32 v39, 0
	s_cbranch_scc1 .LBB1_83
; %bb.82:
	v_mov_b32_e32 v39, 0x7c
	v_mad_i64_i32 v[4:5], s[4:5], s62, v39, v[4:5]
	global_load_dword v39, v[4:5], off
.LBB1_83:
	s_andn2_b64 vcc, exec, s[2:3]
	s_cbranch_vccnz .LBB1_85
; %bb.84:
	ds_read_b32 v4, v7
	s_waitcnt vmcnt(0) lgkmcnt(0)
	v_mul_f32_e32 v36, v1, v4
.LBB1_85:
	s_andn2_b64 vcc, exec, s[0:1]
	s_waitcnt vmcnt(0)
	v_mov_b32_e32 v1, 0
	v_mov_b32_e32 v4, 0
	s_cbranch_vccz .LBB1_118
; %bb.86:
	s_andn2_b64 vcc, exec, s[6:7]
	s_cbranch_vccz .LBB1_119
.LBB1_87:
	s_andn2_b64 vcc, exec, s[8:9]
	v_mov_b32_e32 v0, 0
	v_mov_b32_e32 v5, 0
	s_cbranch_vccz .LBB1_120
.LBB1_88:
	s_andn2_b64 vcc, exec, s[10:11]
	s_cbranch_vccz .LBB1_121
.LBB1_89:
	s_andn2_b64 vcc, exec, s[12:13]
	v_mov_b32_e32 v9, 0
	v_mov_b32_e32 v21, 0
	s_cbranch_vccz .LBB1_122
.LBB1_90:
	s_andn2_b64 vcc, exec, s[14:15]
	s_cbranch_vccz .LBB1_123
.LBB1_91:
	s_andn2_b64 vcc, exec, s[16:17]
	v_mov_b32_e32 v10, 0
	v_mov_b32_e32 v22, 0
	s_cbranch_vccz .LBB1_124
.LBB1_92:
	s_andn2_b64 vcc, exec, s[18:19]
	s_cbranch_vccz .LBB1_125
.LBB1_93:
	s_andn2_b64 vcc, exec, s[20:21]
	v_mov_b32_e32 v11, 0
	v_mov_b32_e32 v23, 0
	s_cbranch_vccz .LBB1_126
.LBB1_94:
	s_andn2_b64 vcc, exec, s[22:23]
	s_cbranch_vccz .LBB1_127
.LBB1_95:
	s_andn2_b64 vcc, exec, s[24:25]
	v_mov_b32_e32 v12, 0
	v_mov_b32_e32 v24, 0
	s_cbranch_vccz .LBB1_128
.LBB1_96:
	s_andn2_b64 vcc, exec, s[26:27]
	s_cbranch_vccz .LBB1_129
.LBB1_97:
	s_andn2_b64 vcc, exec, s[28:29]
	v_mov_b32_e32 v13, 0
	v_mov_b32_e32 v26, 0
	s_cbranch_vccz .LBB1_130
.LBB1_98:
	s_andn2_b64 vcc, exec, s[30:31]
	s_cbranch_vccz .LBB1_131
.LBB1_99:
	s_andn2_b64 vcc, exec, s[34:35]
	v_mov_b32_e32 v14, 0
	v_mov_b32_e32 v27, 0
	s_cbranch_vccz .LBB1_132
.LBB1_100:
	s_andn2_b64 vcc, exec, s[36:37]
	s_cbranch_vccz .LBB1_133
.LBB1_101:
	s_andn2_b64 vcc, exec, s[38:39]
	v_mov_b32_e32 v15, 0
	v_mov_b32_e32 v28, 0
	s_cbranch_vccz .LBB1_134
.LBB1_102:
	s_andn2_b64 vcc, exec, s[40:41]
	s_cbranch_vccz .LBB1_135
.LBB1_103:
	s_andn2_b64 vcc, exec, s[42:43]
	v_mov_b32_e32 v16, 0
	v_mov_b32_e32 v29, 0
	s_cbranch_vccz .LBB1_136
.LBB1_104:
	s_andn2_b64 vcc, exec, s[44:45]
	s_cbranch_vccz .LBB1_137
.LBB1_105:
	s_andn2_b64 vcc, exec, s[46:47]
	v_mov_b32_e32 v17, 0
	v_mov_b32_e32 v31, 0
	s_cbranch_vccz .LBB1_138
.LBB1_106:
	s_andn2_b64 vcc, exec, s[48:49]
	s_cbranch_vccz .LBB1_139
.LBB1_107:
	s_andn2_b64 vcc, exec, s[50:51]
	v_mov_b32_e32 v18, 0
	v_mov_b32_e32 v32, 0
	s_cbranch_vccz .LBB1_140
.LBB1_108:
	s_andn2_b64 vcc, exec, s[52:53]
	s_cbranch_vccz .LBB1_141
.LBB1_109:
	s_andn2_b64 vcc, exec, s[54:55]
	v_mov_b32_e32 v19, 0
	v_mov_b32_e32 v33, 0
	s_cbranch_vccz .LBB1_142
.LBB1_110:
	s_andn2_b64 vcc, exec, s[56:57]
	s_cbranch_vccz .LBB1_143
.LBB1_111:
	s_andn2_b64 vcc, exec, s[58:59]
	v_mov_b32_e32 v20, 0
	v_mov_b32_e32 v34, 0
	s_cbranch_vccz .LBB1_144
.LBB1_112:
	s_andn2_b64 vcc, exec, s[60:61]
	s_cbranch_vccz .LBB1_145
.LBB1_113:
	s_andn2_b64 vcc, exec, s[64:65]
	v_mov_b32_e32 v25, 0
	v_mov_b32_e32 v35, 0
	s_cbranch_vccz .LBB1_146
.LBB1_114:
	s_andn2_b64 vcc, exec, s[66:67]
	s_cbranch_vccz .LBB1_147
.LBB1_115:
	s_andn2_b64 vcc, exec, s[68:69]
	v_mov_b32_e32 v30, 0
	s_cbranch_vccnz .LBB1_117
.LBB1_116:
	ds_read_b32 v7, v7 offset:124
	s_waitcnt lgkmcnt(0)
	v_mul_f32_e32 v30, v39, v7
.LBB1_117:
	v_add_f32_e32 v7, v8, v36
	v_add_f32_e32 v4, v7, v4
	v_add_f32_e32 v1, v4, v1
	v_add_f32_e32 v1, v1, v5
	v_add_f32_e32 v0, v1, v0
	v_add_f32_e32 v0, v0, v21
	v_add_f32_e32 v0, v0, v9
	v_add_f32_e32 v0, v0, v22
	v_add_f32_e32 v0, v0, v10
	v_add_f32_e32 v0, v0, v23
	v_add_f32_e32 v0, v0, v11
	v_add_f32_e32 v0, v0, v24
	v_add_f32_e32 v0, v0, v12
	v_add_f32_e32 v0, v0, v26
	v_add_f32_e32 v0, v0, v13
	v_add_f32_e32 v0, v0, v27
	v_add_f32_e32 v0, v0, v14
	v_add_f32_e32 v0, v0, v28
	v_add_f32_e32 v0, v0, v15
	v_add_f32_e32 v0, v0, v29
	v_add_f32_e32 v0, v0, v16
	v_add_f32_e32 v0, v0, v31
	v_add_f32_e32 v0, v0, v17
	v_add_f32_e32 v0, v0, v32
	v_add_f32_e32 v0, v0, v18
	v_add_f32_e32 v0, v0, v33
	v_add_f32_e32 v0, v0, v19
	v_add_f32_e32 v0, v0, v34
	v_add_f32_e32 v0, v0, v20
	v_add_f32_e32 v0, v0, v35
	v_add_f32_e32 v0, v0, v25
	v_add_f32_e32 v4, v0, v30
	v_mad_i64_i32 v[0:1], s[0:1], s33, v6, 0
	v_lshl_add_u64 v[0:1], v[0:1], 2, v[2:3]
	global_store_dword v[0:1], v4, off
	s_endpgm
.LBB1_118:
	ds_read_b32 v4, v7 offset:4
	s_waitcnt lgkmcnt(0)
	v_mul_f32_e32 v4, v21, v4
	s_andn2_b64 vcc, exec, s[6:7]
	s_cbranch_vccnz .LBB1_87
.LBB1_119:
	ds_read_b32 v1, v7 offset:8
	s_waitcnt lgkmcnt(0)
	v_mul_f32_e32 v1, v0, v1
	s_andn2_b64 vcc, exec, s[8:9]
	v_mov_b32_e32 v0, 0
	v_mov_b32_e32 v5, 0
	s_cbranch_vccnz .LBB1_88
.LBB1_120:
	ds_read_b32 v5, v7 offset:12
	s_waitcnt lgkmcnt(0)
	v_mul_f32_e32 v5, v22, v5
	s_andn2_b64 vcc, exec, s[10:11]
	s_cbranch_vccnz .LBB1_89
.LBB1_121:
	ds_read_b32 v0, v7 offset:16
	s_waitcnt lgkmcnt(0)
	v_mul_f32_e32 v0, v9, v0
	s_andn2_b64 vcc, exec, s[12:13]
	v_mov_b32_e32 v9, 0
	v_mov_b32_e32 v21, 0
	s_cbranch_vccnz .LBB1_90
.LBB1_122:
	ds_read_b32 v21, v7 offset:20
	s_waitcnt lgkmcnt(0)
	v_mul_f32_e32 v21, v23, v21
	s_andn2_b64 vcc, exec, s[14:15]
	s_cbranch_vccnz .LBB1_91
.LBB1_123:
	ds_read_b32 v9, v7 offset:24
	s_waitcnt lgkmcnt(0)
	v_mul_f32_e32 v9, v10, v9
	s_andn2_b64 vcc, exec, s[16:17]
	v_mov_b32_e32 v10, 0
	v_mov_b32_e32 v22, 0
	s_cbranch_vccnz .LBB1_92
.LBB1_124:
	ds_read_b32 v22, v7 offset:28
	s_waitcnt lgkmcnt(0)
	v_mul_f32_e32 v22, v24, v22
	s_andn2_b64 vcc, exec, s[18:19]
	s_cbranch_vccnz .LBB1_93
.LBB1_125:
	ds_read_b32 v10, v7 offset:32
	s_waitcnt lgkmcnt(0)
	v_mul_f32_e32 v10, v11, v10
	s_andn2_b64 vcc, exec, s[20:21]
	v_mov_b32_e32 v11, 0
	v_mov_b32_e32 v23, 0
	s_cbranch_vccnz .LBB1_94
.LBB1_126:
	ds_read_b32 v23, v7 offset:36
	s_waitcnt lgkmcnt(0)
	v_mul_f32_e32 v23, v26, v23
	s_andn2_b64 vcc, exec, s[22:23]
	s_cbranch_vccnz .LBB1_95
.LBB1_127:
	ds_read_b32 v11, v7 offset:40
	s_waitcnt lgkmcnt(0)
	v_mul_f32_e32 v11, v12, v11
	s_andn2_b64 vcc, exec, s[24:25]
	v_mov_b32_e32 v12, 0
	v_mov_b32_e32 v24, 0
	s_cbranch_vccnz .LBB1_96
.LBB1_128:
	ds_read_b32 v24, v7 offset:44
	s_waitcnt lgkmcnt(0)
	v_mul_f32_e32 v24, v27, v24
	s_andn2_b64 vcc, exec, s[26:27]
	s_cbranch_vccnz .LBB1_97
.LBB1_129:
	ds_read_b32 v12, v7 offset:48
	s_waitcnt lgkmcnt(0)
	v_mul_f32_e32 v12, v13, v12
	s_andn2_b64 vcc, exec, s[28:29]
	v_mov_b32_e32 v13, 0
	v_mov_b32_e32 v26, 0
	s_cbranch_vccnz .LBB1_98
.LBB1_130:
	ds_read_b32 v26, v7 offset:52
	s_waitcnt lgkmcnt(0)
	v_mul_f32_e32 v26, v28, v26
	s_andn2_b64 vcc, exec, s[30:31]
	s_cbranch_vccnz .LBB1_99
.LBB1_131:
	ds_read_b32 v13, v7 offset:56
	s_waitcnt lgkmcnt(0)
	v_mul_f32_e32 v13, v14, v13
	s_andn2_b64 vcc, exec, s[34:35]
	v_mov_b32_e32 v14, 0
	v_mov_b32_e32 v27, 0
	s_cbranch_vccnz .LBB1_100
.LBB1_132:
	ds_read_b32 v27, v7 offset:60
	s_waitcnt lgkmcnt(0)
	v_mul_f32_e32 v27, v29, v27
	s_andn2_b64 vcc, exec, s[36:37]
	s_cbranch_vccnz .LBB1_101
.LBB1_133:
	ds_read_b32 v14, v7 offset:64
	s_waitcnt lgkmcnt(0)
	v_mul_f32_e32 v14, v15, v14
	s_andn2_b64 vcc, exec, s[38:39]
	v_mov_b32_e32 v15, 0
	v_mov_b32_e32 v28, 0
	s_cbranch_vccnz .LBB1_102
.LBB1_134:
	ds_read_b32 v28, v7 offset:68
	s_waitcnt lgkmcnt(0)
	v_mul_f32_e32 v28, v31, v28
	s_andn2_b64 vcc, exec, s[40:41]
	s_cbranch_vccnz .LBB1_103
.LBB1_135:
	ds_read_b32 v15, v7 offset:72
	s_waitcnt lgkmcnt(0)
	v_mul_f32_e32 v15, v16, v15
	s_andn2_b64 vcc, exec, s[42:43]
	v_mov_b32_e32 v16, 0
	v_mov_b32_e32 v29, 0
	s_cbranch_vccnz .LBB1_104
.LBB1_136:
	ds_read_b32 v29, v7 offset:76
	s_waitcnt lgkmcnt(0)
	v_mul_f32_e32 v29, v32, v29
	s_andn2_b64 vcc, exec, s[44:45]
	s_cbranch_vccnz .LBB1_105
.LBB1_137:
	ds_read_b32 v16, v7 offset:80
	s_waitcnt lgkmcnt(0)
	v_mul_f32_e32 v16, v17, v16
	s_andn2_b64 vcc, exec, s[46:47]
	v_mov_b32_e32 v17, 0
	v_mov_b32_e32 v31, 0
	s_cbranch_vccnz .LBB1_106
.LBB1_138:
	ds_read_b32 v31, v7 offset:84
	s_waitcnt lgkmcnt(0)
	v_mul_f32_e32 v31, v33, v31
	s_andn2_b64 vcc, exec, s[48:49]
	s_cbranch_vccnz .LBB1_107
.LBB1_139:
	ds_read_b32 v17, v7 offset:88
	s_waitcnt lgkmcnt(0)
	v_mul_f32_e32 v17, v18, v17
	s_andn2_b64 vcc, exec, s[50:51]
	v_mov_b32_e32 v18, 0
	v_mov_b32_e32 v32, 0
	s_cbranch_vccnz .LBB1_108
.LBB1_140:
	ds_read_b32 v32, v7 offset:92
	s_waitcnt lgkmcnt(0)
	v_mul_f32_e32 v32, v34, v32
	s_andn2_b64 vcc, exec, s[52:53]
	s_cbranch_vccnz .LBB1_109
.LBB1_141:
	ds_read_b32 v18, v7 offset:96
	s_waitcnt lgkmcnt(0)
	v_mul_f32_e32 v18, v19, v18
	s_andn2_b64 vcc, exec, s[54:55]
	v_mov_b32_e32 v19, 0
	v_mov_b32_e32 v33, 0
	s_cbranch_vccnz .LBB1_110
.LBB1_142:
	ds_read_b32 v33, v7 offset:100
	s_waitcnt lgkmcnt(0)
	v_mul_f32_e32 v33, v35, v33
	s_andn2_b64 vcc, exec, s[56:57]
	s_cbranch_vccnz .LBB1_111
.LBB1_143:
	ds_read_b32 v19, v7 offset:104
	s_waitcnt lgkmcnt(0)
	v_mul_f32_e32 v19, v20, v19
	s_andn2_b64 vcc, exec, s[58:59]
	v_mov_b32_e32 v20, 0
	v_mov_b32_e32 v34, 0
	s_cbranch_vccnz .LBB1_112
.LBB1_144:
	ds_read_b32 v34, v7 offset:108
	s_waitcnt lgkmcnt(0)
	v_mul_f32_e32 v34, v37, v34
	s_andn2_b64 vcc, exec, s[60:61]
	s_cbranch_vccnz .LBB1_113
.LBB1_145:
	ds_read_b32 v20, v7 offset:112
	s_waitcnt lgkmcnt(0)
	v_mul_f32_e32 v20, v25, v20
	s_andn2_b64 vcc, exec, s[64:65]
	v_mov_b32_e32 v25, 0
	v_mov_b32_e32 v35, 0
	s_cbranch_vccnz .LBB1_114
.LBB1_146:
	ds_read_b32 v35, v7 offset:116
	s_waitcnt lgkmcnt(0)
	v_mul_f32_e32 v35, v38, v35
	s_andn2_b64 vcc, exec, s[66:67]
	s_cbranch_vccnz .LBB1_115
.LBB1_147:
	ds_read_b32 v25, v7 offset:120
	s_waitcnt lgkmcnt(0)
	v_mul_f32_e32 v25, v30, v25
	s_andn2_b64 vcc, exec, s[68:69]
	v_mov_b32_e32 v30, 0
	s_cbranch_vccz .LBB1_116
	s_branch .LBB1_117
	.section	.rodata,"a",@progbits
	.p2align	6, 0x0
	.amdhsa_kernel _ZL34rocblas_gemvn_sm_mn_batched_kernelILi32ELi24EfffEviiT2_lPKT1_lilS3_lilS0_lPT3_lili
		.amdhsa_group_segment_fixed_size 3072
		.amdhsa_private_segment_fixed_size 0
		.amdhsa_kernarg_size 400
		.amdhsa_user_sgpr_count 2
		.amdhsa_user_sgpr_dispatch_ptr 0
		.amdhsa_user_sgpr_queue_ptr 0
		.amdhsa_user_sgpr_kernarg_segment_ptr 1
		.amdhsa_user_sgpr_dispatch_id 0
		.amdhsa_user_sgpr_kernarg_preload_length 0
		.amdhsa_user_sgpr_kernarg_preload_offset 0
		.amdhsa_user_sgpr_private_segment_size 0
		.amdhsa_uses_dynamic_stack 0
		.amdhsa_enable_private_segment 0
		.amdhsa_system_sgpr_workgroup_id_x 1
		.amdhsa_system_sgpr_workgroup_id_y 0
		.amdhsa_system_sgpr_workgroup_id_z 0
		.amdhsa_system_sgpr_workgroup_info 0
		.amdhsa_system_vgpr_workitem_id 1
		.amdhsa_next_free_vgpr 42
		.amdhsa_next_free_sgpr 70
		.amdhsa_accum_offset 44
		.amdhsa_reserve_vcc 1
		.amdhsa_float_round_mode_32 0
		.amdhsa_float_round_mode_16_64 0
		.amdhsa_float_denorm_mode_32 3
		.amdhsa_float_denorm_mode_16_64 3
		.amdhsa_dx10_clamp 1
		.amdhsa_ieee_mode 1
		.amdhsa_fp16_overflow 0
		.amdhsa_tg_split 0
		.amdhsa_exception_fp_ieee_invalid_op 0
		.amdhsa_exception_fp_denorm_src 0
		.amdhsa_exception_fp_ieee_div_zero 0
		.amdhsa_exception_fp_ieee_overflow 0
		.amdhsa_exception_fp_ieee_underflow 0
		.amdhsa_exception_fp_ieee_inexact 0
		.amdhsa_exception_int_div_zero 0
	.end_amdhsa_kernel
	.section	.text._ZL34rocblas_gemvn_sm_mn_batched_kernelILi32ELi24EfffEviiT2_lPKT1_lilS3_lilS0_lPT3_lili,"axG",@progbits,_ZL34rocblas_gemvn_sm_mn_batched_kernelILi32ELi24EfffEviiT2_lPKT1_lilS3_lilS0_lPT3_lili,comdat
.Lfunc_end1:
	.size	_ZL34rocblas_gemvn_sm_mn_batched_kernelILi32ELi24EfffEviiT2_lPKT1_lilS3_lilS0_lPT3_lili, .Lfunc_end1-_ZL34rocblas_gemvn_sm_mn_batched_kernelILi32ELi24EfffEviiT2_lPKT1_lilS3_lilS0_lPT3_lili
                                        ; -- End function
	.section	.AMDGPU.csdata,"",@progbits
; Kernel info:
; codeLenInByte = 3328
; NumSgprs: 76
; NumVgprs: 42
; NumAgprs: 0
; TotalNumVgprs: 42
; ScratchSize: 0
; MemoryBound: 0
; FloatMode: 240
; IeeeMode: 1
; LDSByteSize: 3072 bytes/workgroup (compile time only)
; SGPRBlocks: 9
; VGPRBlocks: 5
; NumSGPRsForWavesPerEU: 76
; NumVGPRsForWavesPerEU: 42
; AccumOffset: 44
; Occupancy: 6
; WaveLimiterHint : 1
; COMPUTE_PGM_RSRC2:SCRATCH_EN: 0
; COMPUTE_PGM_RSRC2:USER_SGPR: 2
; COMPUTE_PGM_RSRC2:TRAP_HANDLER: 0
; COMPUTE_PGM_RSRC2:TGID_X_EN: 1
; COMPUTE_PGM_RSRC2:TGID_Y_EN: 0
; COMPUTE_PGM_RSRC2:TGID_Z_EN: 0
; COMPUTE_PGM_RSRC2:TIDIG_COMP_CNT: 1
; COMPUTE_PGM_RSRC3_GFX90A:ACCUM_OFFSET: 10
; COMPUTE_PGM_RSRC3_GFX90A:TG_SPLIT: 0
	.section	.text._ZL20rocblas_gemvn_kernelILi64ELi4EifPKffEviiT3_lPKT2_lT1_lS5_lS6_lS2_lPT4_lS6_li,"axG",@progbits,_ZL20rocblas_gemvn_kernelILi64ELi4EifPKffEviiT3_lPKT2_lT1_lS5_lS6_lS2_lPT4_lS6_li,comdat
	.globl	_ZL20rocblas_gemvn_kernelILi64ELi4EifPKffEviiT3_lPKT2_lT1_lS5_lS6_lS2_lPT4_lS6_li ; -- Begin function _ZL20rocblas_gemvn_kernelILi64ELi4EifPKffEviiT3_lPKT2_lT1_lS5_lS6_lS2_lPT4_lS6_li
	.p2align	8
	.type	_ZL20rocblas_gemvn_kernelILi64ELi4EifPKffEviiT3_lPKT2_lT1_lS5_lS6_lS2_lPT4_lS6_li,@function
_ZL20rocblas_gemvn_kernelILi64ELi4EifPKffEviiT3_lPKT2_lT1_lS5_lS6_lS2_lPT4_lS6_li: ; @_ZL20rocblas_gemvn_kernelILi64ELi4EifPKffEviiT3_lPKT2_lT1_lS5_lS6_lS2_lPT4_lS6_li
; %bb.0:
	s_load_dwordx2 s[4:5], s[0:1], 0x9c
	s_waitcnt lgkmcnt(0)
	s_lshr_b32 s6, s4, 16
	s_and_b32 s4, s4, 0xffff
	s_and_b32 s5, s5, 0xffff
	s_mul_i32 s4, s6, s4
	s_mul_i32 s4, s4, s5
	s_cmpk_lg_i32 s4, 0x100
	s_cbranch_scc1 .LBB2_50
; %bb.1:
	s_load_dwordx8 s[12:19], s[0:1], 0x8
	s_load_dwordx8 s[4:11], s[0:1], 0x50
	s_waitcnt lgkmcnt(0)
	s_mul_i32 s15, s3, s15
	s_mul_hi_u32 s20, s3, s14
	s_mul_i32 s14, s3, s14
	s_add_i32 s15, s20, s15
	s_lshl_b64 s[14:15], s[14:15], 2
	s_add_u32 s12, s12, s14
	s_addc_u32 s13, s13, s15
	s_mul_i32 s9, s3, s9
	s_load_dword s29, s[12:13], 0x0
	s_mul_hi_u32 s12, s3, s8
	s_add_i32 s9, s12, s9
	s_mul_i32 s8, s3, s8
	s_lshl_b64 s[8:9], s[8:9], 2
	s_add_u32 s6, s6, s8
	s_addc_u32 s7, s7, s9
	s_load_dword s28, s[6:7], 0x0
	s_waitcnt lgkmcnt(0)
	v_cmp_eq_f32_e64 s[6:7], s29, 0
	v_cmp_eq_f32_e64 s[8:9], s28, 1.0
	s_and_b64 s[6:7], s[6:7], s[8:9]
	s_and_b64 vcc, exec, s[6:7]
	s_cbranch_vccnz .LBB2_50
; %bb.2:
	s_load_dwordx2 s[6:7], s[0:1], 0x80
	s_load_dword s30, s[0:1], 0x78
	s_load_dwordx2 s[8:9], s[0:1], 0x70
	s_load_dwordx2 s[12:13], s[0:1], 0x0
	v_and_b32_e32 v2, 0x3ff, v0
	s_waitcnt lgkmcnt(0)
	s_mul_i32 s7, s3, s7
	s_mul_hi_u32 s14, s3, s6
	s_add_i32 s7, s14, s7
	s_mul_i32 s6, s3, s6
	s_lshl_b64 s[6:7], s[6:7], 2
	s_add_u32 s10, s10, s6
	s_addc_u32 s11, s11, s7
	s_lshl_b64 s[6:7], s[8:9], 2
	s_add_u32 s8, s10, s6
	s_addc_u32 s9, s11, s7
	v_bfe_u32 v14, v0, 10, 10
	v_cmp_neq_f32_e64 s[6:7], s29, 0
	v_lshl_add_u32 v3, v14, 6, v2
	s_and_b64 vcc, exec, s[6:7]
	s_cbranch_vccnz .LBB2_9
; %bb.3:
	s_movk_i32 s6, 0x100
	v_cmp_gt_u32_e32 vcc, s6, v3
	s_mov_b64 s[6:7], 0
	s_mov_b64 s[10:11], 0
                                        ; implicit-def: $vgpr1
                                        ; implicit-def: $vgpr4_vgpr5
	s_and_saveexec_b64 s[14:15], vcc
	s_cbranch_execz .LBB2_10
; %bb.4:
	v_lshl_or_b32 v0, s2, 8, v3
	v_mov_b32_e32 v1, 0
	s_ashr_i32 s11, s12, 31
	s_mov_b32 s10, s12
	v_cmp_gt_i64_e32 vcc, s[10:11], v[0:1]
	s_mov_b64 s[20:21], 0
                                        ; implicit-def: $vgpr4_vgpr5
	s_and_saveexec_b64 s[10:11], vcc
	s_cbranch_execz .LBB2_8
; %bb.5:
	v_mad_u64_u32 v[4:5], s[22:23], s30, v0, 0
	s_ashr_i32 s24, s30, 31
	v_mov_b32_e32 v6, v5
	v_cmp_eq_f32_e64 s[20:21], s28, 0
	v_mad_u64_u32 v[6:7], s[22:23], s24, v0, v[6:7]
	v_mov_b32_e32 v5, v6
	s_and_b64 vcc, exec, s[20:21]
	s_cbranch_vccnz .LBB2_7
; %bb.6:
	v_lshl_add_u64 v[0:1], v[4:5], 2, s[8:9]
	global_load_dword v0, v[0:1], off
	s_waitcnt vmcnt(0)
	v_mul_f32_e32 v1, s28, v0
.LBB2_7:
	s_mov_b64 s[20:21], exec
.LBB2_8:
	s_or_b64 exec, exec, s[10:11]
	s_and_b64 s[10:11], s[20:21], exec
	s_or_b64 exec, exec, s[14:15]
	s_and_b64 vcc, exec, s[6:7]
	s_cbranch_vccnz .LBB2_11
	s_branch .LBB2_48
.LBB2_9:
	s_mov_b64 s[10:11], 0
                                        ; implicit-def: $vgpr1
                                        ; implicit-def: $vgpr4_vgpr5
	s_cbranch_execnz .LBB2_11
	s_branch .LBB2_48
.LBB2_10:
	s_or_b64 exec, exec, s[14:15]
	s_and_b64 vcc, exec, s[6:7]
	s_cbranch_vccz .LBB2_48
.LBB2_11:
	s_load_dwordx4 s[20:23], s[0:1], 0x30
	s_load_dword s33, s[0:1], 0x28
	s_load_dwordx2 s[6:7], s[0:1], 0x40
	s_load_dword s34, s[0:1], 0x48
	v_lshlrev_b32_e32 v20, 2, v14
	s_waitcnt lgkmcnt(0)
	s_mul_i32 s0, s3, s21
	s_mul_hi_u32 s1, s3, s20
	s_add_i32 s1, s1, s0
	s_mul_i32 s0, s3, s20
	s_lshl_b64 s[0:1], s[0:1], 2
	s_add_u32 s14, s16, s0
	s_addc_u32 s15, s17, s1
	s_lshl_b64 s[0:1], s[18:19], 2
	s_add_u32 s14, s14, s0
	s_addc_u32 s15, s15, s1
	s_mul_i32 s0, s3, s5
	s_mul_hi_u32 s1, s3, s4
	s_add_i32 s1, s1, s0
	s_mul_i32 s0, s3, s4
	s_lshl_b64 s[0:1], s[0:1], 2
	s_add_u32 s3, s22, s0
	s_addc_u32 s4, s23, s1
	s_lshl_b64 s[0:1], s[6:7], 2
	s_add_u32 s16, s3, s0
	s_addc_u32 s17, s4, s1
	s_ashr_i32 s0, s13, 31
	s_lshr_b32 s0, s0, 28
	s_add_i32 s0, s13, s0
	s_lshl_b32 s31, s2, 8
	s_and_b32 s35, s0, -16
	v_add_u32_e32 v19, s31, v2
	v_cmp_gt_i32_e32 vcc, s35, v20
	v_mov_b32_e32 v15, 0
	v_mov_b32_e32 v16, 0
	v_mov_b32_e32 v17, 0
	v_mov_b32_e32 v18, 0
	s_and_saveexec_b64 s[18:19], vcc
	s_cbranch_execz .LBB2_23
; %bb.12:
	v_add_u32_e32 v0, 64, v19
	v_cmp_gt_i32_e64 s[0:1], s12, v0
	v_add_u32_e32 v0, 0x80, v19
	v_cmp_gt_i32_e64 s[2:3], s12, v0
	;; [unrolled: 2-line block ×3, first 2 shown]
	v_mul_lo_u32 v0, s33, v20
	v_add_u32_e32 v6, 2, v20
	v_add_u32_e32 v7, 3, v20
	v_add3_u32 v21, v0, s33, v2
	v_mad_u64_u32 v[0:1], s[6:7], s33, v6, v[2:3]
	v_mad_u64_u32 v[4:5], s[6:7], s33, v7, v[2:3]
	v_mul_lo_u32 v1, v14, s33
	v_mul_lo_u32 v5, s34, v20
	;; [unrolled: 1-line block ×4, first 2 shown]
	v_cmp_gt_i32_e32 vcc, s12, v19
	s_lshl_b32 s36, s33, 4
	v_lshl_add_u32 v1, v1, 2, v2
	v_add_u32_e32 v5, s34, v5
	s_lshl_b32 s37, s34, 4
	v_mul_lo_u32 v23, s34, v7
	v_lshlrev_b32_e32 v24, 2, v6
	s_mov_b32 s38, 0
	s_mov_b64 s[20:21], 0
	v_mov_b32_e32 v15, 0
	v_mov_b32_e32 v16, 0
	;; [unrolled: 1-line block ×4, first 2 shown]
	s_branch .LBB2_17
.LBB2_13:                               ;   in Loop: Header=BB2_17 Depth=1
	s_or_b64 exec, exec, s[26:27]
	s_waitcnt vmcnt(3)
	v_fmac_f32_e32 v17, v28, v40
	s_waitcnt vmcnt(2)
	v_fmac_f32_e32 v17, v27, v39
	;; [unrolled: 2-line block ×4, first 2 shown]
.LBB2_14:                               ;   in Loop: Header=BB2_17 Depth=1
	s_or_b64 exec, exec, s[24:25]
	s_waitcnt vmcnt(3)
	v_fmac_f32_e32 v16, v28, v36
	s_waitcnt vmcnt(2)
	v_fmac_f32_e32 v16, v27, v35
	;; [unrolled: 2-line block ×4, first 2 shown]
.LBB2_15:                               ;   in Loop: Header=BB2_17 Depth=1
	s_or_b64 exec, exec, s[22:23]
	s_waitcnt vmcnt(3)
	v_fmac_f32_e32 v15, v28, v32
	s_waitcnt vmcnt(2)
	v_fmac_f32_e32 v15, v27, v31
	;; [unrolled: 2-line block ×4, first 2 shown]
.LBB2_16:                               ;   in Loop: Header=BB2_17 Depth=1
	s_or_b64 exec, exec, s[6:7]
	v_add_u32_e32 v20, 16, v20
	s_add_i32 s38, s38, s37
	v_cmp_le_i32_e64 s[6:7], s35, v20
	v_add_u32_e32 v21, s36, v21
	v_add_u32_e32 v0, s36, v0
	;; [unrolled: 1-line block ×3, first 2 shown]
	s_or_b64 s[20:21], s[6:7], s[20:21]
	v_add_u32_e32 v1, s36, v1
	s_andn2_b64 exec, exec, s[20:21]
	s_cbranch_execz .LBB2_22
.LBB2_17:                               ; =>This Inner Loop Header: Depth=1
	s_and_saveexec_b64 s[6:7], vcc
	s_cbranch_execz .LBB2_16
; %bb.18:                               ;   in Loop: Header=BB2_17 Depth=1
	v_add_u32_e32 v6, s38, v24
	v_ashrrev_i32_e32 v7, 31, v6
	v_add_u32_e32 v8, s38, v5
	v_add_u32_e32 v10, s38, v22
	;; [unrolled: 1-line block ×3, first 2 shown]
	v_lshl_add_u64 v[6:7], v[6:7], 2, s[16:17]
	v_ashrrev_i32_e32 v9, 31, v8
	v_ashrrev_i32_e32 v11, 31, v10
	;; [unrolled: 1-line block ×3, first 2 shown]
	v_lshl_add_u64 v[8:9], v[8:9], 2, s[16:17]
	v_lshl_add_u64 v[10:11], v[10:11], 2, s[16:17]
	;; [unrolled: 1-line block ×3, first 2 shown]
	global_load_dword v28, v[6:7], off
	global_load_dword v27, v[8:9], off
	;; [unrolled: 1-line block ×4, first 2 shown]
	v_add_u32_e32 v6, s31, v1
	v_ashrrev_i32_e32 v7, 31, v6
	v_add_u32_e32 v8, s31, v21
	v_add_u32_e32 v10, s31, v0
	v_add_u32_e32 v12, s31, v4
	v_lshl_add_u64 v[6:7], v[6:7], 2, s[14:15]
	v_ashrrev_i32_e32 v9, 31, v8
	v_ashrrev_i32_e32 v11, 31, v10
	;; [unrolled: 1-line block ×3, first 2 shown]
	v_lshl_add_u64 v[8:9], v[8:9], 2, s[14:15]
	v_lshl_add_u64 v[10:11], v[10:11], 2, s[14:15]
	;; [unrolled: 1-line block ×3, first 2 shown]
	global_load_dword v32, v[6:7], off
	global_load_dword v31, v[8:9], off
	;; [unrolled: 1-line block ×4, first 2 shown]
	s_and_saveexec_b64 s[22:23], s[0:1]
	s_cbranch_execz .LBB2_15
; %bb.19:                               ;   in Loop: Header=BB2_17 Depth=1
	global_load_dword v36, v[6:7], off offset:256
	global_load_dword v35, v[8:9], off offset:256
	global_load_dword v34, v[10:11], off offset:256
	global_load_dword v33, v[12:13], off offset:256
	s_and_saveexec_b64 s[24:25], s[2:3]
	s_cbranch_execz .LBB2_14
; %bb.20:                               ;   in Loop: Header=BB2_17 Depth=1
	global_load_dword v40, v[6:7], off offset:512
	global_load_dword v39, v[8:9], off offset:512
	global_load_dword v38, v[10:11], off offset:512
	global_load_dword v37, v[12:13], off offset:512
	;; [unrolled: 7-line block ×3, first 2 shown]
	s_waitcnt vmcnt(3)
	v_fmac_f32_e32 v18, v28, v41
	s_waitcnt vmcnt(2)
	v_fmac_f32_e32 v18, v27, v42
	;; [unrolled: 2-line block ×4, first 2 shown]
	s_branch .LBB2_13
.LBB2_22:
	s_or_b64 exec, exec, s[20:21]
.LBB2_23:
	s_or_b64 exec, exec, s[18:19]
	s_sub_i32 s0, s13, s35
	s_cmp_lt_i32 s0, 1
	s_cbranch_scc1 .LBB2_41
; %bb.24:
	v_cmp_gt_i32_e32 vcc, s13, v20
	v_mov_b32_e32 v10, 0
	v_or_b32_e32 v4, 1, v20
	v_mov_b32_e32 v13, 0
	v_mov_b32_e32 v12, 0
	;; [unrolled: 1-line block ×3, first 2 shown]
	s_and_saveexec_b64 s[2:3], vcc
	s_cbranch_execz .LBB2_32
; %bb.25:
	v_mul_lo_u32 v0, v20, s34
	v_ashrrev_i32_e32 v1, 31, v0
	v_lshl_add_u64 v[0:1], v[0:1], 2, s[16:17]
	global_load_dword v11, v[0:1], off
	v_cmp_gt_i32_e64 s[0:1], s13, v4
	v_mov_b32_e32 v12, 0
	v_mov_b32_e32 v13, 0
	;; [unrolled: 1-line block ×3, first 2 shown]
	s_and_saveexec_b64 s[4:5], s[0:1]
	s_cbranch_execz .LBB2_31
; %bb.26:
	v_mul_lo_u32 v0, v4, s34
	v_ashrrev_i32_e32 v1, 31, v0
	v_lshl_add_u64 v[0:1], v[0:1], 2, s[16:17]
	global_load_dword v12, v[0:1], off
	v_or_b32_e32 v0, 2, v20
	v_cmp_gt_i32_e64 s[0:1], s13, v0
	v_mov_b32_e32 v13, 0
	v_mov_b32_e32 v10, 0
	s_and_saveexec_b64 s[6:7], s[0:1]
	s_cbranch_execz .LBB2_30
; %bb.27:
	v_mul_lo_u32 v0, v0, s34
	v_ashrrev_i32_e32 v1, 31, v0
	v_lshl_add_u64 v[0:1], v[0:1], 2, s[16:17]
	global_load_dword v13, v[0:1], off
	v_or_b32_e32 v0, 3, v20
	v_cmp_gt_i32_e64 s[0:1], s13, v0
	v_mov_b32_e32 v10, 0
	s_and_saveexec_b64 s[18:19], s[0:1]
	s_cbranch_execz .LBB2_29
; %bb.28:
	v_mul_lo_u32 v0, v0, s34
	v_ashrrev_i32_e32 v1, 31, v0
	v_lshl_add_u64 v[0:1], v[0:1], 2, s[16:17]
	global_load_dword v10, v[0:1], off
.LBB2_29:
	s_or_b64 exec, exec, s[18:19]
.LBB2_30:
	s_or_b64 exec, exec, s[6:7]
.LBB2_31:
	s_or_b64 exec, exec, s[4:5]
.LBB2_32:
	s_or_b64 exec, exec, s[2:3]
	v_cmp_gt_i32_e64 s[0:1], s12, v19
	s_and_saveexec_b64 s[2:3], s[0:1]
	s_cbranch_execz .LBB2_40
; %bb.33:
	v_mul_lo_u32 v0, v20, s33
	v_cndmask_b32_e32 v0, 0, v0, vcc
	v_mul_lo_u32 v5, v4, s33
	v_cmp_gt_i32_e32 vcc, s13, v4
	v_or_b32_e32 v6, 2, v20
	v_mul_lo_u32 v7, v6, s33
	v_cndmask_b32_e32 v4, 0, v5, vcc
	v_cmp_gt_i32_e32 vcc, s13, v6
	v_or_b32_e32 v8, 3, v20
	v_mul_lo_u32 v9, v8, s33
	v_cndmask_b32_e32 v6, 0, v7, vcc
	v_cmp_gt_i32_e32 vcc, s13, v8
	v_add_u32_e32 v0, v0, v19
	v_ashrrev_i32_e32 v1, 31, v0
	v_cndmask_b32_e32 v8, 0, v9, vcc
	v_add_u32_e32 v4, v4, v19
	v_add_u32_e32 v6, v6, v19
	;; [unrolled: 1-line block ×3, first 2 shown]
	v_lshl_add_u64 v[0:1], v[0:1], 2, s[14:15]
	v_ashrrev_i32_e32 v5, 31, v4
	v_ashrrev_i32_e32 v7, 31, v6
	;; [unrolled: 1-line block ×3, first 2 shown]
	v_lshl_add_u64 v[4:5], v[4:5], 2, s[14:15]
	v_lshl_add_u64 v[6:7], v[6:7], 2, s[14:15]
	global_load_dword v21, v[0:1], off
	global_load_dword v22, v[4:5], off
	;; [unrolled: 1-line block ×3, first 2 shown]
	v_lshl_add_u64 v[8:9], v[8:9], 2, s[14:15]
	global_load_dword v20, v[8:9], off
	v_add_u32_e32 v24, 64, v19
	v_cmp_gt_i32_e32 vcc, s12, v24
	s_waitcnt vmcnt(3)
	v_fmac_f32_e32 v15, v11, v21
	s_waitcnt vmcnt(2)
	v_fmac_f32_e32 v15, v12, v22
	s_waitcnt vmcnt(1)
	v_fmac_f32_e32 v15, v13, v23
	s_and_saveexec_b64 s[0:1], vcc
	s_cbranch_execz .LBB2_39
; %bb.34:
	global_load_dword v22, v[0:1], off offset:256
	global_load_dword v23, v[4:5], off offset:256
	global_load_dword v24, v[6:7], off offset:256
	global_load_dword v21, v[8:9], off offset:256
	v_add_u32_e32 v25, 0x80, v19
	v_cmp_gt_i32_e32 vcc, s12, v25
	s_waitcnt vmcnt(3)
	v_fmac_f32_e32 v16, v11, v22
	s_waitcnt vmcnt(2)
	v_fmac_f32_e32 v16, v12, v23
	s_waitcnt vmcnt(1)
	v_fmac_f32_e32 v16, v13, v24
	s_and_saveexec_b64 s[4:5], vcc
	s_cbranch_execz .LBB2_38
; %bb.35:
	global_load_dword v23, v[0:1], off offset:512
	global_load_dword v24, v[4:5], off offset:512
	global_load_dword v25, v[6:7], off offset:512
	global_load_dword v22, v[8:9], off offset:512
	;; [unrolled: 15-line block ×3, first 2 shown]
	s_waitcnt vmcnt(3)
	v_fmac_f32_e32 v18, v11, v19
	s_waitcnt vmcnt(2)
	v_fmac_f32_e32 v18, v12, v23
	;; [unrolled: 2-line block ×4, first 2 shown]
.LBB2_37:
	s_or_b64 exec, exec, s[6:7]
	s_waitcnt vmcnt(0)
	v_fmac_f32_e32 v17, v10, v22
.LBB2_38:
	s_or_b64 exec, exec, s[4:5]
	s_waitcnt vmcnt(0)
	v_fmac_f32_e32 v16, v10, v21
.LBB2_39:
	s_or_b64 exec, exec, s[0:1]
	s_waitcnt vmcnt(0)
	v_fmac_f32_e32 v15, v10, v20
.LBB2_40:
	s_or_b64 exec, exec, s[2:3]
.LBB2_41:
	v_lshlrev_b32_e32 v0, 8, v14
	s_movk_i32 s0, 0x100
	v_add_lshl_u32 v0, v0, v2, 2
	v_cmp_gt_u32_e32 vcc, s0, v3
	ds_write2st64_b32 v0, v15, v16 offset1:1
	ds_write2st64_b32 v0, v17, v18 offset0:2 offset1:3
	s_waitcnt lgkmcnt(0)
	s_barrier
	s_waitcnt lgkmcnt(0)
                                        ; implicit-def: $vgpr1
                                        ; implicit-def: $vgpr4_vgpr5
	s_and_saveexec_b64 s[0:1], vcc
	s_cbranch_execz .LBB2_47
; %bb.42:
	v_lshlrev_b32_e32 v1, 2, v3
	ds_read2st64_b32 v[4:5], v1 offset1:4
	ds_read2st64_b32 v[6:7], v1 offset0:8 offset1:12
	v_or_b32_e32 v0, s31, v3
	v_cmp_gt_i32_e32 vcc, s12, v0
	s_mov_b64 s[4:5], s[10:11]
	s_waitcnt lgkmcnt(1)
	v_add_f32_e32 v2, v4, v5
	s_waitcnt lgkmcnt(0)
	v_add_f32_e32 v2, v6, v2
	v_add_f32_e32 v2, v7, v2
	ds_write_b32 v1, v2
                                        ; implicit-def: $vgpr1
                                        ; implicit-def: $vgpr4_vgpr5
	s_and_saveexec_b64 s[2:3], vcc
	s_cbranch_execz .LBB2_46
; %bb.43:
	v_cmp_eq_f32_e64 s[4:5], s28, 0
	v_mul_lo_u32 v4, v0, s30
	v_mul_f32_e32 v1, s29, v2
	v_ashrrev_i32_e32 v5, 31, v4
	s_and_b64 vcc, exec, s[4:5]
	s_cbranch_vccnz .LBB2_45
; %bb.44:
	v_lshl_add_u64 v[2:3], v[4:5], 2, s[8:9]
	global_load_dword v0, v[2:3], off
	s_waitcnt vmcnt(0)
	v_fmac_f32_e32 v1, s28, v0
.LBB2_45:
	s_or_b64 s[4:5], s[10:11], exec
.LBB2_46:
	s_or_b64 exec, exec, s[2:3]
	s_andn2_b64 s[2:3], s[10:11], exec
	s_and_b64 s[4:5], s[4:5], exec
	s_or_b64 s[10:11], s[2:3], s[4:5]
.LBB2_47:
	s_or_b64 exec, exec, s[0:1]
.LBB2_48:
	s_and_saveexec_b64 s[0:1], s[10:11]
	s_cbranch_execz .LBB2_50
; %bb.49:
	v_lshl_add_u64 v[2:3], v[4:5], 2, s[8:9]
	global_store_dword v[2:3], v1, off
.LBB2_50:
	s_endpgm
	.section	.rodata,"a",@progbits
	.p2align	6, 0x0
	.amdhsa_kernel _ZL20rocblas_gemvn_kernelILi64ELi4EifPKffEviiT3_lPKT2_lT1_lS5_lS6_lS2_lPT4_lS6_li
		.amdhsa_group_segment_fixed_size 4096
		.amdhsa_private_segment_fixed_size 0
		.amdhsa_kernarg_size 400
		.amdhsa_user_sgpr_count 2
		.amdhsa_user_sgpr_dispatch_ptr 0
		.amdhsa_user_sgpr_queue_ptr 0
		.amdhsa_user_sgpr_kernarg_segment_ptr 1
		.amdhsa_user_sgpr_dispatch_id 0
		.amdhsa_user_sgpr_kernarg_preload_length 0
		.amdhsa_user_sgpr_kernarg_preload_offset 0
		.amdhsa_user_sgpr_private_segment_size 0
		.amdhsa_uses_dynamic_stack 0
		.amdhsa_enable_private_segment 0
		.amdhsa_system_sgpr_workgroup_id_x 1
		.amdhsa_system_sgpr_workgroup_id_y 0
		.amdhsa_system_sgpr_workgroup_id_z 1
		.amdhsa_system_sgpr_workgroup_info 0
		.amdhsa_system_vgpr_workitem_id 1
		.amdhsa_next_free_vgpr 45
		.amdhsa_next_free_sgpr 39
		.amdhsa_accum_offset 48
		.amdhsa_reserve_vcc 1
		.amdhsa_float_round_mode_32 0
		.amdhsa_float_round_mode_16_64 0
		.amdhsa_float_denorm_mode_32 3
		.amdhsa_float_denorm_mode_16_64 3
		.amdhsa_dx10_clamp 1
		.amdhsa_ieee_mode 1
		.amdhsa_fp16_overflow 0
		.amdhsa_tg_split 0
		.amdhsa_exception_fp_ieee_invalid_op 0
		.amdhsa_exception_fp_denorm_src 0
		.amdhsa_exception_fp_ieee_div_zero 0
		.amdhsa_exception_fp_ieee_overflow 0
		.amdhsa_exception_fp_ieee_underflow 0
		.amdhsa_exception_fp_ieee_inexact 0
		.amdhsa_exception_int_div_zero 0
	.end_amdhsa_kernel
	.section	.text._ZL20rocblas_gemvn_kernelILi64ELi4EifPKffEviiT3_lPKT2_lT1_lS5_lS6_lS2_lPT4_lS6_li,"axG",@progbits,_ZL20rocblas_gemvn_kernelILi64ELi4EifPKffEviiT3_lPKT2_lT1_lS5_lS6_lS2_lPT4_lS6_li,comdat
.Lfunc_end2:
	.size	_ZL20rocblas_gemvn_kernelILi64ELi4EifPKffEviiT3_lPKT2_lT1_lS5_lS6_lS2_lPT4_lS6_li, .Lfunc_end2-_ZL20rocblas_gemvn_kernelILi64ELi4EifPKffEviiT3_lPKT2_lT1_lS5_lS6_lS2_lPT4_lS6_li
                                        ; -- End function
	.section	.AMDGPU.csdata,"",@progbits
; Kernel info:
; codeLenInByte = 2300
; NumSgprs: 45
; NumVgprs: 45
; NumAgprs: 0
; TotalNumVgprs: 45
; ScratchSize: 0
; MemoryBound: 0
; FloatMode: 240
; IeeeMode: 1
; LDSByteSize: 4096 bytes/workgroup (compile time only)
; SGPRBlocks: 5
; VGPRBlocks: 5
; NumSGPRsForWavesPerEU: 45
; NumVGPRsForWavesPerEU: 45
; AccumOffset: 48
; Occupancy: 8
; WaveLimiterHint : 1
; COMPUTE_PGM_RSRC2:SCRATCH_EN: 0
; COMPUTE_PGM_RSRC2:USER_SGPR: 2
; COMPUTE_PGM_RSRC2:TRAP_HANDLER: 0
; COMPUTE_PGM_RSRC2:TGID_X_EN: 1
; COMPUTE_PGM_RSRC2:TGID_Y_EN: 0
; COMPUTE_PGM_RSRC2:TGID_Z_EN: 1
; COMPUTE_PGM_RSRC2:TIDIG_COMP_CNT: 1
; COMPUTE_PGM_RSRC3_GFX90A:ACCUM_OFFSET: 11
; COMPUTE_PGM_RSRC3_GFX90A:TG_SPLIT: 0
	.section	.text._ZL20rocblas_gemvn_kernelILi64ELi4ElfPKffEviiT3_lPKT2_lT1_lS5_lS6_lS2_lPT4_lS6_li,"axG",@progbits,_ZL20rocblas_gemvn_kernelILi64ELi4ElfPKffEviiT3_lPKT2_lT1_lS5_lS6_lS2_lPT4_lS6_li,comdat
	.globl	_ZL20rocblas_gemvn_kernelILi64ELi4ElfPKffEviiT3_lPKT2_lT1_lS5_lS6_lS2_lPT4_lS6_li ; -- Begin function _ZL20rocblas_gemvn_kernelILi64ELi4ElfPKffEviiT3_lPKT2_lT1_lS5_lS6_lS2_lPT4_lS6_li
	.p2align	8
	.type	_ZL20rocblas_gemvn_kernelILi64ELi4ElfPKffEviiT3_lPKT2_lT1_lS5_lS6_lS2_lPT4_lS6_li,@function
_ZL20rocblas_gemvn_kernelILi64ELi4ElfPKffEviiT3_lPKT2_lT1_lS5_lS6_lS2_lPT4_lS6_li: ; @_ZL20rocblas_gemvn_kernelILi64ELi4ElfPKffEviiT3_lPKT2_lT1_lS5_lS6_lS2_lPT4_lS6_li
; %bb.0:
	s_load_dwordx2 s[4:5], s[0:1], 0x9c
	s_waitcnt lgkmcnt(0)
	s_lshr_b32 s6, s4, 16
	s_and_b32 s4, s4, 0xffff
	s_and_b32 s5, s5, 0xffff
	s_mul_i32 s4, s6, s4
	s_mul_i32 s4, s4, s5
	s_cmpk_lg_i32 s4, 0x100
	s_cbranch_scc1 .LBB3_50
; %bb.1:
	s_load_dwordx16 s[36:51], s[0:1], 0x8
	s_load_dwordx16 s[8:23], s[0:1], 0x48
	s_waitcnt lgkmcnt(0)
	s_mul_i32 s5, s3, s39
	s_mul_hi_u32 s6, s3, s38
	s_mul_i32 s4, s3, s38
	s_add_i32 s5, s6, s5
	s_lshl_b64 s[4:5], s[4:5], 2
	s_add_u32 s4, s36, s4
	s_addc_u32 s5, s37, s5
	s_mul_i32 s7, s3, s15
	s_load_dword s52, s[4:5], 0x0
	s_mul_hi_u32 s4, s3, s14
	s_add_i32 s5, s4, s7
	s_mul_i32 s4, s3, s14
	s_lshl_b64 s[4:5], s[4:5], 2
	s_add_u32 s4, s12, s4
	s_addc_u32 s5, s13, s5
	s_load_dword s33, s[4:5], 0x0
	s_waitcnt lgkmcnt(0)
	v_cmp_eq_f32_e64 s[4:5], s52, 0
	v_cmp_eq_f32_e64 s[6:7], s33, 1.0
	s_and_b64 s[4:5], s[4:5], s[6:7]
	s_and_b64 vcc, exec, s[4:5]
	s_cbranch_vccnz .LBB3_50
; %bb.2:
	s_load_dwordx2 s[14:15], s[0:1], 0x0
	s_mul_i32 s0, s3, s23
	s_mul_hi_u32 s1, s3, s22
	s_add_i32 s1, s1, s0
	s_mul_i32 s0, s3, s22
	s_lshl_b64 s[0:1], s[0:1], 2
	s_add_u32 s4, s16, s0
	s_addc_u32 s5, s17, s1
	s_lshl_b64 s[0:1], s[18:19], 2
	s_add_u32 s12, s4, s0
	s_addc_u32 s13, s5, s1
	v_and_b32_e32 v29, 0x3ff, v0
	v_bfe_u32 v30, v0, 10, 10
	v_cmp_neq_f32_e64 s[0:1], s52, 0
	v_lshl_add_u32 v28, v30, 6, v29
	s_and_b64 vcc, exec, s[0:1]
	s_cbranch_vccnz .LBB3_9
; %bb.3:
	s_movk_i32 s0, 0x100
	v_cmp_gt_u32_e32 vcc, s0, v28
	s_mov_b64 s[0:1], 0
	s_mov_b64 s[16:17], 0
                                        ; implicit-def: $vgpr1
                                        ; implicit-def: $vgpr2_vgpr3
	s_and_saveexec_b64 s[4:5], vcc
	s_cbranch_execz .LBB3_10
; %bb.4:
	v_lshl_or_b32 v0, s2, 8, v28
	v_mov_b32_e32 v1, 0
	s_waitcnt lgkmcnt(0)
	s_ashr_i32 s7, s14, 31
	s_mov_b32 s6, s14
	v_cmp_gt_i64_e32 vcc, s[6:7], v[0:1]
                                        ; implicit-def: $vgpr2_vgpr3
	s_and_saveexec_b64 s[6:7], vcc
	s_cbranch_execz .LBB3_8
; %bb.5:
	v_mad_u64_u32 v[2:3], s[18:19], v0, s20, 0
	v_mov_b32_e32 v4, v3
	v_cmp_eq_f32_e64 s[16:17], s33, 0
	v_mad_u64_u32 v[4:5], s[18:19], v0, s21, v[4:5]
	v_mov_b32_e32 v3, v4
	s_and_b64 vcc, exec, s[16:17]
	s_cbranch_vccnz .LBB3_7
; %bb.6:
	v_lshl_add_u64 v[0:1], v[2:3], 2, s[12:13]
	global_load_dword v0, v[0:1], off
	s_waitcnt vmcnt(0)
	v_mul_f32_e32 v1, s33, v0
.LBB3_7:
	s_mov_b64 s[16:17], exec
.LBB3_8:
	s_or_b64 exec, exec, s[6:7]
	s_and_b64 s[16:17], s[16:17], exec
	s_or_b64 exec, exec, s[4:5]
	s_and_b64 vcc, exec, s[0:1]
	s_cbranch_vccnz .LBB3_11
	s_branch .LBB3_48
.LBB3_9:
	s_mov_b64 s[16:17], 0
                                        ; implicit-def: $vgpr1
                                        ; implicit-def: $vgpr2_vgpr3
	s_cbranch_execnz .LBB3_11
	s_branch .LBB3_48
.LBB3_10:
	s_or_b64 exec, exec, s[4:5]
	s_and_b64 vcc, exec, s[0:1]
	s_cbranch_vccz .LBB3_48
.LBB3_11:
	s_mul_i32 s0, s3, s47
	s_mul_hi_u32 s1, s3, s46
	s_add_i32 s19, s1, s0
	s_mul_i32 s0, s3, s11
	s_mul_hi_u32 s1, s3, s10
	s_add_i32 s11, s1, s0
	s_waitcnt lgkmcnt(0)
	s_ashr_i32 s0, s15, 31
	s_lshr_b32 s0, s0, 28
	s_add_i32 s0, s15, s0
	s_mul_i32 s18, s3, s46
	s_lshl_b32 s46, s2, 8
	s_and_b32 s47, s0, -16
	v_lshlrev_b32_e32 v35, 2, v30
	s_mul_i32 s10, s3, s10
	v_add_u32_e32 v0, s46, v29
	v_cmp_gt_i32_e32 vcc, s47, v35
	v_mov_b32_e32 v31, 0
	v_mov_b32_e32 v32, 0
	;; [unrolled: 1-line block ×4, first 2 shown]
	s_and_saveexec_b64 s[22:23], vcc
	s_cbranch_execz .LBB3_23
; %bb.12:
	v_add_u32_e32 v2, 64, v0
	v_cmp_gt_i32_e64 s[0:1], s14, v2
	v_add_u32_e32 v2, 0x80, v0
	v_cmp_gt_i32_e64 s[2:3], s14, v2
	;; [unrolled: 2-line block ×3, first 2 shown]
	v_mad_u64_u32 v[2:3], s[6:7], s8, v30, 0
	v_mov_b32_e32 v4, v3
	v_ashrrev_i32_e32 v1, 31, v0
	v_mad_u64_u32 v[4:5], s[6:7], s9, v30, v[4:5]
	v_mov_b32_e32 v3, v4
	v_lshlrev_b64 v[4:5], 2, v[0:1]
	v_lshlrev_b32_e32 v1, 2, v30
	v_or_b32_e32 v11, 3, v1
	v_mad_u64_u32 v[6:7], s[28:29], s44, v11, 0
	v_mov_b32_e32 v8, v7
	v_mad_u64_u32 v[8:9], s[28:29], s45, v11, v[8:9]
	v_mov_b32_e32 v7, v8
	;; [unrolled: 2-line block ×5, first 2 shown]
	v_mad_u64_u32 v[12:13], s[34:35], s45, v30, v[12:13]
	v_or_b32_e32 v17, 2, v1
	v_mov_b32_e32 v11, v12
	v_mad_u64_u32 v[12:13], s[34:35], s44, v17, 0
	v_mov_b32_e32 v14, v13
	v_mad_u64_u32 v[14:15], s[34:35], s45, v17, v[14:15]
	;; [unrolled: 2-line block ×4, first 2 shown]
	v_mov_b32_e32 v15, v16
	v_mov_b64_e32 v[16:17], s[8:9]
	v_mad_u64_u32 v[16:17], s[34:35], s8, v1, v[16:17]
	s_lshl_b64 s[24:25], s[50:51], 2
	s_lshl_b64 s[6:7], s[10:11], 2
	v_mov_b32_e32 v18, v17
	s_add_u32 s6, s48, s6
	v_mad_u64_u32 v[18:19], s[34:35], s9, v1, v[18:19]
	s_addc_u32 s7, s49, s7
	s_lshl_b64 s[26:27], s[8:9], 6
	s_lshl_b64 s[28:29], s[18:19], 2
	;; [unrolled: 1-line block ×3, first 2 shown]
	v_mov_b32_e32 v17, v18
	v_mov_b64_e32 v[18:19], s[44:45]
	v_lshl_add_u64 v[2:3], v[2:3], 4, s[6:7]
	s_add_u32 s30, s40, s30
	v_lshl_add_u64 v[8:9], v[8:9], 2, s[6:7]
	v_lshl_add_u64 v[14:15], v[14:15], 2, s[6:7]
	;; [unrolled: 1-line block ×3, first 2 shown]
	v_mad_u64_u32 v[18:19], s[6:7], s44, v1, v[18:19]
	s_addc_u32 s31, s41, s31
	v_mov_b32_e32 v20, v19
	s_add_u32 s30, s30, s28
	v_mad_u64_u32 v[20:21], s[6:7], s45, v1, v[20:21]
	s_addc_u32 s31, s31, s29
	v_mov_b32_e32 v19, v20
	v_cmp_gt_i32_e32 vcc, s14, v0
	v_lshl_add_u64 v[6:7], v[6:7], 2, s[30:31]
	s_lshl_b64 s[28:29], s[44:45], 6
	v_lshl_add_u64 v[10:11], v[10:11], 4, s[30:31]
	v_lshl_add_u64 v[12:13], v[12:13], 2, s[30:31]
	;; [unrolled: 1-line block ×3, first 2 shown]
	s_mov_b64 s[30:31], 0
	v_mov_b32_e32 v31, 0
	v_mov_b32_e32 v32, 0
	;; [unrolled: 1-line block ×4, first 2 shown]
	s_branch .LBB3_17
.LBB3_13:                               ;   in Loop: Header=BB3_17 Depth=1
	s_or_b64 exec, exec, s[38:39]
	s_waitcnt vmcnt(3)
	v_fmac_f32_e32 v33, v1, v50
	s_waitcnt vmcnt(2)
	v_fmac_f32_e32 v33, v36, v49
	;; [unrolled: 2-line block ×4, first 2 shown]
.LBB3_14:                               ;   in Loop: Header=BB3_17 Depth=1
	s_or_b64 exec, exec, s[36:37]
	s_waitcnt vmcnt(3)
	v_fmac_f32_e32 v32, v1, v46
	s_waitcnt vmcnt(2)
	v_fmac_f32_e32 v32, v36, v45
	s_waitcnt vmcnt(1)
	v_fmac_f32_e32 v32, v37, v44
	s_waitcnt vmcnt(0)
	v_fmac_f32_e32 v32, v38, v43
.LBB3_15:                               ;   in Loop: Header=BB3_17 Depth=1
	s_or_b64 exec, exec, s[34:35]
	s_waitcnt vmcnt(3)
	v_fmac_f32_e32 v31, v1, v39
	s_waitcnt vmcnt(2)
	v_fmac_f32_e32 v31, v36, v40
	s_waitcnt vmcnt(1)
	v_fmac_f32_e32 v31, v37, v41
	s_waitcnt vmcnt(0)
	v_fmac_f32_e32 v31, v38, v42
.LBB3_16:                               ;   in Loop: Header=BB3_17 Depth=1
	s_or_b64 exec, exec, s[6:7]
	v_add_u32_e32 v35, 16, v35
	v_cmp_le_i32_e64 s[6:7], s47, v35
	v_lshl_add_u64 v[2:3], v[2:3], 0, s[26:27]
	v_lshl_add_u64 v[6:7], v[6:7], 0, s[28:29]
	;; [unrolled: 1-line block ×7, first 2 shown]
	s_or_b64 s[30:31], s[6:7], s[30:31]
	v_lshl_add_u64 v[18:19], v[18:19], 0, s[28:29]
	s_andn2_b64 exec, exec, s[30:31]
	s_cbranch_execz .LBB3_22
.LBB3_17:                               ; =>This Inner Loop Header: Depth=1
	s_and_saveexec_b64 s[6:7], vcc
	s_cbranch_execz .LBB3_16
; %bb.18:                               ;   in Loop: Header=BB3_17 Depth=1
	v_lshl_add_u64 v[20:21], v[2:3], 0, s[24:25]
	global_load_dword v1, v[20:21], off
	v_lshl_add_u64 v[20:21], v[16:17], 0, s[24:25]
	global_load_dword v36, v[20:21], off
	;; [unrolled: 2-line block ×4, first 2 shown]
	v_lshl_add_u64 v[26:27], v[10:11], 0, v[4:5]
	v_lshl_add_u64 v[24:25], v[18:19], 0, v[4:5]
	;; [unrolled: 1-line block ×4, first 2 shown]
	global_load_dword v39, v[26:27], off
	global_load_dword v40, v[24:25], off
	;; [unrolled: 1-line block ×4, first 2 shown]
	s_and_saveexec_b64 s[34:35], s[0:1]
	s_cbranch_execz .LBB3_15
; %bb.19:                               ;   in Loop: Header=BB3_17 Depth=1
	global_load_dword v46, v[26:27], off offset:256
	global_load_dword v45, v[24:25], off offset:256
	;; [unrolled: 1-line block ×4, first 2 shown]
	s_and_saveexec_b64 s[36:37], s[2:3]
	s_cbranch_execz .LBB3_14
; %bb.20:                               ;   in Loop: Header=BB3_17 Depth=1
	global_load_dword v50, v[26:27], off offset:512
	global_load_dword v49, v[24:25], off offset:512
	;; [unrolled: 1-line block ×4, first 2 shown]
	s_and_saveexec_b64 s[38:39], s[4:5]
	s_cbranch_execz .LBB3_13
; %bb.21:                               ;   in Loop: Header=BB3_17 Depth=1
	global_load_dword v26, v[26:27], off offset:768
	s_nop 0
	global_load_dword v24, v[24:25], off offset:768
	s_nop 0
	;; [unrolled: 2-line block ×3, first 2 shown]
	global_load_dword v20, v[20:21], off offset:768
	s_waitcnt vmcnt(3)
	v_fmac_f32_e32 v34, v1, v26
	s_waitcnt vmcnt(2)
	v_fmac_f32_e32 v34, v36, v24
	;; [unrolled: 2-line block ×4, first 2 shown]
	s_branch .LBB3_13
.LBB3_22:
	s_or_b64 exec, exec, s[30:31]
.LBB3_23:
	s_or_b64 exec, exec, s[22:23]
	s_sub_i32 s0, s15, s47
	s_cmp_lt_i32 s0, 1
	s_cbranch_scc1 .LBB3_41
; %bb.24:
	v_cmp_gt_i32_e32 vcc, s15, v35
	v_mov_b32_e32 v11, 0
	v_or_b32_e32 v4, 1, v35
	v_mov_b32_e32 v13, 0
	v_mov_b32_e32 v12, 0
	v_mov_b32_e32 v10, 0
	s_and_saveexec_b64 s[2:3], vcc
	s_cbranch_execz .LBB3_32
; %bb.25:
	s_lshl_b64 s[0:1], s[10:11], 2
	s_add_u32 s4, s48, s0
	s_addc_u32 s5, s49, s1
	s_lshl_b64 s[0:1], s[50:51], 2
	s_add_u32 s4, s4, s0
	s_addc_u32 s5, s5, s1
	v_mad_u64_u32 v[2:3], s[0:1], v35, s8, 0
	v_mov_b32_e32 v6, v3
	v_mad_u64_u32 v[6:7], s[0:1], v35, s9, v[6:7]
	v_mov_b32_e32 v3, v6
	v_lshl_add_u64 v[2:3], v[2:3], 2, s[4:5]
	global_load_dword v10, v[2:3], off
	v_cmp_gt_i32_e64 s[0:1], s15, v4
	v_mov_b32_e32 v12, 0
	v_mov_b32_e32 v13, 0
	;; [unrolled: 1-line block ×3, first 2 shown]
	s_and_saveexec_b64 s[6:7], s[0:1]
	s_cbranch_execz .LBB3_31
; %bb.26:
	v_mad_u64_u32 v[2:3], s[0:1], v4, s8, 0
	v_mov_b32_e32 v6, v3
	v_mad_u64_u32 v[6:7], s[0:1], v4, s9, v[6:7]
	v_mov_b32_e32 v3, v6
	v_lshl_add_u64 v[2:3], v[2:3], 2, s[4:5]
	global_load_dword v12, v[2:3], off
	v_or_b32_e32 v1, 2, v35
	v_cmp_gt_i32_e64 s[0:1], s15, v1
	v_mov_b32_e32 v13, 0
	v_mov_b32_e32 v11, 0
	s_and_saveexec_b64 s[10:11], s[0:1]
	s_cbranch_execz .LBB3_30
; %bb.27:
	v_mad_u64_u32 v[2:3], s[0:1], v1, s8, 0
	v_mov_b32_e32 v6, v3
	v_mad_u64_u32 v[6:7], s[0:1], v1, s9, v[6:7]
	v_mov_b32_e32 v3, v6
	v_lshl_add_u64 v[2:3], v[2:3], 2, s[4:5]
	global_load_dword v13, v[2:3], off
	v_or_b32_e32 v1, 3, v35
	v_cmp_gt_i32_e64 s[0:1], s15, v1
	v_mov_b32_e32 v11, 0
	s_and_saveexec_b64 s[22:23], s[0:1]
	s_cbranch_execz .LBB3_29
; %bb.28:
	v_mad_u64_u32 v[2:3], s[0:1], v1, s8, 0
	v_mov_b32_e32 v6, v3
	v_mad_u64_u32 v[6:7], s[0:1], v1, s9, v[6:7]
	v_mov_b32_e32 v3, v6
	v_lshl_add_u64 v[2:3], v[2:3], 2, s[4:5]
	global_load_dword v11, v[2:3], off
.LBB3_29:
	s_or_b64 exec, exec, s[22:23]
.LBB3_30:
	s_or_b64 exec, exec, s[10:11]
.LBB3_31:
	s_or_b64 exec, exec, s[6:7]
.LBB3_32:
	s_or_b64 exec, exec, s[2:3]
	v_cmp_gt_i32_e64 s[0:1], s14, v0
	s_and_saveexec_b64 s[2:3], s[0:1]
	s_cbranch_execz .LBB3_40
; %bb.33:
	s_lshl_b64 s[0:1], s[18:19], 2
	s_add_u32 s4, s40, s0
	s_addc_u32 s5, s41, s1
	s_lshl_b64 s[0:1], s[42:43], 2
	s_add_u32 s0, s4, s0
	s_addc_u32 s1, s5, s1
	v_mad_u64_u32 v[2:3], s[4:5], v35, s44, 0
	v_mov_b32_e32 v6, v3
	v_mad_u64_u32 v[6:7], s[4:5], v35, s45, v[6:7]
	v_ashrrev_i32_e32 v1, 31, v0
	v_cndmask_b32_e32 v3, 0, v6, vcc
	v_mad_u64_u32 v[6:7], s[4:5], v4, s44, 0
	v_cndmask_b32_e32 v2, 0, v2, vcc
	v_lshlrev_b64 v[8:9], 2, v[0:1]
	v_mov_b32_e32 v14, v7
	v_cmp_gt_i32_e32 vcc, s15, v4
	v_or_b32_e32 v1, 2, v35
	v_mad_u64_u32 v[14:15], s[4:5], v4, s45, v[14:15]
	v_cndmask_b32_e32 v4, 0, v6, vcc
	v_mad_u64_u32 v[6:7], s[4:5], v1, s44, 0
	v_cndmask_b32_e32 v5, 0, v14, vcc
	v_mov_b32_e32 v14, v7
	v_mad_u64_u32 v[14:15], s[4:5], v1, s45, v[14:15]
	v_cmp_gt_i32_e32 vcc, s15, v1
	v_or_b32_e32 v1, 3, v35
	v_lshl_add_u64 v[2:3], v[2:3], 2, s[0:1]
	v_cndmask_b32_e32 v7, 0, v14, vcc
	v_mad_u64_u32 v[14:15], s[4:5], v1, s44, 0
	v_mov_b32_e32 v16, v15
	v_cndmask_b32_e32 v6, 0, v6, vcc
	v_mad_u64_u32 v[16:17], s[4:5], v1, s45, v[16:17]
	v_cmp_gt_i32_e32 vcc, s15, v1
	v_lshl_add_u64 v[2:3], v[2:3], 0, v[8:9]
	v_lshl_add_u64 v[4:5], v[4:5], 2, s[0:1]
	v_cndmask_b32_e32 v14, 0, v14, vcc
	v_cndmask_b32_e32 v15, 0, v16, vcc
	v_lshl_add_u64 v[6:7], v[6:7], 2, s[0:1]
	v_lshl_add_u64 v[14:15], v[14:15], 2, s[0:1]
	;; [unrolled: 1-line block ×4, first 2 shown]
	global_load_dword v16, v[2:3], off
	global_load_dword v17, v[4:5], off
	;; [unrolled: 1-line block ×3, first 2 shown]
	v_lshl_add_u64 v[8:9], v[14:15], 0, v[8:9]
	global_load_dword v1, v[8:9], off
	v_add_u32_e32 v14, 64, v0
	v_cmp_gt_i32_e32 vcc, s14, v14
	s_waitcnt vmcnt(3)
	v_fmac_f32_e32 v31, v10, v16
	s_waitcnt vmcnt(2)
	v_fmac_f32_e32 v31, v12, v17
	s_waitcnt vmcnt(1)
	v_fmac_f32_e32 v31, v13, v18
	s_and_saveexec_b64 s[0:1], vcc
	s_cbranch_execz .LBB3_39
; %bb.34:
	global_load_dword v15, v[2:3], off offset:256
	global_load_dword v16, v[4:5], off offset:256
	global_load_dword v17, v[6:7], off offset:256
	global_load_dword v14, v[8:9], off offset:256
	v_add_u32_e32 v18, 0x80, v0
	v_cmp_gt_i32_e32 vcc, s14, v18
	s_waitcnt vmcnt(3)
	v_fmac_f32_e32 v32, v10, v15
	s_waitcnt vmcnt(2)
	v_fmac_f32_e32 v32, v12, v16
	s_waitcnt vmcnt(1)
	v_fmac_f32_e32 v32, v13, v17
	s_and_saveexec_b64 s[4:5], vcc
	s_cbranch_execz .LBB3_38
; %bb.35:
	global_load_dword v16, v[2:3], off offset:512
	global_load_dword v17, v[4:5], off offset:512
	global_load_dword v18, v[6:7], off offset:512
	global_load_dword v15, v[8:9], off offset:512
	;; [unrolled: 15-line block ×3, first 2 shown]
	s_waitcnt vmcnt(3)
	v_fmac_f32_e32 v34, v10, v0
	s_waitcnt vmcnt(2)
	v_fmac_f32_e32 v34, v12, v16
	;; [unrolled: 2-line block ×4, first 2 shown]
.LBB3_37:
	s_or_b64 exec, exec, s[6:7]
	s_waitcnt vmcnt(0)
	v_fmac_f32_e32 v33, v11, v15
.LBB3_38:
	s_or_b64 exec, exec, s[4:5]
	s_waitcnt vmcnt(0)
	v_fmac_f32_e32 v32, v11, v14
.LBB3_39:
	s_or_b64 exec, exec, s[0:1]
	s_waitcnt vmcnt(0)
	v_fmac_f32_e32 v31, v11, v1
.LBB3_40:
	s_or_b64 exec, exec, s[2:3]
.LBB3_41:
	v_lshlrev_b32_e32 v0, 8, v30
	s_movk_i32 s0, 0x100
	v_add_lshl_u32 v0, v0, v29, 2
	v_cmp_gt_u32_e32 vcc, s0, v28
	ds_write2st64_b32 v0, v31, v32 offset1:1
	ds_write2st64_b32 v0, v33, v34 offset0:2 offset1:3
	s_waitcnt lgkmcnt(0)
	s_barrier
	s_waitcnt lgkmcnt(0)
                                        ; implicit-def: $vgpr1
                                        ; implicit-def: $vgpr2_vgpr3
	s_and_saveexec_b64 s[0:1], vcc
	s_cbranch_execz .LBB3_47
; %bb.42:
	v_lshlrev_b32_e32 v1, 2, v28
	ds_read2st64_b32 v[2:3], v1 offset1:4
	ds_read2st64_b32 v[4:5], v1 offset0:8 offset1:12
	v_or_b32_e32 v0, s46, v28
	v_cmp_gt_i32_e32 vcc, s14, v0
	s_mov_b64 s[4:5], s[16:17]
	s_waitcnt lgkmcnt(1)
	v_add_f32_e32 v2, v2, v3
	s_waitcnt lgkmcnt(0)
	v_add_f32_e32 v2, v4, v2
	v_add_f32_e32 v4, v5, v2
	ds_write_b32 v1, v4
                                        ; implicit-def: $vgpr1
                                        ; implicit-def: $vgpr2_vgpr3
	s_and_saveexec_b64 s[2:3], vcc
	s_cbranch_execz .LBB3_46
; %bb.43:
	v_ashrrev_i32_e32 v2, 31, v0
	v_cmp_eq_f32_e64 s[4:5], s33, 0
	v_mul_f32_e32 v1, s52, v4
	v_mul_lo_u32 v4, v0, s21
	v_mul_lo_u32 v5, v2, s20
	v_mad_u64_u32 v[2:3], s[6:7], v0, s20, 0
	v_add3_u32 v3, v3, v4, v5
	s_and_b64 vcc, exec, s[4:5]
	s_cbranch_vccnz .LBB3_45
; %bb.44:
	v_lshl_add_u64 v[4:5], v[2:3], 2, s[12:13]
	global_load_dword v0, v[4:5], off
	s_waitcnt vmcnt(0)
	v_fmac_f32_e32 v1, s33, v0
.LBB3_45:
	s_or_b64 s[4:5], s[16:17], exec
.LBB3_46:
	s_or_b64 exec, exec, s[2:3]
	s_andn2_b64 s[2:3], s[16:17], exec
	s_and_b64 s[4:5], s[4:5], exec
	s_or_b64 s[16:17], s[2:3], s[4:5]
.LBB3_47:
	s_or_b64 exec, exec, s[0:1]
.LBB3_48:
	s_and_saveexec_b64 s[0:1], s[16:17]
	s_cbranch_execz .LBB3_50
; %bb.49:
	v_lshl_add_u64 v[2:3], v[2:3], 2, s[12:13]
	global_store_dword v[2:3], v1, off
.LBB3_50:
	s_endpgm
	.section	.rodata,"a",@progbits
	.p2align	6, 0x0
	.amdhsa_kernel _ZL20rocblas_gemvn_kernelILi64ELi4ElfPKffEviiT3_lPKT2_lT1_lS5_lS6_lS2_lPT4_lS6_li
		.amdhsa_group_segment_fixed_size 4096
		.amdhsa_private_segment_fixed_size 0
		.amdhsa_kernarg_size 400
		.amdhsa_user_sgpr_count 2
		.amdhsa_user_sgpr_dispatch_ptr 0
		.amdhsa_user_sgpr_queue_ptr 0
		.amdhsa_user_sgpr_kernarg_segment_ptr 1
		.amdhsa_user_sgpr_dispatch_id 0
		.amdhsa_user_sgpr_kernarg_preload_length 0
		.amdhsa_user_sgpr_kernarg_preload_offset 0
		.amdhsa_user_sgpr_private_segment_size 0
		.amdhsa_uses_dynamic_stack 0
		.amdhsa_enable_private_segment 0
		.amdhsa_system_sgpr_workgroup_id_x 1
		.amdhsa_system_sgpr_workgroup_id_y 0
		.amdhsa_system_sgpr_workgroup_id_z 1
		.amdhsa_system_sgpr_workgroup_info 0
		.amdhsa_system_vgpr_workitem_id 1
		.amdhsa_next_free_vgpr 51
		.amdhsa_next_free_sgpr 53
		.amdhsa_accum_offset 52
		.amdhsa_reserve_vcc 1
		.amdhsa_float_round_mode_32 0
		.amdhsa_float_round_mode_16_64 0
		.amdhsa_float_denorm_mode_32 3
		.amdhsa_float_denorm_mode_16_64 3
		.amdhsa_dx10_clamp 1
		.amdhsa_ieee_mode 1
		.amdhsa_fp16_overflow 0
		.amdhsa_tg_split 0
		.amdhsa_exception_fp_ieee_invalid_op 0
		.amdhsa_exception_fp_denorm_src 0
		.amdhsa_exception_fp_ieee_div_zero 0
		.amdhsa_exception_fp_ieee_overflow 0
		.amdhsa_exception_fp_ieee_underflow 0
		.amdhsa_exception_fp_ieee_inexact 0
		.amdhsa_exception_int_div_zero 0
	.end_amdhsa_kernel
	.section	.text._ZL20rocblas_gemvn_kernelILi64ELi4ElfPKffEviiT3_lPKT2_lT1_lS5_lS6_lS2_lPT4_lS6_li,"axG",@progbits,_ZL20rocblas_gemvn_kernelILi64ELi4ElfPKffEviiT3_lPKT2_lT1_lS5_lS6_lS2_lPT4_lS6_li,comdat
.Lfunc_end3:
	.size	_ZL20rocblas_gemvn_kernelILi64ELi4ElfPKffEviiT3_lPKT2_lT1_lS5_lS6_lS2_lPT4_lS6_li, .Lfunc_end3-_ZL20rocblas_gemvn_kernelILi64ELi4ElfPKffEviiT3_lPKT2_lT1_lS5_lS6_lS2_lPT4_lS6_li
                                        ; -- End function
	.section	.AMDGPU.csdata,"",@progbits
; Kernel info:
; codeLenInByte = 2604
; NumSgprs: 59
; NumVgprs: 51
; NumAgprs: 0
; TotalNumVgprs: 51
; ScratchSize: 0
; MemoryBound: 0
; FloatMode: 240
; IeeeMode: 1
; LDSByteSize: 4096 bytes/workgroup (compile time only)
; SGPRBlocks: 7
; VGPRBlocks: 6
; NumSGPRsForWavesPerEU: 59
; NumVGPRsForWavesPerEU: 51
; AccumOffset: 52
; Occupancy: 8
; WaveLimiterHint : 0
; COMPUTE_PGM_RSRC2:SCRATCH_EN: 0
; COMPUTE_PGM_RSRC2:USER_SGPR: 2
; COMPUTE_PGM_RSRC2:TRAP_HANDLER: 0
; COMPUTE_PGM_RSRC2:TGID_X_EN: 1
; COMPUTE_PGM_RSRC2:TGID_Y_EN: 0
; COMPUTE_PGM_RSRC2:TGID_Z_EN: 1
; COMPUTE_PGM_RSRC2:TIDIG_COMP_CNT: 1
; COMPUTE_PGM_RSRC3_GFX90A:ACCUM_OFFSET: 12
; COMPUTE_PGM_RSRC3_GFX90A:TG_SPLIT: 0
	.section	.text._ZL20rocblas_gemvn_kernelILi64ELi4EifffEviiT3_lPKT2_lT1_lS3_lS4_lS0_lPT4_lS4_li,"axG",@progbits,_ZL20rocblas_gemvn_kernelILi64ELi4EifffEviiT3_lPKT2_lT1_lS3_lS4_lS0_lPT4_lS4_li,comdat
	.globl	_ZL20rocblas_gemvn_kernelILi64ELi4EifffEviiT3_lPKT2_lT1_lS3_lS4_lS0_lPT4_lS4_li ; -- Begin function _ZL20rocblas_gemvn_kernelILi64ELi4EifffEviiT3_lPKT2_lT1_lS3_lS4_lS0_lPT4_lS4_li
	.p2align	8
	.type	_ZL20rocblas_gemvn_kernelILi64ELi4EifffEviiT3_lPKT2_lT1_lS3_lS4_lS0_lPT4_lS4_li,@function
_ZL20rocblas_gemvn_kernelILi64ELi4EifffEviiT3_lPKT2_lT1_lS3_lS4_lS0_lPT4_lS4_li: ; @_ZL20rocblas_gemvn_kernelILi64ELi4EifffEviiT3_lPKT2_lT1_lS3_lS4_lS0_lPT4_lS4_li
; %bb.0:
	s_load_dwordx2 s[4:5], s[0:1], 0x9c
	s_waitcnt lgkmcnt(0)
	s_lshr_b32 s6, s4, 16
	s_and_b32 s4, s4, 0xffff
	s_and_b32 s5, s5, 0xffff
	s_mul_i32 s4, s6, s4
	s_mul_i32 s4, s4, s5
	s_cmpk_lg_i32 s4, 0x100
	s_cbranch_scc1 .LBB4_50
; %bb.1:
	s_load_dwordx4 s[8:11], s[0:1], 0x0
	s_waitcnt lgkmcnt(0)
	s_load_dword s11, s[0:1], 0x58
	v_cmp_eq_f32_e64 s[4:5], s10, 0
	s_waitcnt lgkmcnt(0)
	v_cmp_eq_f32_e64 s[6:7], s11, 1.0
	s_and_b64 s[4:5], s[4:5], s[6:7]
	s_and_b64 vcc, exec, s[4:5]
	s_cbranch_vccnz .LBB4_50
; %bb.2:
	s_load_dwordx2 s[12:13], s[0:1], 0x80
	s_load_dwordx4 s[4:7], s[0:1], 0x68
	s_load_dword s30, s[0:1], 0x78
	v_and_b32_e32 v2, 0x3ff, v0
	v_bfe_u32 v14, v0, 10, 10
	s_waitcnt lgkmcnt(0)
	s_mul_i32 s13, s3, s13
	s_mul_hi_u32 s14, s3, s12
	s_mul_i32 s12, s3, s12
	s_add_i32 s13, s14, s13
	s_lshl_b64 s[12:13], s[12:13], 2
	s_add_u32 s12, s4, s12
	s_addc_u32 s13, s5, s13
	s_lshl_b64 s[4:5], s[6:7], 2
	s_add_u32 s12, s12, s4
	s_addc_u32 s13, s13, s5
	v_cmp_neq_f32_e64 s[4:5], s10, 0
	v_lshl_add_u32 v3, v14, 6, v2
	s_and_b64 vcc, exec, s[4:5]
	s_cbranch_vccnz .LBB4_9
; %bb.3:
	s_movk_i32 s4, 0x100
	v_cmp_gt_u32_e32 vcc, s4, v3
	s_mov_b64 s[4:5], 0
	s_mov_b64 s[14:15], 0
                                        ; implicit-def: $vgpr1
                                        ; implicit-def: $vgpr4_vgpr5
	s_and_saveexec_b64 s[6:7], vcc
	s_cbranch_execz .LBB4_10
; %bb.4:
	v_lshl_or_b32 v0, s2, 8, v3
	v_mov_b32_e32 v1, 0
	s_ashr_i32 s15, s8, 31
	s_mov_b32 s14, s8
	v_cmp_gt_i64_e32 vcc, s[14:15], v[0:1]
	s_mov_b64 s[16:17], 0
                                        ; implicit-def: $vgpr4_vgpr5
	s_and_saveexec_b64 s[14:15], vcc
	s_cbranch_execz .LBB4_8
; %bb.5:
	v_mad_u64_u32 v[4:5], s[18:19], s30, v0, 0
	s_ashr_i32 s20, s30, 31
	v_mov_b32_e32 v6, v5
	v_cmp_eq_f32_e64 s[16:17], s11, 0
	v_mad_u64_u32 v[6:7], s[18:19], s20, v0, v[6:7]
	v_mov_b32_e32 v5, v6
	s_and_b64 vcc, exec, s[16:17]
	s_cbranch_vccnz .LBB4_7
; %bb.6:
	v_lshl_add_u64 v[0:1], v[4:5], 2, s[12:13]
	global_load_dword v0, v[0:1], off
	s_waitcnt vmcnt(0)
	v_mul_f32_e32 v1, s11, v0
.LBB4_7:
	s_mov_b64 s[16:17], exec
.LBB4_8:
	s_or_b64 exec, exec, s[14:15]
	s_and_b64 s[14:15], s[16:17], exec
	s_or_b64 exec, exec, s[6:7]
	s_and_b64 vcc, exec, s[4:5]
	s_cbranch_vccnz .LBB4_11
	s_branch .LBB4_48
.LBB4_9:
	s_mov_b64 s[14:15], 0
                                        ; implicit-def: $vgpr1
                                        ; implicit-def: $vgpr4_vgpr5
	s_cbranch_execnz .LBB4_11
	s_branch .LBB4_48
.LBB4_10:
	s_or_b64 exec, exec, s[6:7]
	s_and_b64 vcc, exec, s[4:5]
	s_cbranch_vccz .LBB4_48
.LBB4_11:
	s_load_dwordx4 s[4:7], s[0:1], 0x30
	s_load_dwordx4 s[16:19], s[0:1], 0x18
	s_load_dword s33, s[0:1], 0x28
	s_load_dwordx2 s[20:21], s[0:1], 0x40
	s_load_dword s34, s[0:1], 0x48
	s_load_dwordx2 s[22:23], s[0:1], 0x50
	s_waitcnt lgkmcnt(0)
	s_mul_i32 s0, s3, s5
	s_mul_hi_u32 s1, s3, s4
	s_add_i32 s1, s1, s0
	s_mul_i32 s0, s3, s4
	s_lshl_b64 s[0:1], s[0:1], 2
	s_add_u32 s4, s16, s0
	s_addc_u32 s5, s17, s1
	s_lshl_b64 s[0:1], s[18:19], 2
	s_add_u32 s16, s4, s0
	s_addc_u32 s17, s5, s1
	s_mul_i32 s0, s3, s23
	s_mul_hi_u32 s1, s3, s22
	s_add_i32 s1, s1, s0
	s_mul_i32 s0, s3, s22
	s_lshl_b64 s[0:1], s[0:1], 2
	s_add_u32 s3, s6, s0
	s_addc_u32 s4, s7, s1
	s_lshl_b64 s[0:1], s[20:21], 2
	s_add_u32 s18, s3, s0
	s_addc_u32 s19, s4, s1
	s_ashr_i32 s0, s9, 31
	s_lshr_b32 s0, s0, 28
	s_add_i32 s0, s9, s0
	s_lshl_b32 s31, s2, 8
	s_and_b32 s35, s0, -16
	v_lshlrev_b32_e32 v20, 2, v14
	v_add_u32_e32 v19, s31, v2
	v_cmp_gt_i32_e32 vcc, s35, v20
	v_mov_b32_e32 v15, 0
	v_mov_b32_e32 v16, 0
	;; [unrolled: 1-line block ×4, first 2 shown]
	s_and_saveexec_b64 s[20:21], vcc
	s_cbranch_execz .LBB4_23
; %bb.12:
	v_add_u32_e32 v0, 64, v19
	v_cmp_gt_i32_e64 s[0:1], s8, v0
	v_add_u32_e32 v0, 0x80, v19
	v_cmp_gt_i32_e64 s[2:3], s8, v0
	;; [unrolled: 2-line block ×3, first 2 shown]
	v_mul_lo_u32 v0, s33, v20
	v_add_u32_e32 v6, 2, v20
	v_add_u32_e32 v7, 3, v20
	v_add3_u32 v21, v0, s33, v2
	v_mad_u64_u32 v[0:1], s[6:7], s33, v6, v[2:3]
	v_mad_u64_u32 v[4:5], s[6:7], s33, v7, v[2:3]
	v_mul_lo_u32 v1, v14, s33
	v_mul_lo_u32 v5, s34, v20
	;; [unrolled: 1-line block ×4, first 2 shown]
	v_cmp_gt_i32_e32 vcc, s8, v19
	s_lshl_b32 s36, s33, 4
	v_lshl_add_u32 v1, v1, 2, v2
	v_add_u32_e32 v5, s34, v5
	s_lshl_b32 s37, s34, 4
	v_mul_lo_u32 v23, s34, v7
	v_lshlrev_b32_e32 v24, 2, v6
	s_mov_b32 s38, 0
	s_mov_b64 s[22:23], 0
	v_mov_b32_e32 v15, 0
	v_mov_b32_e32 v16, 0
	;; [unrolled: 1-line block ×4, first 2 shown]
	s_branch .LBB4_17
.LBB4_13:                               ;   in Loop: Header=BB4_17 Depth=1
	s_or_b64 exec, exec, s[28:29]
	s_waitcnt vmcnt(3)
	v_fmac_f32_e32 v17, v28, v40
	s_waitcnt vmcnt(2)
	v_fmac_f32_e32 v17, v27, v39
	;; [unrolled: 2-line block ×4, first 2 shown]
.LBB4_14:                               ;   in Loop: Header=BB4_17 Depth=1
	s_or_b64 exec, exec, s[26:27]
	s_waitcnt vmcnt(3)
	v_fmac_f32_e32 v16, v28, v36
	s_waitcnt vmcnt(2)
	v_fmac_f32_e32 v16, v27, v35
	;; [unrolled: 2-line block ×4, first 2 shown]
.LBB4_15:                               ;   in Loop: Header=BB4_17 Depth=1
	s_or_b64 exec, exec, s[24:25]
	s_waitcnt vmcnt(3)
	v_fmac_f32_e32 v15, v28, v32
	s_waitcnt vmcnt(2)
	v_fmac_f32_e32 v15, v27, v31
	s_waitcnt vmcnt(1)
	v_fmac_f32_e32 v15, v26, v30
	s_waitcnt vmcnt(0)
	v_fmac_f32_e32 v15, v25, v29
.LBB4_16:                               ;   in Loop: Header=BB4_17 Depth=1
	s_or_b64 exec, exec, s[6:7]
	v_add_u32_e32 v20, 16, v20
	s_add_i32 s38, s38, s37
	v_cmp_le_i32_e64 s[6:7], s35, v20
	v_add_u32_e32 v21, s36, v21
	v_add_u32_e32 v0, s36, v0
	;; [unrolled: 1-line block ×3, first 2 shown]
	s_or_b64 s[22:23], s[6:7], s[22:23]
	v_add_u32_e32 v1, s36, v1
	s_andn2_b64 exec, exec, s[22:23]
	s_cbranch_execz .LBB4_22
.LBB4_17:                               ; =>This Inner Loop Header: Depth=1
	s_and_saveexec_b64 s[6:7], vcc
	s_cbranch_execz .LBB4_16
; %bb.18:                               ;   in Loop: Header=BB4_17 Depth=1
	v_add_u32_e32 v6, s38, v24
	v_ashrrev_i32_e32 v7, 31, v6
	v_add_u32_e32 v8, s38, v5
	v_add_u32_e32 v10, s38, v22
	;; [unrolled: 1-line block ×3, first 2 shown]
	v_lshl_add_u64 v[6:7], v[6:7], 2, s[18:19]
	v_ashrrev_i32_e32 v9, 31, v8
	v_ashrrev_i32_e32 v11, 31, v10
	;; [unrolled: 1-line block ×3, first 2 shown]
	v_lshl_add_u64 v[8:9], v[8:9], 2, s[18:19]
	v_lshl_add_u64 v[10:11], v[10:11], 2, s[18:19]
	;; [unrolled: 1-line block ×3, first 2 shown]
	global_load_dword v28, v[6:7], off
	global_load_dword v27, v[8:9], off
	;; [unrolled: 1-line block ×4, first 2 shown]
	v_add_u32_e32 v6, s31, v1
	v_ashrrev_i32_e32 v7, 31, v6
	v_add_u32_e32 v8, s31, v21
	v_add_u32_e32 v10, s31, v0
	;; [unrolled: 1-line block ×3, first 2 shown]
	v_lshl_add_u64 v[6:7], v[6:7], 2, s[16:17]
	v_ashrrev_i32_e32 v9, 31, v8
	v_ashrrev_i32_e32 v11, 31, v10
	;; [unrolled: 1-line block ×3, first 2 shown]
	v_lshl_add_u64 v[8:9], v[8:9], 2, s[16:17]
	v_lshl_add_u64 v[10:11], v[10:11], 2, s[16:17]
	;; [unrolled: 1-line block ×3, first 2 shown]
	global_load_dword v32, v[6:7], off
	global_load_dword v31, v[8:9], off
	;; [unrolled: 1-line block ×4, first 2 shown]
	s_and_saveexec_b64 s[24:25], s[0:1]
	s_cbranch_execz .LBB4_15
; %bb.19:                               ;   in Loop: Header=BB4_17 Depth=1
	global_load_dword v36, v[6:7], off offset:256
	global_load_dword v35, v[8:9], off offset:256
	global_load_dword v34, v[10:11], off offset:256
	global_load_dword v33, v[12:13], off offset:256
	s_and_saveexec_b64 s[26:27], s[2:3]
	s_cbranch_execz .LBB4_14
; %bb.20:                               ;   in Loop: Header=BB4_17 Depth=1
	global_load_dword v40, v[6:7], off offset:512
	global_load_dword v39, v[8:9], off offset:512
	global_load_dword v38, v[10:11], off offset:512
	global_load_dword v37, v[12:13], off offset:512
	;; [unrolled: 7-line block ×3, first 2 shown]
	s_waitcnt vmcnt(3)
	v_fmac_f32_e32 v18, v28, v41
	s_waitcnt vmcnt(2)
	v_fmac_f32_e32 v18, v27, v42
	s_waitcnt vmcnt(1)
	v_fmac_f32_e32 v18, v26, v43
	s_waitcnt vmcnt(0)
	v_fmac_f32_e32 v18, v25, v44
	s_branch .LBB4_13
.LBB4_22:
	s_or_b64 exec, exec, s[22:23]
.LBB4_23:
	s_or_b64 exec, exec, s[20:21]
	s_sub_i32 s0, s9, s35
	s_cmp_lt_i32 s0, 1
	s_cbranch_scc1 .LBB4_41
; %bb.24:
	v_cmp_gt_i32_e32 vcc, s9, v20
	v_mov_b32_e32 v10, 0
	v_or_b32_e32 v4, 1, v20
	v_mov_b32_e32 v13, 0
	v_mov_b32_e32 v12, 0
	;; [unrolled: 1-line block ×3, first 2 shown]
	s_and_saveexec_b64 s[2:3], vcc
	s_cbranch_execz .LBB4_32
; %bb.25:
	v_mul_lo_u32 v0, v20, s34
	v_ashrrev_i32_e32 v1, 31, v0
	v_lshl_add_u64 v[0:1], v[0:1], 2, s[18:19]
	global_load_dword v11, v[0:1], off
	v_cmp_gt_i32_e64 s[0:1], s9, v4
	v_mov_b32_e32 v12, 0
	v_mov_b32_e32 v13, 0
	;; [unrolled: 1-line block ×3, first 2 shown]
	s_and_saveexec_b64 s[4:5], s[0:1]
	s_cbranch_execz .LBB4_31
; %bb.26:
	v_mul_lo_u32 v0, v4, s34
	v_ashrrev_i32_e32 v1, 31, v0
	v_lshl_add_u64 v[0:1], v[0:1], 2, s[18:19]
	global_load_dword v12, v[0:1], off
	v_or_b32_e32 v0, 2, v20
	v_cmp_gt_i32_e64 s[0:1], s9, v0
	v_mov_b32_e32 v13, 0
	v_mov_b32_e32 v10, 0
	s_and_saveexec_b64 s[6:7], s[0:1]
	s_cbranch_execz .LBB4_30
; %bb.27:
	v_mul_lo_u32 v0, v0, s34
	v_ashrrev_i32_e32 v1, 31, v0
	v_lshl_add_u64 v[0:1], v[0:1], 2, s[18:19]
	global_load_dword v13, v[0:1], off
	v_or_b32_e32 v0, 3, v20
	v_cmp_gt_i32_e64 s[0:1], s9, v0
	v_mov_b32_e32 v10, 0
	s_and_saveexec_b64 s[20:21], s[0:1]
	s_cbranch_execz .LBB4_29
; %bb.28:
	v_mul_lo_u32 v0, v0, s34
	v_ashrrev_i32_e32 v1, 31, v0
	v_lshl_add_u64 v[0:1], v[0:1], 2, s[18:19]
	global_load_dword v10, v[0:1], off
.LBB4_29:
	s_or_b64 exec, exec, s[20:21]
.LBB4_30:
	s_or_b64 exec, exec, s[6:7]
.LBB4_31:
	s_or_b64 exec, exec, s[4:5]
.LBB4_32:
	s_or_b64 exec, exec, s[2:3]
	v_cmp_gt_i32_e64 s[0:1], s8, v19
	s_and_saveexec_b64 s[2:3], s[0:1]
	s_cbranch_execz .LBB4_40
; %bb.33:
	v_mul_lo_u32 v0, v20, s33
	v_cndmask_b32_e32 v0, 0, v0, vcc
	v_mul_lo_u32 v5, v4, s33
	v_cmp_gt_i32_e32 vcc, s9, v4
	v_or_b32_e32 v6, 2, v20
	v_mul_lo_u32 v7, v6, s33
	v_cndmask_b32_e32 v4, 0, v5, vcc
	v_cmp_gt_i32_e32 vcc, s9, v6
	v_or_b32_e32 v8, 3, v20
	v_mul_lo_u32 v9, v8, s33
	v_cndmask_b32_e32 v6, 0, v7, vcc
	v_cmp_gt_i32_e32 vcc, s9, v8
	v_add_u32_e32 v0, v0, v19
	v_ashrrev_i32_e32 v1, 31, v0
	v_cndmask_b32_e32 v8, 0, v9, vcc
	v_add_u32_e32 v4, v4, v19
	v_add_u32_e32 v6, v6, v19
	;; [unrolled: 1-line block ×3, first 2 shown]
	v_lshl_add_u64 v[0:1], v[0:1], 2, s[16:17]
	v_ashrrev_i32_e32 v5, 31, v4
	v_ashrrev_i32_e32 v7, 31, v6
	;; [unrolled: 1-line block ×3, first 2 shown]
	v_lshl_add_u64 v[4:5], v[4:5], 2, s[16:17]
	v_lshl_add_u64 v[6:7], v[6:7], 2, s[16:17]
	global_load_dword v21, v[0:1], off
	global_load_dword v22, v[4:5], off
	;; [unrolled: 1-line block ×3, first 2 shown]
	v_lshl_add_u64 v[8:9], v[8:9], 2, s[16:17]
	global_load_dword v20, v[8:9], off
	v_add_u32_e32 v24, 64, v19
	v_cmp_gt_i32_e32 vcc, s8, v24
	s_waitcnt vmcnt(3)
	v_fmac_f32_e32 v15, v11, v21
	s_waitcnt vmcnt(2)
	v_fmac_f32_e32 v15, v12, v22
	s_waitcnt vmcnt(1)
	v_fmac_f32_e32 v15, v13, v23
	s_and_saveexec_b64 s[0:1], vcc
	s_cbranch_execz .LBB4_39
; %bb.34:
	global_load_dword v22, v[0:1], off offset:256
	global_load_dword v23, v[4:5], off offset:256
	global_load_dword v24, v[6:7], off offset:256
	global_load_dword v21, v[8:9], off offset:256
	v_add_u32_e32 v25, 0x80, v19
	v_cmp_gt_i32_e32 vcc, s8, v25
	s_waitcnt vmcnt(3)
	v_fmac_f32_e32 v16, v11, v22
	s_waitcnt vmcnt(2)
	v_fmac_f32_e32 v16, v12, v23
	s_waitcnt vmcnt(1)
	v_fmac_f32_e32 v16, v13, v24
	s_and_saveexec_b64 s[4:5], vcc
	s_cbranch_execz .LBB4_38
; %bb.35:
	global_load_dword v23, v[0:1], off offset:512
	global_load_dword v24, v[4:5], off offset:512
	global_load_dword v25, v[6:7], off offset:512
	global_load_dword v22, v[8:9], off offset:512
	;; [unrolled: 15-line block ×3, first 2 shown]
	s_waitcnt vmcnt(3)
	v_fmac_f32_e32 v18, v11, v19
	s_waitcnt vmcnt(2)
	v_fmac_f32_e32 v18, v12, v23
	;; [unrolled: 2-line block ×4, first 2 shown]
.LBB4_37:
	s_or_b64 exec, exec, s[6:7]
	s_waitcnt vmcnt(0)
	v_fmac_f32_e32 v17, v10, v22
.LBB4_38:
	s_or_b64 exec, exec, s[4:5]
	s_waitcnt vmcnt(0)
	v_fmac_f32_e32 v16, v10, v21
.LBB4_39:
	s_or_b64 exec, exec, s[0:1]
	s_waitcnt vmcnt(0)
	v_fmac_f32_e32 v15, v10, v20
.LBB4_40:
	s_or_b64 exec, exec, s[2:3]
.LBB4_41:
	v_lshlrev_b32_e32 v0, 8, v14
	s_movk_i32 s0, 0x100
	v_add_lshl_u32 v0, v0, v2, 2
	v_cmp_gt_u32_e32 vcc, s0, v3
	ds_write2st64_b32 v0, v15, v16 offset1:1
	ds_write2st64_b32 v0, v17, v18 offset0:2 offset1:3
	s_waitcnt lgkmcnt(0)
	s_barrier
	s_waitcnt lgkmcnt(0)
                                        ; implicit-def: $vgpr1
                                        ; implicit-def: $vgpr4_vgpr5
	s_and_saveexec_b64 s[0:1], vcc
	s_cbranch_execz .LBB4_47
; %bb.42:
	v_lshlrev_b32_e32 v1, 2, v3
	ds_read2st64_b32 v[4:5], v1 offset1:4
	ds_read2st64_b32 v[6:7], v1 offset0:8 offset1:12
	v_or_b32_e32 v0, s31, v3
	v_cmp_gt_i32_e32 vcc, s8, v0
	s_mov_b64 s[4:5], s[14:15]
	s_waitcnt lgkmcnt(1)
	v_add_f32_e32 v2, v4, v5
	s_waitcnt lgkmcnt(0)
	v_add_f32_e32 v2, v6, v2
	v_add_f32_e32 v2, v7, v2
	ds_write_b32 v1, v2
                                        ; implicit-def: $vgpr1
                                        ; implicit-def: $vgpr4_vgpr5
	s_and_saveexec_b64 s[2:3], vcc
	s_cbranch_execz .LBB4_46
; %bb.43:
	v_cmp_eq_f32_e64 s[4:5], s11, 0
	v_mul_lo_u32 v4, v0, s30
	v_mul_f32_e32 v1, s10, v2
	v_ashrrev_i32_e32 v5, 31, v4
	s_and_b64 vcc, exec, s[4:5]
	s_cbranch_vccnz .LBB4_45
; %bb.44:
	v_lshl_add_u64 v[2:3], v[4:5], 2, s[12:13]
	global_load_dword v0, v[2:3], off
	s_waitcnt vmcnt(0)
	v_fmac_f32_e32 v1, s11, v0
.LBB4_45:
	s_or_b64 s[4:5], s[14:15], exec
.LBB4_46:
	s_or_b64 exec, exec, s[2:3]
	s_andn2_b64 s[2:3], s[14:15], exec
	s_and_b64 s[4:5], s[4:5], exec
	s_or_b64 s[14:15], s[2:3], s[4:5]
.LBB4_47:
	s_or_b64 exec, exec, s[0:1]
.LBB4_48:
	s_and_saveexec_b64 s[0:1], s[14:15]
	s_cbranch_execz .LBB4_50
; %bb.49:
	v_lshl_add_u64 v[2:3], v[4:5], 2, s[12:13]
	global_store_dword v[2:3], v1, off
.LBB4_50:
	s_endpgm
	.section	.rodata,"a",@progbits
	.p2align	6, 0x0
	.amdhsa_kernel _ZL20rocblas_gemvn_kernelILi64ELi4EifffEviiT3_lPKT2_lT1_lS3_lS4_lS0_lPT4_lS4_li
		.amdhsa_group_segment_fixed_size 4096
		.amdhsa_private_segment_fixed_size 0
		.amdhsa_kernarg_size 400
		.amdhsa_user_sgpr_count 2
		.amdhsa_user_sgpr_dispatch_ptr 0
		.amdhsa_user_sgpr_queue_ptr 0
		.amdhsa_user_sgpr_kernarg_segment_ptr 1
		.amdhsa_user_sgpr_dispatch_id 0
		.amdhsa_user_sgpr_kernarg_preload_length 0
		.amdhsa_user_sgpr_kernarg_preload_offset 0
		.amdhsa_user_sgpr_private_segment_size 0
		.amdhsa_uses_dynamic_stack 0
		.amdhsa_enable_private_segment 0
		.amdhsa_system_sgpr_workgroup_id_x 1
		.amdhsa_system_sgpr_workgroup_id_y 0
		.amdhsa_system_sgpr_workgroup_id_z 1
		.amdhsa_system_sgpr_workgroup_info 0
		.amdhsa_system_vgpr_workitem_id 1
		.amdhsa_next_free_vgpr 45
		.amdhsa_next_free_sgpr 39
		.amdhsa_accum_offset 48
		.amdhsa_reserve_vcc 1
		.amdhsa_float_round_mode_32 0
		.amdhsa_float_round_mode_16_64 0
		.amdhsa_float_denorm_mode_32 3
		.amdhsa_float_denorm_mode_16_64 3
		.amdhsa_dx10_clamp 1
		.amdhsa_ieee_mode 1
		.amdhsa_fp16_overflow 0
		.amdhsa_tg_split 0
		.amdhsa_exception_fp_ieee_invalid_op 0
		.amdhsa_exception_fp_denorm_src 0
		.amdhsa_exception_fp_ieee_div_zero 0
		.amdhsa_exception_fp_ieee_overflow 0
		.amdhsa_exception_fp_ieee_underflow 0
		.amdhsa_exception_fp_ieee_inexact 0
		.amdhsa_exception_int_div_zero 0
	.end_amdhsa_kernel
	.section	.text._ZL20rocblas_gemvn_kernelILi64ELi4EifffEviiT3_lPKT2_lT1_lS3_lS4_lS0_lPT4_lS4_li,"axG",@progbits,_ZL20rocblas_gemvn_kernelILi64ELi4EifffEviiT3_lPKT2_lT1_lS3_lS4_lS0_lPT4_lS4_li,comdat
.Lfunc_end4:
	.size	_ZL20rocblas_gemvn_kernelILi64ELi4EifffEviiT3_lPKT2_lT1_lS3_lS4_lS0_lPT4_lS4_li, .Lfunc_end4-_ZL20rocblas_gemvn_kernelILi64ELi4EifffEviiT3_lPKT2_lT1_lS3_lS4_lS0_lPT4_lS4_li
                                        ; -- End function
	.section	.AMDGPU.csdata,"",@progbits
; Kernel info:
; codeLenInByte = 2236
; NumSgprs: 45
; NumVgprs: 45
; NumAgprs: 0
; TotalNumVgprs: 45
; ScratchSize: 0
; MemoryBound: 0
; FloatMode: 240
; IeeeMode: 1
; LDSByteSize: 4096 bytes/workgroup (compile time only)
; SGPRBlocks: 5
; VGPRBlocks: 5
; NumSGPRsForWavesPerEU: 45
; NumVGPRsForWavesPerEU: 45
; AccumOffset: 48
; Occupancy: 8
; WaveLimiterHint : 1
; COMPUTE_PGM_RSRC2:SCRATCH_EN: 0
; COMPUTE_PGM_RSRC2:USER_SGPR: 2
; COMPUTE_PGM_RSRC2:TRAP_HANDLER: 0
; COMPUTE_PGM_RSRC2:TGID_X_EN: 1
; COMPUTE_PGM_RSRC2:TGID_Y_EN: 0
; COMPUTE_PGM_RSRC2:TGID_Z_EN: 1
; COMPUTE_PGM_RSRC2:TIDIG_COMP_CNT: 1
; COMPUTE_PGM_RSRC3_GFX90A:ACCUM_OFFSET: 11
; COMPUTE_PGM_RSRC3_GFX90A:TG_SPLIT: 0
	.section	.text._ZL20rocblas_gemvn_kernelILi64ELi4ElfffEviiT3_lPKT2_lT1_lS3_lS4_lS0_lPT4_lS4_li,"axG",@progbits,_ZL20rocblas_gemvn_kernelILi64ELi4ElfffEviiT3_lPKT2_lT1_lS3_lS4_lS0_lPT4_lS4_li,comdat
	.globl	_ZL20rocblas_gemvn_kernelILi64ELi4ElfffEviiT3_lPKT2_lT1_lS3_lS4_lS0_lPT4_lS4_li ; -- Begin function _ZL20rocblas_gemvn_kernelILi64ELi4ElfffEviiT3_lPKT2_lT1_lS3_lS4_lS0_lPT4_lS4_li
	.p2align	8
	.type	_ZL20rocblas_gemvn_kernelILi64ELi4ElfffEviiT3_lPKT2_lT1_lS3_lS4_lS0_lPT4_lS4_li,@function
_ZL20rocblas_gemvn_kernelILi64ELi4ElfffEviiT3_lPKT2_lT1_lS3_lS4_lS0_lPT4_lS4_li: ; @_ZL20rocblas_gemvn_kernelILi64ELi4ElfffEviiT3_lPKT2_lT1_lS3_lS4_lS0_lPT4_lS4_li
; %bb.0:
	s_load_dwordx2 s[4:5], s[0:1], 0x9c
	s_waitcnt lgkmcnt(0)
	s_lshr_b32 s6, s4, 16
	s_and_b32 s4, s4, 0xffff
	s_and_b32 s5, s5, 0xffff
	s_mul_i32 s4, s6, s4
	s_mul_i32 s4, s4, s5
	s_cmpk_lg_i32 s4, 0x100
	s_cbranch_scc1 .LBB5_50
; %bb.1:
	s_load_dwordx4 s[28:31], s[0:1], 0x0
	s_waitcnt lgkmcnt(0)
	s_load_dword s31, s[0:1], 0x58
	v_cmp_eq_f32_e64 s[4:5], s30, 0
	s_waitcnt lgkmcnt(0)
	v_cmp_eq_f32_e64 s[6:7], s31, 1.0
	s_and_b64 s[4:5], s[4:5], s[6:7]
	s_and_b64 vcc, exec, s[4:5]
	s_cbranch_vccnz .LBB5_50
; %bb.2:
	s_load_dwordx8 s[20:27], s[0:1], 0x68
	v_and_b32_e32 v29, 0x3ff, v0
	v_bfe_u32 v30, v0, 10, 10
	v_lshl_add_u32 v28, v30, 6, v29
	s_waitcnt lgkmcnt(0)
	s_mul_i32 s5, s3, s27
	s_mul_hi_u32 s6, s3, s26
	s_mul_i32 s4, s3, s26
	s_add_i32 s5, s6, s5
	s_lshl_b64 s[4:5], s[4:5], 2
	s_add_u32 s6, s20, s4
	s_addc_u32 s7, s21, s5
	s_lshl_b64 s[4:5], s[22:23], 2
	s_add_u32 s26, s6, s4
	s_addc_u32 s27, s7, s5
	v_cmp_neq_f32_e64 s[4:5], s30, 0
	s_and_b64 vcc, exec, s[4:5]
	s_cbranch_vccnz .LBB5_9
; %bb.3:
	s_movk_i32 s4, 0x100
	v_cmp_gt_u32_e32 vcc, s4, v28
	s_mov_b64 s[4:5], 0
	s_mov_b64 s[34:35], 0
                                        ; implicit-def: $vgpr1
                                        ; implicit-def: $vgpr2_vgpr3
	s_and_saveexec_b64 s[6:7], vcc
	s_cbranch_execz .LBB5_10
; %bb.4:
	v_lshl_or_b32 v0, s2, 8, v28
	v_mov_b32_e32 v1, 0
	s_ashr_i32 s9, s28, 31
	s_mov_b32 s8, s28
	v_cmp_gt_i64_e32 vcc, s[8:9], v[0:1]
	s_mov_b64 s[10:11], 0
                                        ; implicit-def: $vgpr2_vgpr3
	s_and_saveexec_b64 s[8:9], vcc
	s_cbranch_execz .LBB5_8
; %bb.5:
	v_mad_u64_u32 v[2:3], s[12:13], v0, s24, 0
	v_mov_b32_e32 v4, v3
	v_cmp_eq_f32_e64 s[10:11], s31, 0
	v_mad_u64_u32 v[4:5], s[12:13], v0, s25, v[4:5]
	v_mov_b32_e32 v3, v4
	s_and_b64 vcc, exec, s[10:11]
	s_cbranch_vccnz .LBB5_7
; %bb.6:
	v_lshl_add_u64 v[0:1], v[2:3], 2, s[26:27]
	global_load_dword v0, v[0:1], off
	s_waitcnt vmcnt(0)
	v_mul_f32_e32 v1, s31, v0
.LBB5_7:
	s_mov_b64 s[10:11], exec
.LBB5_8:
	s_or_b64 exec, exec, s[8:9]
	s_and_b64 s[34:35], s[10:11], exec
	s_or_b64 exec, exec, s[6:7]
	s_and_b64 vcc, exec, s[4:5]
	s_cbranch_vccnz .LBB5_11
	s_branch .LBB5_48
.LBB5_9:
	s_mov_b64 s[34:35], 0
                                        ; implicit-def: $vgpr1
                                        ; implicit-def: $vgpr2_vgpr3
	s_cbranch_execnz .LBB5_11
	s_branch .LBB5_48
.LBB5_10:
	s_or_b64 exec, exec, s[6:7]
	s_and_b64 vcc, exec, s[4:5]
	s_cbranch_vccz .LBB5_48
.LBB5_11:
	s_load_dwordx16 s[8:23], s[0:1], 0x18
	s_lshl_b32 s33, s2, 8
	v_lshlrev_b32_e32 v35, 2, v30
	v_add_u32_e32 v0, s33, v29
	v_mov_b32_e32 v31, 0
	s_waitcnt lgkmcnt(0)
	s_mul_i32 s0, s3, s15
	s_mul_hi_u32 s1, s3, s14
	s_add_i32 s15, s1, s0
	s_ashr_i32 s0, s29, 31
	s_lshr_b32 s0, s0, 28
	s_add_i32 s0, s29, s0
	s_mul_i32 s4, s3, s23
	s_mul_hi_u32 s5, s3, s22
	s_and_b32 s52, s0, -16
	s_mul_i32 s14, s3, s14
	s_add_i32 s23, s5, s4
	s_mul_i32 s22, s3, s22
	v_cmp_gt_i32_e32 vcc, s52, v35
	v_mov_b32_e32 v32, 0
	v_mov_b32_e32 v33, 0
	;; [unrolled: 1-line block ×3, first 2 shown]
	s_and_saveexec_b64 s[36:37], vcc
	s_cbranch_execz .LBB5_23
; %bb.12:
	v_add_u32_e32 v2, 64, v0
	v_cmp_gt_i32_e64 s[0:1], s28, v2
	v_add_u32_e32 v2, 0x80, v0
	v_cmp_gt_i32_e64 s[2:3], s28, v2
	;; [unrolled: 2-line block ×3, first 2 shown]
	v_mad_u64_u32 v[2:3], s[6:7], s20, v30, 0
	v_mov_b32_e32 v4, v3
	v_ashrrev_i32_e32 v1, 31, v0
	v_mad_u64_u32 v[4:5], s[6:7], s21, v30, v[4:5]
	v_mov_b32_e32 v3, v4
	v_lshlrev_b64 v[4:5], 2, v[0:1]
	v_lshlrev_b32_e32 v1, 2, v30
	v_or_b32_e32 v11, 3, v1
	v_mad_u64_u32 v[6:7], s[42:43], s12, v11, 0
	v_mov_b32_e32 v8, v7
	v_mad_u64_u32 v[8:9], s[42:43], s13, v11, v[8:9]
	v_mov_b32_e32 v7, v8
	;; [unrolled: 2-line block ×5, first 2 shown]
	v_mad_u64_u32 v[12:13], s[46:47], s13, v30, v[12:13]
	v_or_b32_e32 v17, 2, v1
	v_mov_b32_e32 v11, v12
	v_mad_u64_u32 v[12:13], s[46:47], s12, v17, 0
	v_mov_b32_e32 v14, v13
	v_mad_u64_u32 v[14:15], s[46:47], s13, v17, v[14:15]
	;; [unrolled: 2-line block ×4, first 2 shown]
	v_mov_b32_e32 v15, v16
	v_mov_b64_e32 v[16:17], s[20:21]
	v_mad_u64_u32 v[16:17], s[46:47], s20, v1, v[16:17]
	s_lshl_b64 s[38:39], s[18:19], 2
	s_lshl_b64 s[6:7], s[22:23], 2
	v_mov_b32_e32 v18, v17
	s_add_u32 s6, s16, s6
	v_mad_u64_u32 v[18:19], s[46:47], s21, v1, v[18:19]
	s_addc_u32 s7, s17, s7
	s_lshl_b64 s[40:41], s[20:21], 6
	s_lshl_b64 s[42:43], s[14:15], 2
	;; [unrolled: 1-line block ×3, first 2 shown]
	v_mov_b32_e32 v17, v18
	v_mov_b64_e32 v[18:19], s[12:13]
	v_lshl_add_u64 v[2:3], v[2:3], 4, s[6:7]
	s_add_u32 s44, s8, s44
	v_lshl_add_u64 v[8:9], v[8:9], 2, s[6:7]
	v_lshl_add_u64 v[14:15], v[14:15], 2, s[6:7]
	;; [unrolled: 1-line block ×3, first 2 shown]
	v_mad_u64_u32 v[18:19], s[6:7], s12, v1, v[18:19]
	s_addc_u32 s45, s9, s45
	v_mov_b32_e32 v20, v19
	s_add_u32 s44, s44, s42
	v_mad_u64_u32 v[20:21], s[6:7], s13, v1, v[20:21]
	s_addc_u32 s45, s45, s43
	v_mov_b32_e32 v19, v20
	v_cmp_gt_i32_e32 vcc, s28, v0
	v_lshl_add_u64 v[6:7], v[6:7], 2, s[44:45]
	s_lshl_b64 s[42:43], s[12:13], 6
	v_lshl_add_u64 v[10:11], v[10:11], 4, s[44:45]
	v_lshl_add_u64 v[12:13], v[12:13], 2, s[44:45]
	;; [unrolled: 1-line block ×3, first 2 shown]
	s_mov_b64 s[44:45], 0
	v_mov_b32_e32 v31, 0
	v_mov_b32_e32 v32, 0
	;; [unrolled: 1-line block ×4, first 2 shown]
	s_branch .LBB5_17
.LBB5_13:                               ;   in Loop: Header=BB5_17 Depth=1
	s_or_b64 exec, exec, s[50:51]
	s_waitcnt vmcnt(3)
	v_fmac_f32_e32 v33, v1, v50
	s_waitcnt vmcnt(2)
	v_fmac_f32_e32 v33, v36, v49
	;; [unrolled: 2-line block ×4, first 2 shown]
.LBB5_14:                               ;   in Loop: Header=BB5_17 Depth=1
	s_or_b64 exec, exec, s[48:49]
	s_waitcnt vmcnt(3)
	v_fmac_f32_e32 v32, v1, v46
	s_waitcnt vmcnt(2)
	v_fmac_f32_e32 v32, v36, v45
	;; [unrolled: 2-line block ×4, first 2 shown]
.LBB5_15:                               ;   in Loop: Header=BB5_17 Depth=1
	s_or_b64 exec, exec, s[46:47]
	s_waitcnt vmcnt(3)
	v_fmac_f32_e32 v31, v1, v39
	s_waitcnt vmcnt(2)
	v_fmac_f32_e32 v31, v36, v40
	;; [unrolled: 2-line block ×4, first 2 shown]
.LBB5_16:                               ;   in Loop: Header=BB5_17 Depth=1
	s_or_b64 exec, exec, s[6:7]
	v_add_u32_e32 v35, 16, v35
	v_cmp_le_i32_e64 s[6:7], s52, v35
	v_lshl_add_u64 v[2:3], v[2:3], 0, s[40:41]
	v_lshl_add_u64 v[6:7], v[6:7], 0, s[42:43]
	;; [unrolled: 1-line block ×7, first 2 shown]
	s_or_b64 s[44:45], s[6:7], s[44:45]
	v_lshl_add_u64 v[18:19], v[18:19], 0, s[42:43]
	s_andn2_b64 exec, exec, s[44:45]
	s_cbranch_execz .LBB5_22
.LBB5_17:                               ; =>This Inner Loop Header: Depth=1
	s_and_saveexec_b64 s[6:7], vcc
	s_cbranch_execz .LBB5_16
; %bb.18:                               ;   in Loop: Header=BB5_17 Depth=1
	v_lshl_add_u64 v[20:21], v[2:3], 0, s[38:39]
	global_load_dword v1, v[20:21], off
	v_lshl_add_u64 v[20:21], v[16:17], 0, s[38:39]
	global_load_dword v36, v[20:21], off
	;; [unrolled: 2-line block ×4, first 2 shown]
	v_lshl_add_u64 v[26:27], v[10:11], 0, v[4:5]
	v_lshl_add_u64 v[24:25], v[18:19], 0, v[4:5]
	;; [unrolled: 1-line block ×4, first 2 shown]
	global_load_dword v39, v[26:27], off
	global_load_dword v40, v[24:25], off
	;; [unrolled: 1-line block ×4, first 2 shown]
	s_and_saveexec_b64 s[46:47], s[0:1]
	s_cbranch_execz .LBB5_15
; %bb.19:                               ;   in Loop: Header=BB5_17 Depth=1
	global_load_dword v46, v[26:27], off offset:256
	global_load_dword v45, v[24:25], off offset:256
	;; [unrolled: 1-line block ×4, first 2 shown]
	s_and_saveexec_b64 s[48:49], s[2:3]
	s_cbranch_execz .LBB5_14
; %bb.20:                               ;   in Loop: Header=BB5_17 Depth=1
	global_load_dword v50, v[26:27], off offset:512
	global_load_dword v49, v[24:25], off offset:512
	;; [unrolled: 1-line block ×4, first 2 shown]
	s_and_saveexec_b64 s[50:51], s[4:5]
	s_cbranch_execz .LBB5_13
; %bb.21:                               ;   in Loop: Header=BB5_17 Depth=1
	global_load_dword v26, v[26:27], off offset:768
	s_nop 0
	global_load_dword v24, v[24:25], off offset:768
	s_nop 0
	;; [unrolled: 2-line block ×3, first 2 shown]
	global_load_dword v20, v[20:21], off offset:768
	s_waitcnt vmcnt(3)
	v_fmac_f32_e32 v34, v1, v26
	s_waitcnt vmcnt(2)
	v_fmac_f32_e32 v34, v36, v24
	;; [unrolled: 2-line block ×4, first 2 shown]
	s_branch .LBB5_13
.LBB5_22:
	s_or_b64 exec, exec, s[44:45]
.LBB5_23:
	s_or_b64 exec, exec, s[36:37]
	s_sub_i32 s0, s29, s52
	s_cmp_lt_i32 s0, 1
	s_cbranch_scc1 .LBB5_41
; %bb.24:
	v_cmp_gt_i32_e32 vcc, s29, v35
	v_mov_b32_e32 v11, 0
	v_or_b32_e32 v4, 1, v35
	v_mov_b32_e32 v13, 0
	v_mov_b32_e32 v12, 0
	v_mov_b32_e32 v10, 0
	s_and_saveexec_b64 s[2:3], vcc
	s_cbranch_execz .LBB5_32
; %bb.25:
	s_lshl_b64 s[0:1], s[22:23], 2
	s_add_u32 s4, s16, s0
	s_addc_u32 s5, s17, s1
	s_lshl_b64 s[0:1], s[18:19], 2
	s_add_u32 s4, s4, s0
	s_addc_u32 s5, s5, s1
	v_mad_u64_u32 v[2:3], s[0:1], v35, s20, 0
	v_mov_b32_e32 v6, v3
	v_mad_u64_u32 v[6:7], s[0:1], v35, s21, v[6:7]
	v_mov_b32_e32 v3, v6
	v_lshl_add_u64 v[2:3], v[2:3], 2, s[4:5]
	global_load_dword v10, v[2:3], off
	v_cmp_gt_i32_e64 s[0:1], s29, v4
	v_mov_b32_e32 v12, 0
	v_mov_b32_e32 v13, 0
	;; [unrolled: 1-line block ×3, first 2 shown]
	s_and_saveexec_b64 s[6:7], s[0:1]
	s_cbranch_execz .LBB5_31
; %bb.26:
	v_mad_u64_u32 v[2:3], s[0:1], v4, s20, 0
	v_mov_b32_e32 v6, v3
	v_mad_u64_u32 v[6:7], s[0:1], v4, s21, v[6:7]
	v_mov_b32_e32 v3, v6
	v_lshl_add_u64 v[2:3], v[2:3], 2, s[4:5]
	global_load_dword v12, v[2:3], off
	v_or_b32_e32 v1, 2, v35
	v_cmp_gt_i32_e64 s[0:1], s29, v1
	v_mov_b32_e32 v13, 0
	v_mov_b32_e32 v11, 0
	s_and_saveexec_b64 s[16:17], s[0:1]
	s_cbranch_execz .LBB5_30
; %bb.27:
	v_mad_u64_u32 v[2:3], s[0:1], v1, s20, 0
	v_mov_b32_e32 v6, v3
	v_mad_u64_u32 v[6:7], s[0:1], v1, s21, v[6:7]
	v_mov_b32_e32 v3, v6
	v_lshl_add_u64 v[2:3], v[2:3], 2, s[4:5]
	global_load_dword v13, v[2:3], off
	v_or_b32_e32 v1, 3, v35
	v_cmp_gt_i32_e64 s[0:1], s29, v1
	v_mov_b32_e32 v11, 0
	s_and_saveexec_b64 s[18:19], s[0:1]
	s_cbranch_execz .LBB5_29
; %bb.28:
	v_mad_u64_u32 v[2:3], s[0:1], v1, s20, 0
	v_mov_b32_e32 v6, v3
	v_mad_u64_u32 v[6:7], s[0:1], v1, s21, v[6:7]
	v_mov_b32_e32 v3, v6
	v_lshl_add_u64 v[2:3], v[2:3], 2, s[4:5]
	global_load_dword v11, v[2:3], off
.LBB5_29:
	s_or_b64 exec, exec, s[18:19]
.LBB5_30:
	s_or_b64 exec, exec, s[16:17]
.LBB5_31:
	s_or_b64 exec, exec, s[6:7]
.LBB5_32:
	s_or_b64 exec, exec, s[2:3]
	v_cmp_gt_i32_e64 s[0:1], s28, v0
	s_and_saveexec_b64 s[2:3], s[0:1]
	s_cbranch_execz .LBB5_40
; %bb.33:
	s_lshl_b64 s[0:1], s[14:15], 2
	s_add_u32 s4, s8, s0
	s_addc_u32 s5, s9, s1
	s_lshl_b64 s[0:1], s[10:11], 2
	s_add_u32 s0, s4, s0
	s_addc_u32 s1, s5, s1
	v_mad_u64_u32 v[2:3], s[4:5], v35, s12, 0
	v_mov_b32_e32 v6, v3
	v_mad_u64_u32 v[6:7], s[4:5], v35, s13, v[6:7]
	v_ashrrev_i32_e32 v1, 31, v0
	v_cndmask_b32_e32 v3, 0, v6, vcc
	v_mad_u64_u32 v[6:7], s[4:5], v4, s12, 0
	v_cndmask_b32_e32 v2, 0, v2, vcc
	v_lshlrev_b64 v[8:9], 2, v[0:1]
	v_mov_b32_e32 v14, v7
	v_cmp_gt_i32_e32 vcc, s29, v4
	v_or_b32_e32 v1, 2, v35
	v_mad_u64_u32 v[14:15], s[4:5], v4, s13, v[14:15]
	v_cndmask_b32_e32 v4, 0, v6, vcc
	v_mad_u64_u32 v[6:7], s[4:5], v1, s12, 0
	v_cndmask_b32_e32 v5, 0, v14, vcc
	v_mov_b32_e32 v14, v7
	v_mad_u64_u32 v[14:15], s[4:5], v1, s13, v[14:15]
	v_cmp_gt_i32_e32 vcc, s29, v1
	v_or_b32_e32 v1, 3, v35
	v_lshl_add_u64 v[2:3], v[2:3], 2, s[0:1]
	v_cndmask_b32_e32 v7, 0, v14, vcc
	v_mad_u64_u32 v[14:15], s[4:5], v1, s12, 0
	v_mov_b32_e32 v16, v15
	v_cndmask_b32_e32 v6, 0, v6, vcc
	v_mad_u64_u32 v[16:17], s[4:5], v1, s13, v[16:17]
	v_cmp_gt_i32_e32 vcc, s29, v1
	v_lshl_add_u64 v[2:3], v[2:3], 0, v[8:9]
	v_lshl_add_u64 v[4:5], v[4:5], 2, s[0:1]
	v_cndmask_b32_e32 v14, 0, v14, vcc
	v_cndmask_b32_e32 v15, 0, v16, vcc
	v_lshl_add_u64 v[6:7], v[6:7], 2, s[0:1]
	v_lshl_add_u64 v[14:15], v[14:15], 2, s[0:1]
	;; [unrolled: 1-line block ×4, first 2 shown]
	global_load_dword v16, v[2:3], off
	global_load_dword v17, v[4:5], off
	;; [unrolled: 1-line block ×3, first 2 shown]
	v_lshl_add_u64 v[8:9], v[14:15], 0, v[8:9]
	global_load_dword v1, v[8:9], off
	v_add_u32_e32 v14, 64, v0
	v_cmp_gt_i32_e32 vcc, s28, v14
	s_waitcnt vmcnt(3)
	v_fmac_f32_e32 v31, v10, v16
	s_waitcnt vmcnt(2)
	v_fmac_f32_e32 v31, v12, v17
	s_waitcnt vmcnt(1)
	v_fmac_f32_e32 v31, v13, v18
	s_and_saveexec_b64 s[0:1], vcc
	s_cbranch_execz .LBB5_39
; %bb.34:
	global_load_dword v15, v[2:3], off offset:256
	global_load_dword v16, v[4:5], off offset:256
	global_load_dword v17, v[6:7], off offset:256
	global_load_dword v14, v[8:9], off offset:256
	v_add_u32_e32 v18, 0x80, v0
	v_cmp_gt_i32_e32 vcc, s28, v18
	s_waitcnt vmcnt(3)
	v_fmac_f32_e32 v32, v10, v15
	s_waitcnt vmcnt(2)
	v_fmac_f32_e32 v32, v12, v16
	s_waitcnt vmcnt(1)
	v_fmac_f32_e32 v32, v13, v17
	s_and_saveexec_b64 s[4:5], vcc
	s_cbranch_execz .LBB5_38
; %bb.35:
	global_load_dword v16, v[2:3], off offset:512
	global_load_dword v17, v[4:5], off offset:512
	global_load_dword v18, v[6:7], off offset:512
	global_load_dword v15, v[8:9], off offset:512
	;; [unrolled: 15-line block ×3, first 2 shown]
	s_waitcnt vmcnt(3)
	v_fmac_f32_e32 v34, v10, v0
	s_waitcnt vmcnt(2)
	v_fmac_f32_e32 v34, v12, v16
	;; [unrolled: 2-line block ×4, first 2 shown]
.LBB5_37:
	s_or_b64 exec, exec, s[6:7]
	s_waitcnt vmcnt(0)
	v_fmac_f32_e32 v33, v11, v15
.LBB5_38:
	s_or_b64 exec, exec, s[4:5]
	s_waitcnt vmcnt(0)
	v_fmac_f32_e32 v32, v11, v14
.LBB5_39:
	s_or_b64 exec, exec, s[0:1]
	s_waitcnt vmcnt(0)
	v_fmac_f32_e32 v31, v11, v1
.LBB5_40:
	s_or_b64 exec, exec, s[2:3]
.LBB5_41:
	v_lshlrev_b32_e32 v0, 8, v30
	s_movk_i32 s0, 0x100
	v_add_lshl_u32 v0, v0, v29, 2
	v_cmp_gt_u32_e32 vcc, s0, v28
	ds_write2st64_b32 v0, v31, v32 offset1:1
	ds_write2st64_b32 v0, v33, v34 offset0:2 offset1:3
	s_waitcnt lgkmcnt(0)
	s_barrier
	s_waitcnt lgkmcnt(0)
                                        ; implicit-def: $vgpr1
                                        ; implicit-def: $vgpr2_vgpr3
	s_and_saveexec_b64 s[0:1], vcc
	s_cbranch_execz .LBB5_47
; %bb.42:
	v_lshlrev_b32_e32 v1, 2, v28
	ds_read2st64_b32 v[2:3], v1 offset1:4
	ds_read2st64_b32 v[4:5], v1 offset0:8 offset1:12
	v_or_b32_e32 v0, s33, v28
	v_cmp_gt_i32_e32 vcc, s28, v0
	s_mov_b64 s[4:5], s[34:35]
	s_waitcnt lgkmcnt(1)
	v_add_f32_e32 v2, v2, v3
	s_waitcnt lgkmcnt(0)
	v_add_f32_e32 v2, v4, v2
	v_add_f32_e32 v4, v5, v2
	ds_write_b32 v1, v4
                                        ; implicit-def: $vgpr1
                                        ; implicit-def: $vgpr2_vgpr3
	s_and_saveexec_b64 s[2:3], vcc
	s_cbranch_execz .LBB5_46
; %bb.43:
	v_ashrrev_i32_e32 v2, 31, v0
	v_cmp_eq_f32_e64 s[4:5], s31, 0
	v_mul_f32_e32 v1, s30, v4
	v_mul_lo_u32 v4, v0, s25
	v_mul_lo_u32 v5, v2, s24
	v_mad_u64_u32 v[2:3], s[6:7], v0, s24, 0
	v_add3_u32 v3, v3, v4, v5
	s_and_b64 vcc, exec, s[4:5]
	s_cbranch_vccnz .LBB5_45
; %bb.44:
	v_lshl_add_u64 v[4:5], v[2:3], 2, s[26:27]
	global_load_dword v0, v[4:5], off
	s_waitcnt vmcnt(0)
	v_fmac_f32_e32 v1, s31, v0
.LBB5_45:
	s_or_b64 s[4:5], s[34:35], exec
.LBB5_46:
	s_or_b64 exec, exec, s[2:3]
	s_andn2_b64 s[2:3], s[34:35], exec
	s_and_b64 s[4:5], s[4:5], exec
	s_or_b64 s[34:35], s[2:3], s[4:5]
.LBB5_47:
	s_or_b64 exec, exec, s[0:1]
.LBB5_48:
	s_and_saveexec_b64 s[0:1], s[34:35]
	s_cbranch_execz .LBB5_50
; %bb.49:
	v_lshl_add_u64 v[2:3], v[2:3], 2, s[26:27]
	global_store_dword v[2:3], v1, off
.LBB5_50:
	s_endpgm
	.section	.rodata,"a",@progbits
	.p2align	6, 0x0
	.amdhsa_kernel _ZL20rocblas_gemvn_kernelILi64ELi4ElfffEviiT3_lPKT2_lT1_lS3_lS4_lS0_lPT4_lS4_li
		.amdhsa_group_segment_fixed_size 4096
		.amdhsa_private_segment_fixed_size 0
		.amdhsa_kernarg_size 400
		.amdhsa_user_sgpr_count 2
		.amdhsa_user_sgpr_dispatch_ptr 0
		.amdhsa_user_sgpr_queue_ptr 0
		.amdhsa_user_sgpr_kernarg_segment_ptr 1
		.amdhsa_user_sgpr_dispatch_id 0
		.amdhsa_user_sgpr_kernarg_preload_length 0
		.amdhsa_user_sgpr_kernarg_preload_offset 0
		.amdhsa_user_sgpr_private_segment_size 0
		.amdhsa_uses_dynamic_stack 0
		.amdhsa_enable_private_segment 0
		.amdhsa_system_sgpr_workgroup_id_x 1
		.amdhsa_system_sgpr_workgroup_id_y 0
		.amdhsa_system_sgpr_workgroup_id_z 1
		.amdhsa_system_sgpr_workgroup_info 0
		.amdhsa_system_vgpr_workitem_id 1
		.amdhsa_next_free_vgpr 51
		.amdhsa_next_free_sgpr 53
		.amdhsa_accum_offset 52
		.amdhsa_reserve_vcc 1
		.amdhsa_float_round_mode_32 0
		.amdhsa_float_round_mode_16_64 0
		.amdhsa_float_denorm_mode_32 3
		.amdhsa_float_denorm_mode_16_64 3
		.amdhsa_dx10_clamp 1
		.amdhsa_ieee_mode 1
		.amdhsa_fp16_overflow 0
		.amdhsa_tg_split 0
		.amdhsa_exception_fp_ieee_invalid_op 0
		.amdhsa_exception_fp_denorm_src 0
		.amdhsa_exception_fp_ieee_div_zero 0
		.amdhsa_exception_fp_ieee_overflow 0
		.amdhsa_exception_fp_ieee_underflow 0
		.amdhsa_exception_fp_ieee_inexact 0
		.amdhsa_exception_int_div_zero 0
	.end_amdhsa_kernel
	.section	.text._ZL20rocblas_gemvn_kernelILi64ELi4ElfffEviiT3_lPKT2_lT1_lS3_lS4_lS0_lPT4_lS4_li,"axG",@progbits,_ZL20rocblas_gemvn_kernelILi64ELi4ElfffEviiT3_lPKT2_lT1_lS3_lS4_lS0_lPT4_lS4_li,comdat
.Lfunc_end5:
	.size	_ZL20rocblas_gemvn_kernelILi64ELi4ElfffEviiT3_lPKT2_lT1_lS3_lS4_lS0_lPT4_lS4_li, .Lfunc_end5-_ZL20rocblas_gemvn_kernelILi64ELi4ElfffEviiT3_lPKT2_lT1_lS3_lS4_lS0_lPT4_lS4_li
                                        ; -- End function
	.section	.AMDGPU.csdata,"",@progbits
; Kernel info:
; codeLenInByte = 2544
; NumSgprs: 59
; NumVgprs: 51
; NumAgprs: 0
; TotalNumVgprs: 51
; ScratchSize: 0
; MemoryBound: 0
; FloatMode: 240
; IeeeMode: 1
; LDSByteSize: 4096 bytes/workgroup (compile time only)
; SGPRBlocks: 7
; VGPRBlocks: 6
; NumSGPRsForWavesPerEU: 59
; NumVGPRsForWavesPerEU: 51
; AccumOffset: 52
; Occupancy: 8
; WaveLimiterHint : 1
; COMPUTE_PGM_RSRC2:SCRATCH_EN: 0
; COMPUTE_PGM_RSRC2:USER_SGPR: 2
; COMPUTE_PGM_RSRC2:TRAP_HANDLER: 0
; COMPUTE_PGM_RSRC2:TGID_X_EN: 1
; COMPUTE_PGM_RSRC2:TGID_Y_EN: 0
; COMPUTE_PGM_RSRC2:TGID_Z_EN: 1
; COMPUTE_PGM_RSRC2:TIDIG_COMP_CNT: 1
; COMPUTE_PGM_RSRC3_GFX90A:ACCUM_OFFSET: 12
; COMPUTE_PGM_RSRC3_GFX90A:TG_SPLIT: 0
	.section	.text._ZL24rocblas_gemv_scal_kernelILi256EPKfPfEviT0_lT1_lili,"axG",@progbits,_ZL24rocblas_gemv_scal_kernelILi256EPKfPfEviT0_lT1_lili,comdat
	.globl	_ZL24rocblas_gemv_scal_kernelILi256EPKfPfEviT0_lT1_lili ; -- Begin function _ZL24rocblas_gemv_scal_kernelILi256EPKfPfEviT0_lT1_lili
	.p2align	8
	.type	_ZL24rocblas_gemv_scal_kernelILi256EPKfPfEviT0_lT1_lili,@function
_ZL24rocblas_gemv_scal_kernelILi256EPKfPfEviT0_lT1_lili: ; @_ZL24rocblas_gemv_scal_kernelILi256EPKfPfEviT0_lT1_lili
; %bb.0:
	s_load_dwordx8 s[4:11], s[0:1], 0x8
	s_waitcnt lgkmcnt(0)
	s_mul_i32 s7, s3, s7
	s_mul_hi_u32 s12, s3, s6
	s_add_i32 s7, s12, s7
	s_mul_i32 s6, s3, s6
	s_lshl_b64 s[6:7], s[6:7], 2
	s_add_u32 s4, s4, s6
	s_addc_u32 s5, s5, s7
	s_load_dword s4, s[4:5], 0x0
	s_waitcnt lgkmcnt(0)
	v_cmp_eq_f32_e64 s[6:7], s4, 1.0
	s_and_b64 vcc, exec, s[6:7]
	s_cbranch_vccnz .LBB6_5
; %bb.1:
	s_load_dword s6, s[0:1], 0x0
	s_load_dword s5, s[0:1], 0x4c
	v_mov_b32_e32 v1, 0
	s_waitcnt lgkmcnt(0)
	s_ashr_i32 s7, s6, 31
	s_and_b32 s5, s5, 0xffff
	s_mul_i32 s2, s2, s5
	v_add_u32_e32 v0, s2, v0
	v_cmp_gt_i64_e32 vcc, s[6:7], v[0:1]
	s_and_saveexec_b64 s[6:7], vcc
	s_cbranch_execz .LBB6_5
; %bb.2:
	s_load_dword s5, s[0:1], 0x28
	s_load_dwordx2 s[6:7], s[0:1], 0x30
	s_waitcnt lgkmcnt(0)
	s_ashr_i32 s12, s5, 31
	s_mul_i32 s1, s3, s7
	s_mul_hi_u32 s2, s3, s6
	s_mul_i32 s0, s3, s6
	s_add_i32 s1, s2, s1
	s_lshl_b64 s[0:1], s[0:1], 2
	s_add_u32 s2, s8, s0
	v_mad_u64_u32 v[2:3], s[6:7], v0, s5, 0
	s_addc_u32 s3, s9, s1
	s_lshl_b64 s[0:1], s[10:11], 2
	v_mov_b32_e32 v4, v3
	s_add_u32 s0, s2, s0
	v_mad_u64_u32 v[4:5], s[6:7], v0, s12, v[4:5]
	s_addc_u32 s1, s3, s1
	v_cmp_eq_f32_e64 s[2:3], s4, 0
	v_mov_b32_e32 v3, v4
	v_lshl_add_u64 v[2:3], v[2:3], 2, s[0:1]
	s_and_b64 vcc, exec, s[2:3]
	s_cbranch_vccnz .LBB6_4
; %bb.3:
	global_load_dword v0, v[2:3], off
	s_waitcnt vmcnt(0)
	v_mul_f32_e32 v1, s4, v0
.LBB6_4:
	global_store_dword v[2:3], v1, off
.LBB6_5:
	s_endpgm
	.section	.rodata,"a",@progbits
	.p2align	6, 0x0
	.amdhsa_kernel _ZL24rocblas_gemv_scal_kernelILi256EPKfPfEviT0_lT1_lili
		.amdhsa_group_segment_fixed_size 0
		.amdhsa_private_segment_fixed_size 0
		.amdhsa_kernarg_size 320
		.amdhsa_user_sgpr_count 2
		.amdhsa_user_sgpr_dispatch_ptr 0
		.amdhsa_user_sgpr_queue_ptr 0
		.amdhsa_user_sgpr_kernarg_segment_ptr 1
		.amdhsa_user_sgpr_dispatch_id 0
		.amdhsa_user_sgpr_kernarg_preload_length 0
		.amdhsa_user_sgpr_kernarg_preload_offset 0
		.amdhsa_user_sgpr_private_segment_size 0
		.amdhsa_uses_dynamic_stack 0
		.amdhsa_enable_private_segment 0
		.amdhsa_system_sgpr_workgroup_id_x 1
		.amdhsa_system_sgpr_workgroup_id_y 0
		.amdhsa_system_sgpr_workgroup_id_z 1
		.amdhsa_system_sgpr_workgroup_info 0
		.amdhsa_system_vgpr_workitem_id 0
		.amdhsa_next_free_vgpr 6
		.amdhsa_next_free_sgpr 13
		.amdhsa_accum_offset 8
		.amdhsa_reserve_vcc 1
		.amdhsa_float_round_mode_32 0
		.amdhsa_float_round_mode_16_64 0
		.amdhsa_float_denorm_mode_32 3
		.amdhsa_float_denorm_mode_16_64 3
		.amdhsa_dx10_clamp 1
		.amdhsa_ieee_mode 1
		.amdhsa_fp16_overflow 0
		.amdhsa_tg_split 0
		.amdhsa_exception_fp_ieee_invalid_op 0
		.amdhsa_exception_fp_denorm_src 0
		.amdhsa_exception_fp_ieee_div_zero 0
		.amdhsa_exception_fp_ieee_overflow 0
		.amdhsa_exception_fp_ieee_underflow 0
		.amdhsa_exception_fp_ieee_inexact 0
		.amdhsa_exception_int_div_zero 0
	.end_amdhsa_kernel
	.section	.text._ZL24rocblas_gemv_scal_kernelILi256EPKfPfEviT0_lT1_lili,"axG",@progbits,_ZL24rocblas_gemv_scal_kernelILi256EPKfPfEviT0_lT1_lili,comdat
.Lfunc_end6:
	.size	_ZL24rocblas_gemv_scal_kernelILi256EPKfPfEviT0_lT1_lili, .Lfunc_end6-_ZL24rocblas_gemv_scal_kernelILi256EPKfPfEviT0_lT1_lili
                                        ; -- End function
	.section	.AMDGPU.csdata,"",@progbits
; Kernel info:
; codeLenInByte = 264
; NumSgprs: 19
; NumVgprs: 6
; NumAgprs: 0
; TotalNumVgprs: 6
; ScratchSize: 0
; MemoryBound: 0
; FloatMode: 240
; IeeeMode: 1
; LDSByteSize: 0 bytes/workgroup (compile time only)
; SGPRBlocks: 2
; VGPRBlocks: 0
; NumSGPRsForWavesPerEU: 19
; NumVGPRsForWavesPerEU: 6
; AccumOffset: 8
; Occupancy: 8
; WaveLimiterHint : 0
; COMPUTE_PGM_RSRC2:SCRATCH_EN: 0
; COMPUTE_PGM_RSRC2:USER_SGPR: 2
; COMPUTE_PGM_RSRC2:TRAP_HANDLER: 0
; COMPUTE_PGM_RSRC2:TGID_X_EN: 1
; COMPUTE_PGM_RSRC2:TGID_Y_EN: 0
; COMPUTE_PGM_RSRC2:TGID_Z_EN: 1
; COMPUTE_PGM_RSRC2:TIDIG_COMP_CNT: 0
; COMPUTE_PGM_RSRC3_GFX90A:ACCUM_OFFSET: 1
; COMPUTE_PGM_RSRC3_GFX90A:TG_SPLIT: 0
	.section	.text._ZL24rocblas_gemv_scal_kernelILi256EfPfEviT0_lT1_lili,"axG",@progbits,_ZL24rocblas_gemv_scal_kernelILi256EfPfEviT0_lT1_lili,comdat
	.globl	_ZL24rocblas_gemv_scal_kernelILi256EfPfEviT0_lT1_lili ; -- Begin function _ZL24rocblas_gemv_scal_kernelILi256EfPfEviT0_lT1_lili
	.p2align	8
	.type	_ZL24rocblas_gemv_scal_kernelILi256EfPfEviT0_lT1_lili,@function
_ZL24rocblas_gemv_scal_kernelILi256EfPfEviT0_lT1_lili: ; @_ZL24rocblas_gemv_scal_kernelILi256EfPfEviT0_lT1_lili
; %bb.0:
	s_load_dwordx2 s[4:5], s[0:1], 0x0
	s_waitcnt lgkmcnt(0)
	v_cmp_eq_f32_e64 s[6:7], s5, 1.0
	s_and_b64 vcc, exec, s[6:7]
	s_cbranch_vccnz .LBB7_5
; %bb.1:
	s_load_dword s6, s[0:1], 0x44
	v_mov_b32_e32 v1, 0
	s_ashr_i32 s7, s4, 31
	s_waitcnt lgkmcnt(0)
	s_and_b32 s6, s6, 0xffff
	s_mul_i32 s2, s2, s6
	v_add_u32_e32 v0, s2, v0
	s_mov_b32 s6, s4
	v_cmp_gt_i64_e32 vcc, s[6:7], v[0:1]
	s_and_saveexec_b64 s[6:7], vcc
	s_cbranch_execz .LBB7_5
; %bb.2:
	s_load_dword s4, s[0:1], 0x20
	s_load_dwordx2 s[6:7], s[0:1], 0x28
	s_load_dwordx4 s[8:11], s[0:1], 0x10
	s_waitcnt lgkmcnt(0)
	s_ashr_i32 s12, s4, 31
	s_mul_i32 s0, s3, s7
	s_mul_hi_u32 s1, s3, s6
	s_add_i32 s1, s1, s0
	s_mul_i32 s0, s3, s6
	s_lshl_b64 s[0:1], s[0:1], 2
	s_add_u32 s2, s8, s0
	v_mad_u64_u32 v[2:3], s[6:7], v0, s4, 0
	s_addc_u32 s3, s9, s1
	s_lshl_b64 s[0:1], s[10:11], 2
	v_mov_b32_e32 v4, v3
	s_add_u32 s0, s2, s0
	v_mad_u64_u32 v[4:5], s[6:7], v0, s12, v[4:5]
	s_addc_u32 s1, s3, s1
	v_cmp_eq_f32_e64 s[2:3], s5, 0
	v_mov_b32_e32 v3, v4
	v_lshl_add_u64 v[2:3], v[2:3], 2, s[0:1]
	s_and_b64 vcc, exec, s[2:3]
	s_cbranch_vccnz .LBB7_4
; %bb.3:
	global_load_dword v0, v[2:3], off
	s_waitcnt vmcnt(0)
	v_mul_f32_e32 v1, s5, v0
.LBB7_4:
	global_store_dword v[2:3], v1, off
.LBB7_5:
	s_endpgm
	.section	.rodata,"a",@progbits
	.p2align	6, 0x0
	.amdhsa_kernel _ZL24rocblas_gemv_scal_kernelILi256EfPfEviT0_lT1_lili
		.amdhsa_group_segment_fixed_size 0
		.amdhsa_private_segment_fixed_size 0
		.amdhsa_kernarg_size 312
		.amdhsa_user_sgpr_count 2
		.amdhsa_user_sgpr_dispatch_ptr 0
		.amdhsa_user_sgpr_queue_ptr 0
		.amdhsa_user_sgpr_kernarg_segment_ptr 1
		.amdhsa_user_sgpr_dispatch_id 0
		.amdhsa_user_sgpr_kernarg_preload_length 0
		.amdhsa_user_sgpr_kernarg_preload_offset 0
		.amdhsa_user_sgpr_private_segment_size 0
		.amdhsa_uses_dynamic_stack 0
		.amdhsa_enable_private_segment 0
		.amdhsa_system_sgpr_workgroup_id_x 1
		.amdhsa_system_sgpr_workgroup_id_y 0
		.amdhsa_system_sgpr_workgroup_id_z 1
		.amdhsa_system_sgpr_workgroup_info 0
		.amdhsa_system_vgpr_workitem_id 0
		.amdhsa_next_free_vgpr 6
		.amdhsa_next_free_sgpr 13
		.amdhsa_accum_offset 8
		.amdhsa_reserve_vcc 1
		.amdhsa_float_round_mode_32 0
		.amdhsa_float_round_mode_16_64 0
		.amdhsa_float_denorm_mode_32 3
		.amdhsa_float_denorm_mode_16_64 3
		.amdhsa_dx10_clamp 1
		.amdhsa_ieee_mode 1
		.amdhsa_fp16_overflow 0
		.amdhsa_tg_split 0
		.amdhsa_exception_fp_ieee_invalid_op 0
		.amdhsa_exception_fp_denorm_src 0
		.amdhsa_exception_fp_ieee_div_zero 0
		.amdhsa_exception_fp_ieee_overflow 0
		.amdhsa_exception_fp_ieee_underflow 0
		.amdhsa_exception_fp_ieee_inexact 0
		.amdhsa_exception_int_div_zero 0
	.end_amdhsa_kernel
	.section	.text._ZL24rocblas_gemv_scal_kernelILi256EfPfEviT0_lT1_lili,"axG",@progbits,_ZL24rocblas_gemv_scal_kernelILi256EfPfEviT0_lT1_lili,comdat
.Lfunc_end7:
	.size	_ZL24rocblas_gemv_scal_kernelILi256EfPfEviT0_lT1_lili, .Lfunc_end7-_ZL24rocblas_gemv_scal_kernelILi256EfPfEviT0_lT1_lili
                                        ; -- End function
	.section	.AMDGPU.csdata,"",@progbits
; Kernel info:
; codeLenInByte = 228
; NumSgprs: 19
; NumVgprs: 6
; NumAgprs: 0
; TotalNumVgprs: 6
; ScratchSize: 0
; MemoryBound: 0
; FloatMode: 240
; IeeeMode: 1
; LDSByteSize: 0 bytes/workgroup (compile time only)
; SGPRBlocks: 2
; VGPRBlocks: 0
; NumSGPRsForWavesPerEU: 19
; NumVGPRsForWavesPerEU: 6
; AccumOffset: 8
; Occupancy: 8
; WaveLimiterHint : 0
; COMPUTE_PGM_RSRC2:SCRATCH_EN: 0
; COMPUTE_PGM_RSRC2:USER_SGPR: 2
; COMPUTE_PGM_RSRC2:TRAP_HANDLER: 0
; COMPUTE_PGM_RSRC2:TGID_X_EN: 1
; COMPUTE_PGM_RSRC2:TGID_Y_EN: 0
; COMPUTE_PGM_RSRC2:TGID_Z_EN: 1
; COMPUTE_PGM_RSRC2:TIDIG_COMP_CNT: 0
; COMPUTE_PGM_RSRC3_GFX90A:ACCUM_OFFSET: 1
; COMPUTE_PGM_RSRC3_GFX90A:TG_SPLIT: 0
	.section	.text._ZL36rocblas_gemvn_double_buffered_kernelILi128ELi8ELi8EfPKffEviiT3_lPKT2_lilS5_lilPT4_lili,"axG",@progbits,_ZL36rocblas_gemvn_double_buffered_kernelILi128ELi8ELi8EfPKffEviiT3_lPKT2_lilS5_lilPT4_lili,comdat
	.globl	_ZL36rocblas_gemvn_double_buffered_kernelILi128ELi8ELi8EfPKffEviiT3_lPKT2_lilS5_lilPT4_lili ; -- Begin function _ZL36rocblas_gemvn_double_buffered_kernelILi128ELi8ELi8EfPKffEviiT3_lPKT2_lilS5_lilPT4_lili
	.p2align	8
	.type	_ZL36rocblas_gemvn_double_buffered_kernelILi128ELi8ELi8EfPKffEviiT3_lPKT2_lilS5_lilPT4_lili,@function
_ZL36rocblas_gemvn_double_buffered_kernelILi128ELi8ELi8EfPKffEviiT3_lPKT2_lilS5_lilPT4_lili: ; @_ZL36rocblas_gemvn_double_buffered_kernelILi128ELi8ELi8EfPKffEviiT3_lPKT2_lilS5_lilPT4_lili
; %bb.0:
	s_load_dwordx8 s[8:15], s[0:1], 0x8
	s_waitcnt lgkmcnt(0)
	s_mul_i32 s5, s4, s11
	s_mul_hi_u32 s6, s4, s10
	s_add_i32 s7, s6, s5
	s_mul_i32 s6, s4, s10
	s_lshl_b64 s[6:7], s[6:7], 2
	s_add_u32 s6, s8, s6
	s_addc_u32 s7, s9, s7
	s_load_dword s5, s[6:7], 0x0
	s_waitcnt lgkmcnt(0)
	v_cmp_eq_f32_e64 s[6:7], s5, 0
	s_and_b64 vcc, exec, s[6:7]
	s_cbranch_vccnz .LBB8_10
; %bb.1:
	s_load_dword s6, s[0:1], 0x84
	s_load_dword s7, s[0:1], 0x4
	s_waitcnt lgkmcnt(0)
	v_cvt_f32_u32_e32 v1, s6
	s_ashr_i32 s8, s7, 31
	s_lshr_b32 s8, s8, 25
	s_sub_i32 s9, 0, s6
	v_rcp_iflag_f32_e32 v1, v1
	s_add_i32 s7, s7, s8
	s_ashr_i32 s7, s7, 7
	v_mul_f32_e32 v1, 0x4f7ffffe, v1
	v_cvt_u32_f32_e32 v1, v1
	s_nop 0
	v_readfirstlane_b32 s8, v1
	s_mul_i32 s9, s9, s8
	s_mul_hi_u32 s9, s8, s9
	s_add_i32 s8, s8, s9
	s_mul_hi_u32 s8, s7, s8
	s_mul_i32 s9, s8, s6
	s_sub_i32 s9, s7, s9
	s_add_i32 s10, s8, 1
	s_sub_i32 s11, s9, s6
	s_cmp_ge_u32 s9, s6
	s_cselect_b32 s8, s10, s8
	s_cselect_b32 s9, s11, s9
	s_add_i32 s10, s8, 1
	s_cmp_ge_u32 s9, s6
	s_cselect_b32 s31, s10, s8
	s_mul_i32 s6, s31, s6
	s_sub_i32 s30, s7, s6
	s_cmp_lt_u32 s3, s30
	s_cselect_b64 s[6:7], -1, 0
	s_cmp_lg_u64 s[6:7], 0
	s_addc_u32 s28, s31, 0
	s_cmp_eq_u32 s28, 0
	s_cbranch_scc1 .LBB8_10
; %bb.2:
	s_load_dwordx4 s[8:11], s[0:1], 0x50
	s_load_dwordx2 s[6:7], s[0:1], 0x60
	v_and_b32_e32 v24, 0x3ff, v0
	v_bfe_u32 v25, v0, 10, 10
	s_lshl_b32 s20, s2, 7
	v_lshl_add_u32 v4, v25, 7, v24
	v_and_b32_e32 v0, 63, v24
	s_ashr_i32 s21, s20, 31
	s_mov_b32 s29, 0
	v_lshrrev_b32_e32 v26, 6, v4
	s_cmp_lt_i32 s28, 1
	v_mov_b32_e32 v1, 0
	v_lshlrev_b32_e32 v2, 2, v0
	v_mov_b32_e32 v35, 0
	s_cbranch_scc1 .LBB8_8
; %bb.3:
	s_load_dword s26, s[0:1], 0x28
	s_load_dwordx4 s[16:19], s[0:1], 0x30
	s_load_dwordx2 s[24:25], s[0:1], 0x40
	s_load_dword s22, s[0:1], 0x48
	v_lshlrev_b32_e32 v3, 3, v26
	v_mov_b32_e32 v1, 0
	s_waitcnt lgkmcnt(0)
	s_mul_i32 s2, s4, s17
	s_mul_hi_u32 s17, s4, s16
	v_mad_i64_i32 v[6:7], s[34:35], s26, v3, v[0:1]
	s_add_i32 s17, s17, s2
	s_mul_i32 s16, s4, s16
	s_ashr_i32 s27, s26, 31
	s_ashr_i32 s23, s22, 31
	s_lshl_b64 s[34:35], s[16:17], 2
	s_add_u32 s2, s12, s34
	s_mul_i32 s31, s31, s3
	v_cvt_f64_i32_e32 v[10:11], s3
	v_cvt_f64_u32_e32 v[12:13], s30
	s_addc_u32 s16, s13, s35
	s_lshl_b64 s[36:37], s[14:15], 2
	v_cvt_f64_u32_e32 v[8:9], s31
	v_min_f64 v[10:11], v[10:11], v[12:13]
	s_add_u32 s2, s2, s36
	v_add_f64 v[8:9], v[10:11], v[8:9]
	s_addc_u32 s14, s16, s37
	v_cvt_i32_f64_e32 v0, v[8:9]
	s_lshl_b64 s[30:31], s[20:21], 2
	s_add_u32 s15, s2, s30
	v_readfirstlane_b32 s2, v0
	s_addc_u32 s14, s14, s31
	s_lshl_b32 s38, s2, 7
	s_mul_hi_i32 s3, s38, s26
	s_mul_i32 s2, s38, s26
	s_ashr_i32 s39, s38, 31
	s_lshl_b64 s[2:3], s[2:3], 2
	s_add_u32 s2, s15, s2
	s_addc_u32 s3, s14, s3
	v_lshl_add_u64 v[6:7], v[6:7], 2, s[2:3]
	s_lshl_b64 s[2:3], s[26:27], 2
	v_lshl_add_u64 v[8:9], v[6:7], 0, s[2:3]
	global_load_dword v27, v[6:7], off
	global_load_dword v28, v[8:9], off
	v_lshl_add_u64 v[6:7], v[8:9], 0, s[2:3]
	global_load_dword v29, v[6:7], off
	v_lshl_add_u64 v[6:7], v[6:7], 0, s[2:3]
	global_load_dword v30, v[6:7], off
	v_lshl_add_u64 v[6:7], v[6:7], 0, s[2:3]
	global_load_dword v31, v[6:7], off
	v_lshl_add_u64 v[6:7], v[6:7], 0, s[2:3]
	global_load_dword v32, v[6:7], off
	v_lshl_add_u64 v[6:7], v[6:7], 0, s[2:3]
	global_load_dword v33, v[6:7], off
	v_lshl_add_u64 v[6:7], v[6:7], 0, s[2:3]
	global_load_dword v34, v[6:7], off
	s_lshl_b32 s16, s22, 7
	s_lshl_b64 s[14:15], s[26:27], 9
	s_add_i32 s21, s28, -1
	s_ashr_i32 s17, s16, 31
	s_add_u32 s12, s12, s30
	s_addc_u32 s13, s13, s31
	s_add_u32 s12, s12, s36
	s_addc_u32 s13, s13, s37
	v_lshrrev_b32_e32 v0, 1, v4
	s_add_u32 s12, s12, s34
	v_and_b32_e32 v0, 0x1ffe0, v0
	s_addc_u32 s13, s13, s35
	v_lshl_add_u64 v[36:37], s[38:39], 2, v[0:1]
	v_mov_b64_e32 v[20:21], s[12:13]
	v_mad_u64_u32 v[4:5], s[12:13], v36, s26, v[20:21]
	v_mul_lo_u32 v0, v36, s27
	v_mul_lo_u32 v6, v37, s26
	v_add3_u32 v5, v6, v5, v0
	s_mov_b64 s[12:13], 0x100
	v_lshl_add_u64 v[4:5], v[4:5], 0, s[12:13]
	s_mov_b64 s[12:13], 0x200
	v_lshl_add_u64 v[8:9], v[36:37], 0, s[12:13]
	v_mad_u64_u32 v[6:7], s[12:13], v8, s26, v[20:21]
	s_mov_b64 s[12:13], 0x208
	v_mul_lo_u32 v0, v8, s27
	v_mul_lo_u32 v8, v9, s26
	v_lshl_add_u64 v[10:11], v[36:37], 0, s[12:13]
	v_add3_u32 v7, v8, v7, v0
	v_mad_u64_u32 v[8:9], s[12:13], v10, s26, v[20:21]
	s_mov_b64 s[12:13], 0x20c
	v_mul_lo_u32 v0, v10, s27
	v_mul_lo_u32 v10, v11, s26
	v_lshl_add_u64 v[12:13], v[36:37], 0, s[12:13]
	v_add3_u32 v9, v10, v9, v0
	;; [unrolled: 6-line block ×6, first 2 shown]
	v_mad_u64_u32 v[18:19], s[12:13], v22, s26, v[20:21]
	v_mul_lo_u32 v0, v22, s27
	v_mul_lo_u32 v22, v23, s26
	s_mov_b64 s[12:13], 0x204
	v_add3_u32 v19, v22, v19, v0
	v_lshl_add_u64 v[22:23], v[36:37], 0, s[12:13]
	v_mad_u64_u32 v[20:21], s[12:13], v22, s26, v[20:21]
	s_mul_i32 s9, s9, s4
	s_mul_hi_u32 s12, s8, s4
	s_add_i32 s9, s12, s9
	s_mul_i32 s8, s8, s4
	s_lshl_b64 s[8:9], s[8:9], 2
	s_lshl_b64 s[12:13], s[24:25], 2
	s_add_u32 s12, s18, s12
	s_addc_u32 s13, s19, s13
	s_add_u32 s8, s12, s8
	v_mul_lo_u32 v0, v22, s27
	v_mul_lo_u32 v22, v23, s26
	s_addc_u32 s9, s13, s9
	v_add3_u32 v21, v22, v21, v0
	v_mov_b64_e32 v[22:23], s[8:9]
	v_mad_u64_u32 v[22:23], s[8:9], v36, s22, v[22:23]
	v_mul_lo_u32 v0, v36, s23
	v_mul_lo_u32 v35, v37, s22
	v_mov_b32_e32 v3, v1
	v_add3_u32 v23, v35, v23, v0
	s_lshl_b64 s[8:9], s[16:17], 2
	s_lshl_b64 s[12:13], s[22:23], 2
	v_mov_b32_e32 v35, v1
	s_waitcnt vmcnt(7)
	v_mov_b32_e32 v0, v27
	s_waitcnt vmcnt(6)
	;; [unrolled: 2-line block ×8, first 2 shown]
	v_mov_b32_e32 v42, v34
.LBB8_4:                                ; =>This Inner Loop Header: Depth=1
	v_lshl_add_u64 v[44:45], v[4:5], 0, v[2:3]
	v_lshl_add_u64 v[46:47], v[44:45], 0, s[2:3]
	global_load_dword v43, v[44:45], off
	v_lshl_add_u64 v[54:55], v[22:23], 0, s[12:13]
	global_load_dword v44, v[46:47], off
	v_lshl_add_u64 v[46:47], v[46:47], 0, s[2:3]
	v_lshl_add_u64 v[48:49], v[46:47], 0, s[2:3]
	global_load_dword v45, v[46:47], off
	s_cmp_eq_u32 s21, s29
	global_load_dword v46, v[48:49], off
	v_lshl_add_u64 v[48:49], v[48:49], 0, s[2:3]
	v_lshl_add_u64 v[50:51], v[48:49], 0, s[2:3]
	global_load_dword v47, v[48:49], off
	s_nop 0
	global_load_dword v48, v[50:51], off
	v_lshl_add_u64 v[50:51], v[50:51], 0, s[2:3]
	v_lshl_add_u64 v[52:53], v[50:51], 0, s[2:3]
	global_load_dword v49, v[50:51], off
	s_nop 0
	global_load_dword v50, v[52:53], off
	global_load_dword v51, v[22:23], off
	s_nop 0
	global_load_dword v52, v[54:55], off
	v_lshl_add_u64 v[54:55], v[54:55], 0, s[12:13]
	v_lshl_add_u64 v[56:57], v[54:55], 0, s[12:13]
	global_load_dword v53, v[54:55], off
	s_nop 0
	global_load_dword v54, v[56:57], off
	v_lshl_add_u64 v[56:57], v[56:57], 0, s[12:13]
	v_lshl_add_u64 v[58:59], v[56:57], 0, s[12:13]
	global_load_dword v55, v[56:57], off
	s_nop 0
	global_load_dword v56, v[58:59], off
	v_lshl_add_u64 v[58:59], v[58:59], 0, s[12:13]
	global_load_dword v57, v[58:59], off
	v_lshl_add_u64 v[58:59], v[58:59], 0, s[12:13]
	global_load_dword v58, v[58:59], off
	s_cbranch_scc1 .LBB8_6
; %bb.5:                                ;   in Loop: Header=BB8_4 Depth=1
	v_lshl_add_u64 v[36:37], v[6:7], 0, v[2:3]
	global_load_dword v0, v[36:37], off
	v_lshl_add_u64 v[36:37], v[20:21], 0, v[2:3]
	v_lshl_add_u64 v[38:39], v[8:9], 0, v[2:3]
	global_load_dword v36, v[36:37], off
	v_lshl_add_u64 v[40:41], v[12:13], 0, v[2:3]
	global_load_dword v37, v[38:39], off
	;; [unrolled: 2-line block ×5, first 2 shown]
	s_nop 0
	global_load_dword v41, v[60:61], off
	v_lshl_add_u64 v[60:61], v[18:19], 0, v[2:3]
	global_load_dword v42, v[60:61], off
.LBB8_6:                                ;   in Loop: Header=BB8_4 Depth=1
	s_waitcnt vmcnt(7)
	v_fmac_f32_e32 v35, v27, v51
	v_fmac_f32_e32 v1, v43, v51
	s_waitcnt vmcnt(6)
	v_fmac_f32_e32 v35, v28, v52
	v_fmac_f32_e32 v1, v44, v52
	;; [unrolled: 3-line block ×7, first 2 shown]
	s_add_i32 s29, s29, 1
	s_waitcnt vmcnt(0)
	v_fmac_f32_e32 v35, v34, v58
	v_fmac_f32_e32 v1, v50, v58
	v_lshl_add_u64 v[4:5], v[4:5], 0, s[14:15]
	v_lshl_add_u64 v[6:7], v[6:7], 0, s[14:15]
	;; [unrolled: 1-line block ×9, first 2 shown]
	s_cmp_lt_i32 s29, s28
	v_lshl_add_u64 v[22:23], v[22:23], 0, s[8:9]
	s_cbranch_scc0 .LBB8_8
; %bb.7:                                ;   in Loop: Header=BB8_4 Depth=1
	v_mov_b32_e32 v27, v0
	v_mov_b32_e32 v28, v36
	;; [unrolled: 1-line block ×8, first 2 shown]
	s_branch .LBB8_4
.LBB8_8:
	v_lshl_or_b32 v0, v26, 9, v2
	v_cmp_eq_u32_e32 vcc, 0, v25
	ds_write2st64_b32 v0, v35, v1 offset1:1
	s_waitcnt lgkmcnt(0)
	s_barrier
	s_and_saveexec_b64 s[2:3], vcc
	s_cbranch_execz .LBB8_10
; %bb.9:
	v_lshlrev_b32_e32 v6, 2, v24
	s_load_dwordx2 s[2:3], s[0:1], 0x70
	s_load_dword s8, s[0:1], 0x68
	ds_read2st64_b32 v[0:1], v6 offset1:2
	ds_read2st64_b32 v[2:3], v6 offset0:4 offset1:6
	ds_read2st64_b32 v[4:5], v6 offset0:8 offset1:10
	s_waitcnt lgkmcnt(0)
	s_mul_i32 s1, s4, s3
	s_mul_hi_u32 s3, s4, s2
	v_add_f32_e32 v0, 0, v0
	v_add_f32_e32 v0, v0, v1
	;; [unrolled: 1-line block ×3, first 2 shown]
	ds_read2st64_b32 v[0:1], v6 offset0:12 offset1:14
	v_add_f32_e32 v2, v2, v3
	v_add_f32_e32 v4, v2, v4
	ds_read2st64_b32 v[2:3], v6 offset0:16 offset1:18
	v_add_f32_e32 v4, v4, v5
	s_waitcnt lgkmcnt(1)
	v_add_f32_e32 v0, v4, v0
	v_add_f32_e32 v4, v0, v1
	ds_read2st64_b32 v[0:1], v6 offset0:20 offset1:22
	s_mul_i32 s0, s4, s2
	s_add_i32 s1, s3, s1
	s_waitcnt lgkmcnt(1)
	v_add_f32_e32 v2, v4, v2
	ds_read2st64_b32 v[4:5], v6 offset0:24 offset1:26
	s_lshl_b64 s[0:1], s[0:1], 2
	s_add_u32 s2, s10, s0
	v_add_f32_e32 v7, v2, v3
	ds_read2st64_b32 v[2:3], v6 offset0:28 offset1:30
	s_addc_u32 s3, s11, s1
	s_lshl_b64 s[0:1], s[6:7], 2
	s_waitcnt lgkmcnt(2)
	v_add_f32_e32 v0, v7, v0
	s_add_u32 s2, s2, s0
	v_add_f32_e32 v0, v0, v1
	s_addc_u32 s3, s3, s1
	s_mul_hi_i32 s1, s8, s20
	s_mul_i32 s0, s8, s20
	s_waitcnt lgkmcnt(1)
	v_add_f32_e32 v0, v0, v4
	s_lshl_b64 s[0:1], s[0:1], 2
	v_add_f32_e32 v0, v0, v5
	s_add_u32 s0, s2, s0
	s_waitcnt lgkmcnt(0)
	v_add_f32_e32 v0, v0, v2
	s_addc_u32 s1, s3, s1
	v_add_f32_e32 v2, v0, v3
	v_mad_i64_i32 v[0:1], s[2:3], s8, v24, 0
	v_lshl_add_u64 v[0:1], v[0:1], 2, s[0:1]
	v_mul_f32_e32 v2, s5, v2
	global_atomic_add_f32 v[0:1], v2, off
.LBB8_10:
	s_endpgm
	.section	.rodata,"a",@progbits
	.p2align	6, 0x0
	.amdhsa_kernel _ZL36rocblas_gemvn_double_buffered_kernelILi128ELi8ELi8EfPKffEviiT3_lPKT2_lilS5_lilPT4_lili
		.amdhsa_group_segment_fixed_size 8192
		.amdhsa_private_segment_fixed_size 0
		.amdhsa_kernarg_size 384
		.amdhsa_user_sgpr_count 2
		.amdhsa_user_sgpr_dispatch_ptr 0
		.amdhsa_user_sgpr_queue_ptr 0
		.amdhsa_user_sgpr_kernarg_segment_ptr 1
		.amdhsa_user_sgpr_dispatch_id 0
		.amdhsa_user_sgpr_kernarg_preload_length 0
		.amdhsa_user_sgpr_kernarg_preload_offset 0
		.amdhsa_user_sgpr_private_segment_size 0
		.amdhsa_uses_dynamic_stack 0
		.amdhsa_enable_private_segment 0
		.amdhsa_system_sgpr_workgroup_id_x 1
		.amdhsa_system_sgpr_workgroup_id_y 1
		.amdhsa_system_sgpr_workgroup_id_z 1
		.amdhsa_system_sgpr_workgroup_info 0
		.amdhsa_system_vgpr_workitem_id 1
		.amdhsa_next_free_vgpr 62
		.amdhsa_next_free_sgpr 40
		.amdhsa_accum_offset 64
		.amdhsa_reserve_vcc 1
		.amdhsa_float_round_mode_32 0
		.amdhsa_float_round_mode_16_64 0
		.amdhsa_float_denorm_mode_32 3
		.amdhsa_float_denorm_mode_16_64 3
		.amdhsa_dx10_clamp 1
		.amdhsa_ieee_mode 1
		.amdhsa_fp16_overflow 0
		.amdhsa_tg_split 0
		.amdhsa_exception_fp_ieee_invalid_op 0
		.amdhsa_exception_fp_denorm_src 0
		.amdhsa_exception_fp_ieee_div_zero 0
		.amdhsa_exception_fp_ieee_overflow 0
		.amdhsa_exception_fp_ieee_underflow 0
		.amdhsa_exception_fp_ieee_inexact 0
		.amdhsa_exception_int_div_zero 0
	.end_amdhsa_kernel
	.section	.text._ZL36rocblas_gemvn_double_buffered_kernelILi128ELi8ELi8EfPKffEviiT3_lPKT2_lilS5_lilPT4_lili,"axG",@progbits,_ZL36rocblas_gemvn_double_buffered_kernelILi128ELi8ELi8EfPKffEviiT3_lPKT2_lilS5_lilPT4_lili,comdat
.Lfunc_end8:
	.size	_ZL36rocblas_gemvn_double_buffered_kernelILi128ELi8ELi8EfPKffEviiT3_lPKT2_lilS5_lilPT4_lili, .Lfunc_end8-_ZL36rocblas_gemvn_double_buffered_kernelILi128ELi8ELi8EfPKffEviiT3_lPKT2_lilS5_lilPT4_lili
                                        ; -- End function
	.section	.AMDGPU.csdata,"",@progbits
; Kernel info:
; codeLenInByte = 2200
; NumSgprs: 46
; NumVgprs: 62
; NumAgprs: 0
; TotalNumVgprs: 62
; ScratchSize: 0
; MemoryBound: 0
; FloatMode: 240
; IeeeMode: 1
; LDSByteSize: 8192 bytes/workgroup (compile time only)
; SGPRBlocks: 5
; VGPRBlocks: 7
; NumSGPRsForWavesPerEU: 46
; NumVGPRsForWavesPerEU: 62
; AccumOffset: 64
; Occupancy: 8
; WaveLimiterHint : 0
; COMPUTE_PGM_RSRC2:SCRATCH_EN: 0
; COMPUTE_PGM_RSRC2:USER_SGPR: 2
; COMPUTE_PGM_RSRC2:TRAP_HANDLER: 0
; COMPUTE_PGM_RSRC2:TGID_X_EN: 1
; COMPUTE_PGM_RSRC2:TGID_Y_EN: 1
; COMPUTE_PGM_RSRC2:TGID_Z_EN: 1
; COMPUTE_PGM_RSRC2:TIDIG_COMP_CNT: 1
; COMPUTE_PGM_RSRC3_GFX90A:ACCUM_OFFSET: 15
; COMPUTE_PGM_RSRC3_GFX90A:TG_SPLIT: 0
	.section	.text._ZL36rocblas_gemvn_double_buffered_kernelILi128ELi8ELi8EfffEviiT3_lPKT2_lilS3_lilPT4_lili,"axG",@progbits,_ZL36rocblas_gemvn_double_buffered_kernelILi128ELi8ELi8EfffEviiT3_lPKT2_lilS3_lilPT4_lili,comdat
	.globl	_ZL36rocblas_gemvn_double_buffered_kernelILi128ELi8ELi8EfffEviiT3_lPKT2_lilS3_lilPT4_lili ; -- Begin function _ZL36rocblas_gemvn_double_buffered_kernelILi128ELi8ELi8EfffEviiT3_lPKT2_lilS3_lilPT4_lili
	.p2align	8
	.type	_ZL36rocblas_gemvn_double_buffered_kernelILi128ELi8ELi8EfffEviiT3_lPKT2_lilS3_lilPT4_lili,@function
_ZL36rocblas_gemvn_double_buffered_kernelILi128ELi8ELi8EfffEviiT3_lPKT2_lilS3_lilPT4_lili: ; @_ZL36rocblas_gemvn_double_buffered_kernelILi128ELi8ELi8EfffEviiT3_lPKT2_lilS3_lilPT4_lili
; %bb.0:
	s_load_dwordx2 s[6:7], s[0:1], 0x4
	s_waitcnt lgkmcnt(0)
	v_cmp_eq_f32_e64 s[8:9], s7, 0
	s_and_b64 vcc, exec, s[8:9]
	s_cbranch_vccnz .LBB9_10
; %bb.1:
	s_load_dword s5, s[0:1], 0x84
	s_ashr_i32 s8, s6, 31
	s_lshr_b32 s8, s8, 25
	s_add_i32 s6, s6, s8
	s_ashr_i32 s6, s6, 7
	s_waitcnt lgkmcnt(0)
	v_cvt_f32_u32_e32 v1, s5
	s_sub_i32 s8, 0, s5
	v_rcp_iflag_f32_e32 v1, v1
	s_nop 0
	v_mul_f32_e32 v1, 0x4f7ffffe, v1
	v_cvt_u32_f32_e32 v1, v1
	s_nop 0
	v_readfirstlane_b32 s9, v1
	s_mul_i32 s8, s8, s9
	s_mul_hi_u32 s8, s9, s8
	s_add_i32 s9, s9, s8
	s_mul_hi_u32 s8, s6, s9
	s_mul_i32 s9, s8, s5
	s_sub_i32 s9, s6, s9
	s_add_i32 s10, s8, 1
	s_sub_i32 s11, s9, s5
	s_cmp_ge_u32 s9, s5
	s_cselect_b32 s8, s10, s8
	s_cselect_b32 s9, s11, s9
	s_add_i32 s10, s8, 1
	s_cmp_ge_u32 s9, s5
	s_cselect_b32 s31, s10, s8
	s_mul_i32 s5, s31, s5
	s_sub_i32 s30, s6, s5
	s_cmp_lt_u32 s3, s30
	s_cselect_b64 s[8:9], -1, 0
	s_cmp_lg_u64 s[8:9], 0
	s_addc_u32 s5, s31, 0
	s_cmp_eq_u32 s5, 0
	s_cbranch_scc1 .LBB9_10
; %bb.2:
	s_load_dwordx4 s[8:11], s[0:1], 0x50
	s_load_dwordx2 s[20:21], s[0:1], 0x60
	v_and_b32_e32 v24, 0x3ff, v0
	v_bfe_u32 v25, v0, 10, 10
	s_lshl_b32 s22, s2, 7
	v_lshl_add_u32 v4, v25, 7, v24
	v_and_b32_e32 v0, 63, v24
	s_ashr_i32 s23, s22, 31
	s_mov_b32 s6, 0
	v_lshrrev_b32_e32 v26, 6, v4
	s_cmp_lt_i32 s5, 1
	v_mov_b32_e32 v1, 0
	v_lshlrev_b32_e32 v2, 2, v0
	v_mov_b32_e32 v35, 0
	s_cbranch_scc1 .LBB9_8
; %bb.3:
	s_load_dword s28, s[0:1], 0x28
	s_load_dwordx4 s[16:19], s[0:1], 0x18
	s_load_dwordx4 s[12:15], s[0:1], 0x30
	s_load_dwordx2 s[26:27], s[0:1], 0x40
	s_load_dword s24, s[0:1], 0x48
	v_lshlrev_b32_e32 v3, 3, v26
	v_mov_b32_e32 v1, 0
	s_waitcnt lgkmcnt(0)
	s_mul_i32 s2, s4, s13
	s_mul_hi_u32 s13, s4, s12
	v_mad_i64_i32 v[6:7], s[34:35], s28, v3, v[0:1]
	s_add_i32 s13, s13, s2
	s_mul_i32 s12, s4, s12
	s_ashr_i32 s29, s28, 31
	s_ashr_i32 s25, s24, 31
	s_lshl_b64 s[34:35], s[12:13], 2
	s_add_u32 s2, s16, s34
	s_mul_i32 s31, s31, s3
	v_cvt_f64_i32_e32 v[10:11], s3
	v_cvt_f64_u32_e32 v[12:13], s30
	s_addc_u32 s12, s17, s35
	s_lshl_b64 s[36:37], s[18:19], 2
	v_cvt_f64_u32_e32 v[8:9], s31
	v_min_f64 v[10:11], v[10:11], v[12:13]
	s_add_u32 s2, s2, s36
	v_add_f64 v[8:9], v[10:11], v[8:9]
	s_addc_u32 s12, s12, s37
	v_cvt_i32_f64_e32 v0, v[8:9]
	s_lshl_b64 s[30:31], s[22:23], 2
	s_add_u32 s13, s2, s30
	v_readfirstlane_b32 s2, v0
	s_addc_u32 s12, s12, s31
	s_lshl_b32 s38, s2, 7
	s_mul_hi_i32 s3, s38, s28
	s_mul_i32 s2, s38, s28
	s_ashr_i32 s39, s38, 31
	s_lshl_b64 s[2:3], s[2:3], 2
	s_add_u32 s2, s13, s2
	s_addc_u32 s3, s12, s3
	v_lshl_add_u64 v[6:7], v[6:7], 2, s[2:3]
	s_lshl_b64 s[2:3], s[28:29], 2
	v_lshl_add_u64 v[8:9], v[6:7], 0, s[2:3]
	global_load_dword v27, v[6:7], off
	global_load_dword v28, v[8:9], off
	v_lshl_add_u64 v[6:7], v[8:9], 0, s[2:3]
	global_load_dword v29, v[6:7], off
	v_lshl_add_u64 v[6:7], v[6:7], 0, s[2:3]
	;; [unrolled: 2-line block ×6, first 2 shown]
	global_load_dword v34, v[6:7], off
	s_lshl_b32 s18, s24, 7
	s_lshl_b64 s[12:13], s[28:29], 9
	s_add_i32 s23, s5, -1
	s_ashr_i32 s19, s18, 31
	s_add_u32 s16, s16, s30
	s_addc_u32 s17, s17, s31
	s_add_u32 s16, s16, s36
	s_addc_u32 s17, s17, s37
	v_lshrrev_b32_e32 v0, 1, v4
	s_add_u32 s16, s16, s34
	v_and_b32_e32 v0, 0x1ffe0, v0
	s_addc_u32 s17, s17, s35
	v_lshl_add_u64 v[36:37], s[38:39], 2, v[0:1]
	v_mov_b64_e32 v[20:21], s[16:17]
	v_mad_u64_u32 v[4:5], s[16:17], v36, s28, v[20:21]
	v_mul_lo_u32 v0, v36, s29
	v_mul_lo_u32 v6, v37, s28
	v_add3_u32 v5, v6, v5, v0
	s_mov_b64 s[16:17], 0x100
	v_lshl_add_u64 v[4:5], v[4:5], 0, s[16:17]
	s_mov_b64 s[16:17], 0x200
	v_lshl_add_u64 v[8:9], v[36:37], 0, s[16:17]
	v_mad_u64_u32 v[6:7], s[16:17], v8, s28, v[20:21]
	s_mov_b64 s[16:17], 0x208
	v_mul_lo_u32 v0, v8, s29
	v_mul_lo_u32 v8, v9, s28
	v_lshl_add_u64 v[10:11], v[36:37], 0, s[16:17]
	v_add3_u32 v7, v8, v7, v0
	v_mad_u64_u32 v[8:9], s[16:17], v10, s28, v[20:21]
	s_mov_b64 s[16:17], 0x20c
	v_mul_lo_u32 v0, v10, s29
	v_mul_lo_u32 v10, v11, s28
	v_lshl_add_u64 v[12:13], v[36:37], 0, s[16:17]
	v_add3_u32 v9, v10, v9, v0
	;; [unrolled: 6-line block ×6, first 2 shown]
	v_mad_u64_u32 v[18:19], s[16:17], v22, s28, v[20:21]
	v_mul_lo_u32 v0, v22, s29
	v_mul_lo_u32 v22, v23, s28
	s_mov_b64 s[16:17], 0x204
	v_add3_u32 v19, v22, v19, v0
	v_lshl_add_u64 v[22:23], v[36:37], 0, s[16:17]
	v_mad_u64_u32 v[20:21], s[16:17], v22, s28, v[20:21]
	s_mul_i32 s9, s9, s4
	s_mul_hi_u32 s16, s8, s4
	s_add_i32 s9, s16, s9
	s_mul_i32 s8, s8, s4
	s_lshl_b64 s[8:9], s[8:9], 2
	s_lshl_b64 s[16:17], s[26:27], 2
	s_add_u32 s14, s14, s16
	s_addc_u32 s15, s15, s17
	s_add_u32 s8, s14, s8
	v_mul_lo_u32 v0, v22, s29
	v_mul_lo_u32 v22, v23, s28
	s_addc_u32 s9, s15, s9
	v_add3_u32 v21, v22, v21, v0
	v_mov_b64_e32 v[22:23], s[8:9]
	v_mad_u64_u32 v[22:23], s[8:9], v36, s24, v[22:23]
	v_mul_lo_u32 v0, v36, s25
	v_mul_lo_u32 v35, v37, s24
	v_mov_b32_e32 v3, v1
	v_add3_u32 v23, v35, v23, v0
	s_lshl_b64 s[8:9], s[18:19], 2
	s_lshl_b64 s[14:15], s[24:25], 2
	v_mov_b32_e32 v35, v1
	s_waitcnt vmcnt(7)
	v_mov_b32_e32 v0, v27
	s_waitcnt vmcnt(6)
	;; [unrolled: 2-line block ×8, first 2 shown]
	v_mov_b32_e32 v42, v34
.LBB9_4:                                ; =>This Inner Loop Header: Depth=1
	v_lshl_add_u64 v[44:45], v[4:5], 0, v[2:3]
	v_lshl_add_u64 v[46:47], v[44:45], 0, s[2:3]
	global_load_dword v43, v[44:45], off
	v_lshl_add_u64 v[54:55], v[22:23], 0, s[14:15]
	global_load_dword v44, v[46:47], off
	v_lshl_add_u64 v[46:47], v[46:47], 0, s[2:3]
	v_lshl_add_u64 v[48:49], v[46:47], 0, s[2:3]
	global_load_dword v45, v[46:47], off
	s_cmp_eq_u32 s23, s6
	global_load_dword v46, v[48:49], off
	v_lshl_add_u64 v[48:49], v[48:49], 0, s[2:3]
	v_lshl_add_u64 v[50:51], v[48:49], 0, s[2:3]
	global_load_dword v47, v[48:49], off
	s_nop 0
	global_load_dword v48, v[50:51], off
	v_lshl_add_u64 v[50:51], v[50:51], 0, s[2:3]
	v_lshl_add_u64 v[52:53], v[50:51], 0, s[2:3]
	global_load_dword v49, v[50:51], off
	s_nop 0
	global_load_dword v50, v[52:53], off
	global_load_dword v51, v[22:23], off
	s_nop 0
	global_load_dword v52, v[54:55], off
	v_lshl_add_u64 v[54:55], v[54:55], 0, s[14:15]
	v_lshl_add_u64 v[56:57], v[54:55], 0, s[14:15]
	global_load_dword v53, v[54:55], off
	s_nop 0
	global_load_dword v54, v[56:57], off
	v_lshl_add_u64 v[56:57], v[56:57], 0, s[14:15]
	v_lshl_add_u64 v[58:59], v[56:57], 0, s[14:15]
	global_load_dword v55, v[56:57], off
	s_nop 0
	global_load_dword v56, v[58:59], off
	v_lshl_add_u64 v[58:59], v[58:59], 0, s[14:15]
	global_load_dword v57, v[58:59], off
	v_lshl_add_u64 v[58:59], v[58:59], 0, s[14:15]
	global_load_dword v58, v[58:59], off
	s_cbranch_scc1 .LBB9_6
; %bb.5:                                ;   in Loop: Header=BB9_4 Depth=1
	v_lshl_add_u64 v[36:37], v[6:7], 0, v[2:3]
	global_load_dword v0, v[36:37], off
	v_lshl_add_u64 v[36:37], v[20:21], 0, v[2:3]
	v_lshl_add_u64 v[38:39], v[8:9], 0, v[2:3]
	global_load_dword v36, v[36:37], off
	v_lshl_add_u64 v[40:41], v[12:13], 0, v[2:3]
	global_load_dword v37, v[38:39], off
	;; [unrolled: 2-line block ×5, first 2 shown]
	s_nop 0
	global_load_dword v41, v[60:61], off
	v_lshl_add_u64 v[60:61], v[18:19], 0, v[2:3]
	global_load_dword v42, v[60:61], off
.LBB9_6:                                ;   in Loop: Header=BB9_4 Depth=1
	s_waitcnt vmcnt(7)
	v_fmac_f32_e32 v35, v27, v51
	v_fmac_f32_e32 v1, v43, v51
	s_waitcnt vmcnt(6)
	v_fmac_f32_e32 v35, v28, v52
	v_fmac_f32_e32 v1, v44, v52
	;; [unrolled: 3-line block ×7, first 2 shown]
	s_add_i32 s6, s6, 1
	s_waitcnt vmcnt(0)
	v_fmac_f32_e32 v35, v34, v58
	v_fmac_f32_e32 v1, v50, v58
	v_lshl_add_u64 v[4:5], v[4:5], 0, s[12:13]
	v_lshl_add_u64 v[6:7], v[6:7], 0, s[12:13]
	;; [unrolled: 1-line block ×9, first 2 shown]
	s_cmp_lt_i32 s6, s5
	v_lshl_add_u64 v[22:23], v[22:23], 0, s[8:9]
	s_cbranch_scc0 .LBB9_8
; %bb.7:                                ;   in Loop: Header=BB9_4 Depth=1
	v_mov_b32_e32 v27, v0
	v_mov_b32_e32 v28, v36
	;; [unrolled: 1-line block ×8, first 2 shown]
	s_branch .LBB9_4
.LBB9_8:
	v_lshl_or_b32 v0, v26, 9, v2
	v_cmp_eq_u32_e32 vcc, 0, v25
	ds_write2st64_b32 v0, v35, v1 offset1:1
	s_waitcnt lgkmcnt(0)
	s_barrier
	s_and_saveexec_b64 s[2:3], vcc
	s_cbranch_execz .LBB9_10
; %bb.9:
	v_lshlrev_b32_e32 v6, 2, v24
	s_load_dwordx2 s[2:3], s[0:1], 0x70
	s_load_dword s5, s[0:1], 0x68
	ds_read2st64_b32 v[0:1], v6 offset1:2
	ds_read2st64_b32 v[2:3], v6 offset0:4 offset1:6
	ds_read2st64_b32 v[4:5], v6 offset0:8 offset1:10
	s_waitcnt lgkmcnt(0)
	s_mul_i32 s1, s4, s3
	s_mul_hi_u32 s3, s4, s2
	v_add_f32_e32 v0, 0, v0
	v_add_f32_e32 v0, v0, v1
	;; [unrolled: 1-line block ×3, first 2 shown]
	ds_read2st64_b32 v[0:1], v6 offset0:12 offset1:14
	v_add_f32_e32 v2, v2, v3
	v_add_f32_e32 v4, v2, v4
	ds_read2st64_b32 v[2:3], v6 offset0:16 offset1:18
	v_add_f32_e32 v4, v4, v5
	s_waitcnt lgkmcnt(1)
	v_add_f32_e32 v0, v4, v0
	v_add_f32_e32 v4, v0, v1
	ds_read2st64_b32 v[0:1], v6 offset0:20 offset1:22
	s_mul_i32 s0, s4, s2
	s_add_i32 s1, s3, s1
	s_waitcnt lgkmcnt(1)
	v_add_f32_e32 v2, v4, v2
	ds_read2st64_b32 v[4:5], v6 offset0:24 offset1:26
	s_lshl_b64 s[0:1], s[0:1], 2
	s_add_u32 s2, s10, s0
	v_add_f32_e32 v7, v2, v3
	ds_read2st64_b32 v[2:3], v6 offset0:28 offset1:30
	s_addc_u32 s3, s11, s1
	s_lshl_b64 s[0:1], s[20:21], 2
	s_waitcnt lgkmcnt(2)
	v_add_f32_e32 v0, v7, v0
	s_add_u32 s2, s2, s0
	v_add_f32_e32 v0, v0, v1
	s_addc_u32 s3, s3, s1
	s_mul_hi_i32 s1, s5, s22
	s_mul_i32 s0, s5, s22
	s_waitcnt lgkmcnt(1)
	v_add_f32_e32 v0, v0, v4
	s_lshl_b64 s[0:1], s[0:1], 2
	v_add_f32_e32 v0, v0, v5
	s_add_u32 s0, s2, s0
	s_waitcnt lgkmcnt(0)
	v_add_f32_e32 v0, v0, v2
	s_addc_u32 s1, s3, s1
	v_add_f32_e32 v2, v0, v3
	v_mad_i64_i32 v[0:1], s[2:3], s5, v24, 0
	v_lshl_add_u64 v[0:1], v[0:1], 2, s[0:1]
	v_mul_f32_e32 v2, s7, v2
	global_atomic_add_f32 v[0:1], v2, off
.LBB9_10:
	s_endpgm
	.section	.rodata,"a",@progbits
	.p2align	6, 0x0
	.amdhsa_kernel _ZL36rocblas_gemvn_double_buffered_kernelILi128ELi8ELi8EfffEviiT3_lPKT2_lilS3_lilPT4_lili
		.amdhsa_group_segment_fixed_size 8192
		.amdhsa_private_segment_fixed_size 0
		.amdhsa_kernarg_size 384
		.amdhsa_user_sgpr_count 2
		.amdhsa_user_sgpr_dispatch_ptr 0
		.amdhsa_user_sgpr_queue_ptr 0
		.amdhsa_user_sgpr_kernarg_segment_ptr 1
		.amdhsa_user_sgpr_dispatch_id 0
		.amdhsa_user_sgpr_kernarg_preload_length 0
		.amdhsa_user_sgpr_kernarg_preload_offset 0
		.amdhsa_user_sgpr_private_segment_size 0
		.amdhsa_uses_dynamic_stack 0
		.amdhsa_enable_private_segment 0
		.amdhsa_system_sgpr_workgroup_id_x 1
		.amdhsa_system_sgpr_workgroup_id_y 1
		.amdhsa_system_sgpr_workgroup_id_z 1
		.amdhsa_system_sgpr_workgroup_info 0
		.amdhsa_system_vgpr_workitem_id 1
		.amdhsa_next_free_vgpr 62
		.amdhsa_next_free_sgpr 40
		.amdhsa_accum_offset 64
		.amdhsa_reserve_vcc 1
		.amdhsa_float_round_mode_32 0
		.amdhsa_float_round_mode_16_64 0
		.amdhsa_float_denorm_mode_32 3
		.amdhsa_float_denorm_mode_16_64 3
		.amdhsa_dx10_clamp 1
		.amdhsa_ieee_mode 1
		.amdhsa_fp16_overflow 0
		.amdhsa_tg_split 0
		.amdhsa_exception_fp_ieee_invalid_op 0
		.amdhsa_exception_fp_denorm_src 0
		.amdhsa_exception_fp_ieee_div_zero 0
		.amdhsa_exception_fp_ieee_overflow 0
		.amdhsa_exception_fp_ieee_underflow 0
		.amdhsa_exception_fp_ieee_inexact 0
		.amdhsa_exception_int_div_zero 0
	.end_amdhsa_kernel
	.section	.text._ZL36rocblas_gemvn_double_buffered_kernelILi128ELi8ELi8EfffEviiT3_lPKT2_lilS3_lilPT4_lili,"axG",@progbits,_ZL36rocblas_gemvn_double_buffered_kernelILi128ELi8ELi8EfffEviiT3_lPKT2_lilS3_lilPT4_lili,comdat
.Lfunc_end9:
	.size	_ZL36rocblas_gemvn_double_buffered_kernelILi128ELi8ELi8EfffEviiT3_lPKT2_lilS3_lilPT4_lili, .Lfunc_end9-_ZL36rocblas_gemvn_double_buffered_kernelILi128ELi8ELi8EfffEviiT3_lPKT2_lilS3_lilPT4_lili
                                        ; -- End function
	.section	.AMDGPU.csdata,"",@progbits
; Kernel info:
; codeLenInByte = 2164
; NumSgprs: 46
; NumVgprs: 62
; NumAgprs: 0
; TotalNumVgprs: 62
; ScratchSize: 0
; MemoryBound: 0
; FloatMode: 240
; IeeeMode: 1
; LDSByteSize: 8192 bytes/workgroup (compile time only)
; SGPRBlocks: 5
; VGPRBlocks: 7
; NumSGPRsForWavesPerEU: 46
; NumVGPRsForWavesPerEU: 62
; AccumOffset: 64
; Occupancy: 8
; WaveLimiterHint : 0
; COMPUTE_PGM_RSRC2:SCRATCH_EN: 0
; COMPUTE_PGM_RSRC2:USER_SGPR: 2
; COMPUTE_PGM_RSRC2:TRAP_HANDLER: 0
; COMPUTE_PGM_RSRC2:TGID_X_EN: 1
; COMPUTE_PGM_RSRC2:TGID_Y_EN: 1
; COMPUTE_PGM_RSRC2:TGID_Z_EN: 1
; COMPUTE_PGM_RSRC2:TIDIG_COMP_CNT: 1
; COMPUTE_PGM_RSRC3_GFX90A:ACCUM_OFFSET: 15
; COMPUTE_PGM_RSRC3_GFX90A:TG_SPLIT: 0
	.section	.text._ZL20rocblas_gemvn_kernelILi32ELi16EifPKffEviiT3_lPKT2_lT1_lS5_lS6_lS2_lPT4_lS6_li,"axG",@progbits,_ZL20rocblas_gemvn_kernelILi32ELi16EifPKffEviiT3_lPKT2_lT1_lS5_lS6_lS2_lPT4_lS6_li,comdat
	.globl	_ZL20rocblas_gemvn_kernelILi32ELi16EifPKffEviiT3_lPKT2_lT1_lS5_lS6_lS2_lPT4_lS6_li ; -- Begin function _ZL20rocblas_gemvn_kernelILi32ELi16EifPKffEviiT3_lPKT2_lT1_lS5_lS6_lS2_lPT4_lS6_li
	.p2align	8
	.type	_ZL20rocblas_gemvn_kernelILi32ELi16EifPKffEviiT3_lPKT2_lT1_lS5_lS6_lS2_lPT4_lS6_li,@function
_ZL20rocblas_gemvn_kernelILi32ELi16EifPKffEviiT3_lPKT2_lT1_lS5_lS6_lS2_lPT4_lS6_li: ; @_ZL20rocblas_gemvn_kernelILi32ELi16EifPKffEviiT3_lPKT2_lT1_lS5_lS6_lS2_lPT4_lS6_li
; %bb.0:
	s_load_dwordx2 s[4:5], s[0:1], 0x9c
	s_waitcnt lgkmcnt(0)
	s_lshr_b32 s6, s4, 16
	s_and_b32 s4, s4, 0xffff
	s_and_b32 s5, s5, 0xffff
	s_mul_i32 s4, s6, s4
	s_mul_i32 s4, s4, s5
	s_cmpk_lg_i32 s4, 0x200
	s_cbranch_scc1 .LBB10_50
; %bb.1:
	s_load_dwordx8 s[12:19], s[0:1], 0x8
	s_load_dwordx8 s[4:11], s[0:1], 0x50
	s_waitcnt lgkmcnt(0)
	s_mul_i32 s15, s3, s15
	s_mul_hi_u32 s20, s3, s14
	s_mul_i32 s14, s3, s14
	s_add_i32 s15, s20, s15
	s_lshl_b64 s[14:15], s[14:15], 2
	s_add_u32 s12, s12, s14
	s_addc_u32 s13, s13, s15
	s_mul_i32 s9, s3, s9
	s_load_dword s29, s[12:13], 0x0
	s_mul_hi_u32 s12, s3, s8
	s_add_i32 s9, s12, s9
	s_mul_i32 s8, s3, s8
	s_lshl_b64 s[8:9], s[8:9], 2
	s_add_u32 s6, s6, s8
	s_addc_u32 s7, s7, s9
	s_load_dword s28, s[6:7], 0x0
	s_waitcnt lgkmcnt(0)
	v_cmp_eq_f32_e64 s[6:7], s29, 0
	v_cmp_eq_f32_e64 s[8:9], s28, 1.0
	s_and_b64 s[6:7], s[6:7], s[8:9]
	s_and_b64 vcc, exec, s[6:7]
	s_cbranch_vccnz .LBB10_50
; %bb.2:
	s_load_dwordx2 s[6:7], s[0:1], 0x80
	s_load_dword s30, s[0:1], 0x78
	s_load_dwordx2 s[8:9], s[0:1], 0x70
	s_load_dwordx2 s[12:13], s[0:1], 0x0
	v_and_b32_e32 v2, 0x3ff, v0
	s_waitcnt lgkmcnt(0)
	s_mul_i32 s7, s3, s7
	s_mul_hi_u32 s14, s3, s6
	s_add_i32 s7, s14, s7
	s_mul_i32 s6, s3, s6
	s_lshl_b64 s[6:7], s[6:7], 2
	s_add_u32 s10, s10, s6
	s_addc_u32 s11, s11, s7
	s_lshl_b64 s[6:7], s[8:9], 2
	s_add_u32 s8, s10, s6
	s_addc_u32 s9, s11, s7
	v_bfe_u32 v14, v0, 10, 10
	v_cmp_neq_f32_e64 s[6:7], s29, 0
	v_lshl_add_u32 v3, v14, 5, v2
	s_and_b64 vcc, exec, s[6:7]
	s_cbranch_vccnz .LBB10_9
; %bb.3:
	s_movk_i32 s6, 0x80
	v_cmp_gt_u32_e32 vcc, s6, v3
	s_mov_b64 s[6:7], 0
	s_mov_b64 s[10:11], 0
                                        ; implicit-def: $vgpr1
                                        ; implicit-def: $vgpr4_vgpr5
	s_and_saveexec_b64 s[14:15], vcc
	s_cbranch_execz .LBB10_10
; %bb.4:
	v_lshl_or_b32 v0, s2, 7, v3
	v_mov_b32_e32 v1, 0
	s_ashr_i32 s11, s12, 31
	s_mov_b32 s10, s12
	v_cmp_gt_i64_e32 vcc, s[10:11], v[0:1]
	s_mov_b64 s[20:21], 0
                                        ; implicit-def: $vgpr4_vgpr5
	s_and_saveexec_b64 s[10:11], vcc
	s_cbranch_execz .LBB10_8
; %bb.5:
	v_mad_u64_u32 v[4:5], s[22:23], s30, v0, 0
	s_ashr_i32 s24, s30, 31
	v_mov_b32_e32 v6, v5
	v_cmp_eq_f32_e64 s[20:21], s28, 0
	v_mad_u64_u32 v[6:7], s[22:23], s24, v0, v[6:7]
	v_mov_b32_e32 v5, v6
	s_and_b64 vcc, exec, s[20:21]
	s_cbranch_vccnz .LBB10_7
; %bb.6:
	v_lshl_add_u64 v[0:1], v[4:5], 2, s[8:9]
	global_load_dword v0, v[0:1], off
	s_waitcnt vmcnt(0)
	v_mul_f32_e32 v1, s28, v0
.LBB10_7:
	s_mov_b64 s[20:21], exec
.LBB10_8:
	s_or_b64 exec, exec, s[10:11]
	s_and_b64 s[10:11], s[20:21], exec
	s_or_b64 exec, exec, s[14:15]
	s_and_b64 vcc, exec, s[6:7]
	s_cbranch_vccnz .LBB10_11
	s_branch .LBB10_48
.LBB10_9:
	s_mov_b64 s[10:11], 0
                                        ; implicit-def: $vgpr1
                                        ; implicit-def: $vgpr4_vgpr5
	s_cbranch_execnz .LBB10_11
	s_branch .LBB10_48
.LBB10_10:
	s_or_b64 exec, exec, s[14:15]
	s_and_b64 vcc, exec, s[6:7]
	s_cbranch_vccz .LBB10_48
.LBB10_11:
	s_load_dwordx4 s[20:23], s[0:1], 0x30
	s_load_dword s33, s[0:1], 0x28
	s_load_dwordx2 s[6:7], s[0:1], 0x40
	s_load_dword s34, s[0:1], 0x48
	v_lshlrev_b32_e32 v20, 2, v14
	s_waitcnt lgkmcnt(0)
	s_mul_i32 s0, s3, s21
	s_mul_hi_u32 s1, s3, s20
	s_add_i32 s1, s1, s0
	s_mul_i32 s0, s3, s20
	s_lshl_b64 s[0:1], s[0:1], 2
	s_add_u32 s14, s16, s0
	s_addc_u32 s15, s17, s1
	s_lshl_b64 s[0:1], s[18:19], 2
	s_add_u32 s14, s14, s0
	s_addc_u32 s15, s15, s1
	s_mul_i32 s0, s3, s5
	s_mul_hi_u32 s1, s3, s4
	s_add_i32 s1, s1, s0
	s_mul_i32 s0, s3, s4
	s_lshl_b64 s[0:1], s[0:1], 2
	s_add_u32 s3, s22, s0
	s_addc_u32 s4, s23, s1
	s_lshl_b64 s[0:1], s[6:7], 2
	s_add_u32 s16, s3, s0
	s_addc_u32 s17, s4, s1
	s_ashr_i32 s0, s13, 31
	s_lshr_b32 s0, s0, 26
	s_add_i32 s35, s13, s0
	s_lshl_b32 s31, s2, 7
	s_andn2_b32 s35, s35, 63
	v_add_u32_e32 v19, s31, v2
	v_cmp_gt_i32_e32 vcc, s35, v20
	v_mov_b32_e32 v15, 0
	v_mov_b32_e32 v16, 0
	;; [unrolled: 1-line block ×4, first 2 shown]
	s_and_saveexec_b64 s[18:19], vcc
	s_cbranch_execz .LBB10_23
; %bb.12:
	v_add_u32_e32 v0, 32, v19
	v_cmp_gt_i32_e64 s[0:1], s12, v0
	v_add_u32_e32 v0, 64, v19
	v_cmp_gt_i32_e64 s[2:3], s12, v0
	v_add_u32_e32 v0, 0x60, v19
	v_cmp_gt_i32_e64 s[4:5], s12, v0
	v_mul_lo_u32 v0, s33, v20
	v_add_u32_e32 v6, 2, v20
	v_add_u32_e32 v7, 3, v20
	v_add3_u32 v21, v0, s33, v2
	v_mad_u64_u32 v[0:1], s[6:7], s33, v6, v[2:3]
	v_mad_u64_u32 v[4:5], s[6:7], s33, v7, v[2:3]
	v_mul_lo_u32 v1, v14, s33
	v_mul_lo_u32 v5, s34, v20
	;; [unrolled: 1-line block ×4, first 2 shown]
	v_cmp_gt_i32_e32 vcc, s12, v19
	s_lshl_b32 s36, s33, 6
	v_lshl_add_u32 v1, v1, 2, v2
	v_add_u32_e32 v5, s34, v5
	s_lshl_b32 s37, s34, 6
	v_mul_lo_u32 v23, s34, v7
	v_lshlrev_b32_e32 v24, 2, v6
	s_mov_b32 s38, 0
	s_mov_b64 s[20:21], 0
	v_mov_b32_e32 v15, 0
	v_mov_b32_e32 v16, 0
	;; [unrolled: 1-line block ×4, first 2 shown]
	s_branch .LBB10_17
.LBB10_13:                              ;   in Loop: Header=BB10_17 Depth=1
	s_or_b64 exec, exec, s[26:27]
	s_waitcnt vmcnt(3)
	v_fmac_f32_e32 v17, v28, v40
	s_waitcnt vmcnt(2)
	v_fmac_f32_e32 v17, v27, v39
	;; [unrolled: 2-line block ×4, first 2 shown]
.LBB10_14:                              ;   in Loop: Header=BB10_17 Depth=1
	s_or_b64 exec, exec, s[24:25]
	s_waitcnt vmcnt(3)
	v_fmac_f32_e32 v16, v28, v36
	s_waitcnt vmcnt(2)
	v_fmac_f32_e32 v16, v27, v35
	;; [unrolled: 2-line block ×4, first 2 shown]
.LBB10_15:                              ;   in Loop: Header=BB10_17 Depth=1
	s_or_b64 exec, exec, s[22:23]
	s_waitcnt vmcnt(3)
	v_fmac_f32_e32 v15, v28, v32
	s_waitcnt vmcnt(2)
	v_fmac_f32_e32 v15, v27, v31
	;; [unrolled: 2-line block ×4, first 2 shown]
.LBB10_16:                              ;   in Loop: Header=BB10_17 Depth=1
	s_or_b64 exec, exec, s[6:7]
	v_add_u32_e32 v20, 64, v20
	s_add_i32 s38, s38, s37
	v_cmp_le_i32_e64 s[6:7], s35, v20
	v_add_u32_e32 v21, s36, v21
	v_add_u32_e32 v0, s36, v0
	;; [unrolled: 1-line block ×3, first 2 shown]
	s_or_b64 s[20:21], s[6:7], s[20:21]
	v_add_u32_e32 v1, s36, v1
	s_andn2_b64 exec, exec, s[20:21]
	s_cbranch_execz .LBB10_22
.LBB10_17:                              ; =>This Inner Loop Header: Depth=1
	s_and_saveexec_b64 s[6:7], vcc
	s_cbranch_execz .LBB10_16
; %bb.18:                               ;   in Loop: Header=BB10_17 Depth=1
	v_add_u32_e32 v6, s38, v24
	v_ashrrev_i32_e32 v7, 31, v6
	v_add_u32_e32 v8, s38, v5
	v_add_u32_e32 v10, s38, v22
	;; [unrolled: 1-line block ×3, first 2 shown]
	v_lshl_add_u64 v[6:7], v[6:7], 2, s[16:17]
	v_ashrrev_i32_e32 v9, 31, v8
	v_ashrrev_i32_e32 v11, 31, v10
	;; [unrolled: 1-line block ×3, first 2 shown]
	v_lshl_add_u64 v[8:9], v[8:9], 2, s[16:17]
	v_lshl_add_u64 v[10:11], v[10:11], 2, s[16:17]
	;; [unrolled: 1-line block ×3, first 2 shown]
	global_load_dword v28, v[6:7], off
	global_load_dword v27, v[8:9], off
	;; [unrolled: 1-line block ×4, first 2 shown]
	v_add_u32_e32 v6, s31, v1
	v_ashrrev_i32_e32 v7, 31, v6
	v_add_u32_e32 v8, s31, v21
	v_add_u32_e32 v10, s31, v0
	;; [unrolled: 1-line block ×3, first 2 shown]
	v_lshl_add_u64 v[6:7], v[6:7], 2, s[14:15]
	v_ashrrev_i32_e32 v9, 31, v8
	v_ashrrev_i32_e32 v11, 31, v10
	;; [unrolled: 1-line block ×3, first 2 shown]
	v_lshl_add_u64 v[8:9], v[8:9], 2, s[14:15]
	v_lshl_add_u64 v[10:11], v[10:11], 2, s[14:15]
	;; [unrolled: 1-line block ×3, first 2 shown]
	global_load_dword v32, v[6:7], off
	global_load_dword v31, v[8:9], off
	;; [unrolled: 1-line block ×4, first 2 shown]
	s_and_saveexec_b64 s[22:23], s[0:1]
	s_cbranch_execz .LBB10_15
; %bb.19:                               ;   in Loop: Header=BB10_17 Depth=1
	global_load_dword v36, v[6:7], off offset:128
	global_load_dword v35, v[8:9], off offset:128
	global_load_dword v34, v[10:11], off offset:128
	global_load_dword v33, v[12:13], off offset:128
	s_and_saveexec_b64 s[24:25], s[2:3]
	s_cbranch_execz .LBB10_14
; %bb.20:                               ;   in Loop: Header=BB10_17 Depth=1
	global_load_dword v40, v[6:7], off offset:256
	global_load_dword v39, v[8:9], off offset:256
	global_load_dword v38, v[10:11], off offset:256
	global_load_dword v37, v[12:13], off offset:256
	;; [unrolled: 7-line block ×3, first 2 shown]
	s_waitcnt vmcnt(3)
	v_fmac_f32_e32 v18, v28, v41
	s_waitcnt vmcnt(2)
	v_fmac_f32_e32 v18, v27, v42
	;; [unrolled: 2-line block ×4, first 2 shown]
	s_branch .LBB10_13
.LBB10_22:
	s_or_b64 exec, exec, s[20:21]
.LBB10_23:
	s_or_b64 exec, exec, s[18:19]
	s_sub_i32 s0, s13, s35
	s_cmp_lt_i32 s0, 1
	s_cbranch_scc1 .LBB10_41
; %bb.24:
	v_cmp_gt_i32_e32 vcc, s13, v20
	v_mov_b32_e32 v10, 0
	v_or_b32_e32 v4, 1, v20
	v_mov_b32_e32 v13, 0
	v_mov_b32_e32 v12, 0
	v_mov_b32_e32 v11, 0
	s_and_saveexec_b64 s[2:3], vcc
	s_cbranch_execz .LBB10_32
; %bb.25:
	v_mul_lo_u32 v0, v20, s34
	v_ashrrev_i32_e32 v1, 31, v0
	v_lshl_add_u64 v[0:1], v[0:1], 2, s[16:17]
	global_load_dword v11, v[0:1], off
	v_cmp_gt_i32_e64 s[0:1], s13, v4
	v_mov_b32_e32 v12, 0
	v_mov_b32_e32 v13, 0
	;; [unrolled: 1-line block ×3, first 2 shown]
	s_and_saveexec_b64 s[4:5], s[0:1]
	s_cbranch_execz .LBB10_31
; %bb.26:
	v_mul_lo_u32 v0, v4, s34
	v_ashrrev_i32_e32 v1, 31, v0
	v_lshl_add_u64 v[0:1], v[0:1], 2, s[16:17]
	global_load_dword v12, v[0:1], off
	v_or_b32_e32 v0, 2, v20
	v_cmp_gt_i32_e64 s[0:1], s13, v0
	v_mov_b32_e32 v13, 0
	v_mov_b32_e32 v10, 0
	s_and_saveexec_b64 s[6:7], s[0:1]
	s_cbranch_execz .LBB10_30
; %bb.27:
	v_mul_lo_u32 v0, v0, s34
	v_ashrrev_i32_e32 v1, 31, v0
	v_lshl_add_u64 v[0:1], v[0:1], 2, s[16:17]
	global_load_dword v13, v[0:1], off
	v_or_b32_e32 v0, 3, v20
	v_cmp_gt_i32_e64 s[0:1], s13, v0
	v_mov_b32_e32 v10, 0
	s_and_saveexec_b64 s[18:19], s[0:1]
	s_cbranch_execz .LBB10_29
; %bb.28:
	v_mul_lo_u32 v0, v0, s34
	v_ashrrev_i32_e32 v1, 31, v0
	v_lshl_add_u64 v[0:1], v[0:1], 2, s[16:17]
	global_load_dword v10, v[0:1], off
.LBB10_29:
	s_or_b64 exec, exec, s[18:19]
.LBB10_30:
	s_or_b64 exec, exec, s[6:7]
.LBB10_31:
	s_or_b64 exec, exec, s[4:5]
.LBB10_32:
	s_or_b64 exec, exec, s[2:3]
	v_cmp_gt_i32_e64 s[0:1], s12, v19
	s_and_saveexec_b64 s[2:3], s[0:1]
	s_cbranch_execz .LBB10_40
; %bb.33:
	v_mul_lo_u32 v0, v20, s33
	v_cndmask_b32_e32 v0, 0, v0, vcc
	v_mul_lo_u32 v5, v4, s33
	v_cmp_gt_i32_e32 vcc, s13, v4
	v_or_b32_e32 v6, 2, v20
	v_mul_lo_u32 v7, v6, s33
	v_cndmask_b32_e32 v4, 0, v5, vcc
	v_cmp_gt_i32_e32 vcc, s13, v6
	v_or_b32_e32 v8, 3, v20
	v_mul_lo_u32 v9, v8, s33
	v_cndmask_b32_e32 v6, 0, v7, vcc
	v_cmp_gt_i32_e32 vcc, s13, v8
	v_add_u32_e32 v0, v0, v19
	v_ashrrev_i32_e32 v1, 31, v0
	v_cndmask_b32_e32 v8, 0, v9, vcc
	v_add_u32_e32 v4, v4, v19
	v_add_u32_e32 v6, v6, v19
	;; [unrolled: 1-line block ×3, first 2 shown]
	v_lshl_add_u64 v[0:1], v[0:1], 2, s[14:15]
	v_ashrrev_i32_e32 v5, 31, v4
	v_ashrrev_i32_e32 v7, 31, v6
	;; [unrolled: 1-line block ×3, first 2 shown]
	v_lshl_add_u64 v[4:5], v[4:5], 2, s[14:15]
	v_lshl_add_u64 v[6:7], v[6:7], 2, s[14:15]
	global_load_dword v21, v[0:1], off
	global_load_dword v22, v[4:5], off
	;; [unrolled: 1-line block ×3, first 2 shown]
	v_lshl_add_u64 v[8:9], v[8:9], 2, s[14:15]
	global_load_dword v20, v[8:9], off
	v_add_u32_e32 v24, 32, v19
	v_cmp_gt_i32_e32 vcc, s12, v24
	s_waitcnt vmcnt(3)
	v_fmac_f32_e32 v15, v11, v21
	s_waitcnt vmcnt(2)
	v_fmac_f32_e32 v15, v12, v22
	s_waitcnt vmcnt(1)
	v_fmac_f32_e32 v15, v13, v23
	s_and_saveexec_b64 s[0:1], vcc
	s_cbranch_execz .LBB10_39
; %bb.34:
	global_load_dword v22, v[0:1], off offset:128
	global_load_dword v23, v[4:5], off offset:128
	global_load_dword v24, v[6:7], off offset:128
	global_load_dword v21, v[8:9], off offset:128
	v_add_u32_e32 v25, 64, v19
	v_cmp_gt_i32_e32 vcc, s12, v25
	s_waitcnt vmcnt(3)
	v_fmac_f32_e32 v16, v11, v22
	s_waitcnt vmcnt(2)
	v_fmac_f32_e32 v16, v12, v23
	s_waitcnt vmcnt(1)
	v_fmac_f32_e32 v16, v13, v24
	s_and_saveexec_b64 s[4:5], vcc
	s_cbranch_execz .LBB10_38
; %bb.35:
	global_load_dword v23, v[0:1], off offset:256
	global_load_dword v24, v[4:5], off offset:256
	global_load_dword v25, v[6:7], off offset:256
	global_load_dword v22, v[8:9], off offset:256
	;; [unrolled: 15-line block ×3, first 2 shown]
	s_waitcnt vmcnt(3)
	v_fmac_f32_e32 v18, v11, v19
	s_waitcnt vmcnt(2)
	v_fmac_f32_e32 v18, v12, v23
	;; [unrolled: 2-line block ×4, first 2 shown]
.LBB10_37:
	s_or_b64 exec, exec, s[6:7]
	s_waitcnt vmcnt(0)
	v_fmac_f32_e32 v17, v10, v22
.LBB10_38:
	s_or_b64 exec, exec, s[4:5]
	s_waitcnt vmcnt(0)
	v_fmac_f32_e32 v16, v10, v21
.LBB10_39:
	s_or_b64 exec, exec, s[0:1]
	s_waitcnt vmcnt(0)
	v_fmac_f32_e32 v15, v10, v20
.LBB10_40:
	s_or_b64 exec, exec, s[2:3]
.LBB10_41:
	v_lshlrev_b32_e32 v0, 7, v14
	s_movk_i32 s0, 0x80
	v_add_lshl_u32 v0, v0, v2, 2
	v_cmp_gt_u32_e32 vcc, s0, v3
	ds_write2_b32 v0, v15, v16 offset1:32
	ds_write2_b32 v0, v17, v18 offset0:64 offset1:96
	s_waitcnt lgkmcnt(0)
	s_barrier
	s_waitcnt lgkmcnt(0)
                                        ; implicit-def: $vgpr1
                                        ; implicit-def: $vgpr4_vgpr5
	s_and_saveexec_b64 s[0:1], vcc
	s_cbranch_execz .LBB10_47
; %bb.42:
	v_lshlrev_b32_e32 v2, 2, v3
	ds_read2st64_b32 v[0:1], v2 offset1:2
	ds_read2st64_b32 v[4:5], v2 offset0:4 offset1:6
	ds_read2st64_b32 v[6:7], v2 offset0:8 offset1:10
	;; [unrolled: 1-line block ×3, first 2 shown]
	s_waitcnt vmcnt(0)
	ds_read2st64_b32 v[10:11], v2 offset0:16 offset1:18
	s_waitcnt lgkmcnt(4)
	v_add_f32_e32 v0, v0, v1
	s_waitcnt lgkmcnt(3)
	v_add_f32_e32 v0, v4, v0
	v_add_f32_e32 v0, v5, v0
	s_waitcnt lgkmcnt(2)
	v_add_f32_e32 v0, v6, v0
	;; [unrolled: 3-line block ×3, first 2 shown]
	v_add_f32_e32 v4, v9, v0
	ds_read2st64_b32 v[0:1], v2 offset0:20 offset1:22
	s_waitcnt lgkmcnt(1)
	v_add_f32_e32 v6, v10, v4
	ds_read2st64_b32 v[4:5], v2 offset0:24 offset1:26
	v_add_f32_e32 v8, v11, v6
	ds_read2st64_b32 v[6:7], v2 offset0:28 offset1:30
	s_waitcnt lgkmcnt(2)
	v_add_f32_e32 v0, v0, v8
	v_add_f32_e32 v0, v1, v0
	s_waitcnt lgkmcnt(1)
	v_add_f32_e32 v0, v4, v0
	v_add_f32_e32 v0, v5, v0
	;; [unrolled: 3-line block ×3, first 2 shown]
	ds_write_b32 v2, v0
	v_or_b32_e32 v2, s31, v3
	v_cmp_gt_i32_e32 vcc, s12, v2
	s_mov_b64 s[4:5], s[10:11]
                                        ; implicit-def: $vgpr1
                                        ; implicit-def: $vgpr4_vgpr5
	s_and_saveexec_b64 s[2:3], vcc
	s_cbranch_execz .LBB10_46
; %bb.43:
	v_cmp_eq_f32_e64 s[4:5], s28, 0
	v_mul_lo_u32 v4, v2, s30
	v_mul_f32_e32 v1, s29, v0
	v_ashrrev_i32_e32 v5, 31, v4
	s_and_b64 vcc, exec, s[4:5]
	s_cbranch_vccnz .LBB10_45
; %bb.44:
	v_lshl_add_u64 v[2:3], v[4:5], 2, s[8:9]
	global_load_dword v0, v[2:3], off
	s_waitcnt vmcnt(0)
	v_fmac_f32_e32 v1, s28, v0
.LBB10_45:
	s_or_b64 s[4:5], s[10:11], exec
.LBB10_46:
	s_or_b64 exec, exec, s[2:3]
	s_andn2_b64 s[2:3], s[10:11], exec
	s_and_b64 s[4:5], s[4:5], exec
	s_or_b64 s[10:11], s[2:3], s[4:5]
.LBB10_47:
	s_or_b64 exec, exec, s[0:1]
.LBB10_48:
	s_and_saveexec_b64 s[0:1], s[10:11]
	s_cbranch_execz .LBB10_50
; %bb.49:
	v_lshl_add_u64 v[2:3], v[4:5], 2, s[8:9]
	global_store_dword v[2:3], v1, off
.LBB10_50:
	s_endpgm
	.section	.rodata,"a",@progbits
	.p2align	6, 0x0
	.amdhsa_kernel _ZL20rocblas_gemvn_kernelILi32ELi16EifPKffEviiT3_lPKT2_lT1_lS5_lS6_lS2_lPT4_lS6_li
		.amdhsa_group_segment_fixed_size 8192
		.amdhsa_private_segment_fixed_size 0
		.amdhsa_kernarg_size 400
		.amdhsa_user_sgpr_count 2
		.amdhsa_user_sgpr_dispatch_ptr 0
		.amdhsa_user_sgpr_queue_ptr 0
		.amdhsa_user_sgpr_kernarg_segment_ptr 1
		.amdhsa_user_sgpr_dispatch_id 0
		.amdhsa_user_sgpr_kernarg_preload_length 0
		.amdhsa_user_sgpr_kernarg_preload_offset 0
		.amdhsa_user_sgpr_private_segment_size 0
		.amdhsa_uses_dynamic_stack 0
		.amdhsa_enable_private_segment 0
		.amdhsa_system_sgpr_workgroup_id_x 1
		.amdhsa_system_sgpr_workgroup_id_y 0
		.amdhsa_system_sgpr_workgroup_id_z 1
		.amdhsa_system_sgpr_workgroup_info 0
		.amdhsa_system_vgpr_workitem_id 1
		.amdhsa_next_free_vgpr 45
		.amdhsa_next_free_sgpr 39
		.amdhsa_accum_offset 48
		.amdhsa_reserve_vcc 1
		.amdhsa_float_round_mode_32 0
		.amdhsa_float_round_mode_16_64 0
		.amdhsa_float_denorm_mode_32 3
		.amdhsa_float_denorm_mode_16_64 3
		.amdhsa_dx10_clamp 1
		.amdhsa_ieee_mode 1
		.amdhsa_fp16_overflow 0
		.amdhsa_tg_split 0
		.amdhsa_exception_fp_ieee_invalid_op 0
		.amdhsa_exception_fp_denorm_src 0
		.amdhsa_exception_fp_ieee_div_zero 0
		.amdhsa_exception_fp_ieee_overflow 0
		.amdhsa_exception_fp_ieee_underflow 0
		.amdhsa_exception_fp_ieee_inexact 0
		.amdhsa_exception_int_div_zero 0
	.end_amdhsa_kernel
	.section	.text._ZL20rocblas_gemvn_kernelILi32ELi16EifPKffEviiT3_lPKT2_lT1_lS5_lS6_lS2_lPT4_lS6_li,"axG",@progbits,_ZL20rocblas_gemvn_kernelILi32ELi16EifPKffEviiT3_lPKT2_lT1_lS5_lS6_lS2_lPT4_lS6_li,comdat
.Lfunc_end10:
	.size	_ZL20rocblas_gemvn_kernelILi32ELi16EifPKffEviiT3_lPKT2_lT1_lS5_lS6_lS2_lPT4_lS6_li, .Lfunc_end10-_ZL20rocblas_gemvn_kernelILi32ELi16EifPKffEviiT3_lPKT2_lT1_lS5_lS6_lS2_lPT4_lS6_li
                                        ; -- End function
	.section	.AMDGPU.csdata,"",@progbits
; Kernel info:
; codeLenInByte = 2416
; NumSgprs: 45
; NumVgprs: 45
; NumAgprs: 0
; TotalNumVgprs: 45
; ScratchSize: 0
; MemoryBound: 0
; FloatMode: 240
; IeeeMode: 1
; LDSByteSize: 8192 bytes/workgroup (compile time only)
; SGPRBlocks: 5
; VGPRBlocks: 5
; NumSGPRsForWavesPerEU: 45
; NumVGPRsForWavesPerEU: 45
; AccumOffset: 48
; Occupancy: 8
; WaveLimiterHint : 1
; COMPUTE_PGM_RSRC2:SCRATCH_EN: 0
; COMPUTE_PGM_RSRC2:USER_SGPR: 2
; COMPUTE_PGM_RSRC2:TRAP_HANDLER: 0
; COMPUTE_PGM_RSRC2:TGID_X_EN: 1
; COMPUTE_PGM_RSRC2:TGID_Y_EN: 0
; COMPUTE_PGM_RSRC2:TGID_Z_EN: 1
; COMPUTE_PGM_RSRC2:TIDIG_COMP_CNT: 1
; COMPUTE_PGM_RSRC3_GFX90A:ACCUM_OFFSET: 11
; COMPUTE_PGM_RSRC3_GFX90A:TG_SPLIT: 0
	.section	.text._ZL20rocblas_gemvn_kernelILi32ELi16ElfPKffEviiT3_lPKT2_lT1_lS5_lS6_lS2_lPT4_lS6_li,"axG",@progbits,_ZL20rocblas_gemvn_kernelILi32ELi16ElfPKffEviiT3_lPKT2_lT1_lS5_lS6_lS2_lPT4_lS6_li,comdat
	.globl	_ZL20rocblas_gemvn_kernelILi32ELi16ElfPKffEviiT3_lPKT2_lT1_lS5_lS6_lS2_lPT4_lS6_li ; -- Begin function _ZL20rocblas_gemvn_kernelILi32ELi16ElfPKffEviiT3_lPKT2_lT1_lS5_lS6_lS2_lPT4_lS6_li
	.p2align	8
	.type	_ZL20rocblas_gemvn_kernelILi32ELi16ElfPKffEviiT3_lPKT2_lT1_lS5_lS6_lS2_lPT4_lS6_li,@function
_ZL20rocblas_gemvn_kernelILi32ELi16ElfPKffEviiT3_lPKT2_lT1_lS5_lS6_lS2_lPT4_lS6_li: ; @_ZL20rocblas_gemvn_kernelILi32ELi16ElfPKffEviiT3_lPKT2_lT1_lS5_lS6_lS2_lPT4_lS6_li
; %bb.0:
	s_load_dwordx2 s[4:5], s[0:1], 0x9c
	s_waitcnt lgkmcnt(0)
	s_lshr_b32 s6, s4, 16
	s_and_b32 s4, s4, 0xffff
	s_and_b32 s5, s5, 0xffff
	s_mul_i32 s4, s6, s4
	s_mul_i32 s4, s4, s5
	s_cmpk_lg_i32 s4, 0x200
	s_cbranch_scc1 .LBB11_50
; %bb.1:
	s_load_dwordx16 s[36:51], s[0:1], 0x8
	s_load_dwordx16 s[8:23], s[0:1], 0x48
	s_waitcnt lgkmcnt(0)
	s_mul_i32 s5, s3, s39
	s_mul_hi_u32 s6, s3, s38
	s_mul_i32 s4, s3, s38
	s_add_i32 s5, s6, s5
	s_lshl_b64 s[4:5], s[4:5], 2
	s_add_u32 s4, s36, s4
	s_addc_u32 s5, s37, s5
	s_mul_i32 s7, s3, s15
	s_load_dword s52, s[4:5], 0x0
	s_mul_hi_u32 s4, s3, s14
	s_add_i32 s5, s4, s7
	s_mul_i32 s4, s3, s14
	s_lshl_b64 s[4:5], s[4:5], 2
	s_add_u32 s4, s12, s4
	s_addc_u32 s5, s13, s5
	s_load_dword s33, s[4:5], 0x0
	s_waitcnt lgkmcnt(0)
	v_cmp_eq_f32_e64 s[4:5], s52, 0
	v_cmp_eq_f32_e64 s[6:7], s33, 1.0
	s_and_b64 s[4:5], s[4:5], s[6:7]
	s_and_b64 vcc, exec, s[4:5]
	s_cbranch_vccnz .LBB11_50
; %bb.2:
	s_load_dwordx2 s[14:15], s[0:1], 0x0
	s_mul_i32 s0, s3, s23
	s_mul_hi_u32 s1, s3, s22
	s_add_i32 s1, s1, s0
	s_mul_i32 s0, s3, s22
	s_lshl_b64 s[0:1], s[0:1], 2
	s_add_u32 s4, s16, s0
	s_addc_u32 s5, s17, s1
	s_lshl_b64 s[0:1], s[18:19], 2
	s_add_u32 s12, s4, s0
	s_addc_u32 s13, s5, s1
	v_and_b32_e32 v29, 0x3ff, v0
	v_bfe_u32 v30, v0, 10, 10
	v_cmp_neq_f32_e64 s[0:1], s52, 0
	v_lshl_add_u32 v28, v30, 5, v29
	s_and_b64 vcc, exec, s[0:1]
	s_cbranch_vccnz .LBB11_9
; %bb.3:
	s_movk_i32 s0, 0x80
	v_cmp_gt_u32_e32 vcc, s0, v28
	s_mov_b64 s[0:1], 0
	s_mov_b64 s[16:17], 0
                                        ; implicit-def: $vgpr1
                                        ; implicit-def: $vgpr2_vgpr3
	s_and_saveexec_b64 s[4:5], vcc
	s_cbranch_execz .LBB11_10
; %bb.4:
	v_lshl_or_b32 v0, s2, 7, v28
	v_mov_b32_e32 v1, 0
	s_waitcnt lgkmcnt(0)
	s_ashr_i32 s7, s14, 31
	s_mov_b32 s6, s14
	v_cmp_gt_i64_e32 vcc, s[6:7], v[0:1]
                                        ; implicit-def: $vgpr2_vgpr3
	s_and_saveexec_b64 s[6:7], vcc
	s_cbranch_execz .LBB11_8
; %bb.5:
	v_mad_u64_u32 v[2:3], s[18:19], v0, s20, 0
	v_mov_b32_e32 v4, v3
	v_cmp_eq_f32_e64 s[16:17], s33, 0
	v_mad_u64_u32 v[4:5], s[18:19], v0, s21, v[4:5]
	v_mov_b32_e32 v3, v4
	s_and_b64 vcc, exec, s[16:17]
	s_cbranch_vccnz .LBB11_7
; %bb.6:
	v_lshl_add_u64 v[0:1], v[2:3], 2, s[12:13]
	global_load_dword v0, v[0:1], off
	s_waitcnt vmcnt(0)
	v_mul_f32_e32 v1, s33, v0
.LBB11_7:
	s_mov_b64 s[16:17], exec
.LBB11_8:
	s_or_b64 exec, exec, s[6:7]
	s_and_b64 s[16:17], s[16:17], exec
	s_or_b64 exec, exec, s[4:5]
	s_and_b64 vcc, exec, s[0:1]
	s_cbranch_vccnz .LBB11_11
	s_branch .LBB11_48
.LBB11_9:
	s_mov_b64 s[16:17], 0
                                        ; implicit-def: $vgpr1
                                        ; implicit-def: $vgpr2_vgpr3
	s_cbranch_execnz .LBB11_11
	s_branch .LBB11_48
.LBB11_10:
	s_or_b64 exec, exec, s[4:5]
	s_and_b64 vcc, exec, s[0:1]
	s_cbranch_vccz .LBB11_48
.LBB11_11:
	s_mul_i32 s0, s3, s47
	s_mul_hi_u32 s1, s3, s46
	s_add_i32 s19, s1, s0
	s_mul_i32 s0, s3, s11
	s_mul_hi_u32 s1, s3, s10
	s_add_i32 s11, s1, s0
	s_waitcnt lgkmcnt(0)
	s_ashr_i32 s0, s15, 31
	s_lshr_b32 s0, s0, 26
	s_add_i32 s47, s15, s0
	s_mul_i32 s18, s3, s46
	s_lshl_b32 s46, s2, 7
	s_andn2_b32 s47, s47, 63
	v_lshlrev_b32_e32 v35, 2, v30
	s_mul_i32 s10, s3, s10
	v_add_u32_e32 v0, s46, v29
	v_cmp_gt_i32_e32 vcc, s47, v35
	v_mov_b32_e32 v31, 0
	v_mov_b32_e32 v32, 0
	;; [unrolled: 1-line block ×4, first 2 shown]
	s_and_saveexec_b64 s[22:23], vcc
	s_cbranch_execz .LBB11_23
; %bb.12:
	v_add_u32_e32 v2, 32, v0
	v_cmp_gt_i32_e64 s[0:1], s14, v2
	v_add_u32_e32 v2, 64, v0
	v_cmp_gt_i32_e64 s[2:3], s14, v2
	;; [unrolled: 2-line block ×3, first 2 shown]
	v_mad_u64_u32 v[2:3], s[6:7], s8, v30, 0
	v_mov_b32_e32 v4, v3
	v_ashrrev_i32_e32 v1, 31, v0
	v_mad_u64_u32 v[4:5], s[6:7], s9, v30, v[4:5]
	v_mov_b32_e32 v3, v4
	v_lshlrev_b64 v[4:5], 2, v[0:1]
	v_lshlrev_b32_e32 v1, 2, v30
	v_or_b32_e32 v11, 3, v1
	v_mad_u64_u32 v[6:7], s[28:29], s44, v11, 0
	v_mov_b32_e32 v8, v7
	v_mad_u64_u32 v[8:9], s[28:29], s45, v11, v[8:9]
	v_mov_b32_e32 v7, v8
	;; [unrolled: 2-line block ×5, first 2 shown]
	v_mad_u64_u32 v[12:13], s[34:35], s45, v30, v[12:13]
	v_or_b32_e32 v17, 2, v1
	v_mov_b32_e32 v11, v12
	v_mad_u64_u32 v[12:13], s[34:35], s44, v17, 0
	v_mov_b32_e32 v14, v13
	v_mad_u64_u32 v[14:15], s[34:35], s45, v17, v[14:15]
	;; [unrolled: 2-line block ×4, first 2 shown]
	v_mov_b32_e32 v15, v16
	v_mov_b64_e32 v[16:17], s[8:9]
	v_mad_u64_u32 v[16:17], s[34:35], s8, v1, v[16:17]
	s_lshl_b64 s[24:25], s[50:51], 2
	s_lshl_b64 s[6:7], s[10:11], 2
	v_mov_b32_e32 v18, v17
	s_add_u32 s6, s48, s6
	v_mad_u64_u32 v[18:19], s[34:35], s9, v1, v[18:19]
	s_addc_u32 s7, s49, s7
	s_lshl_b64 s[26:27], s[8:9], 8
	s_lshl_b64 s[28:29], s[18:19], 2
	;; [unrolled: 1-line block ×3, first 2 shown]
	v_mov_b32_e32 v17, v18
	v_mov_b64_e32 v[18:19], s[44:45]
	v_lshl_add_u64 v[2:3], v[2:3], 4, s[6:7]
	s_add_u32 s30, s40, s30
	v_lshl_add_u64 v[8:9], v[8:9], 2, s[6:7]
	v_lshl_add_u64 v[14:15], v[14:15], 2, s[6:7]
	;; [unrolled: 1-line block ×3, first 2 shown]
	v_mad_u64_u32 v[18:19], s[6:7], s44, v1, v[18:19]
	s_addc_u32 s31, s41, s31
	v_mov_b32_e32 v20, v19
	s_add_u32 s30, s30, s28
	v_mad_u64_u32 v[20:21], s[6:7], s45, v1, v[20:21]
	s_addc_u32 s31, s31, s29
	v_mov_b32_e32 v19, v20
	v_cmp_gt_i32_e32 vcc, s14, v0
	v_lshl_add_u64 v[6:7], v[6:7], 2, s[30:31]
	s_lshl_b64 s[28:29], s[44:45], 8
	v_lshl_add_u64 v[10:11], v[10:11], 4, s[30:31]
	v_lshl_add_u64 v[12:13], v[12:13], 2, s[30:31]
	;; [unrolled: 1-line block ×3, first 2 shown]
	s_mov_b64 s[30:31], 0
	v_mov_b32_e32 v31, 0
	v_mov_b32_e32 v32, 0
	;; [unrolled: 1-line block ×4, first 2 shown]
	s_branch .LBB11_17
.LBB11_13:                              ;   in Loop: Header=BB11_17 Depth=1
	s_or_b64 exec, exec, s[38:39]
	s_waitcnt vmcnt(3)
	v_fmac_f32_e32 v33, v1, v50
	s_waitcnt vmcnt(2)
	v_fmac_f32_e32 v33, v36, v49
	;; [unrolled: 2-line block ×4, first 2 shown]
.LBB11_14:                              ;   in Loop: Header=BB11_17 Depth=1
	s_or_b64 exec, exec, s[36:37]
	s_waitcnt vmcnt(3)
	v_fmac_f32_e32 v32, v1, v46
	s_waitcnt vmcnt(2)
	v_fmac_f32_e32 v32, v36, v45
	;; [unrolled: 2-line block ×4, first 2 shown]
.LBB11_15:                              ;   in Loop: Header=BB11_17 Depth=1
	s_or_b64 exec, exec, s[34:35]
	s_waitcnt vmcnt(3)
	v_fmac_f32_e32 v31, v1, v39
	s_waitcnt vmcnt(2)
	v_fmac_f32_e32 v31, v36, v40
	;; [unrolled: 2-line block ×4, first 2 shown]
.LBB11_16:                              ;   in Loop: Header=BB11_17 Depth=1
	s_or_b64 exec, exec, s[6:7]
	v_add_u32_e32 v35, 64, v35
	v_cmp_le_i32_e64 s[6:7], s47, v35
	v_lshl_add_u64 v[2:3], v[2:3], 0, s[26:27]
	v_lshl_add_u64 v[6:7], v[6:7], 0, s[28:29]
	v_lshl_add_u64 v[8:9], v[8:9], 0, s[26:27]
	v_lshl_add_u64 v[10:11], v[10:11], 0, s[28:29]
	v_lshl_add_u64 v[12:13], v[12:13], 0, s[28:29]
	v_lshl_add_u64 v[14:15], v[14:15], 0, s[26:27]
	v_lshl_add_u64 v[16:17], v[16:17], 0, s[26:27]
	s_or_b64 s[30:31], s[6:7], s[30:31]
	v_lshl_add_u64 v[18:19], v[18:19], 0, s[28:29]
	s_andn2_b64 exec, exec, s[30:31]
	s_cbranch_execz .LBB11_22
.LBB11_17:                              ; =>This Inner Loop Header: Depth=1
	s_and_saveexec_b64 s[6:7], vcc
	s_cbranch_execz .LBB11_16
; %bb.18:                               ;   in Loop: Header=BB11_17 Depth=1
	v_lshl_add_u64 v[20:21], v[2:3], 0, s[24:25]
	global_load_dword v1, v[20:21], off
	v_lshl_add_u64 v[20:21], v[16:17], 0, s[24:25]
	global_load_dword v36, v[20:21], off
	v_lshl_add_u64 v[20:21], v[14:15], 0, s[24:25]
	global_load_dword v37, v[20:21], off
	v_lshl_add_u64 v[20:21], v[8:9], 0, s[24:25]
	global_load_dword v38, v[20:21], off
	v_lshl_add_u64 v[26:27], v[10:11], 0, v[4:5]
	v_lshl_add_u64 v[24:25], v[18:19], 0, v[4:5]
	;; [unrolled: 1-line block ×4, first 2 shown]
	global_load_dword v39, v[26:27], off
	global_load_dword v40, v[24:25], off
	global_load_dword v41, v[22:23], off
	global_load_dword v42, v[20:21], off
	s_and_saveexec_b64 s[34:35], s[0:1]
	s_cbranch_execz .LBB11_15
; %bb.19:                               ;   in Loop: Header=BB11_17 Depth=1
	global_load_dword v46, v[26:27], off offset:128
	global_load_dword v45, v[24:25], off offset:128
	;; [unrolled: 1-line block ×4, first 2 shown]
	s_and_saveexec_b64 s[36:37], s[2:3]
	s_cbranch_execz .LBB11_14
; %bb.20:                               ;   in Loop: Header=BB11_17 Depth=1
	global_load_dword v50, v[26:27], off offset:256
	global_load_dword v49, v[24:25], off offset:256
	;; [unrolled: 1-line block ×4, first 2 shown]
	s_and_saveexec_b64 s[38:39], s[4:5]
	s_cbranch_execz .LBB11_13
; %bb.21:                               ;   in Loop: Header=BB11_17 Depth=1
	global_load_dword v26, v[26:27], off offset:384
	s_nop 0
	global_load_dword v24, v[24:25], off offset:384
	s_nop 0
	;; [unrolled: 2-line block ×3, first 2 shown]
	global_load_dword v20, v[20:21], off offset:384
	s_waitcnt vmcnt(3)
	v_fmac_f32_e32 v34, v1, v26
	s_waitcnt vmcnt(2)
	v_fmac_f32_e32 v34, v36, v24
	;; [unrolled: 2-line block ×4, first 2 shown]
	s_branch .LBB11_13
.LBB11_22:
	s_or_b64 exec, exec, s[30:31]
.LBB11_23:
	s_or_b64 exec, exec, s[22:23]
	s_sub_i32 s0, s15, s47
	s_cmp_lt_i32 s0, 1
	s_cbranch_scc1 .LBB11_41
; %bb.24:
	v_cmp_gt_i32_e32 vcc, s15, v35
	v_mov_b32_e32 v11, 0
	v_or_b32_e32 v4, 1, v35
	v_mov_b32_e32 v13, 0
	v_mov_b32_e32 v12, 0
	;; [unrolled: 1-line block ×3, first 2 shown]
	s_and_saveexec_b64 s[2:3], vcc
	s_cbranch_execz .LBB11_32
; %bb.25:
	s_lshl_b64 s[0:1], s[10:11], 2
	s_add_u32 s4, s48, s0
	s_addc_u32 s5, s49, s1
	s_lshl_b64 s[0:1], s[50:51], 2
	s_add_u32 s4, s4, s0
	s_addc_u32 s5, s5, s1
	v_mad_u64_u32 v[2:3], s[0:1], v35, s8, 0
	v_mov_b32_e32 v6, v3
	v_mad_u64_u32 v[6:7], s[0:1], v35, s9, v[6:7]
	v_mov_b32_e32 v3, v6
	v_lshl_add_u64 v[2:3], v[2:3], 2, s[4:5]
	global_load_dword v10, v[2:3], off
	v_cmp_gt_i32_e64 s[0:1], s15, v4
	v_mov_b32_e32 v12, 0
	v_mov_b32_e32 v13, 0
	;; [unrolled: 1-line block ×3, first 2 shown]
	s_and_saveexec_b64 s[6:7], s[0:1]
	s_cbranch_execz .LBB11_31
; %bb.26:
	v_mad_u64_u32 v[2:3], s[0:1], v4, s8, 0
	v_mov_b32_e32 v6, v3
	v_mad_u64_u32 v[6:7], s[0:1], v4, s9, v[6:7]
	v_mov_b32_e32 v3, v6
	v_lshl_add_u64 v[2:3], v[2:3], 2, s[4:5]
	global_load_dword v12, v[2:3], off
	v_or_b32_e32 v1, 2, v35
	v_cmp_gt_i32_e64 s[0:1], s15, v1
	v_mov_b32_e32 v13, 0
	v_mov_b32_e32 v11, 0
	s_and_saveexec_b64 s[10:11], s[0:1]
	s_cbranch_execz .LBB11_30
; %bb.27:
	v_mad_u64_u32 v[2:3], s[0:1], v1, s8, 0
	v_mov_b32_e32 v6, v3
	v_mad_u64_u32 v[6:7], s[0:1], v1, s9, v[6:7]
	v_mov_b32_e32 v3, v6
	v_lshl_add_u64 v[2:3], v[2:3], 2, s[4:5]
	global_load_dword v13, v[2:3], off
	v_or_b32_e32 v1, 3, v35
	v_cmp_gt_i32_e64 s[0:1], s15, v1
	v_mov_b32_e32 v11, 0
	s_and_saveexec_b64 s[22:23], s[0:1]
	s_cbranch_execz .LBB11_29
; %bb.28:
	v_mad_u64_u32 v[2:3], s[0:1], v1, s8, 0
	v_mov_b32_e32 v6, v3
	v_mad_u64_u32 v[6:7], s[0:1], v1, s9, v[6:7]
	v_mov_b32_e32 v3, v6
	v_lshl_add_u64 v[2:3], v[2:3], 2, s[4:5]
	global_load_dword v11, v[2:3], off
.LBB11_29:
	s_or_b64 exec, exec, s[22:23]
.LBB11_30:
	s_or_b64 exec, exec, s[10:11]
.LBB11_31:
	s_or_b64 exec, exec, s[6:7]
.LBB11_32:
	s_or_b64 exec, exec, s[2:3]
	v_cmp_gt_i32_e64 s[0:1], s14, v0
	s_and_saveexec_b64 s[2:3], s[0:1]
	s_cbranch_execz .LBB11_40
; %bb.33:
	s_lshl_b64 s[0:1], s[18:19], 2
	s_add_u32 s4, s40, s0
	s_addc_u32 s5, s41, s1
	s_lshl_b64 s[0:1], s[42:43], 2
	s_add_u32 s0, s4, s0
	s_addc_u32 s1, s5, s1
	v_mad_u64_u32 v[2:3], s[4:5], v35, s44, 0
	v_mov_b32_e32 v6, v3
	v_mad_u64_u32 v[6:7], s[4:5], v35, s45, v[6:7]
	v_ashrrev_i32_e32 v1, 31, v0
	v_cndmask_b32_e32 v3, 0, v6, vcc
	v_mad_u64_u32 v[6:7], s[4:5], v4, s44, 0
	v_cndmask_b32_e32 v2, 0, v2, vcc
	v_lshlrev_b64 v[8:9], 2, v[0:1]
	v_mov_b32_e32 v14, v7
	v_cmp_gt_i32_e32 vcc, s15, v4
	v_or_b32_e32 v1, 2, v35
	v_mad_u64_u32 v[14:15], s[4:5], v4, s45, v[14:15]
	v_cndmask_b32_e32 v4, 0, v6, vcc
	v_mad_u64_u32 v[6:7], s[4:5], v1, s44, 0
	v_cndmask_b32_e32 v5, 0, v14, vcc
	v_mov_b32_e32 v14, v7
	v_mad_u64_u32 v[14:15], s[4:5], v1, s45, v[14:15]
	v_cmp_gt_i32_e32 vcc, s15, v1
	v_or_b32_e32 v1, 3, v35
	v_lshl_add_u64 v[2:3], v[2:3], 2, s[0:1]
	v_cndmask_b32_e32 v7, 0, v14, vcc
	v_mad_u64_u32 v[14:15], s[4:5], v1, s44, 0
	v_mov_b32_e32 v16, v15
	v_cndmask_b32_e32 v6, 0, v6, vcc
	v_mad_u64_u32 v[16:17], s[4:5], v1, s45, v[16:17]
	v_cmp_gt_i32_e32 vcc, s15, v1
	v_lshl_add_u64 v[2:3], v[2:3], 0, v[8:9]
	v_lshl_add_u64 v[4:5], v[4:5], 2, s[0:1]
	v_cndmask_b32_e32 v14, 0, v14, vcc
	v_cndmask_b32_e32 v15, 0, v16, vcc
	v_lshl_add_u64 v[6:7], v[6:7], 2, s[0:1]
	v_lshl_add_u64 v[14:15], v[14:15], 2, s[0:1]
	;; [unrolled: 1-line block ×4, first 2 shown]
	global_load_dword v16, v[2:3], off
	global_load_dword v17, v[4:5], off
	;; [unrolled: 1-line block ×3, first 2 shown]
	v_lshl_add_u64 v[8:9], v[14:15], 0, v[8:9]
	global_load_dword v1, v[8:9], off
	v_add_u32_e32 v14, 32, v0
	v_cmp_gt_i32_e32 vcc, s14, v14
	s_waitcnt vmcnt(3)
	v_fmac_f32_e32 v31, v10, v16
	s_waitcnt vmcnt(2)
	v_fmac_f32_e32 v31, v12, v17
	s_waitcnt vmcnt(1)
	v_fmac_f32_e32 v31, v13, v18
	s_and_saveexec_b64 s[0:1], vcc
	s_cbranch_execz .LBB11_39
; %bb.34:
	global_load_dword v15, v[2:3], off offset:128
	global_load_dword v16, v[4:5], off offset:128
	global_load_dword v17, v[6:7], off offset:128
	global_load_dword v14, v[8:9], off offset:128
	v_add_u32_e32 v18, 64, v0
	v_cmp_gt_i32_e32 vcc, s14, v18
	s_waitcnt vmcnt(3)
	v_fmac_f32_e32 v32, v10, v15
	s_waitcnt vmcnt(2)
	v_fmac_f32_e32 v32, v12, v16
	s_waitcnt vmcnt(1)
	v_fmac_f32_e32 v32, v13, v17
	s_and_saveexec_b64 s[4:5], vcc
	s_cbranch_execz .LBB11_38
; %bb.35:
	global_load_dword v16, v[2:3], off offset:256
	global_load_dword v17, v[4:5], off offset:256
	global_load_dword v18, v[6:7], off offset:256
	global_load_dword v15, v[8:9], off offset:256
	v_add_u32_e32 v0, 0x60, v0
	v_cmp_gt_i32_e32 vcc, s14, v0
	s_waitcnt vmcnt(3)
	v_fmac_f32_e32 v33, v10, v16
	s_waitcnt vmcnt(2)
	v_fmac_f32_e32 v33, v12, v17
	s_waitcnt vmcnt(1)
	v_fmac_f32_e32 v33, v13, v18
	s_and_saveexec_b64 s[6:7], vcc
	s_cbranch_execz .LBB11_37
; %bb.36:
	global_load_dword v0, v[2:3], off offset:384
	global_load_dword v16, v[4:5], off offset:384
	global_load_dword v17, v[6:7], off offset:384
	global_load_dword v18, v[8:9], off offset:384
	s_waitcnt vmcnt(3)
	v_fmac_f32_e32 v34, v10, v0
	s_waitcnt vmcnt(2)
	v_fmac_f32_e32 v34, v12, v16
	;; [unrolled: 2-line block ×4, first 2 shown]
.LBB11_37:
	s_or_b64 exec, exec, s[6:7]
	s_waitcnt vmcnt(0)
	v_fmac_f32_e32 v33, v11, v15
.LBB11_38:
	s_or_b64 exec, exec, s[4:5]
	s_waitcnt vmcnt(0)
	v_fmac_f32_e32 v32, v11, v14
.LBB11_39:
	s_or_b64 exec, exec, s[0:1]
	s_waitcnt vmcnt(0)
	v_fmac_f32_e32 v31, v11, v1
.LBB11_40:
	s_or_b64 exec, exec, s[2:3]
.LBB11_41:
	v_lshlrev_b32_e32 v0, 7, v30
	s_movk_i32 s0, 0x80
	v_add_lshl_u32 v0, v0, v29, 2
	v_cmp_gt_u32_e32 vcc, s0, v28
	ds_write2_b32 v0, v31, v32 offset1:32
	ds_write2_b32 v0, v33, v34 offset0:64 offset1:96
	s_waitcnt lgkmcnt(0)
	s_barrier
	s_waitcnt lgkmcnt(0)
                                        ; implicit-def: $vgpr1
                                        ; implicit-def: $vgpr2_vgpr3
	s_and_saveexec_b64 s[0:1], vcc
	s_cbranch_execz .LBB11_47
; %bb.42:
	s_waitcnt vmcnt(0)
	v_lshlrev_b32_e32 v10, 2, v28
	ds_read2st64_b32 v[0:1], v10 offset1:2
	ds_read2st64_b32 v[2:3], v10 offset0:4 offset1:6
	ds_read2st64_b32 v[4:5], v10 offset0:8 offset1:10
	;; [unrolled: 1-line block ×4, first 2 shown]
	s_waitcnt lgkmcnt(4)
	v_add_f32_e32 v0, v0, v1
	s_waitcnt lgkmcnt(3)
	v_add_f32_e32 v0, v2, v0
	v_add_f32_e32 v0, v3, v0
	s_waitcnt lgkmcnt(2)
	v_add_f32_e32 v0, v4, v0
	;; [unrolled: 3-line block ×3, first 2 shown]
	v_add_f32_e32 v2, v7, v0
	ds_read2st64_b32 v[0:1], v10 offset0:20 offset1:22
	s_waitcnt lgkmcnt(1)
	v_add_f32_e32 v4, v8, v2
	ds_read2st64_b32 v[2:3], v10 offset0:24 offset1:26
	v_add_f32_e32 v6, v9, v4
	ds_read2st64_b32 v[4:5], v10 offset0:28 offset1:30
	s_waitcnt lgkmcnt(2)
	v_add_f32_e32 v0, v0, v6
	v_add_f32_e32 v0, v1, v0
	s_waitcnt lgkmcnt(1)
	v_add_f32_e32 v0, v2, v0
	v_add_f32_e32 v0, v3, v0
	;; [unrolled: 3-line block ×3, first 2 shown]
	v_or_b32_e32 v0, s46, v28
	v_cmp_gt_i32_e32 vcc, s14, v0
	s_mov_b64 s[4:5], s[16:17]
	ds_write_b32 v10, v4
                                        ; implicit-def: $vgpr1
                                        ; implicit-def: $vgpr2_vgpr3
	s_and_saveexec_b64 s[2:3], vcc
	s_cbranch_execz .LBB11_46
; %bb.43:
	v_ashrrev_i32_e32 v2, 31, v0
	v_cmp_eq_f32_e64 s[4:5], s33, 0
	v_mul_f32_e32 v1, s52, v4
	v_mul_lo_u32 v4, v0, s21
	v_mul_lo_u32 v5, v2, s20
	v_mad_u64_u32 v[2:3], s[6:7], v0, s20, 0
	v_add3_u32 v3, v3, v4, v5
	s_and_b64 vcc, exec, s[4:5]
	s_cbranch_vccnz .LBB11_45
; %bb.44:
	v_lshl_add_u64 v[4:5], v[2:3], 2, s[12:13]
	global_load_dword v0, v[4:5], off
	s_waitcnt vmcnt(0)
	v_fmac_f32_e32 v1, s33, v0
.LBB11_45:
	s_or_b64 s[4:5], s[16:17], exec
.LBB11_46:
	s_or_b64 exec, exec, s[2:3]
	s_andn2_b64 s[2:3], s[16:17], exec
	s_and_b64 s[4:5], s[4:5], exec
	s_or_b64 s[16:17], s[2:3], s[4:5]
.LBB11_47:
	s_or_b64 exec, exec, s[0:1]
.LBB11_48:
	s_and_saveexec_b64 s[0:1], s[16:17]
	s_cbranch_execz .LBB11_50
; %bb.49:
	v_lshl_add_u64 v[2:3], v[2:3], 2, s[12:13]
	global_store_dword v[2:3], v1, off
.LBB11_50:
	s_endpgm
	.section	.rodata,"a",@progbits
	.p2align	6, 0x0
	.amdhsa_kernel _ZL20rocblas_gemvn_kernelILi32ELi16ElfPKffEviiT3_lPKT2_lT1_lS5_lS6_lS2_lPT4_lS6_li
		.amdhsa_group_segment_fixed_size 8192
		.amdhsa_private_segment_fixed_size 0
		.amdhsa_kernarg_size 400
		.amdhsa_user_sgpr_count 2
		.amdhsa_user_sgpr_dispatch_ptr 0
		.amdhsa_user_sgpr_queue_ptr 0
		.amdhsa_user_sgpr_kernarg_segment_ptr 1
		.amdhsa_user_sgpr_dispatch_id 0
		.amdhsa_user_sgpr_kernarg_preload_length 0
		.amdhsa_user_sgpr_kernarg_preload_offset 0
		.amdhsa_user_sgpr_private_segment_size 0
		.amdhsa_uses_dynamic_stack 0
		.amdhsa_enable_private_segment 0
		.amdhsa_system_sgpr_workgroup_id_x 1
		.amdhsa_system_sgpr_workgroup_id_y 0
		.amdhsa_system_sgpr_workgroup_id_z 1
		.amdhsa_system_sgpr_workgroup_info 0
		.amdhsa_system_vgpr_workitem_id 1
		.amdhsa_next_free_vgpr 51
		.amdhsa_next_free_sgpr 53
		.amdhsa_accum_offset 52
		.amdhsa_reserve_vcc 1
		.amdhsa_float_round_mode_32 0
		.amdhsa_float_round_mode_16_64 0
		.amdhsa_float_denorm_mode_32 3
		.amdhsa_float_denorm_mode_16_64 3
		.amdhsa_dx10_clamp 1
		.amdhsa_ieee_mode 1
		.amdhsa_fp16_overflow 0
		.amdhsa_tg_split 0
		.amdhsa_exception_fp_ieee_invalid_op 0
		.amdhsa_exception_fp_denorm_src 0
		.amdhsa_exception_fp_ieee_div_zero 0
		.amdhsa_exception_fp_ieee_overflow 0
		.amdhsa_exception_fp_ieee_underflow 0
		.amdhsa_exception_fp_ieee_inexact 0
		.amdhsa_exception_int_div_zero 0
	.end_amdhsa_kernel
	.section	.text._ZL20rocblas_gemvn_kernelILi32ELi16ElfPKffEviiT3_lPKT2_lT1_lS5_lS6_lS2_lPT4_lS6_li,"axG",@progbits,_ZL20rocblas_gemvn_kernelILi32ELi16ElfPKffEviiT3_lPKT2_lT1_lS5_lS6_lS2_lPT4_lS6_li,comdat
.Lfunc_end11:
	.size	_ZL20rocblas_gemvn_kernelILi32ELi16ElfPKffEviiT3_lPKT2_lT1_lS5_lS6_lS2_lPT4_lS6_li, .Lfunc_end11-_ZL20rocblas_gemvn_kernelILi32ELi16ElfPKffEviiT3_lPKT2_lT1_lS5_lS6_lS2_lPT4_lS6_li
                                        ; -- End function
	.section	.AMDGPU.csdata,"",@progbits
; Kernel info:
; codeLenInByte = 2720
; NumSgprs: 59
; NumVgprs: 51
; NumAgprs: 0
; TotalNumVgprs: 51
; ScratchSize: 0
; MemoryBound: 0
; FloatMode: 240
; IeeeMode: 1
; LDSByteSize: 8192 bytes/workgroup (compile time only)
; SGPRBlocks: 7
; VGPRBlocks: 6
; NumSGPRsForWavesPerEU: 59
; NumVGPRsForWavesPerEU: 51
; AccumOffset: 52
; Occupancy: 8
; WaveLimiterHint : 0
; COMPUTE_PGM_RSRC2:SCRATCH_EN: 0
; COMPUTE_PGM_RSRC2:USER_SGPR: 2
; COMPUTE_PGM_RSRC2:TRAP_HANDLER: 0
; COMPUTE_PGM_RSRC2:TGID_X_EN: 1
; COMPUTE_PGM_RSRC2:TGID_Y_EN: 0
; COMPUTE_PGM_RSRC2:TGID_Z_EN: 1
; COMPUTE_PGM_RSRC2:TIDIG_COMP_CNT: 1
; COMPUTE_PGM_RSRC3_GFX90A:ACCUM_OFFSET: 12
; COMPUTE_PGM_RSRC3_GFX90A:TG_SPLIT: 0
	.section	.text._ZL20rocblas_gemvn_kernelILi32ELi16EifffEviiT3_lPKT2_lT1_lS3_lS4_lS0_lPT4_lS4_li,"axG",@progbits,_ZL20rocblas_gemvn_kernelILi32ELi16EifffEviiT3_lPKT2_lT1_lS3_lS4_lS0_lPT4_lS4_li,comdat
	.globl	_ZL20rocblas_gemvn_kernelILi32ELi16EifffEviiT3_lPKT2_lT1_lS3_lS4_lS0_lPT4_lS4_li ; -- Begin function _ZL20rocblas_gemvn_kernelILi32ELi16EifffEviiT3_lPKT2_lT1_lS3_lS4_lS0_lPT4_lS4_li
	.p2align	8
	.type	_ZL20rocblas_gemvn_kernelILi32ELi16EifffEviiT3_lPKT2_lT1_lS3_lS4_lS0_lPT4_lS4_li,@function
_ZL20rocblas_gemvn_kernelILi32ELi16EifffEviiT3_lPKT2_lT1_lS3_lS4_lS0_lPT4_lS4_li: ; @_ZL20rocblas_gemvn_kernelILi32ELi16EifffEviiT3_lPKT2_lT1_lS3_lS4_lS0_lPT4_lS4_li
; %bb.0:
	s_load_dwordx2 s[4:5], s[0:1], 0x9c
	s_waitcnt lgkmcnt(0)
	s_lshr_b32 s6, s4, 16
	s_and_b32 s4, s4, 0xffff
	s_and_b32 s5, s5, 0xffff
	s_mul_i32 s4, s6, s4
	s_mul_i32 s4, s4, s5
	s_cmpk_lg_i32 s4, 0x200
	s_cbranch_scc1 .LBB12_50
; %bb.1:
	s_load_dwordx4 s[8:11], s[0:1], 0x0
	s_waitcnt lgkmcnt(0)
	s_load_dword s11, s[0:1], 0x58
	v_cmp_eq_f32_e64 s[4:5], s10, 0
	s_waitcnt lgkmcnt(0)
	v_cmp_eq_f32_e64 s[6:7], s11, 1.0
	s_and_b64 s[4:5], s[4:5], s[6:7]
	s_and_b64 vcc, exec, s[4:5]
	s_cbranch_vccnz .LBB12_50
; %bb.2:
	s_load_dwordx2 s[12:13], s[0:1], 0x80
	s_load_dwordx4 s[4:7], s[0:1], 0x68
	s_load_dword s30, s[0:1], 0x78
	v_and_b32_e32 v2, 0x3ff, v0
	v_bfe_u32 v14, v0, 10, 10
	s_waitcnt lgkmcnt(0)
	s_mul_i32 s13, s3, s13
	s_mul_hi_u32 s14, s3, s12
	s_mul_i32 s12, s3, s12
	s_add_i32 s13, s14, s13
	s_lshl_b64 s[12:13], s[12:13], 2
	s_add_u32 s12, s4, s12
	s_addc_u32 s13, s5, s13
	s_lshl_b64 s[4:5], s[6:7], 2
	s_add_u32 s12, s12, s4
	s_addc_u32 s13, s13, s5
	v_cmp_neq_f32_e64 s[4:5], s10, 0
	v_lshl_add_u32 v3, v14, 5, v2
	s_and_b64 vcc, exec, s[4:5]
	s_cbranch_vccnz .LBB12_9
; %bb.3:
	s_movk_i32 s4, 0x80
	v_cmp_gt_u32_e32 vcc, s4, v3
	s_mov_b64 s[4:5], 0
	s_mov_b64 s[14:15], 0
                                        ; implicit-def: $vgpr1
                                        ; implicit-def: $vgpr4_vgpr5
	s_and_saveexec_b64 s[6:7], vcc
	s_cbranch_execz .LBB12_10
; %bb.4:
	v_lshl_or_b32 v0, s2, 7, v3
	v_mov_b32_e32 v1, 0
	s_ashr_i32 s15, s8, 31
	s_mov_b32 s14, s8
	v_cmp_gt_i64_e32 vcc, s[14:15], v[0:1]
	s_mov_b64 s[16:17], 0
                                        ; implicit-def: $vgpr4_vgpr5
	s_and_saveexec_b64 s[14:15], vcc
	s_cbranch_execz .LBB12_8
; %bb.5:
	v_mad_u64_u32 v[4:5], s[18:19], s30, v0, 0
	s_ashr_i32 s20, s30, 31
	v_mov_b32_e32 v6, v5
	v_cmp_eq_f32_e64 s[16:17], s11, 0
	v_mad_u64_u32 v[6:7], s[18:19], s20, v0, v[6:7]
	v_mov_b32_e32 v5, v6
	s_and_b64 vcc, exec, s[16:17]
	s_cbranch_vccnz .LBB12_7
; %bb.6:
	v_lshl_add_u64 v[0:1], v[4:5], 2, s[12:13]
	global_load_dword v0, v[0:1], off
	s_waitcnt vmcnt(0)
	v_mul_f32_e32 v1, s11, v0
.LBB12_7:
	s_mov_b64 s[16:17], exec
.LBB12_8:
	s_or_b64 exec, exec, s[14:15]
	s_and_b64 s[14:15], s[16:17], exec
	s_or_b64 exec, exec, s[6:7]
	s_and_b64 vcc, exec, s[4:5]
	s_cbranch_vccnz .LBB12_11
	s_branch .LBB12_48
.LBB12_9:
	s_mov_b64 s[14:15], 0
                                        ; implicit-def: $vgpr1
                                        ; implicit-def: $vgpr4_vgpr5
	s_cbranch_execnz .LBB12_11
	s_branch .LBB12_48
.LBB12_10:
	s_or_b64 exec, exec, s[6:7]
	s_and_b64 vcc, exec, s[4:5]
	s_cbranch_vccz .LBB12_48
.LBB12_11:
	s_load_dwordx4 s[4:7], s[0:1], 0x30
	s_load_dwordx4 s[16:19], s[0:1], 0x18
	s_load_dword s33, s[0:1], 0x28
	s_load_dwordx2 s[20:21], s[0:1], 0x40
	s_load_dword s34, s[0:1], 0x48
	s_load_dwordx2 s[22:23], s[0:1], 0x50
	s_waitcnt lgkmcnt(0)
	s_mul_i32 s0, s3, s5
	s_mul_hi_u32 s1, s3, s4
	s_add_i32 s1, s1, s0
	s_mul_i32 s0, s3, s4
	s_lshl_b64 s[0:1], s[0:1], 2
	s_add_u32 s4, s16, s0
	s_addc_u32 s5, s17, s1
	s_lshl_b64 s[0:1], s[18:19], 2
	s_add_u32 s16, s4, s0
	s_addc_u32 s17, s5, s1
	s_mul_i32 s0, s3, s23
	s_mul_hi_u32 s1, s3, s22
	s_add_i32 s1, s1, s0
	s_mul_i32 s0, s3, s22
	s_lshl_b64 s[0:1], s[0:1], 2
	s_add_u32 s3, s6, s0
	s_addc_u32 s4, s7, s1
	s_lshl_b64 s[0:1], s[20:21], 2
	s_add_u32 s18, s3, s0
	s_addc_u32 s19, s4, s1
	s_ashr_i32 s0, s9, 31
	s_lshr_b32 s0, s0, 26
	s_add_i32 s35, s9, s0
	s_lshl_b32 s31, s2, 7
	s_andn2_b32 s35, s35, 63
	v_lshlrev_b32_e32 v20, 2, v14
	v_add_u32_e32 v19, s31, v2
	v_cmp_gt_i32_e32 vcc, s35, v20
	v_mov_b32_e32 v15, 0
	v_mov_b32_e32 v16, 0
	;; [unrolled: 1-line block ×4, first 2 shown]
	s_and_saveexec_b64 s[20:21], vcc
	s_cbranch_execz .LBB12_23
; %bb.12:
	v_add_u32_e32 v0, 32, v19
	v_cmp_gt_i32_e64 s[0:1], s8, v0
	v_add_u32_e32 v0, 64, v19
	v_cmp_gt_i32_e64 s[2:3], s8, v0
	;; [unrolled: 2-line block ×3, first 2 shown]
	v_mul_lo_u32 v0, s33, v20
	v_add_u32_e32 v6, 2, v20
	v_add_u32_e32 v7, 3, v20
	v_add3_u32 v21, v0, s33, v2
	v_mad_u64_u32 v[0:1], s[6:7], s33, v6, v[2:3]
	v_mad_u64_u32 v[4:5], s[6:7], s33, v7, v[2:3]
	v_mul_lo_u32 v1, v14, s33
	v_mul_lo_u32 v5, s34, v20
	;; [unrolled: 1-line block ×4, first 2 shown]
	v_cmp_gt_i32_e32 vcc, s8, v19
	s_lshl_b32 s36, s33, 6
	v_lshl_add_u32 v1, v1, 2, v2
	v_add_u32_e32 v5, s34, v5
	s_lshl_b32 s37, s34, 6
	v_mul_lo_u32 v23, s34, v7
	v_lshlrev_b32_e32 v24, 2, v6
	s_mov_b32 s38, 0
	s_mov_b64 s[22:23], 0
	v_mov_b32_e32 v15, 0
	v_mov_b32_e32 v16, 0
	;; [unrolled: 1-line block ×4, first 2 shown]
	s_branch .LBB12_17
.LBB12_13:                              ;   in Loop: Header=BB12_17 Depth=1
	s_or_b64 exec, exec, s[28:29]
	s_waitcnt vmcnt(3)
	v_fmac_f32_e32 v17, v28, v40
	s_waitcnt vmcnt(2)
	v_fmac_f32_e32 v17, v27, v39
	;; [unrolled: 2-line block ×4, first 2 shown]
.LBB12_14:                              ;   in Loop: Header=BB12_17 Depth=1
	s_or_b64 exec, exec, s[26:27]
	s_waitcnt vmcnt(3)
	v_fmac_f32_e32 v16, v28, v36
	s_waitcnt vmcnt(2)
	v_fmac_f32_e32 v16, v27, v35
	;; [unrolled: 2-line block ×4, first 2 shown]
.LBB12_15:                              ;   in Loop: Header=BB12_17 Depth=1
	s_or_b64 exec, exec, s[24:25]
	s_waitcnt vmcnt(3)
	v_fmac_f32_e32 v15, v28, v32
	s_waitcnt vmcnt(2)
	v_fmac_f32_e32 v15, v27, v31
	;; [unrolled: 2-line block ×4, first 2 shown]
.LBB12_16:                              ;   in Loop: Header=BB12_17 Depth=1
	s_or_b64 exec, exec, s[6:7]
	v_add_u32_e32 v20, 64, v20
	s_add_i32 s38, s38, s37
	v_cmp_le_i32_e64 s[6:7], s35, v20
	v_add_u32_e32 v21, s36, v21
	v_add_u32_e32 v0, s36, v0
	;; [unrolled: 1-line block ×3, first 2 shown]
	s_or_b64 s[22:23], s[6:7], s[22:23]
	v_add_u32_e32 v1, s36, v1
	s_andn2_b64 exec, exec, s[22:23]
	s_cbranch_execz .LBB12_22
.LBB12_17:                              ; =>This Inner Loop Header: Depth=1
	s_and_saveexec_b64 s[6:7], vcc
	s_cbranch_execz .LBB12_16
; %bb.18:                               ;   in Loop: Header=BB12_17 Depth=1
	v_add_u32_e32 v6, s38, v24
	v_ashrrev_i32_e32 v7, 31, v6
	v_add_u32_e32 v8, s38, v5
	v_add_u32_e32 v10, s38, v22
	v_add_u32_e32 v12, s38, v23
	v_lshl_add_u64 v[6:7], v[6:7], 2, s[18:19]
	v_ashrrev_i32_e32 v9, 31, v8
	v_ashrrev_i32_e32 v11, 31, v10
	;; [unrolled: 1-line block ×3, first 2 shown]
	v_lshl_add_u64 v[8:9], v[8:9], 2, s[18:19]
	v_lshl_add_u64 v[10:11], v[10:11], 2, s[18:19]
	;; [unrolled: 1-line block ×3, first 2 shown]
	global_load_dword v28, v[6:7], off
	global_load_dword v27, v[8:9], off
	;; [unrolled: 1-line block ×4, first 2 shown]
	v_add_u32_e32 v6, s31, v1
	v_ashrrev_i32_e32 v7, 31, v6
	v_add_u32_e32 v8, s31, v21
	v_add_u32_e32 v10, s31, v0
	v_add_u32_e32 v12, s31, v4
	v_lshl_add_u64 v[6:7], v[6:7], 2, s[16:17]
	v_ashrrev_i32_e32 v9, 31, v8
	v_ashrrev_i32_e32 v11, 31, v10
	;; [unrolled: 1-line block ×3, first 2 shown]
	v_lshl_add_u64 v[8:9], v[8:9], 2, s[16:17]
	v_lshl_add_u64 v[10:11], v[10:11], 2, s[16:17]
	;; [unrolled: 1-line block ×3, first 2 shown]
	global_load_dword v32, v[6:7], off
	global_load_dword v31, v[8:9], off
	;; [unrolled: 1-line block ×4, first 2 shown]
	s_and_saveexec_b64 s[24:25], s[0:1]
	s_cbranch_execz .LBB12_15
; %bb.19:                               ;   in Loop: Header=BB12_17 Depth=1
	global_load_dword v36, v[6:7], off offset:128
	global_load_dword v35, v[8:9], off offset:128
	global_load_dword v34, v[10:11], off offset:128
	global_load_dword v33, v[12:13], off offset:128
	s_and_saveexec_b64 s[26:27], s[2:3]
	s_cbranch_execz .LBB12_14
; %bb.20:                               ;   in Loop: Header=BB12_17 Depth=1
	global_load_dword v40, v[6:7], off offset:256
	global_load_dword v39, v[8:9], off offset:256
	global_load_dword v38, v[10:11], off offset:256
	global_load_dword v37, v[12:13], off offset:256
	;; [unrolled: 7-line block ×3, first 2 shown]
	s_waitcnt vmcnt(3)
	v_fmac_f32_e32 v18, v28, v41
	s_waitcnt vmcnt(2)
	v_fmac_f32_e32 v18, v27, v42
	s_waitcnt vmcnt(1)
	v_fmac_f32_e32 v18, v26, v43
	s_waitcnt vmcnt(0)
	v_fmac_f32_e32 v18, v25, v44
	s_branch .LBB12_13
.LBB12_22:
	s_or_b64 exec, exec, s[22:23]
.LBB12_23:
	s_or_b64 exec, exec, s[20:21]
	s_sub_i32 s0, s9, s35
	s_cmp_lt_i32 s0, 1
	s_cbranch_scc1 .LBB12_41
; %bb.24:
	v_cmp_gt_i32_e32 vcc, s9, v20
	v_mov_b32_e32 v10, 0
	v_or_b32_e32 v4, 1, v20
	v_mov_b32_e32 v13, 0
	v_mov_b32_e32 v12, 0
	;; [unrolled: 1-line block ×3, first 2 shown]
	s_and_saveexec_b64 s[2:3], vcc
	s_cbranch_execz .LBB12_32
; %bb.25:
	v_mul_lo_u32 v0, v20, s34
	v_ashrrev_i32_e32 v1, 31, v0
	v_lshl_add_u64 v[0:1], v[0:1], 2, s[18:19]
	global_load_dword v11, v[0:1], off
	v_cmp_gt_i32_e64 s[0:1], s9, v4
	v_mov_b32_e32 v12, 0
	v_mov_b32_e32 v13, 0
	v_mov_b32_e32 v10, 0
	s_and_saveexec_b64 s[4:5], s[0:1]
	s_cbranch_execz .LBB12_31
; %bb.26:
	v_mul_lo_u32 v0, v4, s34
	v_ashrrev_i32_e32 v1, 31, v0
	v_lshl_add_u64 v[0:1], v[0:1], 2, s[18:19]
	global_load_dword v12, v[0:1], off
	v_or_b32_e32 v0, 2, v20
	v_cmp_gt_i32_e64 s[0:1], s9, v0
	v_mov_b32_e32 v13, 0
	v_mov_b32_e32 v10, 0
	s_and_saveexec_b64 s[6:7], s[0:1]
	s_cbranch_execz .LBB12_30
; %bb.27:
	v_mul_lo_u32 v0, v0, s34
	v_ashrrev_i32_e32 v1, 31, v0
	v_lshl_add_u64 v[0:1], v[0:1], 2, s[18:19]
	global_load_dword v13, v[0:1], off
	v_or_b32_e32 v0, 3, v20
	v_cmp_gt_i32_e64 s[0:1], s9, v0
	v_mov_b32_e32 v10, 0
	s_and_saveexec_b64 s[20:21], s[0:1]
	s_cbranch_execz .LBB12_29
; %bb.28:
	v_mul_lo_u32 v0, v0, s34
	v_ashrrev_i32_e32 v1, 31, v0
	v_lshl_add_u64 v[0:1], v[0:1], 2, s[18:19]
	global_load_dword v10, v[0:1], off
.LBB12_29:
	s_or_b64 exec, exec, s[20:21]
.LBB12_30:
	s_or_b64 exec, exec, s[6:7]
.LBB12_31:
	s_or_b64 exec, exec, s[4:5]
.LBB12_32:
	s_or_b64 exec, exec, s[2:3]
	v_cmp_gt_i32_e64 s[0:1], s8, v19
	s_and_saveexec_b64 s[2:3], s[0:1]
	s_cbranch_execz .LBB12_40
; %bb.33:
	v_mul_lo_u32 v0, v20, s33
	v_cndmask_b32_e32 v0, 0, v0, vcc
	v_mul_lo_u32 v5, v4, s33
	v_cmp_gt_i32_e32 vcc, s9, v4
	v_or_b32_e32 v6, 2, v20
	v_mul_lo_u32 v7, v6, s33
	v_cndmask_b32_e32 v4, 0, v5, vcc
	v_cmp_gt_i32_e32 vcc, s9, v6
	v_or_b32_e32 v8, 3, v20
	v_mul_lo_u32 v9, v8, s33
	v_cndmask_b32_e32 v6, 0, v7, vcc
	v_cmp_gt_i32_e32 vcc, s9, v8
	v_add_u32_e32 v0, v0, v19
	v_ashrrev_i32_e32 v1, 31, v0
	v_cndmask_b32_e32 v8, 0, v9, vcc
	v_add_u32_e32 v4, v4, v19
	v_add_u32_e32 v6, v6, v19
	;; [unrolled: 1-line block ×3, first 2 shown]
	v_lshl_add_u64 v[0:1], v[0:1], 2, s[16:17]
	v_ashrrev_i32_e32 v5, 31, v4
	v_ashrrev_i32_e32 v7, 31, v6
	;; [unrolled: 1-line block ×3, first 2 shown]
	v_lshl_add_u64 v[4:5], v[4:5], 2, s[16:17]
	v_lshl_add_u64 v[6:7], v[6:7], 2, s[16:17]
	global_load_dword v21, v[0:1], off
	global_load_dword v22, v[4:5], off
	;; [unrolled: 1-line block ×3, first 2 shown]
	v_lshl_add_u64 v[8:9], v[8:9], 2, s[16:17]
	global_load_dword v20, v[8:9], off
	v_add_u32_e32 v24, 32, v19
	v_cmp_gt_i32_e32 vcc, s8, v24
	s_waitcnt vmcnt(3)
	v_fmac_f32_e32 v15, v11, v21
	s_waitcnt vmcnt(2)
	v_fmac_f32_e32 v15, v12, v22
	s_waitcnt vmcnt(1)
	v_fmac_f32_e32 v15, v13, v23
	s_and_saveexec_b64 s[0:1], vcc
	s_cbranch_execz .LBB12_39
; %bb.34:
	global_load_dword v22, v[0:1], off offset:128
	global_load_dword v23, v[4:5], off offset:128
	global_load_dword v24, v[6:7], off offset:128
	global_load_dword v21, v[8:9], off offset:128
	v_add_u32_e32 v25, 64, v19
	v_cmp_gt_i32_e32 vcc, s8, v25
	s_waitcnt vmcnt(3)
	v_fmac_f32_e32 v16, v11, v22
	s_waitcnt vmcnt(2)
	v_fmac_f32_e32 v16, v12, v23
	s_waitcnt vmcnt(1)
	v_fmac_f32_e32 v16, v13, v24
	s_and_saveexec_b64 s[4:5], vcc
	s_cbranch_execz .LBB12_38
; %bb.35:
	global_load_dword v23, v[0:1], off offset:256
	global_load_dword v24, v[4:5], off offset:256
	global_load_dword v25, v[6:7], off offset:256
	global_load_dword v22, v[8:9], off offset:256
	v_add_u32_e32 v19, 0x60, v19
	v_cmp_gt_i32_e32 vcc, s8, v19
	s_waitcnt vmcnt(3)
	v_fmac_f32_e32 v17, v11, v23
	s_waitcnt vmcnt(2)
	v_fmac_f32_e32 v17, v12, v24
	s_waitcnt vmcnt(1)
	v_fmac_f32_e32 v17, v13, v25
	s_and_saveexec_b64 s[6:7], vcc
	s_cbranch_execz .LBB12_37
; %bb.36:
	global_load_dword v19, v[0:1], off offset:384
	global_load_dword v23, v[4:5], off offset:384
	global_load_dword v24, v[6:7], off offset:384
	global_load_dword v25, v[8:9], off offset:384
	s_waitcnt vmcnt(3)
	v_fmac_f32_e32 v18, v11, v19
	s_waitcnt vmcnt(2)
	v_fmac_f32_e32 v18, v12, v23
	;; [unrolled: 2-line block ×4, first 2 shown]
.LBB12_37:
	s_or_b64 exec, exec, s[6:7]
	s_waitcnt vmcnt(0)
	v_fmac_f32_e32 v17, v10, v22
.LBB12_38:
	s_or_b64 exec, exec, s[4:5]
	s_waitcnt vmcnt(0)
	v_fmac_f32_e32 v16, v10, v21
.LBB12_39:
	s_or_b64 exec, exec, s[0:1]
	s_waitcnt vmcnt(0)
	v_fmac_f32_e32 v15, v10, v20
.LBB12_40:
	s_or_b64 exec, exec, s[2:3]
.LBB12_41:
	v_lshlrev_b32_e32 v0, 7, v14
	s_movk_i32 s0, 0x80
	v_add_lshl_u32 v0, v0, v2, 2
	v_cmp_gt_u32_e32 vcc, s0, v3
	ds_write2_b32 v0, v15, v16 offset1:32
	ds_write2_b32 v0, v17, v18 offset0:64 offset1:96
	s_waitcnt lgkmcnt(0)
	s_barrier
	s_waitcnt lgkmcnt(0)
                                        ; implicit-def: $vgpr1
                                        ; implicit-def: $vgpr4_vgpr5
	s_and_saveexec_b64 s[0:1], vcc
	s_cbranch_execz .LBB12_47
; %bb.42:
	v_lshlrev_b32_e32 v2, 2, v3
	ds_read2st64_b32 v[0:1], v2 offset1:2
	ds_read2st64_b32 v[4:5], v2 offset0:4 offset1:6
	ds_read2st64_b32 v[6:7], v2 offset0:8 offset1:10
	ds_read2st64_b32 v[8:9], v2 offset0:12 offset1:14
	s_waitcnt vmcnt(0)
	ds_read2st64_b32 v[10:11], v2 offset0:16 offset1:18
	s_waitcnt lgkmcnt(4)
	v_add_f32_e32 v0, v0, v1
	s_waitcnt lgkmcnt(3)
	v_add_f32_e32 v0, v4, v0
	v_add_f32_e32 v0, v5, v0
	s_waitcnt lgkmcnt(2)
	v_add_f32_e32 v0, v6, v0
	;; [unrolled: 3-line block ×3, first 2 shown]
	v_add_f32_e32 v4, v9, v0
	ds_read2st64_b32 v[0:1], v2 offset0:20 offset1:22
	s_waitcnt lgkmcnt(1)
	v_add_f32_e32 v6, v10, v4
	ds_read2st64_b32 v[4:5], v2 offset0:24 offset1:26
	v_add_f32_e32 v8, v11, v6
	ds_read2st64_b32 v[6:7], v2 offset0:28 offset1:30
	s_waitcnt lgkmcnt(2)
	v_add_f32_e32 v0, v0, v8
	v_add_f32_e32 v0, v1, v0
	s_waitcnt lgkmcnt(1)
	v_add_f32_e32 v0, v4, v0
	v_add_f32_e32 v0, v5, v0
	;; [unrolled: 3-line block ×3, first 2 shown]
	ds_write_b32 v2, v0
	v_or_b32_e32 v2, s31, v3
	v_cmp_gt_i32_e32 vcc, s8, v2
	s_mov_b64 s[4:5], s[14:15]
                                        ; implicit-def: $vgpr1
                                        ; implicit-def: $vgpr4_vgpr5
	s_and_saveexec_b64 s[2:3], vcc
	s_cbranch_execz .LBB12_46
; %bb.43:
	v_cmp_eq_f32_e64 s[4:5], s11, 0
	v_mul_lo_u32 v4, v2, s30
	v_mul_f32_e32 v1, s10, v0
	v_ashrrev_i32_e32 v5, 31, v4
	s_and_b64 vcc, exec, s[4:5]
	s_cbranch_vccnz .LBB12_45
; %bb.44:
	v_lshl_add_u64 v[2:3], v[4:5], 2, s[12:13]
	global_load_dword v0, v[2:3], off
	s_waitcnt vmcnt(0)
	v_fmac_f32_e32 v1, s11, v0
.LBB12_45:
	s_or_b64 s[4:5], s[14:15], exec
.LBB12_46:
	s_or_b64 exec, exec, s[2:3]
	s_andn2_b64 s[2:3], s[14:15], exec
	s_and_b64 s[4:5], s[4:5], exec
	s_or_b64 s[14:15], s[2:3], s[4:5]
.LBB12_47:
	s_or_b64 exec, exec, s[0:1]
.LBB12_48:
	s_and_saveexec_b64 s[0:1], s[14:15]
	s_cbranch_execz .LBB12_50
; %bb.49:
	v_lshl_add_u64 v[2:3], v[4:5], 2, s[12:13]
	global_store_dword v[2:3], v1, off
.LBB12_50:
	s_endpgm
	.section	.rodata,"a",@progbits
	.p2align	6, 0x0
	.amdhsa_kernel _ZL20rocblas_gemvn_kernelILi32ELi16EifffEviiT3_lPKT2_lT1_lS3_lS4_lS0_lPT4_lS4_li
		.amdhsa_group_segment_fixed_size 8192
		.amdhsa_private_segment_fixed_size 0
		.amdhsa_kernarg_size 400
		.amdhsa_user_sgpr_count 2
		.amdhsa_user_sgpr_dispatch_ptr 0
		.amdhsa_user_sgpr_queue_ptr 0
		.amdhsa_user_sgpr_kernarg_segment_ptr 1
		.amdhsa_user_sgpr_dispatch_id 0
		.amdhsa_user_sgpr_kernarg_preload_length 0
		.amdhsa_user_sgpr_kernarg_preload_offset 0
		.amdhsa_user_sgpr_private_segment_size 0
		.amdhsa_uses_dynamic_stack 0
		.amdhsa_enable_private_segment 0
		.amdhsa_system_sgpr_workgroup_id_x 1
		.amdhsa_system_sgpr_workgroup_id_y 0
		.amdhsa_system_sgpr_workgroup_id_z 1
		.amdhsa_system_sgpr_workgroup_info 0
		.amdhsa_system_vgpr_workitem_id 1
		.amdhsa_next_free_vgpr 45
		.amdhsa_next_free_sgpr 39
		.amdhsa_accum_offset 48
		.amdhsa_reserve_vcc 1
		.amdhsa_float_round_mode_32 0
		.amdhsa_float_round_mode_16_64 0
		.amdhsa_float_denorm_mode_32 3
		.amdhsa_float_denorm_mode_16_64 3
		.amdhsa_dx10_clamp 1
		.amdhsa_ieee_mode 1
		.amdhsa_fp16_overflow 0
		.amdhsa_tg_split 0
		.amdhsa_exception_fp_ieee_invalid_op 0
		.amdhsa_exception_fp_denorm_src 0
		.amdhsa_exception_fp_ieee_div_zero 0
		.amdhsa_exception_fp_ieee_overflow 0
		.amdhsa_exception_fp_ieee_underflow 0
		.amdhsa_exception_fp_ieee_inexact 0
		.amdhsa_exception_int_div_zero 0
	.end_amdhsa_kernel
	.section	.text._ZL20rocblas_gemvn_kernelILi32ELi16EifffEviiT3_lPKT2_lT1_lS3_lS4_lS0_lPT4_lS4_li,"axG",@progbits,_ZL20rocblas_gemvn_kernelILi32ELi16EifffEviiT3_lPKT2_lT1_lS3_lS4_lS0_lPT4_lS4_li,comdat
.Lfunc_end12:
	.size	_ZL20rocblas_gemvn_kernelILi32ELi16EifffEviiT3_lPKT2_lT1_lS3_lS4_lS0_lPT4_lS4_li, .Lfunc_end12-_ZL20rocblas_gemvn_kernelILi32ELi16EifffEviiT3_lPKT2_lT1_lS3_lS4_lS0_lPT4_lS4_li
                                        ; -- End function
	.section	.AMDGPU.csdata,"",@progbits
; Kernel info:
; codeLenInByte = 2352
; NumSgprs: 45
; NumVgprs: 45
; NumAgprs: 0
; TotalNumVgprs: 45
; ScratchSize: 0
; MemoryBound: 0
; FloatMode: 240
; IeeeMode: 1
; LDSByteSize: 8192 bytes/workgroup (compile time only)
; SGPRBlocks: 5
; VGPRBlocks: 5
; NumSGPRsForWavesPerEU: 45
; NumVGPRsForWavesPerEU: 45
; AccumOffset: 48
; Occupancy: 8
; WaveLimiterHint : 1
; COMPUTE_PGM_RSRC2:SCRATCH_EN: 0
; COMPUTE_PGM_RSRC2:USER_SGPR: 2
; COMPUTE_PGM_RSRC2:TRAP_HANDLER: 0
; COMPUTE_PGM_RSRC2:TGID_X_EN: 1
; COMPUTE_PGM_RSRC2:TGID_Y_EN: 0
; COMPUTE_PGM_RSRC2:TGID_Z_EN: 1
; COMPUTE_PGM_RSRC2:TIDIG_COMP_CNT: 1
; COMPUTE_PGM_RSRC3_GFX90A:ACCUM_OFFSET: 11
; COMPUTE_PGM_RSRC3_GFX90A:TG_SPLIT: 0
	.section	.text._ZL20rocblas_gemvn_kernelILi32ELi16ElfffEviiT3_lPKT2_lT1_lS3_lS4_lS0_lPT4_lS4_li,"axG",@progbits,_ZL20rocblas_gemvn_kernelILi32ELi16ElfffEviiT3_lPKT2_lT1_lS3_lS4_lS0_lPT4_lS4_li,comdat
	.globl	_ZL20rocblas_gemvn_kernelILi32ELi16ElfffEviiT3_lPKT2_lT1_lS3_lS4_lS0_lPT4_lS4_li ; -- Begin function _ZL20rocblas_gemvn_kernelILi32ELi16ElfffEviiT3_lPKT2_lT1_lS3_lS4_lS0_lPT4_lS4_li
	.p2align	8
	.type	_ZL20rocblas_gemvn_kernelILi32ELi16ElfffEviiT3_lPKT2_lT1_lS3_lS4_lS0_lPT4_lS4_li,@function
_ZL20rocblas_gemvn_kernelILi32ELi16ElfffEviiT3_lPKT2_lT1_lS3_lS4_lS0_lPT4_lS4_li: ; @_ZL20rocblas_gemvn_kernelILi32ELi16ElfffEviiT3_lPKT2_lT1_lS3_lS4_lS0_lPT4_lS4_li
; %bb.0:
	s_load_dwordx2 s[4:5], s[0:1], 0x9c
	s_waitcnt lgkmcnt(0)
	s_lshr_b32 s6, s4, 16
	s_and_b32 s4, s4, 0xffff
	s_and_b32 s5, s5, 0xffff
	s_mul_i32 s4, s6, s4
	s_mul_i32 s4, s4, s5
	s_cmpk_lg_i32 s4, 0x200
	s_cbranch_scc1 .LBB13_50
; %bb.1:
	s_load_dwordx4 s[28:31], s[0:1], 0x0
	s_waitcnt lgkmcnt(0)
	s_load_dword s31, s[0:1], 0x58
	v_cmp_eq_f32_e64 s[4:5], s30, 0
	s_waitcnt lgkmcnt(0)
	v_cmp_eq_f32_e64 s[6:7], s31, 1.0
	s_and_b64 s[4:5], s[4:5], s[6:7]
	s_and_b64 vcc, exec, s[4:5]
	s_cbranch_vccnz .LBB13_50
; %bb.2:
	s_load_dwordx8 s[20:27], s[0:1], 0x68
	v_and_b32_e32 v29, 0x3ff, v0
	v_bfe_u32 v30, v0, 10, 10
	v_lshl_add_u32 v28, v30, 5, v29
	s_waitcnt lgkmcnt(0)
	s_mul_i32 s5, s3, s27
	s_mul_hi_u32 s6, s3, s26
	s_mul_i32 s4, s3, s26
	s_add_i32 s5, s6, s5
	s_lshl_b64 s[4:5], s[4:5], 2
	s_add_u32 s6, s20, s4
	s_addc_u32 s7, s21, s5
	s_lshl_b64 s[4:5], s[22:23], 2
	s_add_u32 s26, s6, s4
	s_addc_u32 s27, s7, s5
	v_cmp_neq_f32_e64 s[4:5], s30, 0
	s_and_b64 vcc, exec, s[4:5]
	s_cbranch_vccnz .LBB13_9
; %bb.3:
	s_movk_i32 s4, 0x80
	v_cmp_gt_u32_e32 vcc, s4, v28
	s_mov_b64 s[4:5], 0
	s_mov_b64 s[34:35], 0
                                        ; implicit-def: $vgpr1
                                        ; implicit-def: $vgpr2_vgpr3
	s_and_saveexec_b64 s[6:7], vcc
	s_cbranch_execz .LBB13_10
; %bb.4:
	v_lshl_or_b32 v0, s2, 7, v28
	v_mov_b32_e32 v1, 0
	s_ashr_i32 s9, s28, 31
	s_mov_b32 s8, s28
	v_cmp_gt_i64_e32 vcc, s[8:9], v[0:1]
	s_mov_b64 s[10:11], 0
                                        ; implicit-def: $vgpr2_vgpr3
	s_and_saveexec_b64 s[8:9], vcc
	s_cbranch_execz .LBB13_8
; %bb.5:
	v_mad_u64_u32 v[2:3], s[12:13], v0, s24, 0
	v_mov_b32_e32 v4, v3
	v_cmp_eq_f32_e64 s[10:11], s31, 0
	v_mad_u64_u32 v[4:5], s[12:13], v0, s25, v[4:5]
	v_mov_b32_e32 v3, v4
	s_and_b64 vcc, exec, s[10:11]
	s_cbranch_vccnz .LBB13_7
; %bb.6:
	v_lshl_add_u64 v[0:1], v[2:3], 2, s[26:27]
	global_load_dword v0, v[0:1], off
	s_waitcnt vmcnt(0)
	v_mul_f32_e32 v1, s31, v0
.LBB13_7:
	s_mov_b64 s[10:11], exec
.LBB13_8:
	s_or_b64 exec, exec, s[8:9]
	s_and_b64 s[34:35], s[10:11], exec
	s_or_b64 exec, exec, s[6:7]
	s_and_b64 vcc, exec, s[4:5]
	s_cbranch_vccnz .LBB13_11
	s_branch .LBB13_48
.LBB13_9:
	s_mov_b64 s[34:35], 0
                                        ; implicit-def: $vgpr1
                                        ; implicit-def: $vgpr2_vgpr3
	s_cbranch_execnz .LBB13_11
	s_branch .LBB13_48
.LBB13_10:
	s_or_b64 exec, exec, s[6:7]
	s_and_b64 vcc, exec, s[4:5]
	s_cbranch_vccz .LBB13_48
.LBB13_11:
	s_load_dwordx16 s[8:23], s[0:1], 0x18
	s_lshl_b32 s33, s2, 7
	v_lshlrev_b32_e32 v35, 2, v30
	v_add_u32_e32 v0, s33, v29
	v_mov_b32_e32 v31, 0
	s_waitcnt lgkmcnt(0)
	s_mul_i32 s0, s3, s15
	s_mul_hi_u32 s1, s3, s14
	s_add_i32 s15, s1, s0
	s_ashr_i32 s0, s29, 31
	s_lshr_b32 s0, s0, 26
	s_add_i32 s52, s29, s0
	s_mul_i32 s4, s3, s23
	s_mul_hi_u32 s5, s3, s22
	s_andn2_b32 s52, s52, 63
	s_mul_i32 s14, s3, s14
	s_add_i32 s23, s5, s4
	s_mul_i32 s22, s3, s22
	v_cmp_gt_i32_e32 vcc, s52, v35
	v_mov_b32_e32 v32, 0
	v_mov_b32_e32 v33, 0
	;; [unrolled: 1-line block ×3, first 2 shown]
	s_and_saveexec_b64 s[36:37], vcc
	s_cbranch_execz .LBB13_23
; %bb.12:
	v_add_u32_e32 v2, 32, v0
	v_cmp_gt_i32_e64 s[0:1], s28, v2
	v_add_u32_e32 v2, 64, v0
	v_cmp_gt_i32_e64 s[2:3], s28, v2
	;; [unrolled: 2-line block ×3, first 2 shown]
	v_mad_u64_u32 v[2:3], s[6:7], s20, v30, 0
	v_mov_b32_e32 v4, v3
	v_ashrrev_i32_e32 v1, 31, v0
	v_mad_u64_u32 v[4:5], s[6:7], s21, v30, v[4:5]
	v_mov_b32_e32 v3, v4
	v_lshlrev_b64 v[4:5], 2, v[0:1]
	v_lshlrev_b32_e32 v1, 2, v30
	v_or_b32_e32 v11, 3, v1
	v_mad_u64_u32 v[6:7], s[42:43], s12, v11, 0
	v_mov_b32_e32 v8, v7
	v_mad_u64_u32 v[8:9], s[42:43], s13, v11, v[8:9]
	v_mov_b32_e32 v7, v8
	v_mad_u64_u32 v[8:9], s[46:47], s20, v11, 0
	v_mov_b32_e32 v10, v9
	v_mad_u64_u32 v[10:11], s[46:47], s21, v11, v[10:11]
	v_mov_b32_e32 v9, v10
	v_mad_u64_u32 v[10:11], s[46:47], s12, v30, 0
	v_mov_b32_e32 v12, v11
	v_mad_u64_u32 v[12:13], s[46:47], s13, v30, v[12:13]
	v_or_b32_e32 v17, 2, v1
	v_mov_b32_e32 v11, v12
	v_mad_u64_u32 v[12:13], s[46:47], s12, v17, 0
	v_mov_b32_e32 v14, v13
	v_mad_u64_u32 v[14:15], s[46:47], s13, v17, v[14:15]
	;; [unrolled: 2-line block ×4, first 2 shown]
	v_mov_b32_e32 v15, v16
	v_mov_b64_e32 v[16:17], s[20:21]
	v_mad_u64_u32 v[16:17], s[46:47], s20, v1, v[16:17]
	s_lshl_b64 s[38:39], s[18:19], 2
	s_lshl_b64 s[6:7], s[22:23], 2
	v_mov_b32_e32 v18, v17
	s_add_u32 s6, s16, s6
	v_mad_u64_u32 v[18:19], s[46:47], s21, v1, v[18:19]
	s_addc_u32 s7, s17, s7
	s_lshl_b64 s[40:41], s[20:21], 8
	s_lshl_b64 s[42:43], s[14:15], 2
	;; [unrolled: 1-line block ×3, first 2 shown]
	v_mov_b32_e32 v17, v18
	v_mov_b64_e32 v[18:19], s[12:13]
	v_lshl_add_u64 v[2:3], v[2:3], 4, s[6:7]
	s_add_u32 s44, s8, s44
	v_lshl_add_u64 v[8:9], v[8:9], 2, s[6:7]
	v_lshl_add_u64 v[14:15], v[14:15], 2, s[6:7]
	;; [unrolled: 1-line block ×3, first 2 shown]
	v_mad_u64_u32 v[18:19], s[6:7], s12, v1, v[18:19]
	s_addc_u32 s45, s9, s45
	v_mov_b32_e32 v20, v19
	s_add_u32 s44, s44, s42
	v_mad_u64_u32 v[20:21], s[6:7], s13, v1, v[20:21]
	s_addc_u32 s45, s45, s43
	v_mov_b32_e32 v19, v20
	v_cmp_gt_i32_e32 vcc, s28, v0
	v_lshl_add_u64 v[6:7], v[6:7], 2, s[44:45]
	s_lshl_b64 s[42:43], s[12:13], 8
	v_lshl_add_u64 v[10:11], v[10:11], 4, s[44:45]
	v_lshl_add_u64 v[12:13], v[12:13], 2, s[44:45]
	v_lshl_add_u64 v[18:19], v[18:19], 2, s[44:45]
	s_mov_b64 s[44:45], 0
	v_mov_b32_e32 v31, 0
	v_mov_b32_e32 v32, 0
	;; [unrolled: 1-line block ×4, first 2 shown]
	s_branch .LBB13_17
.LBB13_13:                              ;   in Loop: Header=BB13_17 Depth=1
	s_or_b64 exec, exec, s[50:51]
	s_waitcnt vmcnt(3)
	v_fmac_f32_e32 v33, v1, v50
	s_waitcnt vmcnt(2)
	v_fmac_f32_e32 v33, v36, v49
	;; [unrolled: 2-line block ×4, first 2 shown]
.LBB13_14:                              ;   in Loop: Header=BB13_17 Depth=1
	s_or_b64 exec, exec, s[48:49]
	s_waitcnt vmcnt(3)
	v_fmac_f32_e32 v32, v1, v46
	s_waitcnt vmcnt(2)
	v_fmac_f32_e32 v32, v36, v45
	;; [unrolled: 2-line block ×4, first 2 shown]
.LBB13_15:                              ;   in Loop: Header=BB13_17 Depth=1
	s_or_b64 exec, exec, s[46:47]
	s_waitcnt vmcnt(3)
	v_fmac_f32_e32 v31, v1, v39
	s_waitcnt vmcnt(2)
	v_fmac_f32_e32 v31, v36, v40
	;; [unrolled: 2-line block ×4, first 2 shown]
.LBB13_16:                              ;   in Loop: Header=BB13_17 Depth=1
	s_or_b64 exec, exec, s[6:7]
	v_add_u32_e32 v35, 64, v35
	v_cmp_le_i32_e64 s[6:7], s52, v35
	v_lshl_add_u64 v[2:3], v[2:3], 0, s[40:41]
	v_lshl_add_u64 v[6:7], v[6:7], 0, s[42:43]
	;; [unrolled: 1-line block ×7, first 2 shown]
	s_or_b64 s[44:45], s[6:7], s[44:45]
	v_lshl_add_u64 v[18:19], v[18:19], 0, s[42:43]
	s_andn2_b64 exec, exec, s[44:45]
	s_cbranch_execz .LBB13_22
.LBB13_17:                              ; =>This Inner Loop Header: Depth=1
	s_and_saveexec_b64 s[6:7], vcc
	s_cbranch_execz .LBB13_16
; %bb.18:                               ;   in Loop: Header=BB13_17 Depth=1
	v_lshl_add_u64 v[20:21], v[2:3], 0, s[38:39]
	global_load_dword v1, v[20:21], off
	v_lshl_add_u64 v[20:21], v[16:17], 0, s[38:39]
	global_load_dword v36, v[20:21], off
	;; [unrolled: 2-line block ×4, first 2 shown]
	v_lshl_add_u64 v[26:27], v[10:11], 0, v[4:5]
	v_lshl_add_u64 v[24:25], v[18:19], 0, v[4:5]
	;; [unrolled: 1-line block ×4, first 2 shown]
	global_load_dword v39, v[26:27], off
	global_load_dword v40, v[24:25], off
	;; [unrolled: 1-line block ×4, first 2 shown]
	s_and_saveexec_b64 s[46:47], s[0:1]
	s_cbranch_execz .LBB13_15
; %bb.19:                               ;   in Loop: Header=BB13_17 Depth=1
	global_load_dword v46, v[26:27], off offset:128
	global_load_dword v45, v[24:25], off offset:128
	;; [unrolled: 1-line block ×4, first 2 shown]
	s_and_saveexec_b64 s[48:49], s[2:3]
	s_cbranch_execz .LBB13_14
; %bb.20:                               ;   in Loop: Header=BB13_17 Depth=1
	global_load_dword v50, v[26:27], off offset:256
	global_load_dword v49, v[24:25], off offset:256
	global_load_dword v48, v[22:23], off offset:256
	global_load_dword v47, v[20:21], off offset:256
	s_and_saveexec_b64 s[50:51], s[4:5]
	s_cbranch_execz .LBB13_13
; %bb.21:                               ;   in Loop: Header=BB13_17 Depth=1
	global_load_dword v26, v[26:27], off offset:384
	s_nop 0
	global_load_dword v24, v[24:25], off offset:384
	s_nop 0
	;; [unrolled: 2-line block ×3, first 2 shown]
	global_load_dword v20, v[20:21], off offset:384
	s_waitcnt vmcnt(3)
	v_fmac_f32_e32 v34, v1, v26
	s_waitcnt vmcnt(2)
	v_fmac_f32_e32 v34, v36, v24
	s_waitcnt vmcnt(1)
	v_fmac_f32_e32 v34, v37, v22
	s_waitcnt vmcnt(0)
	v_fmac_f32_e32 v34, v38, v20
	s_branch .LBB13_13
.LBB13_22:
	s_or_b64 exec, exec, s[44:45]
.LBB13_23:
	s_or_b64 exec, exec, s[36:37]
	s_sub_i32 s0, s29, s52
	s_cmp_lt_i32 s0, 1
	s_cbranch_scc1 .LBB13_41
; %bb.24:
	v_cmp_gt_i32_e32 vcc, s29, v35
	v_mov_b32_e32 v11, 0
	v_or_b32_e32 v4, 1, v35
	v_mov_b32_e32 v13, 0
	v_mov_b32_e32 v12, 0
	;; [unrolled: 1-line block ×3, first 2 shown]
	s_and_saveexec_b64 s[2:3], vcc
	s_cbranch_execz .LBB13_32
; %bb.25:
	s_lshl_b64 s[0:1], s[22:23], 2
	s_add_u32 s4, s16, s0
	s_addc_u32 s5, s17, s1
	s_lshl_b64 s[0:1], s[18:19], 2
	s_add_u32 s4, s4, s0
	s_addc_u32 s5, s5, s1
	v_mad_u64_u32 v[2:3], s[0:1], v35, s20, 0
	v_mov_b32_e32 v6, v3
	v_mad_u64_u32 v[6:7], s[0:1], v35, s21, v[6:7]
	v_mov_b32_e32 v3, v6
	v_lshl_add_u64 v[2:3], v[2:3], 2, s[4:5]
	global_load_dword v10, v[2:3], off
	v_cmp_gt_i32_e64 s[0:1], s29, v4
	v_mov_b32_e32 v12, 0
	v_mov_b32_e32 v13, 0
	;; [unrolled: 1-line block ×3, first 2 shown]
	s_and_saveexec_b64 s[6:7], s[0:1]
	s_cbranch_execz .LBB13_31
; %bb.26:
	v_mad_u64_u32 v[2:3], s[0:1], v4, s20, 0
	v_mov_b32_e32 v6, v3
	v_mad_u64_u32 v[6:7], s[0:1], v4, s21, v[6:7]
	v_mov_b32_e32 v3, v6
	v_lshl_add_u64 v[2:3], v[2:3], 2, s[4:5]
	global_load_dword v12, v[2:3], off
	v_or_b32_e32 v1, 2, v35
	v_cmp_gt_i32_e64 s[0:1], s29, v1
	v_mov_b32_e32 v13, 0
	v_mov_b32_e32 v11, 0
	s_and_saveexec_b64 s[16:17], s[0:1]
	s_cbranch_execz .LBB13_30
; %bb.27:
	v_mad_u64_u32 v[2:3], s[0:1], v1, s20, 0
	v_mov_b32_e32 v6, v3
	v_mad_u64_u32 v[6:7], s[0:1], v1, s21, v[6:7]
	v_mov_b32_e32 v3, v6
	v_lshl_add_u64 v[2:3], v[2:3], 2, s[4:5]
	global_load_dword v13, v[2:3], off
	v_or_b32_e32 v1, 3, v35
	v_cmp_gt_i32_e64 s[0:1], s29, v1
	v_mov_b32_e32 v11, 0
	s_and_saveexec_b64 s[18:19], s[0:1]
	s_cbranch_execz .LBB13_29
; %bb.28:
	v_mad_u64_u32 v[2:3], s[0:1], v1, s20, 0
	v_mov_b32_e32 v6, v3
	v_mad_u64_u32 v[6:7], s[0:1], v1, s21, v[6:7]
	v_mov_b32_e32 v3, v6
	v_lshl_add_u64 v[2:3], v[2:3], 2, s[4:5]
	global_load_dword v11, v[2:3], off
.LBB13_29:
	s_or_b64 exec, exec, s[18:19]
.LBB13_30:
	s_or_b64 exec, exec, s[16:17]
.LBB13_31:
	s_or_b64 exec, exec, s[6:7]
.LBB13_32:
	s_or_b64 exec, exec, s[2:3]
	v_cmp_gt_i32_e64 s[0:1], s28, v0
	s_and_saveexec_b64 s[2:3], s[0:1]
	s_cbranch_execz .LBB13_40
; %bb.33:
	s_lshl_b64 s[0:1], s[14:15], 2
	s_add_u32 s4, s8, s0
	s_addc_u32 s5, s9, s1
	s_lshl_b64 s[0:1], s[10:11], 2
	s_add_u32 s0, s4, s0
	s_addc_u32 s1, s5, s1
	v_mad_u64_u32 v[2:3], s[4:5], v35, s12, 0
	v_mov_b32_e32 v6, v3
	v_mad_u64_u32 v[6:7], s[4:5], v35, s13, v[6:7]
	v_ashrrev_i32_e32 v1, 31, v0
	v_cndmask_b32_e32 v3, 0, v6, vcc
	v_mad_u64_u32 v[6:7], s[4:5], v4, s12, 0
	v_cndmask_b32_e32 v2, 0, v2, vcc
	v_lshlrev_b64 v[8:9], 2, v[0:1]
	v_mov_b32_e32 v14, v7
	v_cmp_gt_i32_e32 vcc, s29, v4
	v_or_b32_e32 v1, 2, v35
	v_mad_u64_u32 v[14:15], s[4:5], v4, s13, v[14:15]
	v_cndmask_b32_e32 v4, 0, v6, vcc
	v_mad_u64_u32 v[6:7], s[4:5], v1, s12, 0
	v_cndmask_b32_e32 v5, 0, v14, vcc
	v_mov_b32_e32 v14, v7
	v_mad_u64_u32 v[14:15], s[4:5], v1, s13, v[14:15]
	v_cmp_gt_i32_e32 vcc, s29, v1
	v_or_b32_e32 v1, 3, v35
	v_lshl_add_u64 v[2:3], v[2:3], 2, s[0:1]
	v_cndmask_b32_e32 v7, 0, v14, vcc
	v_mad_u64_u32 v[14:15], s[4:5], v1, s12, 0
	v_mov_b32_e32 v16, v15
	v_cndmask_b32_e32 v6, 0, v6, vcc
	v_mad_u64_u32 v[16:17], s[4:5], v1, s13, v[16:17]
	v_cmp_gt_i32_e32 vcc, s29, v1
	v_lshl_add_u64 v[2:3], v[2:3], 0, v[8:9]
	v_lshl_add_u64 v[4:5], v[4:5], 2, s[0:1]
	v_cndmask_b32_e32 v14, 0, v14, vcc
	v_cndmask_b32_e32 v15, 0, v16, vcc
	v_lshl_add_u64 v[6:7], v[6:7], 2, s[0:1]
	v_lshl_add_u64 v[14:15], v[14:15], 2, s[0:1]
	v_lshl_add_u64 v[4:5], v[4:5], 0, v[8:9]
	v_lshl_add_u64 v[6:7], v[6:7], 0, v[8:9]
	global_load_dword v16, v[2:3], off
	global_load_dword v17, v[4:5], off
	;; [unrolled: 1-line block ×3, first 2 shown]
	v_lshl_add_u64 v[8:9], v[14:15], 0, v[8:9]
	global_load_dword v1, v[8:9], off
	v_add_u32_e32 v14, 32, v0
	v_cmp_gt_i32_e32 vcc, s28, v14
	s_waitcnt vmcnt(3)
	v_fmac_f32_e32 v31, v10, v16
	s_waitcnt vmcnt(2)
	v_fmac_f32_e32 v31, v12, v17
	s_waitcnt vmcnt(1)
	v_fmac_f32_e32 v31, v13, v18
	s_and_saveexec_b64 s[0:1], vcc
	s_cbranch_execz .LBB13_39
; %bb.34:
	global_load_dword v15, v[2:3], off offset:128
	global_load_dword v16, v[4:5], off offset:128
	global_load_dword v17, v[6:7], off offset:128
	global_load_dword v14, v[8:9], off offset:128
	v_add_u32_e32 v18, 64, v0
	v_cmp_gt_i32_e32 vcc, s28, v18
	s_waitcnt vmcnt(3)
	v_fmac_f32_e32 v32, v10, v15
	s_waitcnt vmcnt(2)
	v_fmac_f32_e32 v32, v12, v16
	s_waitcnt vmcnt(1)
	v_fmac_f32_e32 v32, v13, v17
	s_and_saveexec_b64 s[4:5], vcc
	s_cbranch_execz .LBB13_38
; %bb.35:
	global_load_dword v16, v[2:3], off offset:256
	global_load_dword v17, v[4:5], off offset:256
	global_load_dword v18, v[6:7], off offset:256
	global_load_dword v15, v[8:9], off offset:256
	;; [unrolled: 15-line block ×3, first 2 shown]
	s_waitcnt vmcnt(3)
	v_fmac_f32_e32 v34, v10, v0
	s_waitcnt vmcnt(2)
	v_fmac_f32_e32 v34, v12, v16
	;; [unrolled: 2-line block ×4, first 2 shown]
.LBB13_37:
	s_or_b64 exec, exec, s[6:7]
	s_waitcnt vmcnt(0)
	v_fmac_f32_e32 v33, v11, v15
.LBB13_38:
	s_or_b64 exec, exec, s[4:5]
	s_waitcnt vmcnt(0)
	v_fmac_f32_e32 v32, v11, v14
.LBB13_39:
	s_or_b64 exec, exec, s[0:1]
	s_waitcnt vmcnt(0)
	v_fmac_f32_e32 v31, v11, v1
.LBB13_40:
	s_or_b64 exec, exec, s[2:3]
.LBB13_41:
	v_lshlrev_b32_e32 v0, 7, v30
	s_movk_i32 s0, 0x80
	v_add_lshl_u32 v0, v0, v29, 2
	v_cmp_gt_u32_e32 vcc, s0, v28
	ds_write2_b32 v0, v31, v32 offset1:32
	ds_write2_b32 v0, v33, v34 offset0:64 offset1:96
	s_waitcnt lgkmcnt(0)
	s_barrier
	s_waitcnt lgkmcnt(0)
                                        ; implicit-def: $vgpr1
                                        ; implicit-def: $vgpr2_vgpr3
	s_and_saveexec_b64 s[0:1], vcc
	s_cbranch_execz .LBB13_47
; %bb.42:
	s_waitcnt vmcnt(0)
	v_lshlrev_b32_e32 v10, 2, v28
	ds_read2st64_b32 v[0:1], v10 offset1:2
	ds_read2st64_b32 v[2:3], v10 offset0:4 offset1:6
	ds_read2st64_b32 v[4:5], v10 offset0:8 offset1:10
	;; [unrolled: 1-line block ×4, first 2 shown]
	s_waitcnt lgkmcnt(4)
	v_add_f32_e32 v0, v0, v1
	s_waitcnt lgkmcnt(3)
	v_add_f32_e32 v0, v2, v0
	v_add_f32_e32 v0, v3, v0
	s_waitcnt lgkmcnt(2)
	v_add_f32_e32 v0, v4, v0
	;; [unrolled: 3-line block ×3, first 2 shown]
	v_add_f32_e32 v2, v7, v0
	ds_read2st64_b32 v[0:1], v10 offset0:20 offset1:22
	s_waitcnt lgkmcnt(1)
	v_add_f32_e32 v4, v8, v2
	ds_read2st64_b32 v[2:3], v10 offset0:24 offset1:26
	v_add_f32_e32 v6, v9, v4
	ds_read2st64_b32 v[4:5], v10 offset0:28 offset1:30
	s_waitcnt lgkmcnt(2)
	v_add_f32_e32 v0, v0, v6
	v_add_f32_e32 v0, v1, v0
	s_waitcnt lgkmcnt(1)
	v_add_f32_e32 v0, v2, v0
	v_add_f32_e32 v0, v3, v0
	;; [unrolled: 3-line block ×3, first 2 shown]
	v_or_b32_e32 v0, s33, v28
	v_cmp_gt_i32_e32 vcc, s28, v0
	s_mov_b64 s[4:5], s[34:35]
	ds_write_b32 v10, v4
                                        ; implicit-def: $vgpr1
                                        ; implicit-def: $vgpr2_vgpr3
	s_and_saveexec_b64 s[2:3], vcc
	s_cbranch_execz .LBB13_46
; %bb.43:
	v_ashrrev_i32_e32 v2, 31, v0
	v_cmp_eq_f32_e64 s[4:5], s31, 0
	v_mul_f32_e32 v1, s30, v4
	v_mul_lo_u32 v4, v0, s25
	v_mul_lo_u32 v5, v2, s24
	v_mad_u64_u32 v[2:3], s[6:7], v0, s24, 0
	v_add3_u32 v3, v3, v4, v5
	s_and_b64 vcc, exec, s[4:5]
	s_cbranch_vccnz .LBB13_45
; %bb.44:
	v_lshl_add_u64 v[4:5], v[2:3], 2, s[26:27]
	global_load_dword v0, v[4:5], off
	s_waitcnt vmcnt(0)
	v_fmac_f32_e32 v1, s31, v0
.LBB13_45:
	s_or_b64 s[4:5], s[34:35], exec
.LBB13_46:
	s_or_b64 exec, exec, s[2:3]
	s_andn2_b64 s[2:3], s[34:35], exec
	s_and_b64 s[4:5], s[4:5], exec
	s_or_b64 s[34:35], s[2:3], s[4:5]
.LBB13_47:
	s_or_b64 exec, exec, s[0:1]
.LBB13_48:
	s_and_saveexec_b64 s[0:1], s[34:35]
	s_cbranch_execz .LBB13_50
; %bb.49:
	v_lshl_add_u64 v[2:3], v[2:3], 2, s[26:27]
	global_store_dword v[2:3], v1, off
.LBB13_50:
	s_endpgm
	.section	.rodata,"a",@progbits
	.p2align	6, 0x0
	.amdhsa_kernel _ZL20rocblas_gemvn_kernelILi32ELi16ElfffEviiT3_lPKT2_lT1_lS3_lS4_lS0_lPT4_lS4_li
		.amdhsa_group_segment_fixed_size 8192
		.amdhsa_private_segment_fixed_size 0
		.amdhsa_kernarg_size 400
		.amdhsa_user_sgpr_count 2
		.amdhsa_user_sgpr_dispatch_ptr 0
		.amdhsa_user_sgpr_queue_ptr 0
		.amdhsa_user_sgpr_kernarg_segment_ptr 1
		.amdhsa_user_sgpr_dispatch_id 0
		.amdhsa_user_sgpr_kernarg_preload_length 0
		.amdhsa_user_sgpr_kernarg_preload_offset 0
		.amdhsa_user_sgpr_private_segment_size 0
		.amdhsa_uses_dynamic_stack 0
		.amdhsa_enable_private_segment 0
		.amdhsa_system_sgpr_workgroup_id_x 1
		.amdhsa_system_sgpr_workgroup_id_y 0
		.amdhsa_system_sgpr_workgroup_id_z 1
		.amdhsa_system_sgpr_workgroup_info 0
		.amdhsa_system_vgpr_workitem_id 1
		.amdhsa_next_free_vgpr 51
		.amdhsa_next_free_sgpr 53
		.amdhsa_accum_offset 52
		.amdhsa_reserve_vcc 1
		.amdhsa_float_round_mode_32 0
		.amdhsa_float_round_mode_16_64 0
		.amdhsa_float_denorm_mode_32 3
		.amdhsa_float_denorm_mode_16_64 3
		.amdhsa_dx10_clamp 1
		.amdhsa_ieee_mode 1
		.amdhsa_fp16_overflow 0
		.amdhsa_tg_split 0
		.amdhsa_exception_fp_ieee_invalid_op 0
		.amdhsa_exception_fp_denorm_src 0
		.amdhsa_exception_fp_ieee_div_zero 0
		.amdhsa_exception_fp_ieee_overflow 0
		.amdhsa_exception_fp_ieee_underflow 0
		.amdhsa_exception_fp_ieee_inexact 0
		.amdhsa_exception_int_div_zero 0
	.end_amdhsa_kernel
	.section	.text._ZL20rocblas_gemvn_kernelILi32ELi16ElfffEviiT3_lPKT2_lT1_lS3_lS4_lS0_lPT4_lS4_li,"axG",@progbits,_ZL20rocblas_gemvn_kernelILi32ELi16ElfffEviiT3_lPKT2_lT1_lS3_lS4_lS0_lPT4_lS4_li,comdat
.Lfunc_end13:
	.size	_ZL20rocblas_gemvn_kernelILi32ELi16ElfffEviiT3_lPKT2_lT1_lS3_lS4_lS0_lPT4_lS4_li, .Lfunc_end13-_ZL20rocblas_gemvn_kernelILi32ELi16ElfffEviiT3_lPKT2_lT1_lS3_lS4_lS0_lPT4_lS4_li
                                        ; -- End function
	.section	.AMDGPU.csdata,"",@progbits
; Kernel info:
; codeLenInByte = 2660
; NumSgprs: 59
; NumVgprs: 51
; NumAgprs: 0
; TotalNumVgprs: 51
; ScratchSize: 0
; MemoryBound: 0
; FloatMode: 240
; IeeeMode: 1
; LDSByteSize: 8192 bytes/workgroup (compile time only)
; SGPRBlocks: 7
; VGPRBlocks: 6
; NumSGPRsForWavesPerEU: 59
; NumVGPRsForWavesPerEU: 51
; AccumOffset: 52
; Occupancy: 8
; WaveLimiterHint : 1
; COMPUTE_PGM_RSRC2:SCRATCH_EN: 0
; COMPUTE_PGM_RSRC2:USER_SGPR: 2
; COMPUTE_PGM_RSRC2:TRAP_HANDLER: 0
; COMPUTE_PGM_RSRC2:TGID_X_EN: 1
; COMPUTE_PGM_RSRC2:TGID_Y_EN: 0
; COMPUTE_PGM_RSRC2:TGID_Z_EN: 1
; COMPUTE_PGM_RSRC2:TIDIG_COMP_CNT: 1
; COMPUTE_PGM_RSRC3_GFX90A:ACCUM_OFFSET: 12
; COMPUTE_PGM_RSRC3_GFX90A:TG_SPLIT: 0
	.section	.text._ZL20rocblas_gemvn_kernelILi64ELi16EifPKffEviiT3_lPKT2_lT1_lS5_lS6_lS2_lPT4_lS6_li,"axG",@progbits,_ZL20rocblas_gemvn_kernelILi64ELi16EifPKffEviiT3_lPKT2_lT1_lS5_lS6_lS2_lPT4_lS6_li,comdat
	.globl	_ZL20rocblas_gemvn_kernelILi64ELi16EifPKffEviiT3_lPKT2_lT1_lS5_lS6_lS2_lPT4_lS6_li ; -- Begin function _ZL20rocblas_gemvn_kernelILi64ELi16EifPKffEviiT3_lPKT2_lT1_lS5_lS6_lS2_lPT4_lS6_li
	.p2align	8
	.type	_ZL20rocblas_gemvn_kernelILi64ELi16EifPKffEviiT3_lPKT2_lT1_lS5_lS6_lS2_lPT4_lS6_li,@function
_ZL20rocblas_gemvn_kernelILi64ELi16EifPKffEviiT3_lPKT2_lT1_lS5_lS6_lS2_lPT4_lS6_li: ; @_ZL20rocblas_gemvn_kernelILi64ELi16EifPKffEviiT3_lPKT2_lT1_lS5_lS6_lS2_lPT4_lS6_li
; %bb.0:
	s_load_dwordx2 s[4:5], s[0:1], 0x9c
	s_waitcnt lgkmcnt(0)
	s_lshr_b32 s6, s4, 16
	s_and_b32 s4, s4, 0xffff
	s_and_b32 s5, s5, 0xffff
	s_mul_i32 s4, s6, s4
	s_mul_i32 s4, s4, s5
	s_cmpk_lg_i32 s4, 0x400
	s_cbranch_scc1 .LBB14_50
; %bb.1:
	s_load_dwordx8 s[12:19], s[0:1], 0x8
	s_load_dwordx8 s[4:11], s[0:1], 0x50
	s_waitcnt lgkmcnt(0)
	s_mul_i32 s15, s3, s15
	s_mul_hi_u32 s20, s3, s14
	s_mul_i32 s14, s3, s14
	s_add_i32 s15, s20, s15
	s_lshl_b64 s[14:15], s[14:15], 2
	s_add_u32 s12, s12, s14
	s_addc_u32 s13, s13, s15
	s_mul_i32 s9, s3, s9
	s_load_dword s29, s[12:13], 0x0
	s_mul_hi_u32 s12, s3, s8
	s_add_i32 s9, s12, s9
	s_mul_i32 s8, s3, s8
	s_lshl_b64 s[8:9], s[8:9], 2
	s_add_u32 s6, s6, s8
	s_addc_u32 s7, s7, s9
	s_load_dword s28, s[6:7], 0x0
	s_waitcnt lgkmcnt(0)
	v_cmp_eq_f32_e64 s[6:7], s29, 0
	v_cmp_eq_f32_e64 s[8:9], s28, 1.0
	s_and_b64 s[6:7], s[6:7], s[8:9]
	s_and_b64 vcc, exec, s[6:7]
	s_cbranch_vccnz .LBB14_50
; %bb.2:
	s_load_dwordx2 s[6:7], s[0:1], 0x80
	s_load_dword s30, s[0:1], 0x78
	s_load_dwordx2 s[8:9], s[0:1], 0x70
	s_load_dwordx2 s[12:13], s[0:1], 0x0
	v_and_b32_e32 v2, 0x3ff, v0
	s_waitcnt lgkmcnt(0)
	s_mul_i32 s7, s3, s7
	s_mul_hi_u32 s14, s3, s6
	s_add_i32 s7, s14, s7
	s_mul_i32 s6, s3, s6
	s_lshl_b64 s[6:7], s[6:7], 2
	s_add_u32 s10, s10, s6
	s_addc_u32 s11, s11, s7
	s_lshl_b64 s[6:7], s[8:9], 2
	s_add_u32 s8, s10, s6
	s_addc_u32 s9, s11, s7
	v_bfe_u32 v14, v0, 10, 10
	v_cmp_neq_f32_e64 s[6:7], s29, 0
	v_lshl_add_u32 v3, v14, 6, v2
	s_and_b64 vcc, exec, s[6:7]
	s_cbranch_vccnz .LBB14_9
; %bb.3:
	s_movk_i32 s6, 0x100
	v_cmp_gt_u32_e32 vcc, s6, v3
	s_mov_b64 s[6:7], 0
	s_mov_b64 s[10:11], 0
                                        ; implicit-def: $vgpr1
                                        ; implicit-def: $vgpr4_vgpr5
	s_and_saveexec_b64 s[14:15], vcc
	s_cbranch_execz .LBB14_10
; %bb.4:
	v_lshl_or_b32 v0, s2, 8, v3
	v_mov_b32_e32 v1, 0
	s_ashr_i32 s11, s12, 31
	s_mov_b32 s10, s12
	v_cmp_gt_i64_e32 vcc, s[10:11], v[0:1]
	s_mov_b64 s[20:21], 0
                                        ; implicit-def: $vgpr4_vgpr5
	s_and_saveexec_b64 s[10:11], vcc
	s_cbranch_execz .LBB14_8
; %bb.5:
	v_mad_u64_u32 v[4:5], s[22:23], s30, v0, 0
	s_ashr_i32 s24, s30, 31
	v_mov_b32_e32 v6, v5
	v_cmp_eq_f32_e64 s[20:21], s28, 0
	v_mad_u64_u32 v[6:7], s[22:23], s24, v0, v[6:7]
	v_mov_b32_e32 v5, v6
	s_and_b64 vcc, exec, s[20:21]
	s_cbranch_vccnz .LBB14_7
; %bb.6:
	v_lshl_add_u64 v[0:1], v[4:5], 2, s[8:9]
	global_load_dword v0, v[0:1], off
	s_waitcnt vmcnt(0)
	v_mul_f32_e32 v1, s28, v0
.LBB14_7:
	s_mov_b64 s[20:21], exec
.LBB14_8:
	s_or_b64 exec, exec, s[10:11]
	s_and_b64 s[10:11], s[20:21], exec
	s_or_b64 exec, exec, s[14:15]
	s_and_b64 vcc, exec, s[6:7]
	s_cbranch_vccnz .LBB14_11
	s_branch .LBB14_48
.LBB14_9:
	s_mov_b64 s[10:11], 0
                                        ; implicit-def: $vgpr1
                                        ; implicit-def: $vgpr4_vgpr5
	s_cbranch_execnz .LBB14_11
	s_branch .LBB14_48
.LBB14_10:
	s_or_b64 exec, exec, s[14:15]
	s_and_b64 vcc, exec, s[6:7]
	s_cbranch_vccz .LBB14_48
.LBB14_11:
	s_load_dwordx4 s[20:23], s[0:1], 0x30
	s_load_dword s33, s[0:1], 0x28
	s_load_dwordx2 s[6:7], s[0:1], 0x40
	s_load_dword s34, s[0:1], 0x48
	v_lshlrev_b32_e32 v20, 2, v14
	s_waitcnt lgkmcnt(0)
	s_mul_i32 s0, s3, s21
	s_mul_hi_u32 s1, s3, s20
	s_add_i32 s1, s1, s0
	s_mul_i32 s0, s3, s20
	s_lshl_b64 s[0:1], s[0:1], 2
	s_add_u32 s14, s16, s0
	s_addc_u32 s15, s17, s1
	s_lshl_b64 s[0:1], s[18:19], 2
	s_add_u32 s14, s14, s0
	s_addc_u32 s15, s15, s1
	s_mul_i32 s0, s3, s5
	s_mul_hi_u32 s1, s3, s4
	s_add_i32 s1, s1, s0
	s_mul_i32 s0, s3, s4
	s_lshl_b64 s[0:1], s[0:1], 2
	s_add_u32 s3, s22, s0
	s_addc_u32 s4, s23, s1
	s_lshl_b64 s[0:1], s[6:7], 2
	s_add_u32 s16, s3, s0
	s_addc_u32 s17, s4, s1
	s_ashr_i32 s0, s13, 31
	s_lshr_b32 s0, s0, 26
	s_add_i32 s35, s13, s0
	s_lshl_b32 s31, s2, 8
	s_andn2_b32 s35, s35, 63
	v_add_u32_e32 v19, s31, v2
	v_cmp_gt_i32_e32 vcc, s35, v20
	v_mov_b32_e32 v15, 0
	v_mov_b32_e32 v16, 0
	;; [unrolled: 1-line block ×4, first 2 shown]
	s_and_saveexec_b64 s[18:19], vcc
	s_cbranch_execz .LBB14_23
; %bb.12:
	v_add_u32_e32 v0, 64, v19
	v_cmp_gt_i32_e64 s[0:1], s12, v0
	v_add_u32_e32 v0, 0x80, v19
	v_cmp_gt_i32_e64 s[2:3], s12, v0
	;; [unrolled: 2-line block ×3, first 2 shown]
	v_mul_lo_u32 v0, s33, v20
	v_add_u32_e32 v6, 2, v20
	v_add_u32_e32 v7, 3, v20
	v_add3_u32 v21, v0, s33, v2
	v_mad_u64_u32 v[0:1], s[6:7], s33, v6, v[2:3]
	v_mad_u64_u32 v[4:5], s[6:7], s33, v7, v[2:3]
	v_mul_lo_u32 v1, v14, s33
	v_mul_lo_u32 v5, s34, v20
	;; [unrolled: 1-line block ×4, first 2 shown]
	v_cmp_gt_i32_e32 vcc, s12, v19
	s_lshl_b32 s36, s33, 6
	v_lshl_add_u32 v1, v1, 2, v2
	v_add_u32_e32 v5, s34, v5
	s_lshl_b32 s37, s34, 6
	v_mul_lo_u32 v23, s34, v7
	v_lshlrev_b32_e32 v24, 2, v6
	s_mov_b32 s38, 0
	s_mov_b64 s[20:21], 0
	v_mov_b32_e32 v15, 0
	v_mov_b32_e32 v16, 0
	;; [unrolled: 1-line block ×4, first 2 shown]
	s_branch .LBB14_17
.LBB14_13:                              ;   in Loop: Header=BB14_17 Depth=1
	s_or_b64 exec, exec, s[26:27]
	s_waitcnt vmcnt(3)
	v_fmac_f32_e32 v17, v28, v40
	s_waitcnt vmcnt(2)
	v_fmac_f32_e32 v17, v27, v39
	;; [unrolled: 2-line block ×4, first 2 shown]
.LBB14_14:                              ;   in Loop: Header=BB14_17 Depth=1
	s_or_b64 exec, exec, s[24:25]
	s_waitcnt vmcnt(3)
	v_fmac_f32_e32 v16, v28, v36
	s_waitcnt vmcnt(2)
	v_fmac_f32_e32 v16, v27, v35
	;; [unrolled: 2-line block ×4, first 2 shown]
.LBB14_15:                              ;   in Loop: Header=BB14_17 Depth=1
	s_or_b64 exec, exec, s[22:23]
	s_waitcnt vmcnt(3)
	v_fmac_f32_e32 v15, v28, v32
	s_waitcnt vmcnt(2)
	v_fmac_f32_e32 v15, v27, v31
	;; [unrolled: 2-line block ×4, first 2 shown]
.LBB14_16:                              ;   in Loop: Header=BB14_17 Depth=1
	s_or_b64 exec, exec, s[6:7]
	v_add_u32_e32 v20, 64, v20
	s_add_i32 s38, s38, s37
	v_cmp_le_i32_e64 s[6:7], s35, v20
	v_add_u32_e32 v21, s36, v21
	v_add_u32_e32 v0, s36, v0
	;; [unrolled: 1-line block ×3, first 2 shown]
	s_or_b64 s[20:21], s[6:7], s[20:21]
	v_add_u32_e32 v1, s36, v1
	s_andn2_b64 exec, exec, s[20:21]
	s_cbranch_execz .LBB14_22
.LBB14_17:                              ; =>This Inner Loop Header: Depth=1
	s_and_saveexec_b64 s[6:7], vcc
	s_cbranch_execz .LBB14_16
; %bb.18:                               ;   in Loop: Header=BB14_17 Depth=1
	v_add_u32_e32 v6, s38, v24
	v_ashrrev_i32_e32 v7, 31, v6
	v_add_u32_e32 v8, s38, v5
	v_add_u32_e32 v10, s38, v22
	;; [unrolled: 1-line block ×3, first 2 shown]
	v_lshl_add_u64 v[6:7], v[6:7], 2, s[16:17]
	v_ashrrev_i32_e32 v9, 31, v8
	v_ashrrev_i32_e32 v11, 31, v10
	;; [unrolled: 1-line block ×3, first 2 shown]
	v_lshl_add_u64 v[8:9], v[8:9], 2, s[16:17]
	v_lshl_add_u64 v[10:11], v[10:11], 2, s[16:17]
	;; [unrolled: 1-line block ×3, first 2 shown]
	global_load_dword v28, v[6:7], off
	global_load_dword v27, v[8:9], off
	;; [unrolled: 1-line block ×4, first 2 shown]
	v_add_u32_e32 v6, s31, v1
	v_ashrrev_i32_e32 v7, 31, v6
	v_add_u32_e32 v8, s31, v21
	v_add_u32_e32 v10, s31, v0
	;; [unrolled: 1-line block ×3, first 2 shown]
	v_lshl_add_u64 v[6:7], v[6:7], 2, s[14:15]
	v_ashrrev_i32_e32 v9, 31, v8
	v_ashrrev_i32_e32 v11, 31, v10
	;; [unrolled: 1-line block ×3, first 2 shown]
	v_lshl_add_u64 v[8:9], v[8:9], 2, s[14:15]
	v_lshl_add_u64 v[10:11], v[10:11], 2, s[14:15]
	;; [unrolled: 1-line block ×3, first 2 shown]
	global_load_dword v32, v[6:7], off
	global_load_dword v31, v[8:9], off
	;; [unrolled: 1-line block ×4, first 2 shown]
	s_and_saveexec_b64 s[22:23], s[0:1]
	s_cbranch_execz .LBB14_15
; %bb.19:                               ;   in Loop: Header=BB14_17 Depth=1
	global_load_dword v36, v[6:7], off offset:256
	global_load_dword v35, v[8:9], off offset:256
	global_load_dword v34, v[10:11], off offset:256
	global_load_dword v33, v[12:13], off offset:256
	s_and_saveexec_b64 s[24:25], s[2:3]
	s_cbranch_execz .LBB14_14
; %bb.20:                               ;   in Loop: Header=BB14_17 Depth=1
	global_load_dword v40, v[6:7], off offset:512
	global_load_dword v39, v[8:9], off offset:512
	global_load_dword v38, v[10:11], off offset:512
	global_load_dword v37, v[12:13], off offset:512
	;; [unrolled: 7-line block ×3, first 2 shown]
	s_waitcnt vmcnt(3)
	v_fmac_f32_e32 v18, v28, v41
	s_waitcnt vmcnt(2)
	v_fmac_f32_e32 v18, v27, v42
	;; [unrolled: 2-line block ×4, first 2 shown]
	s_branch .LBB14_13
.LBB14_22:
	s_or_b64 exec, exec, s[20:21]
.LBB14_23:
	s_or_b64 exec, exec, s[18:19]
	s_sub_i32 s0, s13, s35
	s_cmp_lt_i32 s0, 1
	s_cbranch_scc1 .LBB14_41
; %bb.24:
	v_cmp_gt_i32_e32 vcc, s13, v20
	v_mov_b32_e32 v10, 0
	v_or_b32_e32 v4, 1, v20
	v_mov_b32_e32 v13, 0
	v_mov_b32_e32 v12, 0
	;; [unrolled: 1-line block ×3, first 2 shown]
	s_and_saveexec_b64 s[2:3], vcc
	s_cbranch_execz .LBB14_32
; %bb.25:
	v_mul_lo_u32 v0, v20, s34
	v_ashrrev_i32_e32 v1, 31, v0
	v_lshl_add_u64 v[0:1], v[0:1], 2, s[16:17]
	global_load_dword v11, v[0:1], off
	v_cmp_gt_i32_e64 s[0:1], s13, v4
	v_mov_b32_e32 v12, 0
	v_mov_b32_e32 v13, 0
	;; [unrolled: 1-line block ×3, first 2 shown]
	s_and_saveexec_b64 s[4:5], s[0:1]
	s_cbranch_execz .LBB14_31
; %bb.26:
	v_mul_lo_u32 v0, v4, s34
	v_ashrrev_i32_e32 v1, 31, v0
	v_lshl_add_u64 v[0:1], v[0:1], 2, s[16:17]
	global_load_dword v12, v[0:1], off
	v_or_b32_e32 v0, 2, v20
	v_cmp_gt_i32_e64 s[0:1], s13, v0
	v_mov_b32_e32 v13, 0
	v_mov_b32_e32 v10, 0
	s_and_saveexec_b64 s[6:7], s[0:1]
	s_cbranch_execz .LBB14_30
; %bb.27:
	v_mul_lo_u32 v0, v0, s34
	v_ashrrev_i32_e32 v1, 31, v0
	v_lshl_add_u64 v[0:1], v[0:1], 2, s[16:17]
	global_load_dword v13, v[0:1], off
	v_or_b32_e32 v0, 3, v20
	v_cmp_gt_i32_e64 s[0:1], s13, v0
	v_mov_b32_e32 v10, 0
	s_and_saveexec_b64 s[18:19], s[0:1]
	s_cbranch_execz .LBB14_29
; %bb.28:
	v_mul_lo_u32 v0, v0, s34
	v_ashrrev_i32_e32 v1, 31, v0
	v_lshl_add_u64 v[0:1], v[0:1], 2, s[16:17]
	global_load_dword v10, v[0:1], off
.LBB14_29:
	s_or_b64 exec, exec, s[18:19]
.LBB14_30:
	s_or_b64 exec, exec, s[6:7]
.LBB14_31:
	s_or_b64 exec, exec, s[4:5]
.LBB14_32:
	s_or_b64 exec, exec, s[2:3]
	v_cmp_gt_i32_e64 s[0:1], s12, v19
	s_and_saveexec_b64 s[2:3], s[0:1]
	s_cbranch_execz .LBB14_40
; %bb.33:
	v_mul_lo_u32 v0, v20, s33
	v_cndmask_b32_e32 v0, 0, v0, vcc
	v_mul_lo_u32 v5, v4, s33
	v_cmp_gt_i32_e32 vcc, s13, v4
	v_or_b32_e32 v6, 2, v20
	v_mul_lo_u32 v7, v6, s33
	v_cndmask_b32_e32 v4, 0, v5, vcc
	v_cmp_gt_i32_e32 vcc, s13, v6
	v_or_b32_e32 v8, 3, v20
	v_mul_lo_u32 v9, v8, s33
	v_cndmask_b32_e32 v6, 0, v7, vcc
	v_cmp_gt_i32_e32 vcc, s13, v8
	v_add_u32_e32 v0, v0, v19
	v_ashrrev_i32_e32 v1, 31, v0
	v_cndmask_b32_e32 v8, 0, v9, vcc
	v_add_u32_e32 v4, v4, v19
	v_add_u32_e32 v6, v6, v19
	;; [unrolled: 1-line block ×3, first 2 shown]
	v_lshl_add_u64 v[0:1], v[0:1], 2, s[14:15]
	v_ashrrev_i32_e32 v5, 31, v4
	v_ashrrev_i32_e32 v7, 31, v6
	v_ashrrev_i32_e32 v9, 31, v8
	v_lshl_add_u64 v[4:5], v[4:5], 2, s[14:15]
	v_lshl_add_u64 v[6:7], v[6:7], 2, s[14:15]
	global_load_dword v21, v[0:1], off
	global_load_dword v22, v[4:5], off
	;; [unrolled: 1-line block ×3, first 2 shown]
	v_lshl_add_u64 v[8:9], v[8:9], 2, s[14:15]
	global_load_dword v20, v[8:9], off
	v_add_u32_e32 v24, 64, v19
	v_cmp_gt_i32_e32 vcc, s12, v24
	s_waitcnt vmcnt(3)
	v_fmac_f32_e32 v15, v11, v21
	s_waitcnt vmcnt(2)
	v_fmac_f32_e32 v15, v12, v22
	s_waitcnt vmcnt(1)
	v_fmac_f32_e32 v15, v13, v23
	s_and_saveexec_b64 s[0:1], vcc
	s_cbranch_execz .LBB14_39
; %bb.34:
	global_load_dword v22, v[0:1], off offset:256
	global_load_dword v23, v[4:5], off offset:256
	global_load_dword v24, v[6:7], off offset:256
	global_load_dword v21, v[8:9], off offset:256
	v_add_u32_e32 v25, 0x80, v19
	v_cmp_gt_i32_e32 vcc, s12, v25
	s_waitcnt vmcnt(3)
	v_fmac_f32_e32 v16, v11, v22
	s_waitcnt vmcnt(2)
	v_fmac_f32_e32 v16, v12, v23
	s_waitcnt vmcnt(1)
	v_fmac_f32_e32 v16, v13, v24
	s_and_saveexec_b64 s[4:5], vcc
	s_cbranch_execz .LBB14_38
; %bb.35:
	global_load_dword v23, v[0:1], off offset:512
	global_load_dword v24, v[4:5], off offset:512
	global_load_dword v25, v[6:7], off offset:512
	global_load_dword v22, v[8:9], off offset:512
	;; [unrolled: 15-line block ×3, first 2 shown]
	s_waitcnt vmcnt(3)
	v_fmac_f32_e32 v18, v11, v19
	s_waitcnt vmcnt(2)
	v_fmac_f32_e32 v18, v12, v23
	s_waitcnt vmcnt(1)
	v_fmac_f32_e32 v18, v13, v24
	s_waitcnt vmcnt(0)
	v_fmac_f32_e32 v18, v10, v25
.LBB14_37:
	s_or_b64 exec, exec, s[6:7]
	s_waitcnt vmcnt(0)
	v_fmac_f32_e32 v17, v10, v22
.LBB14_38:
	s_or_b64 exec, exec, s[4:5]
	s_waitcnt vmcnt(0)
	v_fmac_f32_e32 v16, v10, v21
.LBB14_39:
	s_or_b64 exec, exec, s[0:1]
	s_waitcnt vmcnt(0)
	v_fmac_f32_e32 v15, v10, v20
.LBB14_40:
	s_or_b64 exec, exec, s[2:3]
.LBB14_41:
	v_lshlrev_b32_e32 v0, 8, v14
	s_movk_i32 s0, 0x100
	v_add_lshl_u32 v0, v0, v2, 2
	v_cmp_gt_u32_e32 vcc, s0, v3
	ds_write2st64_b32 v0, v15, v16 offset1:1
	ds_write2st64_b32 v0, v17, v18 offset0:2 offset1:3
	s_waitcnt lgkmcnt(0)
	s_barrier
	s_waitcnt lgkmcnt(0)
                                        ; implicit-def: $vgpr1
                                        ; implicit-def: $vgpr4_vgpr5
	s_and_saveexec_b64 s[0:1], vcc
	s_cbranch_execz .LBB14_47
; %bb.42:
	v_lshlrev_b32_e32 v2, 2, v3
	ds_read2st64_b32 v[0:1], v2 offset1:4
	ds_read2st64_b32 v[4:5], v2 offset0:8 offset1:12
	ds_read2st64_b32 v[6:7], v2 offset0:16 offset1:20
	;; [unrolled: 1-line block ×3, first 2 shown]
	s_waitcnt vmcnt(0)
	ds_read2st64_b32 v[10:11], v2 offset0:32 offset1:36
	s_waitcnt lgkmcnt(4)
	v_add_f32_e32 v0, v0, v1
	s_waitcnt lgkmcnt(3)
	v_add_f32_e32 v0, v4, v0
	v_add_f32_e32 v0, v5, v0
	s_waitcnt lgkmcnt(2)
	v_add_f32_e32 v0, v6, v0
	;; [unrolled: 3-line block ×3, first 2 shown]
	v_add_f32_e32 v4, v9, v0
	ds_read2st64_b32 v[0:1], v2 offset0:40 offset1:44
	s_waitcnt lgkmcnt(1)
	v_add_f32_e32 v6, v10, v4
	ds_read2st64_b32 v[4:5], v2 offset0:48 offset1:52
	v_add_f32_e32 v8, v11, v6
	ds_read2st64_b32 v[6:7], v2 offset0:56 offset1:60
	s_waitcnt lgkmcnt(2)
	v_add_f32_e32 v0, v0, v8
	v_add_f32_e32 v0, v1, v0
	s_waitcnt lgkmcnt(1)
	v_add_f32_e32 v0, v4, v0
	v_add_f32_e32 v0, v5, v0
	;; [unrolled: 3-line block ×3, first 2 shown]
	ds_write_b32 v2, v0
	v_or_b32_e32 v2, s31, v3
	v_cmp_gt_i32_e32 vcc, s12, v2
	s_mov_b64 s[4:5], s[10:11]
                                        ; implicit-def: $vgpr1
                                        ; implicit-def: $vgpr4_vgpr5
	s_and_saveexec_b64 s[2:3], vcc
	s_cbranch_execz .LBB14_46
; %bb.43:
	v_cmp_eq_f32_e64 s[4:5], s28, 0
	v_mul_lo_u32 v4, v2, s30
	v_mul_f32_e32 v1, s29, v0
	v_ashrrev_i32_e32 v5, 31, v4
	s_and_b64 vcc, exec, s[4:5]
	s_cbranch_vccnz .LBB14_45
; %bb.44:
	v_lshl_add_u64 v[2:3], v[4:5], 2, s[8:9]
	global_load_dword v0, v[2:3], off
	s_waitcnt vmcnt(0)
	v_fmac_f32_e32 v1, s28, v0
.LBB14_45:
	s_or_b64 s[4:5], s[10:11], exec
.LBB14_46:
	s_or_b64 exec, exec, s[2:3]
	s_andn2_b64 s[2:3], s[10:11], exec
	s_and_b64 s[4:5], s[4:5], exec
	s_or_b64 s[10:11], s[2:3], s[4:5]
.LBB14_47:
	s_or_b64 exec, exec, s[0:1]
.LBB14_48:
	s_and_saveexec_b64 s[0:1], s[10:11]
	s_cbranch_execz .LBB14_50
; %bb.49:
	v_lshl_add_u64 v[2:3], v[4:5], 2, s[8:9]
	global_store_dword v[2:3], v1, off
.LBB14_50:
	s_endpgm
	.section	.rodata,"a",@progbits
	.p2align	6, 0x0
	.amdhsa_kernel _ZL20rocblas_gemvn_kernelILi64ELi16EifPKffEviiT3_lPKT2_lT1_lS5_lS6_lS2_lPT4_lS6_li
		.amdhsa_group_segment_fixed_size 16384
		.amdhsa_private_segment_fixed_size 0
		.amdhsa_kernarg_size 400
		.amdhsa_user_sgpr_count 2
		.amdhsa_user_sgpr_dispatch_ptr 0
		.amdhsa_user_sgpr_queue_ptr 0
		.amdhsa_user_sgpr_kernarg_segment_ptr 1
		.amdhsa_user_sgpr_dispatch_id 0
		.amdhsa_user_sgpr_kernarg_preload_length 0
		.amdhsa_user_sgpr_kernarg_preload_offset 0
		.amdhsa_user_sgpr_private_segment_size 0
		.amdhsa_uses_dynamic_stack 0
		.amdhsa_enable_private_segment 0
		.amdhsa_system_sgpr_workgroup_id_x 1
		.amdhsa_system_sgpr_workgroup_id_y 0
		.amdhsa_system_sgpr_workgroup_id_z 1
		.amdhsa_system_sgpr_workgroup_info 0
		.amdhsa_system_vgpr_workitem_id 1
		.amdhsa_next_free_vgpr 45
		.amdhsa_next_free_sgpr 39
		.amdhsa_accum_offset 48
		.amdhsa_reserve_vcc 1
		.amdhsa_float_round_mode_32 0
		.amdhsa_float_round_mode_16_64 0
		.amdhsa_float_denorm_mode_32 3
		.amdhsa_float_denorm_mode_16_64 3
		.amdhsa_dx10_clamp 1
		.amdhsa_ieee_mode 1
		.amdhsa_fp16_overflow 0
		.amdhsa_tg_split 0
		.amdhsa_exception_fp_ieee_invalid_op 0
		.amdhsa_exception_fp_denorm_src 0
		.amdhsa_exception_fp_ieee_div_zero 0
		.amdhsa_exception_fp_ieee_overflow 0
		.amdhsa_exception_fp_ieee_underflow 0
		.amdhsa_exception_fp_ieee_inexact 0
		.amdhsa_exception_int_div_zero 0
	.end_amdhsa_kernel
	.section	.text._ZL20rocblas_gemvn_kernelILi64ELi16EifPKffEviiT3_lPKT2_lT1_lS5_lS6_lS2_lPT4_lS6_li,"axG",@progbits,_ZL20rocblas_gemvn_kernelILi64ELi16EifPKffEviiT3_lPKT2_lT1_lS5_lS6_lS2_lPT4_lS6_li,comdat
.Lfunc_end14:
	.size	_ZL20rocblas_gemvn_kernelILi64ELi16EifPKffEviiT3_lPKT2_lT1_lS5_lS6_lS2_lPT4_lS6_li, .Lfunc_end14-_ZL20rocblas_gemvn_kernelILi64ELi16EifPKffEviiT3_lPKT2_lT1_lS5_lS6_lS2_lPT4_lS6_li
                                        ; -- End function
	.section	.AMDGPU.csdata,"",@progbits
; Kernel info:
; codeLenInByte = 2424
; NumSgprs: 45
; NumVgprs: 45
; NumAgprs: 0
; TotalNumVgprs: 45
; ScratchSize: 0
; MemoryBound: 0
; FloatMode: 240
; IeeeMode: 1
; LDSByteSize: 16384 bytes/workgroup (compile time only)
; SGPRBlocks: 5
; VGPRBlocks: 5
; NumSGPRsForWavesPerEU: 45
; NumVGPRsForWavesPerEU: 45
; AccumOffset: 48
; Occupancy: 8
; WaveLimiterHint : 1
; COMPUTE_PGM_RSRC2:SCRATCH_EN: 0
; COMPUTE_PGM_RSRC2:USER_SGPR: 2
; COMPUTE_PGM_RSRC2:TRAP_HANDLER: 0
; COMPUTE_PGM_RSRC2:TGID_X_EN: 1
; COMPUTE_PGM_RSRC2:TGID_Y_EN: 0
; COMPUTE_PGM_RSRC2:TGID_Z_EN: 1
; COMPUTE_PGM_RSRC2:TIDIG_COMP_CNT: 1
; COMPUTE_PGM_RSRC3_GFX90A:ACCUM_OFFSET: 11
; COMPUTE_PGM_RSRC3_GFX90A:TG_SPLIT: 0
	.section	.text._ZL20rocblas_gemvn_kernelILi64ELi16ElfPKffEviiT3_lPKT2_lT1_lS5_lS6_lS2_lPT4_lS6_li,"axG",@progbits,_ZL20rocblas_gemvn_kernelILi64ELi16ElfPKffEviiT3_lPKT2_lT1_lS5_lS6_lS2_lPT4_lS6_li,comdat
	.globl	_ZL20rocblas_gemvn_kernelILi64ELi16ElfPKffEviiT3_lPKT2_lT1_lS5_lS6_lS2_lPT4_lS6_li ; -- Begin function _ZL20rocblas_gemvn_kernelILi64ELi16ElfPKffEviiT3_lPKT2_lT1_lS5_lS6_lS2_lPT4_lS6_li
	.p2align	8
	.type	_ZL20rocblas_gemvn_kernelILi64ELi16ElfPKffEviiT3_lPKT2_lT1_lS5_lS6_lS2_lPT4_lS6_li,@function
_ZL20rocblas_gemvn_kernelILi64ELi16ElfPKffEviiT3_lPKT2_lT1_lS5_lS6_lS2_lPT4_lS6_li: ; @_ZL20rocblas_gemvn_kernelILi64ELi16ElfPKffEviiT3_lPKT2_lT1_lS5_lS6_lS2_lPT4_lS6_li
; %bb.0:
	s_load_dwordx2 s[4:5], s[0:1], 0x9c
	s_waitcnt lgkmcnt(0)
	s_lshr_b32 s6, s4, 16
	s_and_b32 s4, s4, 0xffff
	s_and_b32 s5, s5, 0xffff
	s_mul_i32 s4, s6, s4
	s_mul_i32 s4, s4, s5
	s_cmpk_lg_i32 s4, 0x400
	s_cbranch_scc1 .LBB15_50
; %bb.1:
	s_load_dwordx16 s[36:51], s[0:1], 0x8
	s_load_dwordx16 s[8:23], s[0:1], 0x48
	s_waitcnt lgkmcnt(0)
	s_mul_i32 s5, s3, s39
	s_mul_hi_u32 s6, s3, s38
	s_mul_i32 s4, s3, s38
	s_add_i32 s5, s6, s5
	s_lshl_b64 s[4:5], s[4:5], 2
	s_add_u32 s4, s36, s4
	s_addc_u32 s5, s37, s5
	s_mul_i32 s7, s3, s15
	s_load_dword s52, s[4:5], 0x0
	s_mul_hi_u32 s4, s3, s14
	s_add_i32 s5, s4, s7
	s_mul_i32 s4, s3, s14
	s_lshl_b64 s[4:5], s[4:5], 2
	s_add_u32 s4, s12, s4
	s_addc_u32 s5, s13, s5
	s_load_dword s33, s[4:5], 0x0
	s_waitcnt lgkmcnt(0)
	v_cmp_eq_f32_e64 s[4:5], s52, 0
	v_cmp_eq_f32_e64 s[6:7], s33, 1.0
	s_and_b64 s[4:5], s[4:5], s[6:7]
	s_and_b64 vcc, exec, s[4:5]
	s_cbranch_vccnz .LBB15_50
; %bb.2:
	s_load_dwordx2 s[14:15], s[0:1], 0x0
	s_mul_i32 s0, s3, s23
	s_mul_hi_u32 s1, s3, s22
	s_add_i32 s1, s1, s0
	s_mul_i32 s0, s3, s22
	s_lshl_b64 s[0:1], s[0:1], 2
	s_add_u32 s4, s16, s0
	s_addc_u32 s5, s17, s1
	s_lshl_b64 s[0:1], s[18:19], 2
	s_add_u32 s12, s4, s0
	s_addc_u32 s13, s5, s1
	v_and_b32_e32 v29, 0x3ff, v0
	v_bfe_u32 v30, v0, 10, 10
	v_cmp_neq_f32_e64 s[0:1], s52, 0
	v_lshl_add_u32 v28, v30, 6, v29
	s_and_b64 vcc, exec, s[0:1]
	s_cbranch_vccnz .LBB15_9
; %bb.3:
	s_movk_i32 s0, 0x100
	v_cmp_gt_u32_e32 vcc, s0, v28
	s_mov_b64 s[0:1], 0
	s_mov_b64 s[16:17], 0
                                        ; implicit-def: $vgpr1
                                        ; implicit-def: $vgpr2_vgpr3
	s_and_saveexec_b64 s[4:5], vcc
	s_cbranch_execz .LBB15_10
; %bb.4:
	v_lshl_or_b32 v0, s2, 8, v28
	v_mov_b32_e32 v1, 0
	s_waitcnt lgkmcnt(0)
	s_ashr_i32 s7, s14, 31
	s_mov_b32 s6, s14
	v_cmp_gt_i64_e32 vcc, s[6:7], v[0:1]
                                        ; implicit-def: $vgpr2_vgpr3
	s_and_saveexec_b64 s[6:7], vcc
	s_cbranch_execz .LBB15_8
; %bb.5:
	v_mad_u64_u32 v[2:3], s[18:19], v0, s20, 0
	v_mov_b32_e32 v4, v3
	v_cmp_eq_f32_e64 s[16:17], s33, 0
	v_mad_u64_u32 v[4:5], s[18:19], v0, s21, v[4:5]
	v_mov_b32_e32 v3, v4
	s_and_b64 vcc, exec, s[16:17]
	s_cbranch_vccnz .LBB15_7
; %bb.6:
	v_lshl_add_u64 v[0:1], v[2:3], 2, s[12:13]
	global_load_dword v0, v[0:1], off
	s_waitcnt vmcnt(0)
	v_mul_f32_e32 v1, s33, v0
.LBB15_7:
	s_mov_b64 s[16:17], exec
.LBB15_8:
	s_or_b64 exec, exec, s[6:7]
	s_and_b64 s[16:17], s[16:17], exec
	s_or_b64 exec, exec, s[4:5]
	s_and_b64 vcc, exec, s[0:1]
	s_cbranch_vccnz .LBB15_11
	s_branch .LBB15_48
.LBB15_9:
	s_mov_b64 s[16:17], 0
                                        ; implicit-def: $vgpr1
                                        ; implicit-def: $vgpr2_vgpr3
	s_cbranch_execnz .LBB15_11
	s_branch .LBB15_48
.LBB15_10:
	s_or_b64 exec, exec, s[4:5]
	s_and_b64 vcc, exec, s[0:1]
	s_cbranch_vccz .LBB15_48
.LBB15_11:
	s_mul_i32 s0, s3, s47
	s_mul_hi_u32 s1, s3, s46
	s_add_i32 s19, s1, s0
	s_mul_i32 s0, s3, s11
	s_mul_hi_u32 s1, s3, s10
	s_add_i32 s11, s1, s0
	s_waitcnt lgkmcnt(0)
	s_ashr_i32 s0, s15, 31
	s_lshr_b32 s0, s0, 26
	s_add_i32 s47, s15, s0
	s_mul_i32 s18, s3, s46
	s_lshl_b32 s46, s2, 8
	s_andn2_b32 s47, s47, 63
	v_lshlrev_b32_e32 v35, 2, v30
	s_mul_i32 s10, s3, s10
	v_add_u32_e32 v0, s46, v29
	v_cmp_gt_i32_e32 vcc, s47, v35
	v_mov_b32_e32 v31, 0
	v_mov_b32_e32 v32, 0
	;; [unrolled: 1-line block ×4, first 2 shown]
	s_and_saveexec_b64 s[22:23], vcc
	s_cbranch_execz .LBB15_23
; %bb.12:
	v_add_u32_e32 v2, 64, v0
	v_cmp_gt_i32_e64 s[0:1], s14, v2
	v_add_u32_e32 v2, 0x80, v0
	v_cmp_gt_i32_e64 s[2:3], s14, v2
	;; [unrolled: 2-line block ×3, first 2 shown]
	v_mad_u64_u32 v[2:3], s[6:7], s8, v30, 0
	v_mov_b32_e32 v4, v3
	v_ashrrev_i32_e32 v1, 31, v0
	v_mad_u64_u32 v[4:5], s[6:7], s9, v30, v[4:5]
	v_mov_b32_e32 v3, v4
	v_lshlrev_b64 v[4:5], 2, v[0:1]
	v_lshlrev_b32_e32 v1, 2, v30
	v_or_b32_e32 v11, 3, v1
	v_mad_u64_u32 v[6:7], s[28:29], s44, v11, 0
	v_mov_b32_e32 v8, v7
	v_mad_u64_u32 v[8:9], s[28:29], s45, v11, v[8:9]
	v_mov_b32_e32 v7, v8
	;; [unrolled: 2-line block ×5, first 2 shown]
	v_mad_u64_u32 v[12:13], s[34:35], s45, v30, v[12:13]
	v_or_b32_e32 v17, 2, v1
	v_mov_b32_e32 v11, v12
	v_mad_u64_u32 v[12:13], s[34:35], s44, v17, 0
	v_mov_b32_e32 v14, v13
	v_mad_u64_u32 v[14:15], s[34:35], s45, v17, v[14:15]
	;; [unrolled: 2-line block ×4, first 2 shown]
	v_mov_b32_e32 v15, v16
	v_mov_b64_e32 v[16:17], s[8:9]
	v_mad_u64_u32 v[16:17], s[34:35], s8, v1, v[16:17]
	s_lshl_b64 s[24:25], s[50:51], 2
	s_lshl_b64 s[6:7], s[10:11], 2
	v_mov_b32_e32 v18, v17
	s_add_u32 s6, s48, s6
	v_mad_u64_u32 v[18:19], s[34:35], s9, v1, v[18:19]
	s_addc_u32 s7, s49, s7
	s_lshl_b64 s[26:27], s[8:9], 8
	s_lshl_b64 s[28:29], s[18:19], 2
	;; [unrolled: 1-line block ×3, first 2 shown]
	v_mov_b32_e32 v17, v18
	v_mov_b64_e32 v[18:19], s[44:45]
	v_lshl_add_u64 v[2:3], v[2:3], 4, s[6:7]
	s_add_u32 s30, s40, s30
	v_lshl_add_u64 v[8:9], v[8:9], 2, s[6:7]
	v_lshl_add_u64 v[14:15], v[14:15], 2, s[6:7]
	;; [unrolled: 1-line block ×3, first 2 shown]
	v_mad_u64_u32 v[18:19], s[6:7], s44, v1, v[18:19]
	s_addc_u32 s31, s41, s31
	v_mov_b32_e32 v20, v19
	s_add_u32 s30, s30, s28
	v_mad_u64_u32 v[20:21], s[6:7], s45, v1, v[20:21]
	s_addc_u32 s31, s31, s29
	v_mov_b32_e32 v19, v20
	v_cmp_gt_i32_e32 vcc, s14, v0
	v_lshl_add_u64 v[6:7], v[6:7], 2, s[30:31]
	s_lshl_b64 s[28:29], s[44:45], 8
	v_lshl_add_u64 v[10:11], v[10:11], 4, s[30:31]
	v_lshl_add_u64 v[12:13], v[12:13], 2, s[30:31]
	;; [unrolled: 1-line block ×3, first 2 shown]
	s_mov_b64 s[30:31], 0
	v_mov_b32_e32 v31, 0
	v_mov_b32_e32 v32, 0
	;; [unrolled: 1-line block ×4, first 2 shown]
	s_branch .LBB15_17
.LBB15_13:                              ;   in Loop: Header=BB15_17 Depth=1
	s_or_b64 exec, exec, s[38:39]
	s_waitcnt vmcnt(3)
	v_fmac_f32_e32 v33, v1, v50
	s_waitcnt vmcnt(2)
	v_fmac_f32_e32 v33, v36, v49
	;; [unrolled: 2-line block ×4, first 2 shown]
.LBB15_14:                              ;   in Loop: Header=BB15_17 Depth=1
	s_or_b64 exec, exec, s[36:37]
	s_waitcnt vmcnt(3)
	v_fmac_f32_e32 v32, v1, v46
	s_waitcnt vmcnt(2)
	v_fmac_f32_e32 v32, v36, v45
	s_waitcnt vmcnt(1)
	v_fmac_f32_e32 v32, v37, v44
	s_waitcnt vmcnt(0)
	v_fmac_f32_e32 v32, v38, v43
.LBB15_15:                              ;   in Loop: Header=BB15_17 Depth=1
	s_or_b64 exec, exec, s[34:35]
	s_waitcnt vmcnt(3)
	v_fmac_f32_e32 v31, v1, v39
	s_waitcnt vmcnt(2)
	v_fmac_f32_e32 v31, v36, v40
	;; [unrolled: 2-line block ×4, first 2 shown]
.LBB15_16:                              ;   in Loop: Header=BB15_17 Depth=1
	s_or_b64 exec, exec, s[6:7]
	v_add_u32_e32 v35, 64, v35
	v_cmp_le_i32_e64 s[6:7], s47, v35
	v_lshl_add_u64 v[2:3], v[2:3], 0, s[26:27]
	v_lshl_add_u64 v[6:7], v[6:7], 0, s[28:29]
	;; [unrolled: 1-line block ×7, first 2 shown]
	s_or_b64 s[30:31], s[6:7], s[30:31]
	v_lshl_add_u64 v[18:19], v[18:19], 0, s[28:29]
	s_andn2_b64 exec, exec, s[30:31]
	s_cbranch_execz .LBB15_22
.LBB15_17:                              ; =>This Inner Loop Header: Depth=1
	s_and_saveexec_b64 s[6:7], vcc
	s_cbranch_execz .LBB15_16
; %bb.18:                               ;   in Loop: Header=BB15_17 Depth=1
	v_lshl_add_u64 v[20:21], v[2:3], 0, s[24:25]
	global_load_dword v1, v[20:21], off
	v_lshl_add_u64 v[20:21], v[16:17], 0, s[24:25]
	global_load_dword v36, v[20:21], off
	v_lshl_add_u64 v[20:21], v[14:15], 0, s[24:25]
	global_load_dword v37, v[20:21], off
	v_lshl_add_u64 v[20:21], v[8:9], 0, s[24:25]
	global_load_dword v38, v[20:21], off
	v_lshl_add_u64 v[26:27], v[10:11], 0, v[4:5]
	v_lshl_add_u64 v[24:25], v[18:19], 0, v[4:5]
	;; [unrolled: 1-line block ×4, first 2 shown]
	global_load_dword v39, v[26:27], off
	global_load_dword v40, v[24:25], off
	;; [unrolled: 1-line block ×4, first 2 shown]
	s_and_saveexec_b64 s[34:35], s[0:1]
	s_cbranch_execz .LBB15_15
; %bb.19:                               ;   in Loop: Header=BB15_17 Depth=1
	global_load_dword v46, v[26:27], off offset:256
	global_load_dword v45, v[24:25], off offset:256
	;; [unrolled: 1-line block ×4, first 2 shown]
	s_and_saveexec_b64 s[36:37], s[2:3]
	s_cbranch_execz .LBB15_14
; %bb.20:                               ;   in Loop: Header=BB15_17 Depth=1
	global_load_dword v50, v[26:27], off offset:512
	global_load_dword v49, v[24:25], off offset:512
	;; [unrolled: 1-line block ×4, first 2 shown]
	s_and_saveexec_b64 s[38:39], s[4:5]
	s_cbranch_execz .LBB15_13
; %bb.21:                               ;   in Loop: Header=BB15_17 Depth=1
	global_load_dword v26, v[26:27], off offset:768
	s_nop 0
	global_load_dword v24, v[24:25], off offset:768
	s_nop 0
	;; [unrolled: 2-line block ×3, first 2 shown]
	global_load_dword v20, v[20:21], off offset:768
	s_waitcnt vmcnt(3)
	v_fmac_f32_e32 v34, v1, v26
	s_waitcnt vmcnt(2)
	v_fmac_f32_e32 v34, v36, v24
	;; [unrolled: 2-line block ×4, first 2 shown]
	s_branch .LBB15_13
.LBB15_22:
	s_or_b64 exec, exec, s[30:31]
.LBB15_23:
	s_or_b64 exec, exec, s[22:23]
	s_sub_i32 s0, s15, s47
	s_cmp_lt_i32 s0, 1
	s_cbranch_scc1 .LBB15_41
; %bb.24:
	v_cmp_gt_i32_e32 vcc, s15, v35
	v_mov_b32_e32 v11, 0
	v_or_b32_e32 v4, 1, v35
	v_mov_b32_e32 v13, 0
	v_mov_b32_e32 v12, 0
	;; [unrolled: 1-line block ×3, first 2 shown]
	s_and_saveexec_b64 s[2:3], vcc
	s_cbranch_execz .LBB15_32
; %bb.25:
	s_lshl_b64 s[0:1], s[10:11], 2
	s_add_u32 s4, s48, s0
	s_addc_u32 s5, s49, s1
	s_lshl_b64 s[0:1], s[50:51], 2
	s_add_u32 s4, s4, s0
	s_addc_u32 s5, s5, s1
	v_mad_u64_u32 v[2:3], s[0:1], v35, s8, 0
	v_mov_b32_e32 v6, v3
	v_mad_u64_u32 v[6:7], s[0:1], v35, s9, v[6:7]
	v_mov_b32_e32 v3, v6
	v_lshl_add_u64 v[2:3], v[2:3], 2, s[4:5]
	global_load_dword v10, v[2:3], off
	v_cmp_gt_i32_e64 s[0:1], s15, v4
	v_mov_b32_e32 v12, 0
	v_mov_b32_e32 v13, 0
	;; [unrolled: 1-line block ×3, first 2 shown]
	s_and_saveexec_b64 s[6:7], s[0:1]
	s_cbranch_execz .LBB15_31
; %bb.26:
	v_mad_u64_u32 v[2:3], s[0:1], v4, s8, 0
	v_mov_b32_e32 v6, v3
	v_mad_u64_u32 v[6:7], s[0:1], v4, s9, v[6:7]
	v_mov_b32_e32 v3, v6
	v_lshl_add_u64 v[2:3], v[2:3], 2, s[4:5]
	global_load_dword v12, v[2:3], off
	v_or_b32_e32 v1, 2, v35
	v_cmp_gt_i32_e64 s[0:1], s15, v1
	v_mov_b32_e32 v13, 0
	v_mov_b32_e32 v11, 0
	s_and_saveexec_b64 s[10:11], s[0:1]
	s_cbranch_execz .LBB15_30
; %bb.27:
	v_mad_u64_u32 v[2:3], s[0:1], v1, s8, 0
	v_mov_b32_e32 v6, v3
	v_mad_u64_u32 v[6:7], s[0:1], v1, s9, v[6:7]
	v_mov_b32_e32 v3, v6
	v_lshl_add_u64 v[2:3], v[2:3], 2, s[4:5]
	global_load_dword v13, v[2:3], off
	v_or_b32_e32 v1, 3, v35
	v_cmp_gt_i32_e64 s[0:1], s15, v1
	v_mov_b32_e32 v11, 0
	s_and_saveexec_b64 s[22:23], s[0:1]
	s_cbranch_execz .LBB15_29
; %bb.28:
	v_mad_u64_u32 v[2:3], s[0:1], v1, s8, 0
	v_mov_b32_e32 v6, v3
	v_mad_u64_u32 v[6:7], s[0:1], v1, s9, v[6:7]
	v_mov_b32_e32 v3, v6
	v_lshl_add_u64 v[2:3], v[2:3], 2, s[4:5]
	global_load_dword v11, v[2:3], off
.LBB15_29:
	s_or_b64 exec, exec, s[22:23]
.LBB15_30:
	s_or_b64 exec, exec, s[10:11]
.LBB15_31:
	s_or_b64 exec, exec, s[6:7]
.LBB15_32:
	s_or_b64 exec, exec, s[2:3]
	v_cmp_gt_i32_e64 s[0:1], s14, v0
	s_and_saveexec_b64 s[2:3], s[0:1]
	s_cbranch_execz .LBB15_40
; %bb.33:
	s_lshl_b64 s[0:1], s[18:19], 2
	s_add_u32 s4, s40, s0
	s_addc_u32 s5, s41, s1
	s_lshl_b64 s[0:1], s[42:43], 2
	s_add_u32 s0, s4, s0
	s_addc_u32 s1, s5, s1
	v_mad_u64_u32 v[2:3], s[4:5], v35, s44, 0
	v_mov_b32_e32 v6, v3
	v_mad_u64_u32 v[6:7], s[4:5], v35, s45, v[6:7]
	v_ashrrev_i32_e32 v1, 31, v0
	v_cndmask_b32_e32 v3, 0, v6, vcc
	v_mad_u64_u32 v[6:7], s[4:5], v4, s44, 0
	v_cndmask_b32_e32 v2, 0, v2, vcc
	v_lshlrev_b64 v[8:9], 2, v[0:1]
	v_mov_b32_e32 v14, v7
	v_cmp_gt_i32_e32 vcc, s15, v4
	v_or_b32_e32 v1, 2, v35
	v_mad_u64_u32 v[14:15], s[4:5], v4, s45, v[14:15]
	v_cndmask_b32_e32 v4, 0, v6, vcc
	v_mad_u64_u32 v[6:7], s[4:5], v1, s44, 0
	v_cndmask_b32_e32 v5, 0, v14, vcc
	v_mov_b32_e32 v14, v7
	v_mad_u64_u32 v[14:15], s[4:5], v1, s45, v[14:15]
	v_cmp_gt_i32_e32 vcc, s15, v1
	v_or_b32_e32 v1, 3, v35
	v_lshl_add_u64 v[2:3], v[2:3], 2, s[0:1]
	v_cndmask_b32_e32 v7, 0, v14, vcc
	v_mad_u64_u32 v[14:15], s[4:5], v1, s44, 0
	v_mov_b32_e32 v16, v15
	v_cndmask_b32_e32 v6, 0, v6, vcc
	v_mad_u64_u32 v[16:17], s[4:5], v1, s45, v[16:17]
	v_cmp_gt_i32_e32 vcc, s15, v1
	v_lshl_add_u64 v[2:3], v[2:3], 0, v[8:9]
	v_lshl_add_u64 v[4:5], v[4:5], 2, s[0:1]
	v_cndmask_b32_e32 v14, 0, v14, vcc
	v_cndmask_b32_e32 v15, 0, v16, vcc
	v_lshl_add_u64 v[6:7], v[6:7], 2, s[0:1]
	v_lshl_add_u64 v[14:15], v[14:15], 2, s[0:1]
	;; [unrolled: 1-line block ×4, first 2 shown]
	global_load_dword v16, v[2:3], off
	global_load_dword v17, v[4:5], off
	;; [unrolled: 1-line block ×3, first 2 shown]
	v_lshl_add_u64 v[8:9], v[14:15], 0, v[8:9]
	global_load_dword v1, v[8:9], off
	v_add_u32_e32 v14, 64, v0
	v_cmp_gt_i32_e32 vcc, s14, v14
	s_waitcnt vmcnt(3)
	v_fmac_f32_e32 v31, v10, v16
	s_waitcnt vmcnt(2)
	v_fmac_f32_e32 v31, v12, v17
	s_waitcnt vmcnt(1)
	v_fmac_f32_e32 v31, v13, v18
	s_and_saveexec_b64 s[0:1], vcc
	s_cbranch_execz .LBB15_39
; %bb.34:
	global_load_dword v15, v[2:3], off offset:256
	global_load_dword v16, v[4:5], off offset:256
	global_load_dword v17, v[6:7], off offset:256
	global_load_dword v14, v[8:9], off offset:256
	v_add_u32_e32 v18, 0x80, v0
	v_cmp_gt_i32_e32 vcc, s14, v18
	s_waitcnt vmcnt(3)
	v_fmac_f32_e32 v32, v10, v15
	s_waitcnt vmcnt(2)
	v_fmac_f32_e32 v32, v12, v16
	s_waitcnt vmcnt(1)
	v_fmac_f32_e32 v32, v13, v17
	s_and_saveexec_b64 s[4:5], vcc
	s_cbranch_execz .LBB15_38
; %bb.35:
	global_load_dword v16, v[2:3], off offset:512
	global_load_dword v17, v[4:5], off offset:512
	global_load_dword v18, v[6:7], off offset:512
	global_load_dword v15, v[8:9], off offset:512
	;; [unrolled: 15-line block ×3, first 2 shown]
	s_waitcnt vmcnt(3)
	v_fmac_f32_e32 v34, v10, v0
	s_waitcnt vmcnt(2)
	v_fmac_f32_e32 v34, v12, v16
	;; [unrolled: 2-line block ×4, first 2 shown]
.LBB15_37:
	s_or_b64 exec, exec, s[6:7]
	s_waitcnt vmcnt(0)
	v_fmac_f32_e32 v33, v11, v15
.LBB15_38:
	s_or_b64 exec, exec, s[4:5]
	s_waitcnt vmcnt(0)
	v_fmac_f32_e32 v32, v11, v14
.LBB15_39:
	s_or_b64 exec, exec, s[0:1]
	s_waitcnt vmcnt(0)
	v_fmac_f32_e32 v31, v11, v1
.LBB15_40:
	s_or_b64 exec, exec, s[2:3]
.LBB15_41:
	v_lshlrev_b32_e32 v0, 8, v30
	s_movk_i32 s0, 0x100
	v_add_lshl_u32 v0, v0, v29, 2
	v_cmp_gt_u32_e32 vcc, s0, v28
	ds_write2st64_b32 v0, v31, v32 offset1:1
	ds_write2st64_b32 v0, v33, v34 offset0:2 offset1:3
	s_waitcnt lgkmcnt(0)
	s_barrier
	s_waitcnt lgkmcnt(0)
                                        ; implicit-def: $vgpr1
                                        ; implicit-def: $vgpr2_vgpr3
	s_and_saveexec_b64 s[0:1], vcc
	s_cbranch_execz .LBB15_47
; %bb.42:
	s_waitcnt vmcnt(0)
	v_lshlrev_b32_e32 v10, 2, v28
	ds_read2st64_b32 v[0:1], v10 offset1:4
	ds_read2st64_b32 v[2:3], v10 offset0:8 offset1:12
	ds_read2st64_b32 v[4:5], v10 offset0:16 offset1:20
	;; [unrolled: 1-line block ×4, first 2 shown]
	s_waitcnt lgkmcnt(4)
	v_add_f32_e32 v0, v0, v1
	s_waitcnt lgkmcnt(3)
	v_add_f32_e32 v0, v2, v0
	v_add_f32_e32 v0, v3, v0
	s_waitcnt lgkmcnt(2)
	v_add_f32_e32 v0, v4, v0
	v_add_f32_e32 v0, v5, v0
	s_waitcnt lgkmcnt(1)
	v_add_f32_e32 v0, v6, v0
	v_add_f32_e32 v2, v7, v0
	ds_read2st64_b32 v[0:1], v10 offset0:40 offset1:44
	s_waitcnt lgkmcnt(1)
	v_add_f32_e32 v4, v8, v2
	ds_read2st64_b32 v[2:3], v10 offset0:48 offset1:52
	v_add_f32_e32 v6, v9, v4
	ds_read2st64_b32 v[4:5], v10 offset0:56 offset1:60
	s_waitcnt lgkmcnt(2)
	v_add_f32_e32 v0, v0, v6
	v_add_f32_e32 v0, v1, v0
	s_waitcnt lgkmcnt(1)
	v_add_f32_e32 v0, v2, v0
	v_add_f32_e32 v0, v3, v0
	;; [unrolled: 3-line block ×3, first 2 shown]
	v_or_b32_e32 v0, s46, v28
	v_cmp_gt_i32_e32 vcc, s14, v0
	s_mov_b64 s[4:5], s[16:17]
	ds_write_b32 v10, v4
                                        ; implicit-def: $vgpr1
                                        ; implicit-def: $vgpr2_vgpr3
	s_and_saveexec_b64 s[2:3], vcc
	s_cbranch_execz .LBB15_46
; %bb.43:
	v_ashrrev_i32_e32 v2, 31, v0
	v_cmp_eq_f32_e64 s[4:5], s33, 0
	v_mul_f32_e32 v1, s52, v4
	v_mul_lo_u32 v4, v0, s21
	v_mul_lo_u32 v5, v2, s20
	v_mad_u64_u32 v[2:3], s[6:7], v0, s20, 0
	v_add3_u32 v3, v3, v4, v5
	s_and_b64 vcc, exec, s[4:5]
	s_cbranch_vccnz .LBB15_45
; %bb.44:
	v_lshl_add_u64 v[4:5], v[2:3], 2, s[12:13]
	global_load_dword v0, v[4:5], off
	s_waitcnt vmcnt(0)
	v_fmac_f32_e32 v1, s33, v0
.LBB15_45:
	s_or_b64 s[4:5], s[16:17], exec
.LBB15_46:
	s_or_b64 exec, exec, s[2:3]
	s_andn2_b64 s[2:3], s[16:17], exec
	s_and_b64 s[4:5], s[4:5], exec
	s_or_b64 s[16:17], s[2:3], s[4:5]
.LBB15_47:
	s_or_b64 exec, exec, s[0:1]
.LBB15_48:
	s_and_saveexec_b64 s[0:1], s[16:17]
	s_cbranch_execz .LBB15_50
; %bb.49:
	v_lshl_add_u64 v[2:3], v[2:3], 2, s[12:13]
	global_store_dword v[2:3], v1, off
.LBB15_50:
	s_endpgm
	.section	.rodata,"a",@progbits
	.p2align	6, 0x0
	.amdhsa_kernel _ZL20rocblas_gemvn_kernelILi64ELi16ElfPKffEviiT3_lPKT2_lT1_lS5_lS6_lS2_lPT4_lS6_li
		.amdhsa_group_segment_fixed_size 16384
		.amdhsa_private_segment_fixed_size 0
		.amdhsa_kernarg_size 400
		.amdhsa_user_sgpr_count 2
		.amdhsa_user_sgpr_dispatch_ptr 0
		.amdhsa_user_sgpr_queue_ptr 0
		.amdhsa_user_sgpr_kernarg_segment_ptr 1
		.amdhsa_user_sgpr_dispatch_id 0
		.amdhsa_user_sgpr_kernarg_preload_length 0
		.amdhsa_user_sgpr_kernarg_preload_offset 0
		.amdhsa_user_sgpr_private_segment_size 0
		.amdhsa_uses_dynamic_stack 0
		.amdhsa_enable_private_segment 0
		.amdhsa_system_sgpr_workgroup_id_x 1
		.amdhsa_system_sgpr_workgroup_id_y 0
		.amdhsa_system_sgpr_workgroup_id_z 1
		.amdhsa_system_sgpr_workgroup_info 0
		.amdhsa_system_vgpr_workitem_id 1
		.amdhsa_next_free_vgpr 51
		.amdhsa_next_free_sgpr 53
		.amdhsa_accum_offset 52
		.amdhsa_reserve_vcc 1
		.amdhsa_float_round_mode_32 0
		.amdhsa_float_round_mode_16_64 0
		.amdhsa_float_denorm_mode_32 3
		.amdhsa_float_denorm_mode_16_64 3
		.amdhsa_dx10_clamp 1
		.amdhsa_ieee_mode 1
		.amdhsa_fp16_overflow 0
		.amdhsa_tg_split 0
		.amdhsa_exception_fp_ieee_invalid_op 0
		.amdhsa_exception_fp_denorm_src 0
		.amdhsa_exception_fp_ieee_div_zero 0
		.amdhsa_exception_fp_ieee_overflow 0
		.amdhsa_exception_fp_ieee_underflow 0
		.amdhsa_exception_fp_ieee_inexact 0
		.amdhsa_exception_int_div_zero 0
	.end_amdhsa_kernel
	.section	.text._ZL20rocblas_gemvn_kernelILi64ELi16ElfPKffEviiT3_lPKT2_lT1_lS5_lS6_lS2_lPT4_lS6_li,"axG",@progbits,_ZL20rocblas_gemvn_kernelILi64ELi16ElfPKffEviiT3_lPKT2_lT1_lS5_lS6_lS2_lPT4_lS6_li,comdat
.Lfunc_end15:
	.size	_ZL20rocblas_gemvn_kernelILi64ELi16ElfPKffEviiT3_lPKT2_lT1_lS5_lS6_lS2_lPT4_lS6_li, .Lfunc_end15-_ZL20rocblas_gemvn_kernelILi64ELi16ElfPKffEviiT3_lPKT2_lT1_lS5_lS6_lS2_lPT4_lS6_li
                                        ; -- End function
	.section	.AMDGPU.csdata,"",@progbits
; Kernel info:
; codeLenInByte = 2728
; NumSgprs: 59
; NumVgprs: 51
; NumAgprs: 0
; TotalNumVgprs: 51
; ScratchSize: 0
; MemoryBound: 0
; FloatMode: 240
; IeeeMode: 1
; LDSByteSize: 16384 bytes/workgroup (compile time only)
; SGPRBlocks: 7
; VGPRBlocks: 6
; NumSGPRsForWavesPerEU: 59
; NumVGPRsForWavesPerEU: 51
; AccumOffset: 52
; Occupancy: 8
; WaveLimiterHint : 0
; COMPUTE_PGM_RSRC2:SCRATCH_EN: 0
; COMPUTE_PGM_RSRC2:USER_SGPR: 2
; COMPUTE_PGM_RSRC2:TRAP_HANDLER: 0
; COMPUTE_PGM_RSRC2:TGID_X_EN: 1
; COMPUTE_PGM_RSRC2:TGID_Y_EN: 0
; COMPUTE_PGM_RSRC2:TGID_Z_EN: 1
; COMPUTE_PGM_RSRC2:TIDIG_COMP_CNT: 1
; COMPUTE_PGM_RSRC3_GFX90A:ACCUM_OFFSET: 12
; COMPUTE_PGM_RSRC3_GFX90A:TG_SPLIT: 0
	.section	.text._ZL20rocblas_gemvn_kernelILi64ELi16EifffEviiT3_lPKT2_lT1_lS3_lS4_lS0_lPT4_lS4_li,"axG",@progbits,_ZL20rocblas_gemvn_kernelILi64ELi16EifffEviiT3_lPKT2_lT1_lS3_lS4_lS0_lPT4_lS4_li,comdat
	.globl	_ZL20rocblas_gemvn_kernelILi64ELi16EifffEviiT3_lPKT2_lT1_lS3_lS4_lS0_lPT4_lS4_li ; -- Begin function _ZL20rocblas_gemvn_kernelILi64ELi16EifffEviiT3_lPKT2_lT1_lS3_lS4_lS0_lPT4_lS4_li
	.p2align	8
	.type	_ZL20rocblas_gemvn_kernelILi64ELi16EifffEviiT3_lPKT2_lT1_lS3_lS4_lS0_lPT4_lS4_li,@function
_ZL20rocblas_gemvn_kernelILi64ELi16EifffEviiT3_lPKT2_lT1_lS3_lS4_lS0_lPT4_lS4_li: ; @_ZL20rocblas_gemvn_kernelILi64ELi16EifffEviiT3_lPKT2_lT1_lS3_lS4_lS0_lPT4_lS4_li
; %bb.0:
	s_load_dwordx2 s[4:5], s[0:1], 0x9c
	s_waitcnt lgkmcnt(0)
	s_lshr_b32 s6, s4, 16
	s_and_b32 s4, s4, 0xffff
	s_and_b32 s5, s5, 0xffff
	s_mul_i32 s4, s6, s4
	s_mul_i32 s4, s4, s5
	s_cmpk_lg_i32 s4, 0x400
	s_cbranch_scc1 .LBB16_50
; %bb.1:
	s_load_dwordx4 s[8:11], s[0:1], 0x0
	s_waitcnt lgkmcnt(0)
	s_load_dword s11, s[0:1], 0x58
	v_cmp_eq_f32_e64 s[4:5], s10, 0
	s_waitcnt lgkmcnt(0)
	v_cmp_eq_f32_e64 s[6:7], s11, 1.0
	s_and_b64 s[4:5], s[4:5], s[6:7]
	s_and_b64 vcc, exec, s[4:5]
	s_cbranch_vccnz .LBB16_50
; %bb.2:
	s_load_dwordx2 s[12:13], s[0:1], 0x80
	s_load_dwordx4 s[4:7], s[0:1], 0x68
	s_load_dword s30, s[0:1], 0x78
	v_and_b32_e32 v2, 0x3ff, v0
	v_bfe_u32 v14, v0, 10, 10
	s_waitcnt lgkmcnt(0)
	s_mul_i32 s13, s3, s13
	s_mul_hi_u32 s14, s3, s12
	s_mul_i32 s12, s3, s12
	s_add_i32 s13, s14, s13
	s_lshl_b64 s[12:13], s[12:13], 2
	s_add_u32 s12, s4, s12
	s_addc_u32 s13, s5, s13
	s_lshl_b64 s[4:5], s[6:7], 2
	s_add_u32 s12, s12, s4
	s_addc_u32 s13, s13, s5
	v_cmp_neq_f32_e64 s[4:5], s10, 0
	v_lshl_add_u32 v3, v14, 6, v2
	s_and_b64 vcc, exec, s[4:5]
	s_cbranch_vccnz .LBB16_9
; %bb.3:
	s_movk_i32 s4, 0x100
	v_cmp_gt_u32_e32 vcc, s4, v3
	s_mov_b64 s[4:5], 0
	s_mov_b64 s[14:15], 0
                                        ; implicit-def: $vgpr1
                                        ; implicit-def: $vgpr4_vgpr5
	s_and_saveexec_b64 s[6:7], vcc
	s_cbranch_execz .LBB16_10
; %bb.4:
	v_lshl_or_b32 v0, s2, 8, v3
	v_mov_b32_e32 v1, 0
	s_ashr_i32 s15, s8, 31
	s_mov_b32 s14, s8
	v_cmp_gt_i64_e32 vcc, s[14:15], v[0:1]
	s_mov_b64 s[16:17], 0
                                        ; implicit-def: $vgpr4_vgpr5
	s_and_saveexec_b64 s[14:15], vcc
	s_cbranch_execz .LBB16_8
; %bb.5:
	v_mad_u64_u32 v[4:5], s[18:19], s30, v0, 0
	s_ashr_i32 s20, s30, 31
	v_mov_b32_e32 v6, v5
	v_cmp_eq_f32_e64 s[16:17], s11, 0
	v_mad_u64_u32 v[6:7], s[18:19], s20, v0, v[6:7]
	v_mov_b32_e32 v5, v6
	s_and_b64 vcc, exec, s[16:17]
	s_cbranch_vccnz .LBB16_7
; %bb.6:
	v_lshl_add_u64 v[0:1], v[4:5], 2, s[12:13]
	global_load_dword v0, v[0:1], off
	s_waitcnt vmcnt(0)
	v_mul_f32_e32 v1, s11, v0
.LBB16_7:
	s_mov_b64 s[16:17], exec
.LBB16_8:
	s_or_b64 exec, exec, s[14:15]
	s_and_b64 s[14:15], s[16:17], exec
	s_or_b64 exec, exec, s[6:7]
	s_and_b64 vcc, exec, s[4:5]
	s_cbranch_vccnz .LBB16_11
	s_branch .LBB16_48
.LBB16_9:
	s_mov_b64 s[14:15], 0
                                        ; implicit-def: $vgpr1
                                        ; implicit-def: $vgpr4_vgpr5
	s_cbranch_execnz .LBB16_11
	s_branch .LBB16_48
.LBB16_10:
	s_or_b64 exec, exec, s[6:7]
	s_and_b64 vcc, exec, s[4:5]
	s_cbranch_vccz .LBB16_48
.LBB16_11:
	s_load_dwordx4 s[4:7], s[0:1], 0x30
	s_load_dwordx4 s[16:19], s[0:1], 0x18
	s_load_dword s33, s[0:1], 0x28
	s_load_dwordx2 s[20:21], s[0:1], 0x40
	s_load_dword s34, s[0:1], 0x48
	s_load_dwordx2 s[22:23], s[0:1], 0x50
	s_waitcnt lgkmcnt(0)
	s_mul_i32 s0, s3, s5
	s_mul_hi_u32 s1, s3, s4
	s_add_i32 s1, s1, s0
	s_mul_i32 s0, s3, s4
	s_lshl_b64 s[0:1], s[0:1], 2
	s_add_u32 s4, s16, s0
	s_addc_u32 s5, s17, s1
	s_lshl_b64 s[0:1], s[18:19], 2
	s_add_u32 s16, s4, s0
	s_addc_u32 s17, s5, s1
	s_mul_i32 s0, s3, s23
	s_mul_hi_u32 s1, s3, s22
	s_add_i32 s1, s1, s0
	s_mul_i32 s0, s3, s22
	s_lshl_b64 s[0:1], s[0:1], 2
	s_add_u32 s3, s6, s0
	s_addc_u32 s4, s7, s1
	s_lshl_b64 s[0:1], s[20:21], 2
	s_add_u32 s18, s3, s0
	s_addc_u32 s19, s4, s1
	s_ashr_i32 s0, s9, 31
	s_lshr_b32 s0, s0, 26
	s_add_i32 s35, s9, s0
	s_lshl_b32 s31, s2, 8
	s_andn2_b32 s35, s35, 63
	v_lshlrev_b32_e32 v20, 2, v14
	v_add_u32_e32 v19, s31, v2
	v_cmp_gt_i32_e32 vcc, s35, v20
	v_mov_b32_e32 v15, 0
	v_mov_b32_e32 v16, 0
	;; [unrolled: 1-line block ×4, first 2 shown]
	s_and_saveexec_b64 s[20:21], vcc
	s_cbranch_execz .LBB16_23
; %bb.12:
	v_add_u32_e32 v0, 64, v19
	v_cmp_gt_i32_e64 s[0:1], s8, v0
	v_add_u32_e32 v0, 0x80, v19
	v_cmp_gt_i32_e64 s[2:3], s8, v0
	;; [unrolled: 2-line block ×3, first 2 shown]
	v_mul_lo_u32 v0, s33, v20
	v_add_u32_e32 v6, 2, v20
	v_add_u32_e32 v7, 3, v20
	v_add3_u32 v21, v0, s33, v2
	v_mad_u64_u32 v[0:1], s[6:7], s33, v6, v[2:3]
	v_mad_u64_u32 v[4:5], s[6:7], s33, v7, v[2:3]
	v_mul_lo_u32 v1, v14, s33
	v_mul_lo_u32 v5, s34, v20
	;; [unrolled: 1-line block ×4, first 2 shown]
	v_cmp_gt_i32_e32 vcc, s8, v19
	s_lshl_b32 s36, s33, 6
	v_lshl_add_u32 v1, v1, 2, v2
	v_add_u32_e32 v5, s34, v5
	s_lshl_b32 s37, s34, 6
	v_mul_lo_u32 v23, s34, v7
	v_lshlrev_b32_e32 v24, 2, v6
	s_mov_b32 s38, 0
	s_mov_b64 s[22:23], 0
	v_mov_b32_e32 v15, 0
	v_mov_b32_e32 v16, 0
	;; [unrolled: 1-line block ×4, first 2 shown]
	s_branch .LBB16_17
.LBB16_13:                              ;   in Loop: Header=BB16_17 Depth=1
	s_or_b64 exec, exec, s[28:29]
	s_waitcnt vmcnt(3)
	v_fmac_f32_e32 v17, v28, v40
	s_waitcnt vmcnt(2)
	v_fmac_f32_e32 v17, v27, v39
	;; [unrolled: 2-line block ×4, first 2 shown]
.LBB16_14:                              ;   in Loop: Header=BB16_17 Depth=1
	s_or_b64 exec, exec, s[26:27]
	s_waitcnt vmcnt(3)
	v_fmac_f32_e32 v16, v28, v36
	s_waitcnt vmcnt(2)
	v_fmac_f32_e32 v16, v27, v35
	;; [unrolled: 2-line block ×4, first 2 shown]
.LBB16_15:                              ;   in Loop: Header=BB16_17 Depth=1
	s_or_b64 exec, exec, s[24:25]
	s_waitcnt vmcnt(3)
	v_fmac_f32_e32 v15, v28, v32
	s_waitcnt vmcnt(2)
	v_fmac_f32_e32 v15, v27, v31
	;; [unrolled: 2-line block ×4, first 2 shown]
.LBB16_16:                              ;   in Loop: Header=BB16_17 Depth=1
	s_or_b64 exec, exec, s[6:7]
	v_add_u32_e32 v20, 64, v20
	s_add_i32 s38, s38, s37
	v_cmp_le_i32_e64 s[6:7], s35, v20
	v_add_u32_e32 v21, s36, v21
	v_add_u32_e32 v0, s36, v0
	;; [unrolled: 1-line block ×3, first 2 shown]
	s_or_b64 s[22:23], s[6:7], s[22:23]
	v_add_u32_e32 v1, s36, v1
	s_andn2_b64 exec, exec, s[22:23]
	s_cbranch_execz .LBB16_22
.LBB16_17:                              ; =>This Inner Loop Header: Depth=1
	s_and_saveexec_b64 s[6:7], vcc
	s_cbranch_execz .LBB16_16
; %bb.18:                               ;   in Loop: Header=BB16_17 Depth=1
	v_add_u32_e32 v6, s38, v24
	v_ashrrev_i32_e32 v7, 31, v6
	v_add_u32_e32 v8, s38, v5
	v_add_u32_e32 v10, s38, v22
	;; [unrolled: 1-line block ×3, first 2 shown]
	v_lshl_add_u64 v[6:7], v[6:7], 2, s[18:19]
	v_ashrrev_i32_e32 v9, 31, v8
	v_ashrrev_i32_e32 v11, 31, v10
	;; [unrolled: 1-line block ×3, first 2 shown]
	v_lshl_add_u64 v[8:9], v[8:9], 2, s[18:19]
	v_lshl_add_u64 v[10:11], v[10:11], 2, s[18:19]
	;; [unrolled: 1-line block ×3, first 2 shown]
	global_load_dword v28, v[6:7], off
	global_load_dword v27, v[8:9], off
	;; [unrolled: 1-line block ×4, first 2 shown]
	v_add_u32_e32 v6, s31, v1
	v_ashrrev_i32_e32 v7, 31, v6
	v_add_u32_e32 v8, s31, v21
	v_add_u32_e32 v10, s31, v0
	;; [unrolled: 1-line block ×3, first 2 shown]
	v_lshl_add_u64 v[6:7], v[6:7], 2, s[16:17]
	v_ashrrev_i32_e32 v9, 31, v8
	v_ashrrev_i32_e32 v11, 31, v10
	;; [unrolled: 1-line block ×3, first 2 shown]
	v_lshl_add_u64 v[8:9], v[8:9], 2, s[16:17]
	v_lshl_add_u64 v[10:11], v[10:11], 2, s[16:17]
	;; [unrolled: 1-line block ×3, first 2 shown]
	global_load_dword v32, v[6:7], off
	global_load_dword v31, v[8:9], off
	;; [unrolled: 1-line block ×4, first 2 shown]
	s_and_saveexec_b64 s[24:25], s[0:1]
	s_cbranch_execz .LBB16_15
; %bb.19:                               ;   in Loop: Header=BB16_17 Depth=1
	global_load_dword v36, v[6:7], off offset:256
	global_load_dword v35, v[8:9], off offset:256
	global_load_dword v34, v[10:11], off offset:256
	global_load_dword v33, v[12:13], off offset:256
	s_and_saveexec_b64 s[26:27], s[2:3]
	s_cbranch_execz .LBB16_14
; %bb.20:                               ;   in Loop: Header=BB16_17 Depth=1
	global_load_dword v40, v[6:7], off offset:512
	global_load_dword v39, v[8:9], off offset:512
	global_load_dword v38, v[10:11], off offset:512
	global_load_dword v37, v[12:13], off offset:512
	;; [unrolled: 7-line block ×3, first 2 shown]
	s_waitcnt vmcnt(3)
	v_fmac_f32_e32 v18, v28, v41
	s_waitcnt vmcnt(2)
	v_fmac_f32_e32 v18, v27, v42
	;; [unrolled: 2-line block ×4, first 2 shown]
	s_branch .LBB16_13
.LBB16_22:
	s_or_b64 exec, exec, s[22:23]
.LBB16_23:
	s_or_b64 exec, exec, s[20:21]
	s_sub_i32 s0, s9, s35
	s_cmp_lt_i32 s0, 1
	s_cbranch_scc1 .LBB16_41
; %bb.24:
	v_cmp_gt_i32_e32 vcc, s9, v20
	v_mov_b32_e32 v10, 0
	v_or_b32_e32 v4, 1, v20
	v_mov_b32_e32 v13, 0
	v_mov_b32_e32 v12, 0
	;; [unrolled: 1-line block ×3, first 2 shown]
	s_and_saveexec_b64 s[2:3], vcc
	s_cbranch_execz .LBB16_32
; %bb.25:
	v_mul_lo_u32 v0, v20, s34
	v_ashrrev_i32_e32 v1, 31, v0
	v_lshl_add_u64 v[0:1], v[0:1], 2, s[18:19]
	global_load_dword v11, v[0:1], off
	v_cmp_gt_i32_e64 s[0:1], s9, v4
	v_mov_b32_e32 v12, 0
	v_mov_b32_e32 v13, 0
	;; [unrolled: 1-line block ×3, first 2 shown]
	s_and_saveexec_b64 s[4:5], s[0:1]
	s_cbranch_execz .LBB16_31
; %bb.26:
	v_mul_lo_u32 v0, v4, s34
	v_ashrrev_i32_e32 v1, 31, v0
	v_lshl_add_u64 v[0:1], v[0:1], 2, s[18:19]
	global_load_dword v12, v[0:1], off
	v_or_b32_e32 v0, 2, v20
	v_cmp_gt_i32_e64 s[0:1], s9, v0
	v_mov_b32_e32 v13, 0
	v_mov_b32_e32 v10, 0
	s_and_saveexec_b64 s[6:7], s[0:1]
	s_cbranch_execz .LBB16_30
; %bb.27:
	v_mul_lo_u32 v0, v0, s34
	v_ashrrev_i32_e32 v1, 31, v0
	v_lshl_add_u64 v[0:1], v[0:1], 2, s[18:19]
	global_load_dword v13, v[0:1], off
	v_or_b32_e32 v0, 3, v20
	v_cmp_gt_i32_e64 s[0:1], s9, v0
	v_mov_b32_e32 v10, 0
	s_and_saveexec_b64 s[20:21], s[0:1]
	s_cbranch_execz .LBB16_29
; %bb.28:
	v_mul_lo_u32 v0, v0, s34
	v_ashrrev_i32_e32 v1, 31, v0
	v_lshl_add_u64 v[0:1], v[0:1], 2, s[18:19]
	global_load_dword v10, v[0:1], off
.LBB16_29:
	s_or_b64 exec, exec, s[20:21]
.LBB16_30:
	s_or_b64 exec, exec, s[6:7]
.LBB16_31:
	s_or_b64 exec, exec, s[4:5]
.LBB16_32:
	s_or_b64 exec, exec, s[2:3]
	v_cmp_gt_i32_e64 s[0:1], s8, v19
	s_and_saveexec_b64 s[2:3], s[0:1]
	s_cbranch_execz .LBB16_40
; %bb.33:
	v_mul_lo_u32 v0, v20, s33
	v_cndmask_b32_e32 v0, 0, v0, vcc
	v_mul_lo_u32 v5, v4, s33
	v_cmp_gt_i32_e32 vcc, s9, v4
	v_or_b32_e32 v6, 2, v20
	v_mul_lo_u32 v7, v6, s33
	v_cndmask_b32_e32 v4, 0, v5, vcc
	v_cmp_gt_i32_e32 vcc, s9, v6
	v_or_b32_e32 v8, 3, v20
	v_mul_lo_u32 v9, v8, s33
	v_cndmask_b32_e32 v6, 0, v7, vcc
	v_cmp_gt_i32_e32 vcc, s9, v8
	v_add_u32_e32 v0, v0, v19
	v_ashrrev_i32_e32 v1, 31, v0
	v_cndmask_b32_e32 v8, 0, v9, vcc
	v_add_u32_e32 v4, v4, v19
	v_add_u32_e32 v6, v6, v19
	;; [unrolled: 1-line block ×3, first 2 shown]
	v_lshl_add_u64 v[0:1], v[0:1], 2, s[16:17]
	v_ashrrev_i32_e32 v5, 31, v4
	v_ashrrev_i32_e32 v7, 31, v6
	;; [unrolled: 1-line block ×3, first 2 shown]
	v_lshl_add_u64 v[4:5], v[4:5], 2, s[16:17]
	v_lshl_add_u64 v[6:7], v[6:7], 2, s[16:17]
	global_load_dword v21, v[0:1], off
	global_load_dword v22, v[4:5], off
	global_load_dword v23, v[6:7], off
	v_lshl_add_u64 v[8:9], v[8:9], 2, s[16:17]
	global_load_dword v20, v[8:9], off
	v_add_u32_e32 v24, 64, v19
	v_cmp_gt_i32_e32 vcc, s8, v24
	s_waitcnt vmcnt(3)
	v_fmac_f32_e32 v15, v11, v21
	s_waitcnt vmcnt(2)
	v_fmac_f32_e32 v15, v12, v22
	s_waitcnt vmcnt(1)
	v_fmac_f32_e32 v15, v13, v23
	s_and_saveexec_b64 s[0:1], vcc
	s_cbranch_execz .LBB16_39
; %bb.34:
	global_load_dword v22, v[0:1], off offset:256
	global_load_dword v23, v[4:5], off offset:256
	global_load_dword v24, v[6:7], off offset:256
	global_load_dword v21, v[8:9], off offset:256
	v_add_u32_e32 v25, 0x80, v19
	v_cmp_gt_i32_e32 vcc, s8, v25
	s_waitcnt vmcnt(3)
	v_fmac_f32_e32 v16, v11, v22
	s_waitcnt vmcnt(2)
	v_fmac_f32_e32 v16, v12, v23
	s_waitcnt vmcnt(1)
	v_fmac_f32_e32 v16, v13, v24
	s_and_saveexec_b64 s[4:5], vcc
	s_cbranch_execz .LBB16_38
; %bb.35:
	global_load_dword v23, v[0:1], off offset:512
	global_load_dword v24, v[4:5], off offset:512
	global_load_dword v25, v[6:7], off offset:512
	global_load_dword v22, v[8:9], off offset:512
	;; [unrolled: 15-line block ×3, first 2 shown]
	s_waitcnt vmcnt(3)
	v_fmac_f32_e32 v18, v11, v19
	s_waitcnt vmcnt(2)
	v_fmac_f32_e32 v18, v12, v23
	;; [unrolled: 2-line block ×4, first 2 shown]
.LBB16_37:
	s_or_b64 exec, exec, s[6:7]
	s_waitcnt vmcnt(0)
	v_fmac_f32_e32 v17, v10, v22
.LBB16_38:
	s_or_b64 exec, exec, s[4:5]
	s_waitcnt vmcnt(0)
	v_fmac_f32_e32 v16, v10, v21
.LBB16_39:
	s_or_b64 exec, exec, s[0:1]
	s_waitcnt vmcnt(0)
	v_fmac_f32_e32 v15, v10, v20
.LBB16_40:
	s_or_b64 exec, exec, s[2:3]
.LBB16_41:
	v_lshlrev_b32_e32 v0, 8, v14
	s_movk_i32 s0, 0x100
	v_add_lshl_u32 v0, v0, v2, 2
	v_cmp_gt_u32_e32 vcc, s0, v3
	ds_write2st64_b32 v0, v15, v16 offset1:1
	ds_write2st64_b32 v0, v17, v18 offset0:2 offset1:3
	s_waitcnt lgkmcnt(0)
	s_barrier
	s_waitcnt lgkmcnt(0)
                                        ; implicit-def: $vgpr1
                                        ; implicit-def: $vgpr4_vgpr5
	s_and_saveexec_b64 s[0:1], vcc
	s_cbranch_execz .LBB16_47
; %bb.42:
	v_lshlrev_b32_e32 v2, 2, v3
	ds_read2st64_b32 v[0:1], v2 offset1:4
	ds_read2st64_b32 v[4:5], v2 offset0:8 offset1:12
	ds_read2st64_b32 v[6:7], v2 offset0:16 offset1:20
	;; [unrolled: 1-line block ×3, first 2 shown]
	s_waitcnt vmcnt(0)
	ds_read2st64_b32 v[10:11], v2 offset0:32 offset1:36
	s_waitcnt lgkmcnt(4)
	v_add_f32_e32 v0, v0, v1
	s_waitcnt lgkmcnt(3)
	v_add_f32_e32 v0, v4, v0
	v_add_f32_e32 v0, v5, v0
	s_waitcnt lgkmcnt(2)
	v_add_f32_e32 v0, v6, v0
	;; [unrolled: 3-line block ×3, first 2 shown]
	v_add_f32_e32 v4, v9, v0
	ds_read2st64_b32 v[0:1], v2 offset0:40 offset1:44
	s_waitcnt lgkmcnt(1)
	v_add_f32_e32 v6, v10, v4
	ds_read2st64_b32 v[4:5], v2 offset0:48 offset1:52
	v_add_f32_e32 v8, v11, v6
	ds_read2st64_b32 v[6:7], v2 offset0:56 offset1:60
	s_waitcnt lgkmcnt(2)
	v_add_f32_e32 v0, v0, v8
	v_add_f32_e32 v0, v1, v0
	s_waitcnt lgkmcnt(1)
	v_add_f32_e32 v0, v4, v0
	v_add_f32_e32 v0, v5, v0
	;; [unrolled: 3-line block ×3, first 2 shown]
	ds_write_b32 v2, v0
	v_or_b32_e32 v2, s31, v3
	v_cmp_gt_i32_e32 vcc, s8, v2
	s_mov_b64 s[4:5], s[14:15]
                                        ; implicit-def: $vgpr1
                                        ; implicit-def: $vgpr4_vgpr5
	s_and_saveexec_b64 s[2:3], vcc
	s_cbranch_execz .LBB16_46
; %bb.43:
	v_cmp_eq_f32_e64 s[4:5], s11, 0
	v_mul_lo_u32 v4, v2, s30
	v_mul_f32_e32 v1, s10, v0
	v_ashrrev_i32_e32 v5, 31, v4
	s_and_b64 vcc, exec, s[4:5]
	s_cbranch_vccnz .LBB16_45
; %bb.44:
	v_lshl_add_u64 v[2:3], v[4:5], 2, s[12:13]
	global_load_dword v0, v[2:3], off
	s_waitcnt vmcnt(0)
	v_fmac_f32_e32 v1, s11, v0
.LBB16_45:
	s_or_b64 s[4:5], s[14:15], exec
.LBB16_46:
	s_or_b64 exec, exec, s[2:3]
	s_andn2_b64 s[2:3], s[14:15], exec
	s_and_b64 s[4:5], s[4:5], exec
	s_or_b64 s[14:15], s[2:3], s[4:5]
.LBB16_47:
	s_or_b64 exec, exec, s[0:1]
.LBB16_48:
	s_and_saveexec_b64 s[0:1], s[14:15]
	s_cbranch_execz .LBB16_50
; %bb.49:
	v_lshl_add_u64 v[2:3], v[4:5], 2, s[12:13]
	global_store_dword v[2:3], v1, off
.LBB16_50:
	s_endpgm
	.section	.rodata,"a",@progbits
	.p2align	6, 0x0
	.amdhsa_kernel _ZL20rocblas_gemvn_kernelILi64ELi16EifffEviiT3_lPKT2_lT1_lS3_lS4_lS0_lPT4_lS4_li
		.amdhsa_group_segment_fixed_size 16384
		.amdhsa_private_segment_fixed_size 0
		.amdhsa_kernarg_size 400
		.amdhsa_user_sgpr_count 2
		.amdhsa_user_sgpr_dispatch_ptr 0
		.amdhsa_user_sgpr_queue_ptr 0
		.amdhsa_user_sgpr_kernarg_segment_ptr 1
		.amdhsa_user_sgpr_dispatch_id 0
		.amdhsa_user_sgpr_kernarg_preload_length 0
		.amdhsa_user_sgpr_kernarg_preload_offset 0
		.amdhsa_user_sgpr_private_segment_size 0
		.amdhsa_uses_dynamic_stack 0
		.amdhsa_enable_private_segment 0
		.amdhsa_system_sgpr_workgroup_id_x 1
		.amdhsa_system_sgpr_workgroup_id_y 0
		.amdhsa_system_sgpr_workgroup_id_z 1
		.amdhsa_system_sgpr_workgroup_info 0
		.amdhsa_system_vgpr_workitem_id 1
		.amdhsa_next_free_vgpr 45
		.amdhsa_next_free_sgpr 39
		.amdhsa_accum_offset 48
		.amdhsa_reserve_vcc 1
		.amdhsa_float_round_mode_32 0
		.amdhsa_float_round_mode_16_64 0
		.amdhsa_float_denorm_mode_32 3
		.amdhsa_float_denorm_mode_16_64 3
		.amdhsa_dx10_clamp 1
		.amdhsa_ieee_mode 1
		.amdhsa_fp16_overflow 0
		.amdhsa_tg_split 0
		.amdhsa_exception_fp_ieee_invalid_op 0
		.amdhsa_exception_fp_denorm_src 0
		.amdhsa_exception_fp_ieee_div_zero 0
		.amdhsa_exception_fp_ieee_overflow 0
		.amdhsa_exception_fp_ieee_underflow 0
		.amdhsa_exception_fp_ieee_inexact 0
		.amdhsa_exception_int_div_zero 0
	.end_amdhsa_kernel
	.section	.text._ZL20rocblas_gemvn_kernelILi64ELi16EifffEviiT3_lPKT2_lT1_lS3_lS4_lS0_lPT4_lS4_li,"axG",@progbits,_ZL20rocblas_gemvn_kernelILi64ELi16EifffEviiT3_lPKT2_lT1_lS3_lS4_lS0_lPT4_lS4_li,comdat
.Lfunc_end16:
	.size	_ZL20rocblas_gemvn_kernelILi64ELi16EifffEviiT3_lPKT2_lT1_lS3_lS4_lS0_lPT4_lS4_li, .Lfunc_end16-_ZL20rocblas_gemvn_kernelILi64ELi16EifffEviiT3_lPKT2_lT1_lS3_lS4_lS0_lPT4_lS4_li
                                        ; -- End function
	.section	.AMDGPU.csdata,"",@progbits
; Kernel info:
; codeLenInByte = 2360
; NumSgprs: 45
; NumVgprs: 45
; NumAgprs: 0
; TotalNumVgprs: 45
; ScratchSize: 0
; MemoryBound: 0
; FloatMode: 240
; IeeeMode: 1
; LDSByteSize: 16384 bytes/workgroup (compile time only)
; SGPRBlocks: 5
; VGPRBlocks: 5
; NumSGPRsForWavesPerEU: 45
; NumVGPRsForWavesPerEU: 45
; AccumOffset: 48
; Occupancy: 8
; WaveLimiterHint : 1
; COMPUTE_PGM_RSRC2:SCRATCH_EN: 0
; COMPUTE_PGM_RSRC2:USER_SGPR: 2
; COMPUTE_PGM_RSRC2:TRAP_HANDLER: 0
; COMPUTE_PGM_RSRC2:TGID_X_EN: 1
; COMPUTE_PGM_RSRC2:TGID_Y_EN: 0
; COMPUTE_PGM_RSRC2:TGID_Z_EN: 1
; COMPUTE_PGM_RSRC2:TIDIG_COMP_CNT: 1
; COMPUTE_PGM_RSRC3_GFX90A:ACCUM_OFFSET: 11
; COMPUTE_PGM_RSRC3_GFX90A:TG_SPLIT: 0
	.section	.text._ZL20rocblas_gemvn_kernelILi64ELi16ElfffEviiT3_lPKT2_lT1_lS3_lS4_lS0_lPT4_lS4_li,"axG",@progbits,_ZL20rocblas_gemvn_kernelILi64ELi16ElfffEviiT3_lPKT2_lT1_lS3_lS4_lS0_lPT4_lS4_li,comdat
	.globl	_ZL20rocblas_gemvn_kernelILi64ELi16ElfffEviiT3_lPKT2_lT1_lS3_lS4_lS0_lPT4_lS4_li ; -- Begin function _ZL20rocblas_gemvn_kernelILi64ELi16ElfffEviiT3_lPKT2_lT1_lS3_lS4_lS0_lPT4_lS4_li
	.p2align	8
	.type	_ZL20rocblas_gemvn_kernelILi64ELi16ElfffEviiT3_lPKT2_lT1_lS3_lS4_lS0_lPT4_lS4_li,@function
_ZL20rocblas_gemvn_kernelILi64ELi16ElfffEviiT3_lPKT2_lT1_lS3_lS4_lS0_lPT4_lS4_li: ; @_ZL20rocblas_gemvn_kernelILi64ELi16ElfffEviiT3_lPKT2_lT1_lS3_lS4_lS0_lPT4_lS4_li
; %bb.0:
	s_load_dwordx2 s[4:5], s[0:1], 0x9c
	s_waitcnt lgkmcnt(0)
	s_lshr_b32 s6, s4, 16
	s_and_b32 s4, s4, 0xffff
	s_and_b32 s5, s5, 0xffff
	s_mul_i32 s4, s6, s4
	s_mul_i32 s4, s4, s5
	s_cmpk_lg_i32 s4, 0x400
	s_cbranch_scc1 .LBB17_50
; %bb.1:
	s_load_dwordx4 s[28:31], s[0:1], 0x0
	s_waitcnt lgkmcnt(0)
	s_load_dword s31, s[0:1], 0x58
	v_cmp_eq_f32_e64 s[4:5], s30, 0
	s_waitcnt lgkmcnt(0)
	v_cmp_eq_f32_e64 s[6:7], s31, 1.0
	s_and_b64 s[4:5], s[4:5], s[6:7]
	s_and_b64 vcc, exec, s[4:5]
	s_cbranch_vccnz .LBB17_50
; %bb.2:
	s_load_dwordx8 s[20:27], s[0:1], 0x68
	v_and_b32_e32 v29, 0x3ff, v0
	v_bfe_u32 v30, v0, 10, 10
	v_lshl_add_u32 v28, v30, 6, v29
	s_waitcnt lgkmcnt(0)
	s_mul_i32 s5, s3, s27
	s_mul_hi_u32 s6, s3, s26
	s_mul_i32 s4, s3, s26
	s_add_i32 s5, s6, s5
	s_lshl_b64 s[4:5], s[4:5], 2
	s_add_u32 s6, s20, s4
	s_addc_u32 s7, s21, s5
	s_lshl_b64 s[4:5], s[22:23], 2
	s_add_u32 s26, s6, s4
	s_addc_u32 s27, s7, s5
	v_cmp_neq_f32_e64 s[4:5], s30, 0
	s_and_b64 vcc, exec, s[4:5]
	s_cbranch_vccnz .LBB17_9
; %bb.3:
	s_movk_i32 s4, 0x100
	v_cmp_gt_u32_e32 vcc, s4, v28
	s_mov_b64 s[4:5], 0
	s_mov_b64 s[34:35], 0
                                        ; implicit-def: $vgpr1
                                        ; implicit-def: $vgpr2_vgpr3
	s_and_saveexec_b64 s[6:7], vcc
	s_cbranch_execz .LBB17_10
; %bb.4:
	v_lshl_or_b32 v0, s2, 8, v28
	v_mov_b32_e32 v1, 0
	s_ashr_i32 s9, s28, 31
	s_mov_b32 s8, s28
	v_cmp_gt_i64_e32 vcc, s[8:9], v[0:1]
	s_mov_b64 s[10:11], 0
                                        ; implicit-def: $vgpr2_vgpr3
	s_and_saveexec_b64 s[8:9], vcc
	s_cbranch_execz .LBB17_8
; %bb.5:
	v_mad_u64_u32 v[2:3], s[12:13], v0, s24, 0
	v_mov_b32_e32 v4, v3
	v_cmp_eq_f32_e64 s[10:11], s31, 0
	v_mad_u64_u32 v[4:5], s[12:13], v0, s25, v[4:5]
	v_mov_b32_e32 v3, v4
	s_and_b64 vcc, exec, s[10:11]
	s_cbranch_vccnz .LBB17_7
; %bb.6:
	v_lshl_add_u64 v[0:1], v[2:3], 2, s[26:27]
	global_load_dword v0, v[0:1], off
	s_waitcnt vmcnt(0)
	v_mul_f32_e32 v1, s31, v0
.LBB17_7:
	s_mov_b64 s[10:11], exec
.LBB17_8:
	s_or_b64 exec, exec, s[8:9]
	s_and_b64 s[34:35], s[10:11], exec
	s_or_b64 exec, exec, s[6:7]
	s_and_b64 vcc, exec, s[4:5]
	s_cbranch_vccnz .LBB17_11
	s_branch .LBB17_48
.LBB17_9:
	s_mov_b64 s[34:35], 0
                                        ; implicit-def: $vgpr1
                                        ; implicit-def: $vgpr2_vgpr3
	s_cbranch_execnz .LBB17_11
	s_branch .LBB17_48
.LBB17_10:
	s_or_b64 exec, exec, s[6:7]
	s_and_b64 vcc, exec, s[4:5]
	s_cbranch_vccz .LBB17_48
.LBB17_11:
	s_load_dwordx16 s[8:23], s[0:1], 0x18
	s_lshl_b32 s33, s2, 8
	v_lshlrev_b32_e32 v35, 2, v30
	v_add_u32_e32 v0, s33, v29
	v_mov_b32_e32 v31, 0
	s_waitcnt lgkmcnt(0)
	s_mul_i32 s0, s3, s15
	s_mul_hi_u32 s1, s3, s14
	s_add_i32 s15, s1, s0
	s_ashr_i32 s0, s29, 31
	s_lshr_b32 s0, s0, 26
	s_add_i32 s52, s29, s0
	s_mul_i32 s4, s3, s23
	s_mul_hi_u32 s5, s3, s22
	s_andn2_b32 s52, s52, 63
	s_mul_i32 s14, s3, s14
	s_add_i32 s23, s5, s4
	s_mul_i32 s22, s3, s22
	v_cmp_gt_i32_e32 vcc, s52, v35
	v_mov_b32_e32 v32, 0
	v_mov_b32_e32 v33, 0
	;; [unrolled: 1-line block ×3, first 2 shown]
	s_and_saveexec_b64 s[36:37], vcc
	s_cbranch_execz .LBB17_23
; %bb.12:
	v_add_u32_e32 v2, 64, v0
	v_cmp_gt_i32_e64 s[0:1], s28, v2
	v_add_u32_e32 v2, 0x80, v0
	v_cmp_gt_i32_e64 s[2:3], s28, v2
	;; [unrolled: 2-line block ×3, first 2 shown]
	v_mad_u64_u32 v[2:3], s[6:7], s20, v30, 0
	v_mov_b32_e32 v4, v3
	v_ashrrev_i32_e32 v1, 31, v0
	v_mad_u64_u32 v[4:5], s[6:7], s21, v30, v[4:5]
	v_mov_b32_e32 v3, v4
	v_lshlrev_b64 v[4:5], 2, v[0:1]
	v_lshlrev_b32_e32 v1, 2, v30
	v_or_b32_e32 v11, 3, v1
	v_mad_u64_u32 v[6:7], s[42:43], s12, v11, 0
	v_mov_b32_e32 v8, v7
	v_mad_u64_u32 v[8:9], s[42:43], s13, v11, v[8:9]
	v_mov_b32_e32 v7, v8
	;; [unrolled: 2-line block ×5, first 2 shown]
	v_mad_u64_u32 v[12:13], s[46:47], s13, v30, v[12:13]
	v_or_b32_e32 v17, 2, v1
	v_mov_b32_e32 v11, v12
	v_mad_u64_u32 v[12:13], s[46:47], s12, v17, 0
	v_mov_b32_e32 v14, v13
	v_mad_u64_u32 v[14:15], s[46:47], s13, v17, v[14:15]
	v_mov_b32_e32 v13, v14
	v_mad_u64_u32 v[14:15], s[46:47], s20, v17, 0
	v_mov_b32_e32 v16, v15
	v_mad_u64_u32 v[16:17], s[46:47], s21, v17, v[16:17]
	v_mov_b32_e32 v15, v16
	v_mov_b64_e32 v[16:17], s[20:21]
	v_mad_u64_u32 v[16:17], s[46:47], s20, v1, v[16:17]
	s_lshl_b64 s[38:39], s[18:19], 2
	s_lshl_b64 s[6:7], s[22:23], 2
	v_mov_b32_e32 v18, v17
	s_add_u32 s6, s16, s6
	v_mad_u64_u32 v[18:19], s[46:47], s21, v1, v[18:19]
	s_addc_u32 s7, s17, s7
	s_lshl_b64 s[40:41], s[20:21], 8
	s_lshl_b64 s[42:43], s[14:15], 2
	s_lshl_b64 s[44:45], s[10:11], 2
	v_mov_b32_e32 v17, v18
	v_mov_b64_e32 v[18:19], s[12:13]
	v_lshl_add_u64 v[2:3], v[2:3], 4, s[6:7]
	s_add_u32 s44, s8, s44
	v_lshl_add_u64 v[8:9], v[8:9], 2, s[6:7]
	v_lshl_add_u64 v[14:15], v[14:15], 2, s[6:7]
	v_lshl_add_u64 v[16:17], v[16:17], 2, s[6:7]
	v_mad_u64_u32 v[18:19], s[6:7], s12, v1, v[18:19]
	s_addc_u32 s45, s9, s45
	v_mov_b32_e32 v20, v19
	s_add_u32 s44, s44, s42
	v_mad_u64_u32 v[20:21], s[6:7], s13, v1, v[20:21]
	s_addc_u32 s45, s45, s43
	v_mov_b32_e32 v19, v20
	v_cmp_gt_i32_e32 vcc, s28, v0
	v_lshl_add_u64 v[6:7], v[6:7], 2, s[44:45]
	s_lshl_b64 s[42:43], s[12:13], 8
	v_lshl_add_u64 v[10:11], v[10:11], 4, s[44:45]
	v_lshl_add_u64 v[12:13], v[12:13], 2, s[44:45]
	;; [unrolled: 1-line block ×3, first 2 shown]
	s_mov_b64 s[44:45], 0
	v_mov_b32_e32 v31, 0
	v_mov_b32_e32 v32, 0
	;; [unrolled: 1-line block ×4, first 2 shown]
	s_branch .LBB17_17
.LBB17_13:                              ;   in Loop: Header=BB17_17 Depth=1
	s_or_b64 exec, exec, s[50:51]
	s_waitcnt vmcnt(3)
	v_fmac_f32_e32 v33, v1, v50
	s_waitcnt vmcnt(2)
	v_fmac_f32_e32 v33, v36, v49
	;; [unrolled: 2-line block ×4, first 2 shown]
.LBB17_14:                              ;   in Loop: Header=BB17_17 Depth=1
	s_or_b64 exec, exec, s[48:49]
	s_waitcnt vmcnt(3)
	v_fmac_f32_e32 v32, v1, v46
	s_waitcnt vmcnt(2)
	v_fmac_f32_e32 v32, v36, v45
	;; [unrolled: 2-line block ×4, first 2 shown]
.LBB17_15:                              ;   in Loop: Header=BB17_17 Depth=1
	s_or_b64 exec, exec, s[46:47]
	s_waitcnt vmcnt(3)
	v_fmac_f32_e32 v31, v1, v39
	s_waitcnt vmcnt(2)
	v_fmac_f32_e32 v31, v36, v40
	s_waitcnt vmcnt(1)
	v_fmac_f32_e32 v31, v37, v41
	s_waitcnt vmcnt(0)
	v_fmac_f32_e32 v31, v38, v42
.LBB17_16:                              ;   in Loop: Header=BB17_17 Depth=1
	s_or_b64 exec, exec, s[6:7]
	v_add_u32_e32 v35, 64, v35
	v_cmp_le_i32_e64 s[6:7], s52, v35
	v_lshl_add_u64 v[2:3], v[2:3], 0, s[40:41]
	v_lshl_add_u64 v[6:7], v[6:7], 0, s[42:43]
	;; [unrolled: 1-line block ×7, first 2 shown]
	s_or_b64 s[44:45], s[6:7], s[44:45]
	v_lshl_add_u64 v[18:19], v[18:19], 0, s[42:43]
	s_andn2_b64 exec, exec, s[44:45]
	s_cbranch_execz .LBB17_22
.LBB17_17:                              ; =>This Inner Loop Header: Depth=1
	s_and_saveexec_b64 s[6:7], vcc
	s_cbranch_execz .LBB17_16
; %bb.18:                               ;   in Loop: Header=BB17_17 Depth=1
	v_lshl_add_u64 v[20:21], v[2:3], 0, s[38:39]
	global_load_dword v1, v[20:21], off
	v_lshl_add_u64 v[20:21], v[16:17], 0, s[38:39]
	global_load_dword v36, v[20:21], off
	v_lshl_add_u64 v[20:21], v[14:15], 0, s[38:39]
	global_load_dword v37, v[20:21], off
	v_lshl_add_u64 v[20:21], v[8:9], 0, s[38:39]
	global_load_dword v38, v[20:21], off
	v_lshl_add_u64 v[26:27], v[10:11], 0, v[4:5]
	v_lshl_add_u64 v[24:25], v[18:19], 0, v[4:5]
	;; [unrolled: 1-line block ×4, first 2 shown]
	global_load_dword v39, v[26:27], off
	global_load_dword v40, v[24:25], off
	;; [unrolled: 1-line block ×4, first 2 shown]
	s_and_saveexec_b64 s[46:47], s[0:1]
	s_cbranch_execz .LBB17_15
; %bb.19:                               ;   in Loop: Header=BB17_17 Depth=1
	global_load_dword v46, v[26:27], off offset:256
	global_load_dword v45, v[24:25], off offset:256
	;; [unrolled: 1-line block ×4, first 2 shown]
	s_and_saveexec_b64 s[48:49], s[2:3]
	s_cbranch_execz .LBB17_14
; %bb.20:                               ;   in Loop: Header=BB17_17 Depth=1
	global_load_dword v50, v[26:27], off offset:512
	global_load_dword v49, v[24:25], off offset:512
	;; [unrolled: 1-line block ×4, first 2 shown]
	s_and_saveexec_b64 s[50:51], s[4:5]
	s_cbranch_execz .LBB17_13
; %bb.21:                               ;   in Loop: Header=BB17_17 Depth=1
	global_load_dword v26, v[26:27], off offset:768
	s_nop 0
	global_load_dword v24, v[24:25], off offset:768
	s_nop 0
	global_load_dword v22, v[22:23], off offset:768
	s_nop 0
	global_load_dword v20, v[20:21], off offset:768
	s_waitcnt vmcnt(3)
	v_fmac_f32_e32 v34, v1, v26
	s_waitcnt vmcnt(2)
	v_fmac_f32_e32 v34, v36, v24
	;; [unrolled: 2-line block ×4, first 2 shown]
	s_branch .LBB17_13
.LBB17_22:
	s_or_b64 exec, exec, s[44:45]
.LBB17_23:
	s_or_b64 exec, exec, s[36:37]
	s_sub_i32 s0, s29, s52
	s_cmp_lt_i32 s0, 1
	s_cbranch_scc1 .LBB17_41
; %bb.24:
	v_cmp_gt_i32_e32 vcc, s29, v35
	v_mov_b32_e32 v11, 0
	v_or_b32_e32 v4, 1, v35
	v_mov_b32_e32 v13, 0
	v_mov_b32_e32 v12, 0
	;; [unrolled: 1-line block ×3, first 2 shown]
	s_and_saveexec_b64 s[2:3], vcc
	s_cbranch_execz .LBB17_32
; %bb.25:
	s_lshl_b64 s[0:1], s[22:23], 2
	s_add_u32 s4, s16, s0
	s_addc_u32 s5, s17, s1
	s_lshl_b64 s[0:1], s[18:19], 2
	s_add_u32 s4, s4, s0
	s_addc_u32 s5, s5, s1
	v_mad_u64_u32 v[2:3], s[0:1], v35, s20, 0
	v_mov_b32_e32 v6, v3
	v_mad_u64_u32 v[6:7], s[0:1], v35, s21, v[6:7]
	v_mov_b32_e32 v3, v6
	v_lshl_add_u64 v[2:3], v[2:3], 2, s[4:5]
	global_load_dword v10, v[2:3], off
	v_cmp_gt_i32_e64 s[0:1], s29, v4
	v_mov_b32_e32 v12, 0
	v_mov_b32_e32 v13, 0
	;; [unrolled: 1-line block ×3, first 2 shown]
	s_and_saveexec_b64 s[6:7], s[0:1]
	s_cbranch_execz .LBB17_31
; %bb.26:
	v_mad_u64_u32 v[2:3], s[0:1], v4, s20, 0
	v_mov_b32_e32 v6, v3
	v_mad_u64_u32 v[6:7], s[0:1], v4, s21, v[6:7]
	v_mov_b32_e32 v3, v6
	v_lshl_add_u64 v[2:3], v[2:3], 2, s[4:5]
	global_load_dword v12, v[2:3], off
	v_or_b32_e32 v1, 2, v35
	v_cmp_gt_i32_e64 s[0:1], s29, v1
	v_mov_b32_e32 v13, 0
	v_mov_b32_e32 v11, 0
	s_and_saveexec_b64 s[16:17], s[0:1]
	s_cbranch_execz .LBB17_30
; %bb.27:
	v_mad_u64_u32 v[2:3], s[0:1], v1, s20, 0
	v_mov_b32_e32 v6, v3
	v_mad_u64_u32 v[6:7], s[0:1], v1, s21, v[6:7]
	v_mov_b32_e32 v3, v6
	v_lshl_add_u64 v[2:3], v[2:3], 2, s[4:5]
	global_load_dword v13, v[2:3], off
	v_or_b32_e32 v1, 3, v35
	v_cmp_gt_i32_e64 s[0:1], s29, v1
	v_mov_b32_e32 v11, 0
	s_and_saveexec_b64 s[18:19], s[0:1]
	s_cbranch_execz .LBB17_29
; %bb.28:
	v_mad_u64_u32 v[2:3], s[0:1], v1, s20, 0
	v_mov_b32_e32 v6, v3
	v_mad_u64_u32 v[6:7], s[0:1], v1, s21, v[6:7]
	v_mov_b32_e32 v3, v6
	v_lshl_add_u64 v[2:3], v[2:3], 2, s[4:5]
	global_load_dword v11, v[2:3], off
.LBB17_29:
	s_or_b64 exec, exec, s[18:19]
.LBB17_30:
	s_or_b64 exec, exec, s[16:17]
.LBB17_31:
	s_or_b64 exec, exec, s[6:7]
.LBB17_32:
	s_or_b64 exec, exec, s[2:3]
	v_cmp_gt_i32_e64 s[0:1], s28, v0
	s_and_saveexec_b64 s[2:3], s[0:1]
	s_cbranch_execz .LBB17_40
; %bb.33:
	s_lshl_b64 s[0:1], s[14:15], 2
	s_add_u32 s4, s8, s0
	s_addc_u32 s5, s9, s1
	s_lshl_b64 s[0:1], s[10:11], 2
	s_add_u32 s0, s4, s0
	s_addc_u32 s1, s5, s1
	v_mad_u64_u32 v[2:3], s[4:5], v35, s12, 0
	v_mov_b32_e32 v6, v3
	v_mad_u64_u32 v[6:7], s[4:5], v35, s13, v[6:7]
	v_ashrrev_i32_e32 v1, 31, v0
	v_cndmask_b32_e32 v3, 0, v6, vcc
	v_mad_u64_u32 v[6:7], s[4:5], v4, s12, 0
	v_cndmask_b32_e32 v2, 0, v2, vcc
	v_lshlrev_b64 v[8:9], 2, v[0:1]
	v_mov_b32_e32 v14, v7
	v_cmp_gt_i32_e32 vcc, s29, v4
	v_or_b32_e32 v1, 2, v35
	v_mad_u64_u32 v[14:15], s[4:5], v4, s13, v[14:15]
	v_cndmask_b32_e32 v4, 0, v6, vcc
	v_mad_u64_u32 v[6:7], s[4:5], v1, s12, 0
	v_cndmask_b32_e32 v5, 0, v14, vcc
	v_mov_b32_e32 v14, v7
	v_mad_u64_u32 v[14:15], s[4:5], v1, s13, v[14:15]
	v_cmp_gt_i32_e32 vcc, s29, v1
	v_or_b32_e32 v1, 3, v35
	v_lshl_add_u64 v[2:3], v[2:3], 2, s[0:1]
	v_cndmask_b32_e32 v7, 0, v14, vcc
	v_mad_u64_u32 v[14:15], s[4:5], v1, s12, 0
	v_mov_b32_e32 v16, v15
	v_cndmask_b32_e32 v6, 0, v6, vcc
	v_mad_u64_u32 v[16:17], s[4:5], v1, s13, v[16:17]
	v_cmp_gt_i32_e32 vcc, s29, v1
	v_lshl_add_u64 v[2:3], v[2:3], 0, v[8:9]
	v_lshl_add_u64 v[4:5], v[4:5], 2, s[0:1]
	v_cndmask_b32_e32 v14, 0, v14, vcc
	v_cndmask_b32_e32 v15, 0, v16, vcc
	v_lshl_add_u64 v[6:7], v[6:7], 2, s[0:1]
	v_lshl_add_u64 v[14:15], v[14:15], 2, s[0:1]
	;; [unrolled: 1-line block ×4, first 2 shown]
	global_load_dword v16, v[2:3], off
	global_load_dword v17, v[4:5], off
	;; [unrolled: 1-line block ×3, first 2 shown]
	v_lshl_add_u64 v[8:9], v[14:15], 0, v[8:9]
	global_load_dword v1, v[8:9], off
	v_add_u32_e32 v14, 64, v0
	v_cmp_gt_i32_e32 vcc, s28, v14
	s_waitcnt vmcnt(3)
	v_fmac_f32_e32 v31, v10, v16
	s_waitcnt vmcnt(2)
	v_fmac_f32_e32 v31, v12, v17
	s_waitcnt vmcnt(1)
	v_fmac_f32_e32 v31, v13, v18
	s_and_saveexec_b64 s[0:1], vcc
	s_cbranch_execz .LBB17_39
; %bb.34:
	global_load_dword v15, v[2:3], off offset:256
	global_load_dword v16, v[4:5], off offset:256
	global_load_dword v17, v[6:7], off offset:256
	global_load_dword v14, v[8:9], off offset:256
	v_add_u32_e32 v18, 0x80, v0
	v_cmp_gt_i32_e32 vcc, s28, v18
	s_waitcnt vmcnt(3)
	v_fmac_f32_e32 v32, v10, v15
	s_waitcnt vmcnt(2)
	v_fmac_f32_e32 v32, v12, v16
	s_waitcnt vmcnt(1)
	v_fmac_f32_e32 v32, v13, v17
	s_and_saveexec_b64 s[4:5], vcc
	s_cbranch_execz .LBB17_38
; %bb.35:
	global_load_dword v16, v[2:3], off offset:512
	global_load_dword v17, v[4:5], off offset:512
	global_load_dword v18, v[6:7], off offset:512
	global_load_dword v15, v[8:9], off offset:512
	;; [unrolled: 15-line block ×3, first 2 shown]
	s_waitcnt vmcnt(3)
	v_fmac_f32_e32 v34, v10, v0
	s_waitcnt vmcnt(2)
	v_fmac_f32_e32 v34, v12, v16
	;; [unrolled: 2-line block ×4, first 2 shown]
.LBB17_37:
	s_or_b64 exec, exec, s[6:7]
	s_waitcnt vmcnt(0)
	v_fmac_f32_e32 v33, v11, v15
.LBB17_38:
	s_or_b64 exec, exec, s[4:5]
	s_waitcnt vmcnt(0)
	v_fmac_f32_e32 v32, v11, v14
.LBB17_39:
	s_or_b64 exec, exec, s[0:1]
	s_waitcnt vmcnt(0)
	v_fmac_f32_e32 v31, v11, v1
.LBB17_40:
	s_or_b64 exec, exec, s[2:3]
.LBB17_41:
	v_lshlrev_b32_e32 v0, 8, v30
	s_movk_i32 s0, 0x100
	v_add_lshl_u32 v0, v0, v29, 2
	v_cmp_gt_u32_e32 vcc, s0, v28
	ds_write2st64_b32 v0, v31, v32 offset1:1
	ds_write2st64_b32 v0, v33, v34 offset0:2 offset1:3
	s_waitcnt lgkmcnt(0)
	s_barrier
	s_waitcnt lgkmcnt(0)
                                        ; implicit-def: $vgpr1
                                        ; implicit-def: $vgpr2_vgpr3
	s_and_saveexec_b64 s[0:1], vcc
	s_cbranch_execz .LBB17_47
; %bb.42:
	s_waitcnt vmcnt(0)
	v_lshlrev_b32_e32 v10, 2, v28
	ds_read2st64_b32 v[0:1], v10 offset1:4
	ds_read2st64_b32 v[2:3], v10 offset0:8 offset1:12
	ds_read2st64_b32 v[4:5], v10 offset0:16 offset1:20
	;; [unrolled: 1-line block ×4, first 2 shown]
	s_waitcnt lgkmcnt(4)
	v_add_f32_e32 v0, v0, v1
	s_waitcnt lgkmcnt(3)
	v_add_f32_e32 v0, v2, v0
	v_add_f32_e32 v0, v3, v0
	s_waitcnt lgkmcnt(2)
	v_add_f32_e32 v0, v4, v0
	;; [unrolled: 3-line block ×3, first 2 shown]
	v_add_f32_e32 v2, v7, v0
	ds_read2st64_b32 v[0:1], v10 offset0:40 offset1:44
	s_waitcnt lgkmcnt(1)
	v_add_f32_e32 v4, v8, v2
	ds_read2st64_b32 v[2:3], v10 offset0:48 offset1:52
	v_add_f32_e32 v6, v9, v4
	ds_read2st64_b32 v[4:5], v10 offset0:56 offset1:60
	s_waitcnt lgkmcnt(2)
	v_add_f32_e32 v0, v0, v6
	v_add_f32_e32 v0, v1, v0
	s_waitcnt lgkmcnt(1)
	v_add_f32_e32 v0, v2, v0
	v_add_f32_e32 v0, v3, v0
	;; [unrolled: 3-line block ×3, first 2 shown]
	v_or_b32_e32 v0, s33, v28
	v_cmp_gt_i32_e32 vcc, s28, v0
	s_mov_b64 s[4:5], s[34:35]
	ds_write_b32 v10, v4
                                        ; implicit-def: $vgpr1
                                        ; implicit-def: $vgpr2_vgpr3
	s_and_saveexec_b64 s[2:3], vcc
	s_cbranch_execz .LBB17_46
; %bb.43:
	v_ashrrev_i32_e32 v2, 31, v0
	v_cmp_eq_f32_e64 s[4:5], s31, 0
	v_mul_f32_e32 v1, s30, v4
	v_mul_lo_u32 v4, v0, s25
	v_mul_lo_u32 v5, v2, s24
	v_mad_u64_u32 v[2:3], s[6:7], v0, s24, 0
	v_add3_u32 v3, v3, v4, v5
	s_and_b64 vcc, exec, s[4:5]
	s_cbranch_vccnz .LBB17_45
; %bb.44:
	v_lshl_add_u64 v[4:5], v[2:3], 2, s[26:27]
	global_load_dword v0, v[4:5], off
	s_waitcnt vmcnt(0)
	v_fmac_f32_e32 v1, s31, v0
.LBB17_45:
	s_or_b64 s[4:5], s[34:35], exec
.LBB17_46:
	s_or_b64 exec, exec, s[2:3]
	s_andn2_b64 s[2:3], s[34:35], exec
	s_and_b64 s[4:5], s[4:5], exec
	s_or_b64 s[34:35], s[2:3], s[4:5]
.LBB17_47:
	s_or_b64 exec, exec, s[0:1]
.LBB17_48:
	s_and_saveexec_b64 s[0:1], s[34:35]
	s_cbranch_execz .LBB17_50
; %bb.49:
	v_lshl_add_u64 v[2:3], v[2:3], 2, s[26:27]
	global_store_dword v[2:3], v1, off
.LBB17_50:
	s_endpgm
	.section	.rodata,"a",@progbits
	.p2align	6, 0x0
	.amdhsa_kernel _ZL20rocblas_gemvn_kernelILi64ELi16ElfffEviiT3_lPKT2_lT1_lS3_lS4_lS0_lPT4_lS4_li
		.amdhsa_group_segment_fixed_size 16384
		.amdhsa_private_segment_fixed_size 0
		.amdhsa_kernarg_size 400
		.amdhsa_user_sgpr_count 2
		.amdhsa_user_sgpr_dispatch_ptr 0
		.amdhsa_user_sgpr_queue_ptr 0
		.amdhsa_user_sgpr_kernarg_segment_ptr 1
		.amdhsa_user_sgpr_dispatch_id 0
		.amdhsa_user_sgpr_kernarg_preload_length 0
		.amdhsa_user_sgpr_kernarg_preload_offset 0
		.amdhsa_user_sgpr_private_segment_size 0
		.amdhsa_uses_dynamic_stack 0
		.amdhsa_enable_private_segment 0
		.amdhsa_system_sgpr_workgroup_id_x 1
		.amdhsa_system_sgpr_workgroup_id_y 0
		.amdhsa_system_sgpr_workgroup_id_z 1
		.amdhsa_system_sgpr_workgroup_info 0
		.amdhsa_system_vgpr_workitem_id 1
		.amdhsa_next_free_vgpr 51
		.amdhsa_next_free_sgpr 53
		.amdhsa_accum_offset 52
		.amdhsa_reserve_vcc 1
		.amdhsa_float_round_mode_32 0
		.amdhsa_float_round_mode_16_64 0
		.amdhsa_float_denorm_mode_32 3
		.amdhsa_float_denorm_mode_16_64 3
		.amdhsa_dx10_clamp 1
		.amdhsa_ieee_mode 1
		.amdhsa_fp16_overflow 0
		.amdhsa_tg_split 0
		.amdhsa_exception_fp_ieee_invalid_op 0
		.amdhsa_exception_fp_denorm_src 0
		.amdhsa_exception_fp_ieee_div_zero 0
		.amdhsa_exception_fp_ieee_overflow 0
		.amdhsa_exception_fp_ieee_underflow 0
		.amdhsa_exception_fp_ieee_inexact 0
		.amdhsa_exception_int_div_zero 0
	.end_amdhsa_kernel
	.section	.text._ZL20rocblas_gemvn_kernelILi64ELi16ElfffEviiT3_lPKT2_lT1_lS3_lS4_lS0_lPT4_lS4_li,"axG",@progbits,_ZL20rocblas_gemvn_kernelILi64ELi16ElfffEviiT3_lPKT2_lT1_lS3_lS4_lS0_lPT4_lS4_li,comdat
.Lfunc_end17:
	.size	_ZL20rocblas_gemvn_kernelILi64ELi16ElfffEviiT3_lPKT2_lT1_lS3_lS4_lS0_lPT4_lS4_li, .Lfunc_end17-_ZL20rocblas_gemvn_kernelILi64ELi16ElfffEviiT3_lPKT2_lT1_lS3_lS4_lS0_lPT4_lS4_li
                                        ; -- End function
	.section	.AMDGPU.csdata,"",@progbits
; Kernel info:
; codeLenInByte = 2668
; NumSgprs: 59
; NumVgprs: 51
; NumAgprs: 0
; TotalNumVgprs: 51
; ScratchSize: 0
; MemoryBound: 0
; FloatMode: 240
; IeeeMode: 1
; LDSByteSize: 16384 bytes/workgroup (compile time only)
; SGPRBlocks: 7
; VGPRBlocks: 6
; NumSGPRsForWavesPerEU: 59
; NumVGPRsForWavesPerEU: 51
; AccumOffset: 52
; Occupancy: 8
; WaveLimiterHint : 1
; COMPUTE_PGM_RSRC2:SCRATCH_EN: 0
; COMPUTE_PGM_RSRC2:USER_SGPR: 2
; COMPUTE_PGM_RSRC2:TRAP_HANDLER: 0
; COMPUTE_PGM_RSRC2:TGID_X_EN: 1
; COMPUTE_PGM_RSRC2:TGID_Y_EN: 0
; COMPUTE_PGM_RSRC2:TGID_Z_EN: 1
; COMPUTE_PGM_RSRC2:TIDIG_COMP_CNT: 1
; COMPUTE_PGM_RSRC3_GFX90A:ACCUM_OFFSET: 12
; COMPUTE_PGM_RSRC3_GFX90A:TG_SPLIT: 0
	.section	.text._ZL22rocblas_gemvtsm_kernelILb0ELi256EfPKffEviiT2_lPKT1_lilS5_lilS2_lPT3_lil,"axG",@progbits,_ZL22rocblas_gemvtsm_kernelILb0ELi256EfPKffEviiT2_lPKT1_lilS5_lilS2_lPT3_lil,comdat
	.globl	_ZL22rocblas_gemvtsm_kernelILb0ELi256EfPKffEviiT2_lPKT1_lilS5_lilS2_lPT3_lil ; -- Begin function _ZL22rocblas_gemvtsm_kernelILb0ELi256EfPKffEviiT2_lPKT1_lilS5_lilS2_lPT3_lil
	.p2align	8
	.type	_ZL22rocblas_gemvtsm_kernelILb0ELi256EfPKffEviiT2_lPKT1_lilS5_lilS2_lPT3_lil,@function
_ZL22rocblas_gemvtsm_kernelILb0ELi256EfPKffEviiT2_lPKT1_lilS5_lilS2_lPT3_lil: ; @_ZL22rocblas_gemvtsm_kernelILb0ELi256EfPKffEviiT2_lPKT1_lilS5_lilS2_lPT3_lil
; %bb.0:
	s_load_dwordx8 s[4:11], s[0:1], 0x8
	s_load_dwordx8 s[12:19], s[0:1], 0x50
	s_waitcnt lgkmcnt(0)
	s_mul_i32 s3, s2, s7
	s_mul_hi_u32 s7, s2, s6
	s_add_i32 s7, s7, s3
	s_mul_i32 s6, s2, s6
	s_lshl_b64 s[6:7], s[6:7], 2
	s_add_u32 s4, s4, s6
	s_addc_u32 s5, s5, s7
	s_load_dword s3, s[4:5], 0x0
	s_mul_i32 s4, s2, s17
	s_mul_hi_u32 s5, s2, s16
	s_add_i32 s5, s5, s4
	s_mul_i32 s4, s2, s16
	s_lshl_b64 s[4:5], s[4:5], 2
	s_add_u32 s4, s14, s4
	s_addc_u32 s5, s15, s5
	s_load_dword s28, s[4:5], 0x0
	s_waitcnt lgkmcnt(0)
	v_cmp_eq_f32_e64 s[4:5], s3, 0
	v_cmp_eq_f32_e64 s[6:7], s28, 1.0
	s_and_b64 s[4:5], s[4:5], s[6:7]
	s_and_b64 vcc, exec, s[4:5]
	s_cbranch_vccnz .LBB18_34
; %bb.1:
	s_load_dwordx2 s[4:5], s[0:1], 0x80
	s_load_dword s14, s[0:1], 0x78
	s_load_dwordx2 s[20:21], s[0:1], 0x70
	s_load_dwordx2 s[16:17], s[0:1], 0x0
	s_waitcnt lgkmcnt(0)
	s_mul_i32 s5, s2, s5
	s_mul_hi_u32 s6, s2, s4
	s_add_i32 s23, s6, s5
	s_mul_i32 s22, s2, s4
	v_cmp_neq_f32_e64 s[4:5], s3, 0
	s_and_b64 vcc, exec, s[4:5]
	s_cbranch_vccnz .LBB18_9
; %bb.2:
	s_cmp_gt_i32 s17, 0
	s_cselect_b64 s[6:7], -1, 0
	v_cmp_neq_f32_e64 s[4:5], s28, 0
	v_cndmask_b32_e64 v1, 0, 1, s[6:7]
	s_and_b64 vcc, exec, s[4:5]
	v_cmp_ne_u32_e64 s[4:5], 1, v1
	s_cbranch_vccnz .LBB18_10
; %bb.3:
	s_and_b64 vcc, exec, s[4:5]
	s_cbranch_vccnz .LBB18_8
; %bb.4:
	v_mad_i64_i32 v[2:3], s[24:25], s14, v0, 0
	s_ashr_i32 s15, s14, 31
	s_lshl_b64 s[6:7], s[22:23], 2
	s_lshl_b64 s[24:25], s[20:21], 2
	s_add_u32 s24, s18, s24
	s_addc_u32 s25, s19, s25
	s_add_u32 s6, s24, s6
	s_addc_u32 s7, s25, s7
	v_lshl_add_u64 v[2:3], v[2:3], 2, s[6:7]
	s_lshl_b64 s[6:7], s[14:15], 10
	s_mov_b32 s15, 0
	v_mov_b32_e32 v1, 0
	s_branch .LBB18_6
.LBB18_5:                               ;   in Loop: Header=BB18_6 Depth=1
	s_or_b64 exec, exec, s[24:25]
	s_addk_i32 s15, 0x100
	s_cmp_ge_i32 s15, s17
	v_lshl_add_u64 v[2:3], v[2:3], 0, s[6:7]
	s_cbranch_scc1 .LBB18_8
.LBB18_6:                               ; =>This Inner Loop Header: Depth=1
	v_add_u32_e32 v4, s15, v0
	v_cmp_gt_i32_e32 vcc, s17, v4
	s_and_saveexec_b64 s[24:25], vcc
	s_cbranch_execz .LBB18_5
; %bb.7:                                ;   in Loop: Header=BB18_6 Depth=1
	global_store_dword v[2:3], v1, off
	s_branch .LBB18_5
.LBB18_8:
	s_cbranch_execz .LBB18_11
	s_branch .LBB18_16
.LBB18_9:
	s_branch .LBB18_17
.LBB18_10:
.LBB18_11:
	s_and_b64 vcc, exec, s[4:5]
	s_cbranch_vccnz .LBB18_16
; %bb.12:
	v_mad_i64_i32 v[2:3], s[6:7], s14, v0, 0
	s_ashr_i32 s15, s14, 31
	s_lshl_b64 s[4:5], s[22:23], 2
	s_lshl_b64 s[6:7], s[20:21], 2
	s_add_u32 s6, s18, s6
	s_addc_u32 s7, s19, s7
	s_add_u32 s4, s6, s4
	s_addc_u32 s5, s7, s5
	v_lshl_add_u64 v[2:3], v[2:3], 2, s[4:5]
	s_lshl_b64 s[4:5], s[14:15], 10
	s_mov_b32 s15, 0
	s_branch .LBB18_14
.LBB18_13:                              ;   in Loop: Header=BB18_14 Depth=1
	s_or_b64 exec, exec, s[6:7]
	s_addk_i32 s15, 0x100
	s_cmp_ge_i32 s15, s17
	v_lshl_add_u64 v[2:3], v[2:3], 0, s[4:5]
	s_cbranch_scc1 .LBB18_16
.LBB18_14:                              ; =>This Inner Loop Header: Depth=1
	v_add_u32_e32 v1, s15, v0
	v_cmp_gt_i32_e32 vcc, s17, v1
	s_and_saveexec_b64 s[6:7], vcc
	s_cbranch_execz .LBB18_13
; %bb.15:                               ;   in Loop: Header=BB18_14 Depth=1
	global_load_dword v1, v[2:3], off
	s_waitcnt vmcnt(0)
	v_mul_f32_e32 v1, s28, v1
	global_store_dword v[2:3], v1, off
	s_branch .LBB18_13
.LBB18_16:
	s_cbranch_execnz .LBB18_34
.LBB18_17:
	s_load_dwordx4 s[4:7], s[0:1], 0x30
	s_load_dwordx2 s[26:27], s[0:1], 0x40
	v_cmp_gt_i32_e32 vcc, s16, v0
	s_and_saveexec_b64 s[24:25], vcc
	s_cbranch_execz .LBB18_19
; %bb.18:
	s_mul_i32 s13, s2, s13
	s_mul_hi_u32 s15, s2, s12
	s_add_i32 s13, s15, s13
	s_mul_i32 s12, s2, s12
	s_load_dword s15, s[0:1], 0x48
	s_lshl_b64 s[12:13], s[12:13], 2
	s_waitcnt lgkmcnt(0)
	s_add_u32 s12, s6, s12
	s_addc_u32 s13, s7, s13
	s_lshl_b64 s[6:7], s[26:27], 2
	s_add_u32 s6, s12, s6
	s_addc_u32 s7, s13, s7
	v_mad_i64_i32 v[2:3], s[12:13], s15, v0, 0
	v_lshl_add_u64 v[2:3], v[2:3], 2, s[6:7]
	global_load_dword v1, v[2:3], off
	v_lshlrev_b32_e32 v2, 2, v0
	s_waitcnt vmcnt(0)
	v_mul_f32_e32 v1, s3, v1
	ds_write_b32 v2, v1
.LBB18_19:
	s_or_b64 exec, exec, s[24:25]
	s_cmp_lt_i32 s17, 1
	s_waitcnt lgkmcnt(0)
	s_barrier
	s_cbranch_scc1 .LBB18_34
; %bb.20:
	s_load_dword s0, s[0:1], 0x28
	s_lshl_b64 s[6:7], s[22:23], 2
	s_add_u32 s3, s18, s6
	s_addc_u32 s1, s19, s7
	s_lshl_b64 s[6:7], s[20:21], 2
	s_add_u32 s12, s3, s6
	s_addc_u32 s13, s1, s7
	s_waitcnt lgkmcnt(0)
	s_ashr_i32 s1, s0, 31
	s_ashr_i32 s15, s14, 31
	s_cmp_gt_i32 s16, 0
	s_cselect_b64 s[6:7], -1, 0
	s_and_b32 s20, s16, 7
	s_cmp_gt_u32 s16, 7
	s_cselect_b64 s[22:23], -1, 0
	s_and_b32 s16, s16, 0x7ffffff8
	s_cmp_lg_u32 s20, 0
	s_mul_i32 s3, s5, s2
	s_mul_hi_u32 s5, s4, s2
	s_cselect_b64 s[24:25], -1, 0
	s_add_i32 s3, s5, s3
	s_mul_i32 s2, s4, s2
	v_mad_i64_i32 v[2:3], s[4:5], s0, v0, 0
	s_lshl_b64 s[2:3], s[2:3], 2
	s_lshl_b64 s[4:5], s[10:11], 2
	s_add_u32 s4, s8, s4
	s_addc_u32 s5, s9, s5
	s_add_u32 s2, s4, s2
	s_addc_u32 s3, s5, s3
	s_lshl_b64 s[8:9], s[0:1], 10
	v_cmp_neq_f32_e64 s[0:1], s28, 0
	v_cndmask_b32_e64 v6, 0, 1, s[22:23]
	v_lshl_add_u64 v[2:3], v[2:3], 2, s[2:3]
	v_cndmask_b32_e64 v1, 0, 1, s[0:1]
	v_cmp_ne_u32_e64 s[0:1], 1, v1
	v_cndmask_b32_e64 v1, 0, 1, s[6:7]
	v_cmp_ne_u32_e64 s[2:3], 1, v6
	v_cndmask_b32_e64 v6, 0, 1, s[24:25]
	s_mov_b32 s19, 0
	v_lshl_add_u64 v[4:5], v[2:3], 0, 28
	v_cmp_ne_u32_e64 s[4:5], 1, v1
	v_cmp_ne_u32_e64 s[6:7], 1, v6
	s_mov_b32 s21, 0
	s_branch .LBB18_23
.LBB18_21:                              ;   in Loop: Header=BB18_23 Depth=1
	global_store_dword v[6:7], v1, off
.LBB18_22:                              ;   in Loop: Header=BB18_23 Depth=1
	s_or_b64 exec, exec, s[10:11]
	s_addk_i32 s21, 0x100
	v_lshl_add_u64 v[4:5], v[4:5], 0, s[8:9]
	s_cmp_ge_i32 s21, s17
	v_lshl_add_u64 v[2:3], v[2:3], 0, s[8:9]
	s_cbranch_scc1 .LBB18_34
.LBB18_23:                              ; =>This Loop Header: Depth=1
                                        ;     Child Loop BB18_29 Depth 2
                                        ;     Child Loop BB18_33 Depth 2
	v_add_u32_e32 v1, s21, v0
	v_cmp_gt_i32_e32 vcc, s17, v1
	s_and_saveexec_b64 s[10:11], vcc
	s_cbranch_execz .LBB18_22
; %bb.24:                               ;   in Loop: Header=BB18_23 Depth=1
	v_mad_u64_u32 v[6:7], s[22:23], v1, s14, 0
	v_mov_b32_e32 v8, v7
	v_mad_u64_u32 v[8:9], s[22:23], v1, s15, v[8:9]
	v_mov_b32_e32 v7, v8
	s_and_b64 vcc, exec, s[0:1]
	v_lshl_add_u64 v[6:7], v[6:7], 2, s[12:13]
	s_cbranch_vccnz .LBB18_26
; %bb.25:                               ;   in Loop: Header=BB18_23 Depth=1
	global_load_dword v1, v[6:7], off
	s_waitcnt vmcnt(0)
	v_mul_f32_e32 v1, s28, v1
	s_and_b64 vcc, exec, s[4:5]
	s_cbranch_vccz .LBB18_27
	s_branch .LBB18_21
.LBB18_26:                              ;   in Loop: Header=BB18_23 Depth=1
	v_mov_b32_e32 v1, 0
	s_and_b64 vcc, exec, s[4:5]
	s_cbranch_vccnz .LBB18_21
.LBB18_27:                              ;   in Loop: Header=BB18_23 Depth=1
	s_mov_b32 s18, 0
	s_and_b64 vcc, exec, s[2:3]
	s_cbranch_vccnz .LBB18_31
; %bb.28:                               ;   in Loop: Header=BB18_23 Depth=1
	s_mov_b32 s22, 0
	v_mov_b64_e32 v[8:9], v[4:5]
.LBB18_29:                              ;   Parent Loop BB18_23 Depth=1
                                        ; =>  This Inner Loop Header: Depth=2
	global_load_dwordx4 v[10:13], v[8:9], off offset:-28
	global_load_dwordx4 v[14:17], v[8:9], off offset:-12
	v_mov_b32_e32 v22, s18
	ds_read_b128 v[18:21], v22
	ds_read_b128 v[22:25], v22 offset:16
	s_add_i32 s22, s22, 8
	s_add_i32 s18, s18, 32
	v_lshl_add_u64 v[8:9], v[8:9], 0, 32
	s_cmp_eq_u32 s16, s22
	s_waitcnt vmcnt(1) lgkmcnt(1)
	v_fmac_f32_e32 v1, v18, v10
	v_fmac_f32_e32 v1, v19, v11
	;; [unrolled: 1-line block ×4, first 2 shown]
	s_waitcnt vmcnt(0) lgkmcnt(0)
	v_fmac_f32_e32 v1, v22, v14
	v_fmac_f32_e32 v1, v23, v15
	v_fmac_f32_e32 v1, v24, v16
	v_fmac_f32_e32 v1, v25, v17
	s_cbranch_scc0 .LBB18_29
; %bb.30:                               ;   in Loop: Header=BB18_23 Depth=1
	s_mov_b32 s18, s16
.LBB18_31:                              ;   in Loop: Header=BB18_23 Depth=1
	s_and_b64 vcc, exec, s[6:7]
	s_cbranch_vccnz .LBB18_21
; %bb.32:                               ;   in Loop: Header=BB18_23 Depth=1
	s_lshl_b32 s22, s18, 2
	v_lshl_add_u64 v[8:9], s[18:19], 2, v[2:3]
	s_mov_b32 s18, s20
.LBB18_33:                              ;   Parent Loop BB18_23 Depth=1
                                        ; =>  This Inner Loop Header: Depth=2
	global_load_dword v10, v[8:9], off
	v_mov_b32_e32 v11, s22
	ds_read_b32 v11, v11
	s_add_i32 s22, s22, 4
	s_add_i32 s18, s18, -1
	v_lshl_add_u64 v[8:9], v[8:9], 0, 4
	s_cmp_lg_u32 s18, 0
	s_waitcnt vmcnt(0) lgkmcnt(0)
	v_fmac_f32_e32 v1, v11, v10
	s_cbranch_scc1 .LBB18_33
	s_branch .LBB18_21
.LBB18_34:
	s_endpgm
	.section	.rodata,"a",@progbits
	.p2align	6, 0x0
	.amdhsa_kernel _ZL22rocblas_gemvtsm_kernelILb0ELi256EfPKffEviiT2_lPKT1_lilS5_lilS2_lPT3_lil
		.amdhsa_group_segment_fixed_size 256
		.amdhsa_private_segment_fixed_size 0
		.amdhsa_kernarg_size 136
		.amdhsa_user_sgpr_count 2
		.amdhsa_user_sgpr_dispatch_ptr 0
		.amdhsa_user_sgpr_queue_ptr 0
		.amdhsa_user_sgpr_kernarg_segment_ptr 1
		.amdhsa_user_sgpr_dispatch_id 0
		.amdhsa_user_sgpr_kernarg_preload_length 0
		.amdhsa_user_sgpr_kernarg_preload_offset 0
		.amdhsa_user_sgpr_private_segment_size 0
		.amdhsa_uses_dynamic_stack 0
		.amdhsa_enable_private_segment 0
		.amdhsa_system_sgpr_workgroup_id_x 1
		.amdhsa_system_sgpr_workgroup_id_y 0
		.amdhsa_system_sgpr_workgroup_id_z 0
		.amdhsa_system_sgpr_workgroup_info 0
		.amdhsa_system_vgpr_workitem_id 0
		.amdhsa_next_free_vgpr 26
		.amdhsa_next_free_sgpr 29
		.amdhsa_accum_offset 28
		.amdhsa_reserve_vcc 1
		.amdhsa_float_round_mode_32 0
		.amdhsa_float_round_mode_16_64 0
		.amdhsa_float_denorm_mode_32 3
		.amdhsa_float_denorm_mode_16_64 3
		.amdhsa_dx10_clamp 1
		.amdhsa_ieee_mode 1
		.amdhsa_fp16_overflow 0
		.amdhsa_tg_split 0
		.amdhsa_exception_fp_ieee_invalid_op 0
		.amdhsa_exception_fp_denorm_src 0
		.amdhsa_exception_fp_ieee_div_zero 0
		.amdhsa_exception_fp_ieee_overflow 0
		.amdhsa_exception_fp_ieee_underflow 0
		.amdhsa_exception_fp_ieee_inexact 0
		.amdhsa_exception_int_div_zero 0
	.end_amdhsa_kernel
	.section	.text._ZL22rocblas_gemvtsm_kernelILb0ELi256EfPKffEviiT2_lPKT1_lilS5_lilS2_lPT3_lil,"axG",@progbits,_ZL22rocblas_gemvtsm_kernelILb0ELi256EfPKffEviiT2_lPKT1_lilS5_lilS2_lPT3_lil,comdat
.Lfunc_end18:
	.size	_ZL22rocblas_gemvtsm_kernelILb0ELi256EfPKffEviiT2_lPKT1_lilS5_lilS2_lPT3_lil, .Lfunc_end18-_ZL22rocblas_gemvtsm_kernelILb0ELi256EfPKffEviiT2_lPKT1_lilS5_lilS2_lPT3_lil
                                        ; -- End function
	.section	.AMDGPU.csdata,"",@progbits
; Kernel info:
; codeLenInByte = 1220
; NumSgprs: 35
; NumVgprs: 26
; NumAgprs: 0
; TotalNumVgprs: 26
; ScratchSize: 0
; MemoryBound: 0
; FloatMode: 240
; IeeeMode: 1
; LDSByteSize: 256 bytes/workgroup (compile time only)
; SGPRBlocks: 4
; VGPRBlocks: 3
; NumSGPRsForWavesPerEU: 35
; NumVGPRsForWavesPerEU: 26
; AccumOffset: 28
; Occupancy: 8
; WaveLimiterHint : 1
; COMPUTE_PGM_RSRC2:SCRATCH_EN: 0
; COMPUTE_PGM_RSRC2:USER_SGPR: 2
; COMPUTE_PGM_RSRC2:TRAP_HANDLER: 0
; COMPUTE_PGM_RSRC2:TGID_X_EN: 1
; COMPUTE_PGM_RSRC2:TGID_Y_EN: 0
; COMPUTE_PGM_RSRC2:TGID_Z_EN: 0
; COMPUTE_PGM_RSRC2:TIDIG_COMP_CNT: 0
; COMPUTE_PGM_RSRC3_GFX90A:ACCUM_OFFSET: 6
; COMPUTE_PGM_RSRC3_GFX90A:TG_SPLIT: 0
	.section	.text._ZL22rocblas_gemvtsm_kernelILb0ELi256EfffEviiT2_lPKT1_lilS3_lilS0_lPT3_lil,"axG",@progbits,_ZL22rocblas_gemvtsm_kernelILb0ELi256EfffEviiT2_lPKT1_lilS3_lilS0_lPT3_lil,comdat
	.globl	_ZL22rocblas_gemvtsm_kernelILb0ELi256EfffEviiT2_lPKT1_lilS3_lilS0_lPT3_lil ; -- Begin function _ZL22rocblas_gemvtsm_kernelILb0ELi256EfffEviiT2_lPKT1_lilS3_lilS0_lPT3_lil
	.p2align	8
	.type	_ZL22rocblas_gemvtsm_kernelILb0ELi256EfffEviiT2_lPKT1_lilS3_lilS0_lPT3_lil,@function
_ZL22rocblas_gemvtsm_kernelILb0ELi256EfffEviiT2_lPKT1_lilS3_lilS0_lPT3_lil: ; @_ZL22rocblas_gemvtsm_kernelILb0ELi256EfffEviiT2_lPKT1_lilS3_lilS0_lPT3_lil
; %bb.0:
	s_load_dwordx4 s[8:11], s[0:1], 0x0
	s_load_dword s24, s[0:1], 0x58
	s_waitcnt lgkmcnt(0)
	v_cmp_eq_f32_e64 s[4:5], s10, 0
	v_cmp_eq_f32_e64 s[6:7], s24, 1.0
	s_and_b64 s[4:5], s[4:5], s[6:7]
	s_and_b64 vcc, exec, s[4:5]
	s_cbranch_vccnz .LBB19_34
; %bb.1:
	s_load_dwordx2 s[4:5], s[0:1], 0x80
	s_load_dwordx4 s[12:15], s[0:1], 0x68
	s_load_dword s16, s[0:1], 0x78
	s_waitcnt lgkmcnt(0)
	s_mul_i32 s3, s2, s5
	s_mul_hi_u32 s5, s2, s4
	s_mul_i32 s18, s2, s4
	s_add_i32 s19, s5, s3
	v_cmp_neq_f32_e64 s[4:5], s10, 0
	s_and_b64 vcc, exec, s[4:5]
	s_cbranch_vccnz .LBB19_9
; %bb.2:
	s_cmp_gt_i32 s9, 0
	s_cselect_b64 s[6:7], -1, 0
	v_cmp_neq_f32_e64 s[4:5], s24, 0
	v_cndmask_b32_e64 v1, 0, 1, s[6:7]
	s_and_b64 vcc, exec, s[4:5]
	v_cmp_ne_u32_e64 s[4:5], 1, v1
	s_cbranch_vccnz .LBB19_10
; %bb.3:
	s_and_b64 vcc, exec, s[4:5]
	s_cbranch_vccnz .LBB19_8
; %bb.4:
	v_mad_i64_i32 v[2:3], s[20:21], s16, v0, 0
	s_ashr_i32 s17, s16, 31
	s_lshl_b64 s[6:7], s[18:19], 2
	s_lshl_b64 s[20:21], s[14:15], 2
	s_add_u32 s3, s12, s20
	s_addc_u32 s11, s13, s21
	s_add_u32 s6, s3, s6
	s_addc_u32 s7, s11, s7
	v_lshl_add_u64 v[2:3], v[2:3], 2, s[6:7]
	s_lshl_b64 s[6:7], s[16:17], 10
	s_mov_b32 s3, 0
	v_mov_b32_e32 v1, 0
	s_branch .LBB19_6
.LBB19_5:                               ;   in Loop: Header=BB19_6 Depth=1
	s_or_b64 exec, exec, s[20:21]
	s_addk_i32 s3, 0x100
	s_cmp_ge_i32 s3, s9
	v_lshl_add_u64 v[2:3], v[2:3], 0, s[6:7]
	s_cbranch_scc1 .LBB19_8
.LBB19_6:                               ; =>This Inner Loop Header: Depth=1
	v_add_u32_e32 v4, s3, v0
	v_cmp_gt_i32_e32 vcc, s9, v4
	s_and_saveexec_b64 s[20:21], vcc
	s_cbranch_execz .LBB19_5
; %bb.7:                                ;   in Loop: Header=BB19_6 Depth=1
	global_store_dword v[2:3], v1, off
	s_branch .LBB19_5
.LBB19_8:
	s_cbranch_execz .LBB19_11
	s_branch .LBB19_16
.LBB19_9:
	s_branch .LBB19_17
.LBB19_10:
.LBB19_11:
	s_and_b64 vcc, exec, s[4:5]
	s_cbranch_vccnz .LBB19_16
; %bb.12:
	v_mad_i64_i32 v[2:3], s[6:7], s16, v0, 0
	s_ashr_i32 s17, s16, 31
	s_lshl_b64 s[4:5], s[18:19], 2
	s_lshl_b64 s[6:7], s[14:15], 2
	s_add_u32 s3, s12, s6
	s_addc_u32 s6, s13, s7
	s_add_u32 s4, s3, s4
	s_addc_u32 s5, s6, s5
	v_lshl_add_u64 v[2:3], v[2:3], 2, s[4:5]
	s_lshl_b64 s[4:5], s[16:17], 10
	s_mov_b32 s3, 0
	s_branch .LBB19_14
.LBB19_13:                              ;   in Loop: Header=BB19_14 Depth=1
	s_or_b64 exec, exec, s[6:7]
	s_addk_i32 s3, 0x100
	s_cmp_ge_i32 s3, s9
	v_lshl_add_u64 v[2:3], v[2:3], 0, s[4:5]
	s_cbranch_scc1 .LBB19_16
.LBB19_14:                              ; =>This Inner Loop Header: Depth=1
	v_add_u32_e32 v1, s3, v0
	v_cmp_gt_i32_e32 vcc, s9, v1
	s_and_saveexec_b64 s[6:7], vcc
	s_cbranch_execz .LBB19_13
; %bb.15:                               ;   in Loop: Header=BB19_14 Depth=1
	global_load_dword v1, v[2:3], off
	s_waitcnt vmcnt(0)
	v_mul_f32_e32 v1, s24, v1
	global_store_dword v[2:3], v1, off
	s_branch .LBB19_13
.LBB19_16:
	s_cbranch_execnz .LBB19_34
.LBB19_17:
	s_load_dwordx4 s[4:7], s[0:1], 0x30
	s_load_dwordx2 s[22:23], s[0:1], 0x40
	v_cmp_gt_i32_e32 vcc, s8, v0
	s_and_saveexec_b64 s[20:21], vcc
	s_cbranch_execz .LBB19_19
; %bb.18:
	s_load_dwordx2 s[26:27], s[0:1], 0x50
	s_load_dword s3, s[0:1], 0x48
	s_waitcnt lgkmcnt(0)
	s_mul_i32 s11, s2, s27
	s_mul_hi_u32 s17, s2, s26
	s_mul_i32 s26, s2, s26
	s_add_i32 s27, s17, s11
	s_lshl_b64 s[26:27], s[26:27], 2
	s_add_u32 s11, s6, s26
	s_addc_u32 s17, s7, s27
	s_lshl_b64 s[6:7], s[22:23], 2
	s_add_u32 s6, s11, s6
	s_addc_u32 s7, s17, s7
	v_mad_i64_i32 v[2:3], s[22:23], s3, v0, 0
	v_lshl_add_u64 v[2:3], v[2:3], 2, s[6:7]
	global_load_dword v1, v[2:3], off
	v_lshlrev_b32_e32 v2, 2, v0
	s_waitcnt vmcnt(0)
	v_mul_f32_e32 v1, s10, v1
	ds_write_b32 v2, v1
.LBB19_19:
	s_or_b64 exec, exec, s[20:21]
	s_cmp_lt_i32 s9, 1
	s_waitcnt lgkmcnt(0)
	s_barrier
	s_cbranch_scc1 .LBB19_34
; %bb.20:
	s_lshl_b64 s[6:7], s[18:19], 2
	s_add_u32 s3, s12, s6
	s_load_dwordx4 s[28:31], s[0:1], 0x18
	s_load_dword s6, s[0:1], 0x28
	s_addc_u32 s7, s13, s7
	s_lshl_b64 s[0:1], s[14:15], 2
	s_add_u32 s10, s3, s0
	s_addc_u32 s11, s7, s1
	s_waitcnt lgkmcnt(0)
	s_ashr_i32 s7, s6, 31
	s_ashr_i32 s17, s16, 31
	s_cmp_gt_i32 s8, 0
	s_cselect_b64 s[18:19], -1, 0
	s_and_b32 s20, s8, 7
	s_cmp_gt_u32 s8, 7
	s_cselect_b64 s[22:23], -1, 0
	s_and_b32 s8, s8, 0x7ffffff8
	s_cmp_lg_u32 s20, 0
	s_mul_i32 s0, s5, s2
	s_mul_hi_u32 s1, s4, s2
	s_cselect_b64 s[26:27], -1, 0
	s_add_i32 s1, s1, s0
	s_mul_i32 s0, s4, s2
	v_mad_i64_i32 v[2:3], s[2:3], s6, v0, 0
	s_lshl_b64 s[0:1], s[0:1], 2
	s_lshl_b64 s[2:3], s[30:31], 2
	s_add_u32 s2, s28, s2
	s_addc_u32 s3, s29, s3
	s_add_u32 s0, s2, s0
	s_addc_u32 s1, s3, s1
	v_lshl_add_u64 v[2:3], v[2:3], 2, s[0:1]
	v_cmp_neq_f32_e64 s[0:1], s24, 0
	s_mov_b32 s13, 0
	v_lshl_add_u64 v[4:5], v[2:3], 0, 28
	v_cndmask_b32_e64 v1, 0, 1, s[0:1]
	v_cmp_ne_u32_e64 s[0:1], 1, v1
	v_cndmask_b32_e64 v1, 0, 1, s[18:19]
	v_cmp_ne_u32_e64 s[2:3], 1, v1
	;; [unrolled: 2-line block ×3, first 2 shown]
	v_cndmask_b32_e64 v1, 0, 1, s[26:27]
	s_lshl_b64 s[14:15], s[6:7], 10
	v_cmp_ne_u32_e64 s[6:7], 1, v1
	s_mov_b32 s21, 0
	s_branch .LBB19_23
.LBB19_21:                              ;   in Loop: Header=BB19_23 Depth=1
	global_store_dword v[6:7], v1, off
.LBB19_22:                              ;   in Loop: Header=BB19_23 Depth=1
	s_or_b64 exec, exec, s[18:19]
	s_addk_i32 s21, 0x100
	v_lshl_add_u64 v[4:5], v[4:5], 0, s[14:15]
	s_cmp_ge_i32 s21, s9
	v_lshl_add_u64 v[2:3], v[2:3], 0, s[14:15]
	s_cbranch_scc1 .LBB19_34
.LBB19_23:                              ; =>This Loop Header: Depth=1
                                        ;     Child Loop BB19_29 Depth 2
                                        ;     Child Loop BB19_33 Depth 2
	v_add_u32_e32 v1, s21, v0
	v_cmp_gt_i32_e32 vcc, s9, v1
	s_and_saveexec_b64 s[18:19], vcc
	s_cbranch_execz .LBB19_22
; %bb.24:                               ;   in Loop: Header=BB19_23 Depth=1
	v_mad_u64_u32 v[6:7], s[22:23], v1, s16, 0
	v_mov_b32_e32 v8, v7
	v_mad_u64_u32 v[8:9], s[22:23], v1, s17, v[8:9]
	v_mov_b32_e32 v7, v8
	s_and_b64 vcc, exec, s[0:1]
	v_lshl_add_u64 v[6:7], v[6:7], 2, s[10:11]
	s_cbranch_vccnz .LBB19_26
; %bb.25:                               ;   in Loop: Header=BB19_23 Depth=1
	global_load_dword v1, v[6:7], off
	s_waitcnt vmcnt(0)
	v_mul_f32_e32 v1, s24, v1
	s_and_b64 vcc, exec, s[2:3]
	s_cbranch_vccz .LBB19_27
	s_branch .LBB19_21
.LBB19_26:                              ;   in Loop: Header=BB19_23 Depth=1
	v_mov_b32_e32 v1, 0
	s_and_b64 vcc, exec, s[2:3]
	s_cbranch_vccnz .LBB19_21
.LBB19_27:                              ;   in Loop: Header=BB19_23 Depth=1
	s_mov_b32 s12, 0
	s_and_b64 vcc, exec, s[4:5]
	s_cbranch_vccnz .LBB19_31
; %bb.28:                               ;   in Loop: Header=BB19_23 Depth=1
	s_mov_b32 s22, 0
	v_mov_b64_e32 v[8:9], v[4:5]
.LBB19_29:                              ;   Parent Loop BB19_23 Depth=1
                                        ; =>  This Inner Loop Header: Depth=2
	global_load_dwordx4 v[10:13], v[8:9], off offset:-28
	global_load_dwordx4 v[14:17], v[8:9], off offset:-12
	v_mov_b32_e32 v22, s12
	ds_read_b128 v[18:21], v22
	ds_read_b128 v[22:25], v22 offset:16
	s_add_i32 s22, s22, 8
	s_add_i32 s12, s12, 32
	v_lshl_add_u64 v[8:9], v[8:9], 0, 32
	s_cmp_eq_u32 s8, s22
	s_waitcnt vmcnt(1) lgkmcnt(1)
	v_fmac_f32_e32 v1, v18, v10
	v_fmac_f32_e32 v1, v19, v11
	;; [unrolled: 1-line block ×4, first 2 shown]
	s_waitcnt vmcnt(0) lgkmcnt(0)
	v_fmac_f32_e32 v1, v22, v14
	v_fmac_f32_e32 v1, v23, v15
	;; [unrolled: 1-line block ×4, first 2 shown]
	s_cbranch_scc0 .LBB19_29
; %bb.30:                               ;   in Loop: Header=BB19_23 Depth=1
	s_mov_b32 s12, s8
.LBB19_31:                              ;   in Loop: Header=BB19_23 Depth=1
	s_and_b64 vcc, exec, s[6:7]
	s_cbranch_vccnz .LBB19_21
; %bb.32:                               ;   in Loop: Header=BB19_23 Depth=1
	s_lshl_b32 s22, s12, 2
	v_lshl_add_u64 v[8:9], s[12:13], 2, v[2:3]
	s_mov_b32 s12, s20
.LBB19_33:                              ;   Parent Loop BB19_23 Depth=1
                                        ; =>  This Inner Loop Header: Depth=2
	global_load_dword v10, v[8:9], off
	v_mov_b32_e32 v11, s22
	ds_read_b32 v11, v11
	s_add_i32 s22, s22, 4
	s_add_i32 s12, s12, -1
	v_lshl_add_u64 v[8:9], v[8:9], 0, 4
	s_cmp_lg_u32 s12, 0
	s_waitcnt vmcnt(0) lgkmcnt(0)
	v_fmac_f32_e32 v1, v11, v10
	s_cbranch_scc1 .LBB19_33
	s_branch .LBB19_21
.LBB19_34:
	s_endpgm
	.section	.rodata,"a",@progbits
	.p2align	6, 0x0
	.amdhsa_kernel _ZL22rocblas_gemvtsm_kernelILb0ELi256EfffEviiT2_lPKT1_lilS3_lilS0_lPT3_lil
		.amdhsa_group_segment_fixed_size 256
		.amdhsa_private_segment_fixed_size 0
		.amdhsa_kernarg_size 136
		.amdhsa_user_sgpr_count 2
		.amdhsa_user_sgpr_dispatch_ptr 0
		.amdhsa_user_sgpr_queue_ptr 0
		.amdhsa_user_sgpr_kernarg_segment_ptr 1
		.amdhsa_user_sgpr_dispatch_id 0
		.amdhsa_user_sgpr_kernarg_preload_length 0
		.amdhsa_user_sgpr_kernarg_preload_offset 0
		.amdhsa_user_sgpr_private_segment_size 0
		.amdhsa_uses_dynamic_stack 0
		.amdhsa_enable_private_segment 0
		.amdhsa_system_sgpr_workgroup_id_x 1
		.amdhsa_system_sgpr_workgroup_id_y 0
		.amdhsa_system_sgpr_workgroup_id_z 0
		.amdhsa_system_sgpr_workgroup_info 0
		.amdhsa_system_vgpr_workitem_id 0
		.amdhsa_next_free_vgpr 26
		.amdhsa_next_free_sgpr 32
		.amdhsa_accum_offset 28
		.amdhsa_reserve_vcc 1
		.amdhsa_float_round_mode_32 0
		.amdhsa_float_round_mode_16_64 0
		.amdhsa_float_denorm_mode_32 3
		.amdhsa_float_denorm_mode_16_64 3
		.amdhsa_dx10_clamp 1
		.amdhsa_ieee_mode 1
		.amdhsa_fp16_overflow 0
		.amdhsa_tg_split 0
		.amdhsa_exception_fp_ieee_invalid_op 0
		.amdhsa_exception_fp_denorm_src 0
		.amdhsa_exception_fp_ieee_div_zero 0
		.amdhsa_exception_fp_ieee_overflow 0
		.amdhsa_exception_fp_ieee_underflow 0
		.amdhsa_exception_fp_ieee_inexact 0
		.amdhsa_exception_int_div_zero 0
	.end_amdhsa_kernel
	.section	.text._ZL22rocblas_gemvtsm_kernelILb0ELi256EfffEviiT2_lPKT1_lilS3_lilS0_lPT3_lil,"axG",@progbits,_ZL22rocblas_gemvtsm_kernelILb0ELi256EfffEviiT2_lPKT1_lilS3_lilS0_lPT3_lil,comdat
.Lfunc_end19:
	.size	_ZL22rocblas_gemvtsm_kernelILb0ELi256EfffEviiT2_lPKT1_lilS3_lilS0_lPT3_lil, .Lfunc_end19-_ZL22rocblas_gemvtsm_kernelILb0ELi256EfffEviiT2_lPKT1_lilS3_lilS0_lPT3_lil
                                        ; -- End function
	.section	.AMDGPU.csdata,"",@progbits
; Kernel info:
; codeLenInByte = 1152
; NumSgprs: 38
; NumVgprs: 26
; NumAgprs: 0
; TotalNumVgprs: 26
; ScratchSize: 0
; MemoryBound: 0
; FloatMode: 240
; IeeeMode: 1
; LDSByteSize: 256 bytes/workgroup (compile time only)
; SGPRBlocks: 4
; VGPRBlocks: 3
; NumSGPRsForWavesPerEU: 38
; NumVGPRsForWavesPerEU: 26
; AccumOffset: 28
; Occupancy: 8
; WaveLimiterHint : 1
; COMPUTE_PGM_RSRC2:SCRATCH_EN: 0
; COMPUTE_PGM_RSRC2:USER_SGPR: 2
; COMPUTE_PGM_RSRC2:TRAP_HANDLER: 0
; COMPUTE_PGM_RSRC2:TGID_X_EN: 1
; COMPUTE_PGM_RSRC2:TGID_Y_EN: 0
; COMPUTE_PGM_RSRC2:TGID_Z_EN: 0
; COMPUTE_PGM_RSRC2:TIDIG_COMP_CNT: 0
; COMPUTE_PGM_RSRC3_GFX90A:ACCUM_OFFSET: 6
; COMPUTE_PGM_RSRC3_GFX90A:TG_SPLIT: 0
	.section	.text._ZL23rocblas_gemvt_sn_kernelILb0ELi256ELi4EifPKffEviiT4_lPKT3_lilS5_lilPT5_i,"axG",@progbits,_ZL23rocblas_gemvt_sn_kernelILb0ELi256ELi4EifPKffEviiT4_lPKT3_lilS5_lilPT5_i,comdat
	.globl	_ZL23rocblas_gemvt_sn_kernelILb0ELi256ELi4EifPKffEviiT4_lPKT3_lilS5_lilPT5_i ; -- Begin function _ZL23rocblas_gemvt_sn_kernelILb0ELi256ELi4EifPKffEviiT4_lPKT3_lilS5_lilPT5_i
	.p2align	8
	.type	_ZL23rocblas_gemvt_sn_kernelILb0ELi256ELi4EifPKffEviiT4_lPKT3_lilS5_lilPT5_i,@function
_ZL23rocblas_gemvt_sn_kernelILb0ELi256ELi4EifPKffEviiT4_lPKT3_lilS5_lilPT5_i: ; @_ZL23rocblas_gemvt_sn_kernelILb0ELi256ELi4EifPKffEviiT4_lPKT3_lilS5_lilPT5_i
; %bb.0:
	s_load_dwordx8 s[20:27], s[0:1], 0x8
	s_load_dwordx2 s[28:29], s[0:1], 0x0
	s_mov_b32 s6, s3
	s_mov_b32 s31, 0
	s_waitcnt lgkmcnt(0)
	s_mul_i32 s3, s3, s23
	s_mul_hi_u32 s4, s6, s22
	s_add_i32 s5, s4, s3
	s_mul_i32 s4, s6, s22
	s_lshl_b64 s[4:5], s[4:5], 2
	s_add_u32 s4, s20, s4
	s_addc_u32 s5, s21, s5
	s_load_dword s33, s[4:5], 0x0
	s_load_dwordx4 s[8:11], s[0:1], 0x50
	s_load_dword s30, s[0:1], 0x68
	s_ashr_i32 s7, s29, 31
	s_mul_hi_u32 s3, s29, s6
	s_mul_i32 s4, s7, s6
	s_add_i32 s13, s3, s4
	s_mul_i32 s12, s29, s6
	s_waitcnt lgkmcnt(0)
	s_mul_i32 s3, s13, s30
	s_mul_hi_u32 s4, s12, s30
	s_add_i32 s5, s4, s3
	s_mul_i32 s4, s12, s30
	s_lshl_b64 s[4:5], s[4:5], 2
	s_add_u32 s55, s10, s4
	s_addc_u32 s56, s11, s5
	v_cmp_neq_f32_e64 s[4:5], s33, 0
	s_and_b64 vcc, exec, s[4:5]
	v_cmp_eq_u32_e64 s[4:5], 0, v0
	s_cbranch_vccnz .LBB20_10
; %bb.1:
	s_cmp_gt_i32 s29, 0
	s_cselect_b64 s[14:15], -1, 0
	s_and_b64 s[14:15], s[4:5], s[14:15]
	s_and_saveexec_b64 s[4:5], s[14:15]
	s_cbranch_execz .LBB20_9
; %bb.2:
	s_cmp_gt_u32 s29, 1
	s_cselect_b64 s[14:15], -1, 0
	s_cmp_eq_u32 s30, 1
	s_cselect_b64 s[18:19], -1, 0
	s_mov_b32 s3, 0
	s_and_b64 s[14:15], s[14:15], s[18:19]
	s_mov_b64 s[16:17], -1
	s_andn2_b64 vcc, exec, s[14:15]
	s_mov_b32 s14, s3
	s_cbranch_vccnz .LBB20_6
; %bb.3:
	s_lshl_b64 s[14:15], s[2:3], 2
	s_add_u32 s16, s55, s14
	s_addc_u32 s17, s56, s15
	s_and_b32 s14, s29, 0x7ffffffe
	v_mov_b32_e32 v2, 0
	v_mov_b32_e32 v3, v2
	s_mov_b32 s15, s14
.LBB20_4:                               ; =>This Inner Loop Header: Depth=1
	global_store_dwordx2 v2, v[2:3], s[16:17]
	s_add_u32 s16, s16, 8
	s_addc_u32 s17, s17, 0
	s_add_i32 s15, s15, -2
	s_cmp_lg_u32 s15, 0
	s_cbranch_scc1 .LBB20_4
; %bb.5:
	s_cmp_lg_u32 s14, s29
	s_cselect_b64 s[16:17], -1, 0
.LBB20_6:
	s_and_b64 vcc, exec, s[16:17]
	s_cbranch_vccz .LBB20_9
; %bb.7:
	s_mov_b32 s15, 0
	s_sub_i32 s16, s29, s14
	s_lshl_b64 s[12:13], s[12:13], 2
	s_lshl_b64 s[14:15], s[14:15], 2
	s_add_u32 s12, s12, s14
	s_addc_u32 s13, s13, s15
	s_mul_i32 s13, s13, s30
	s_mul_hi_u32 s14, s12, s30
	s_add_i32 s14, s14, s13
	s_mul_i32 s15, s12, s30
	s_lshl_b64 s[12:13], s[2:3], 2
	s_add_u32 s3, s15, s12
	s_addc_u32 s12, s14, s13
	s_add_u32 s10, s10, s3
	s_addc_u32 s11, s11, s12
	s_lshl_b64 s[12:13], s[30:31], 2
	v_mov_b32_e32 v1, 0
.LBB20_8:                               ; =>This Inner Loop Header: Depth=1
	s_add_i32 s16, s16, -1
	global_store_dword v1, v1, s[10:11]
	s_add_u32 s10, s10, s12
	s_addc_u32 s11, s11, s13
	s_cmp_eq_u32 s16, 0
	s_cbranch_scc0 .LBB20_8
.LBB20_9:
	s_or_b64 exec, exec, s[4:5]
	s_cbranch_execz .LBB20_11
	s_branch .LBB20_84
.LBB20_10:
.LBB20_11:
	s_load_dword s22, s[0:1], 0x28
	s_load_dwordx4 s[12:15], s[0:1], 0x30
	s_load_dwordx2 s[4:5], s[0:1], 0x40
	s_load_dword s31, s[0:1], 0x48
	s_mul_i32 s0, s6, s9
	s_mul_hi_u32 s1, s6, s8
	s_add_i32 s1, s1, s0
	s_mul_i32 s0, s6, s8
	s_lshl_b64 s[0:1], s[0:1], 2
	s_waitcnt lgkmcnt(0)
	s_add_u32 s3, s14, s0
	s_addc_u32 s8, s15, s1
	s_lshl_b64 s[0:1], s[4:5], 2
	s_add_u32 s34, s3, s0
	s_addc_u32 s35, s8, s1
	s_mul_i32 s0, s6, s13
	s_mul_hi_u32 s1, s6, s12
	s_add_i32 s1, s1, s0
	s_mul_i32 s0, s6, s12
	s_lshl_b64 s[36:37], s[0:1], 2
	s_add_u32 s0, s24, s36
	s_addc_u32 s1, s25, s37
	s_lshl_b64 s[26:27], s[26:27], 2
	s_add_u32 s0, s0, s26
	s_addc_u32 s1, s1, s27
	s_lshl_b32 s3, s2, 10
	v_lshl_or_b32 v10, v0, 2, s3
	v_ashrrev_i32_e32 v11, 31, v10
	v_lshl_add_u64 v[6:7], v[10:11], 2, s[0:1]
	s_lshr_b32 s0, s7, 30
	s_add_i32 s0, s29, s0
	s_and_b32 s3, s0, -4
	s_ashr_i32 s0, s28, 31
	s_lshr_b32 s0, s0, 30
	s_add_i32 s0, s28, s0
	s_and_b32 s0, s0, -4
	s_sub_i32 s54, s28, s0
	s_cmp_lt_i32 s3, 1
	v_add_u32_e32 v29, 4, v10
	v_add_u32_e32 v30, s54, v10
	v_and_b32_e32 v1, 63, v0
	v_cmp_gt_u32_e64 s[0:1], 64, v0
	v_mbcnt_lo_u32_b32 v28, -1, 0
	v_cmp_gt_u32_e64 s[4:5], 4, v0
	v_lshrrev_b32_e32 v9, 4, v0
	v_mul_lo_u32 v8, v10, s31
	s_cbranch_scc1 .LBB20_59
; %bb.12:
	v_mbcnt_hi_u32_b32 v2, -1, v28
	v_and_b32_e32 v3, 63, v2
	v_cmp_gt_u32_e32 vcc, 32, v3
	v_mul_lo_u32 v12, v10, s31
	s_cmp_gt_i32 s54, 0
	v_cndmask_b32_e64 v4, 0, 1, vcc
	v_lshlrev_b32_e32 v4, 5, v4
	v_cmp_gt_u32_e32 vcc, 48, v3
	v_add_lshl_u32 v31, v4, v2, 2
	s_cselect_b64 s[40:41], -1, 0
	v_cndmask_b32_e64 v4, 0, 1, vcc
	v_lshlrev_b32_e32 v4, 4, v4
	v_cmp_gt_u32_e32 vcc, 56, v3
	v_add_lshl_u32 v32, v4, v2, 2
	s_lshl_b32 s57, s22, 2
	v_cndmask_b32_e64 v4, 0, 1, vcc
	v_lshlrev_b32_e32 v4, 3, v4
	v_cmp_gt_u32_e32 vcc, 60, v3
	v_add_lshl_u32 v33, v4, v2, 2
	s_lshl_b32 s38, s22, 1
	v_cndmask_b32_e64 v4, 0, 1, vcc
	v_lshlrev_b32_e32 v4, 2, v4
	v_cmp_gt_u32_e32 vcc, 62, v3
	v_add_lshl_u32 v34, v4, v2, 2
	s_add_u32 s14, s36, s26
	v_cndmask_b32_e64 v4, 0, 1, vcc
	v_lshlrev_b32_e32 v4, 1, v4
	v_cmp_ne_u32_e32 vcc, 63, v3
	v_add_lshl_u32 v35, v4, v2, 2
	s_addc_u32 s15, s37, s27
	v_addc_co_u32_e32 v2, vcc, 0, v2, vcc
	v_lshlrev_b32_e32 v36, 2, v2
	v_add_u32_e32 v2, s31, v12
	v_ashrrev_i32_e32 v3, 31, v2
	v_lshl_add_u64 v[16:17], v[2:3], 2, s[34:35]
	v_add_u32_e32 v2, s31, v2
	v_ashrrev_i32_e32 v3, 31, v2
	s_mov_b32 s39, 0
	v_lshl_add_u64 v[18:19], v[2:3], 2, s[34:35]
	v_add_u32_e32 v2, s31, v2
	s_add_u32 s14, s24, s14
	v_ashrrev_i32_e32 v13, 31, v12
	v_ashrrev_i32_e32 v3, 31, v2
	s_mov_b32 s23, s39
	s_addc_u32 s15, s25, s15
	v_cmp_ge_i32_e64 s[6:7], s28, v29
	v_cmp_ge_i32_e64 s[8:9], s28, v30
	v_cmp_eq_u32_e64 s[10:11], 0, v1
	v_lshlrev_b32_e32 v37, 2, v1
	v_and_b32_e32 v38, 12, v9
	v_cmp_eq_u32_e64 s[12:13], 0, v0
	v_lshl_add_u64 v[14:15], v[12:13], 2, s[34:35]
	v_lshl_add_u64 v[20:21], v[2:3], 2, s[34:35]
	s_mul_i32 s58, s22, 3
	s_mov_b32 s59, s39
	v_lshl_add_u64 v[22:23], v[10:11], 2, s[14:15]
	v_mov_b32_e32 v13, 0
	s_mov_b32 s42, s39
	s_mov_b64 s[44:45], s[38:39]
	s_mov_b64 s[46:47], s[22:23]
	s_mov_b32 s23, 0
                                        ; implicit-def: $vgpr2_vgpr3_vgpr4_vgpr5
	s_branch .LBB20_14
.LBB20_13:                              ;   in Loop: Header=BB20_14 Depth=1
	s_or_b64 exec, exec, s[14:15]
	s_add_i32 s23, s23, 4
	s_add_u32 s46, s46, s57
	s_addc_u32 s47, s47, 0
	s_add_u32 s44, s44, s57
	s_addc_u32 s45, s45, 0
	s_add_u32 s58, s58, s57
	s_addc_u32 s59, s59, 0
	s_add_i32 s42, s42, s57
	s_cmp_ge_i32 s23, s3
	s_cbranch_scc1 .LBB20_60
.LBB20_14:                              ; =>This Loop Header: Depth=1
                                        ;     Child Loop BB20_45 Depth 2
                                        ;     Child Loop BB20_48 Depth 2
                                        ; implicit-def: $vgpr25
                                        ; implicit-def: $vgpr39
                                        ; implicit-def: $vgpr40
	s_and_saveexec_b64 s[14:15], s[6:7]
	s_xor_b64 s[14:15], exec, s[14:15]
	s_cbranch_execnz .LBB20_41
; %bb.15:                               ;   in Loop: Header=BB20_14 Depth=1
	s_andn2_saveexec_b64 s[48:49], s[14:15]
	s_cbranch_execnz .LBB20_42
.LBB20_16:                              ;   in Loop: Header=BB20_14 Depth=1
	s_or_b64 exec, exec, s[48:49]
	s_and_saveexec_b64 s[14:15], s[0:1]
	s_cbranch_execz .LBB20_18
.LBB20_17:                              ;   in Loop: Header=BB20_14 Depth=1
	ds_write_b32 v37, v13
.LBB20_18:                              ;   in Loop: Header=BB20_14 Depth=1
	s_or_b64 exec, exec, s[14:15]
	ds_bpermute_b32 v26, v31, v40
	s_waitcnt lgkmcnt(0)
	s_barrier
	v_add_f32_e32 v26, v40, v26
	ds_bpermute_b32 v27, v32, v26
	s_waitcnt lgkmcnt(0)
	v_add_f32_e32 v26, v26, v27
	ds_bpermute_b32 v27, v33, v26
	s_waitcnt lgkmcnt(0)
	;; [unrolled: 3-line block ×4, first 2 shown]
	v_add_f32_e32 v26, v26, v27
	ds_bpermute_b32 v27, v36, v26
	s_and_saveexec_b64 s[14:15], s[10:11]
	s_cbranch_execz .LBB20_20
; %bb.19:                               ;   in Loop: Header=BB20_14 Depth=1
	s_waitcnt lgkmcnt(0)
	v_add_f32_e32 v26, v26, v27
	ds_write_b32 v38, v26
.LBB20_20:                              ;   in Loop: Header=BB20_14 Depth=1
	s_or_b64 exec, exec, s[14:15]
	v_mov_b32_e32 v26, 0
	s_waitcnt lgkmcnt(0)
	s_barrier
	s_and_saveexec_b64 s[14:15], s[4:5]
	s_cbranch_execnz .LBB20_50
; %bb.21:                               ;   in Loop: Header=BB20_14 Depth=1
	s_or_b64 exec, exec, s[14:15]
	s_and_saveexec_b64 s[14:15], s[0:1]
	s_cbranch_execnz .LBB20_51
.LBB20_22:                              ;   in Loop: Header=BB20_14 Depth=1
	s_or_b64 exec, exec, s[14:15]
	s_and_saveexec_b64 s[14:15], s[0:1]
	s_cbranch_execz .LBB20_24
.LBB20_23:                              ;   in Loop: Header=BB20_14 Depth=1
	ds_write_b32 v37, v13
.LBB20_24:                              ;   in Loop: Header=BB20_14 Depth=1
	s_or_b64 exec, exec, s[14:15]
	ds_bpermute_b32 v27, v31, v39
	s_waitcnt lgkmcnt(0)
	s_barrier
	v_add_f32_e32 v27, v39, v27
	ds_bpermute_b32 v39, v32, v27
	s_waitcnt lgkmcnt(0)
	v_add_f32_e32 v27, v27, v39
	ds_bpermute_b32 v39, v33, v27
	s_waitcnt lgkmcnt(0)
	v_add_f32_e32 v27, v27, v39
	ds_bpermute_b32 v39, v34, v27
	s_waitcnt lgkmcnt(0)
	v_add_f32_e32 v27, v27, v39
	ds_bpermute_b32 v39, v35, v27
	s_waitcnt lgkmcnt(0)
	v_add_f32_e32 v27, v27, v39
	ds_bpermute_b32 v39, v36, v27
	s_and_saveexec_b64 s[14:15], s[10:11]
	s_cbranch_execz .LBB20_26
; %bb.25:                               ;   in Loop: Header=BB20_14 Depth=1
	s_waitcnt lgkmcnt(0)
	v_add_f32_e32 v27, v27, v39
	ds_write_b32 v38, v27
.LBB20_26:                              ;   in Loop: Header=BB20_14 Depth=1
	s_or_b64 exec, exec, s[14:15]
	v_mov_b32_e32 v27, 0
	s_waitcnt lgkmcnt(0)
	s_barrier
	s_and_saveexec_b64 s[14:15], s[4:5]
	s_cbranch_execnz .LBB20_52
; %bb.27:                               ;   in Loop: Header=BB20_14 Depth=1
	s_or_b64 exec, exec, s[14:15]
	s_and_saveexec_b64 s[14:15], s[0:1]
	s_cbranch_execnz .LBB20_53
.LBB20_28:                              ;   in Loop: Header=BB20_14 Depth=1
	s_or_b64 exec, exec, s[14:15]
	s_and_saveexec_b64 s[14:15], s[0:1]
	s_cbranch_execz .LBB20_30
.LBB20_29:                              ;   in Loop: Header=BB20_14 Depth=1
	ds_write_b32 v37, v13
.LBB20_30:                              ;   in Loop: Header=BB20_14 Depth=1
	s_or_b64 exec, exec, s[14:15]
	ds_bpermute_b32 v39, v31, v24
	s_waitcnt lgkmcnt(0)
	s_barrier
	v_add_f32_e32 v24, v24, v39
	ds_bpermute_b32 v39, v32, v24
	s_waitcnt lgkmcnt(0)
	v_add_f32_e32 v24, v24, v39
	ds_bpermute_b32 v39, v33, v24
	s_waitcnt lgkmcnt(0)
	;; [unrolled: 3-line block ×4, first 2 shown]
	v_add_f32_e32 v24, v24, v39
	ds_bpermute_b32 v39, v36, v24
	s_and_saveexec_b64 s[14:15], s[10:11]
	s_cbranch_execz .LBB20_32
; %bb.31:                               ;   in Loop: Header=BB20_14 Depth=1
	s_waitcnt lgkmcnt(0)
	v_add_f32_e32 v24, v24, v39
	ds_write_b32 v38, v24
.LBB20_32:                              ;   in Loop: Header=BB20_14 Depth=1
	s_or_b64 exec, exec, s[14:15]
	v_mov_b32_e32 v24, 0
	s_waitcnt lgkmcnt(0)
	s_barrier
	s_and_saveexec_b64 s[14:15], s[4:5]
	s_cbranch_execnz .LBB20_54
; %bb.33:                               ;   in Loop: Header=BB20_14 Depth=1
	s_or_b64 exec, exec, s[14:15]
	s_and_saveexec_b64 s[14:15], s[0:1]
	s_cbranch_execnz .LBB20_55
.LBB20_34:                              ;   in Loop: Header=BB20_14 Depth=1
	s_or_b64 exec, exec, s[14:15]
	s_and_saveexec_b64 s[14:15], s[0:1]
	s_cbranch_execz .LBB20_36
.LBB20_35:                              ;   in Loop: Header=BB20_14 Depth=1
	ds_write_b32 v37, v13
.LBB20_36:                              ;   in Loop: Header=BB20_14 Depth=1
	s_or_b64 exec, exec, s[14:15]
	ds_bpermute_b32 v39, v31, v25
	s_waitcnt lgkmcnt(0)
	s_barrier
	v_add_f32_e32 v25, v25, v39
	ds_bpermute_b32 v39, v32, v25
	s_waitcnt lgkmcnt(0)
	v_add_f32_e32 v25, v25, v39
	ds_bpermute_b32 v39, v33, v25
	s_waitcnt lgkmcnt(0)
	;; [unrolled: 3-line block ×4, first 2 shown]
	v_add_f32_e32 v25, v25, v39
	ds_bpermute_b32 v39, v36, v25
	s_and_saveexec_b64 s[14:15], s[10:11]
	s_cbranch_execz .LBB20_38
; %bb.37:                               ;   in Loop: Header=BB20_14 Depth=1
	s_waitcnt lgkmcnt(0)
	v_add_f32_e32 v25, v25, v39
	ds_write_b32 v38, v25
.LBB20_38:                              ;   in Loop: Header=BB20_14 Depth=1
	s_or_b64 exec, exec, s[14:15]
	v_mov_b32_e32 v25, 0
	s_waitcnt lgkmcnt(0)
	s_barrier
	s_and_saveexec_b64 s[14:15], s[4:5]
	s_cbranch_execnz .LBB20_56
; %bb.39:                               ;   in Loop: Header=BB20_14 Depth=1
	s_or_b64 exec, exec, s[14:15]
	s_and_saveexec_b64 s[14:15], s[0:1]
	s_cbranch_execnz .LBB20_57
.LBB20_40:                              ;   in Loop: Header=BB20_14 Depth=1
	s_or_b64 exec, exec, s[14:15]
	s_and_saveexec_b64 s[14:15], s[12:13]
	s_cbranch_execz .LBB20_13
	s_branch .LBB20_58
.LBB20_41:                              ;   in Loop: Header=BB20_14 Depth=1
	s_mul_i32 s16, s23, s22
	s_ashr_i32 s17, s16, 31
	s_waitcnt lgkmcnt(0)
	v_lshl_add_u64 v[24:25], s[16:17], 2, v[6:7]
	s_add_i32 s16, s16, s22
	s_ashr_i32 s17, s16, 31
	v_lshl_add_u64 v[40:41], s[16:17], 2, v[6:7]
	s_add_i32 s16, s16, s22
	s_ashr_i32 s17, s16, 31
	global_load_dword v2, v[14:15], off
	global_load_dword v3, v[16:17], off
	;; [unrolled: 1-line block ×4, first 2 shown]
	v_lshl_add_u64 v[44:45], s[16:17], 2, v[6:7]
	global_load_dwordx4 v[24:27], v[24:25], off
	s_add_i32 s16, s16, s22
	global_load_dwordx4 v[40:43], v[40:41], off
	s_ashr_i32 s17, s16, 31
	v_lshl_add_u64 v[48:49], s[16:17], 2, v[6:7]
	global_load_dwordx4 v[44:47], v[44:45], off
	s_waitcnt vmcnt(2)
	v_pk_mul_f32 v[24:25], v[2:3], v[24:25]
	global_load_dwordx4 v[48:51], v[48:49], off
	v_add_f32_e32 v39, 0, v24
	v_pk_mul_f32 v[26:27], v[4:5], v[26:27]
	v_add_f32_e32 v25, v39, v25
	s_waitcnt vmcnt(2)
	v_pk_mul_f32 v[40:41], v[2:3], v[40:41]
	v_add_f32_e32 v25, v25, v26
	s_waitcnt vmcnt(1)
	v_mul_f32_e32 v24, v2, v44
	v_add_f32_e32 v39, 0, v40
	v_add_f32_e32 v40, v25, v27
	v_mul_f32_e32 v44, v3, v45
	v_pk_mul_f32 v[42:43], v[4:5], v[42:43]
	v_mul_f32_e32 v46, v4, v46
	v_mul_f32_e32 v52, v5, v47
	v_add_f32_e32 v39, v39, v41
	v_add_f32_e32 v26, v39, v42
	;; [unrolled: 1-line block ×3, first 2 shown]
	s_waitcnt vmcnt(0)
	v_pk_mul_f32 v[48:49], v[2:3], v[48:49]
	s_nop 0
	v_mov_b32_e32 v25, v48
	v_pk_mul_f32 v[50:51], v[4:5], v[50:51]
	v_mov_b32_e32 v45, v49
	v_pk_add_f32 v[24:25], v[24:25], 0 op_sel_hi:[1,0]
	v_mov_b32_e32 v47, v50
	v_pk_add_f32 v[24:25], v[24:25], v[44:45]
	v_mov_b32_e32 v53, v51
	v_pk_add_f32 v[24:25], v[24:25], v[46:47]
	s_nop 0
	v_pk_add_f32 v[24:25], v[24:25], v[52:53]
	s_andn2_saveexec_b64 s[48:49], s[14:15]
	s_cbranch_execz .LBB20_16
.LBB20_42:                              ;   in Loop: Header=BB20_14 Depth=1
	s_waitcnt lgkmcnt(0)
	v_mov_b32_e32 v25, 0
	v_mov_b32_e32 v24, 0
	;; [unrolled: 1-line block ×4, first 2 shown]
	s_and_saveexec_b64 s[50:51], s[8:9]
	s_cbranch_execz .LBB20_49
; %bb.43:                               ;   in Loop: Header=BB20_14 Depth=1
	v_cndmask_b32_e64 v24, 0, 1, s[40:41]
	v_cmp_ne_u32_e64 s[14:15], 1, v24
	s_andn2_b64 vcc, exec, s[40:41]
	s_cbranch_vccnz .LBB20_46
; %bb.44:                               ;   in Loop: Header=BB20_14 Depth=1
	s_mov_b64 s[52:53], 0
	v_mov_b32_e32 v24, v12
.LBB20_45:                              ;   Parent Loop BB20_14 Depth=1
                                        ; =>  This Inner Loop Header: Depth=2
	v_ashrrev_i32_e32 v25, 31, v24
	v_lshl_add_u64 v[26:27], v[24:25], 2, s[34:35]
	global_load_dword v25, v[26:27], off
	s_cmp_eq_u32 s52, 3
	s_cselect_b64 vcc, -1, 0
	s_cmp_eq_u32 s52, 2
	s_cselect_b64 s[16:17], -1, 0
	s_cmp_eq_u32 s52, 1
	s_cselect_b64 s[18:19], -1, 0
	;; [unrolled: 2-line block ×3, first 2 shown]
	s_add_u32 s52, s52, 1
	s_addc_u32 s53, s53, 0
	v_add_u32_e32 v24, s31, v24
	s_cmp_eq_u32 s54, s52
	s_waitcnt vmcnt(0)
	v_cndmask_b32_e32 v5, v5, v25, vcc
	v_cndmask_b32_e64 v4, v4, v25, s[16:17]
	v_cndmask_b32_e64 v3, v3, v25, s[18:19]
	;; [unrolled: 1-line block ×3, first 2 shown]
	s_cbranch_scc0 .LBB20_45
.LBB20_46:                              ;   in Loop: Header=BB20_14 Depth=1
	s_and_b64 vcc, exec, s[14:15]
	v_mov_b32_e32 v25, 0
	v_mov_b32_e32 v24, 0
	;; [unrolled: 1-line block ×4, first 2 shown]
	s_cbranch_vccnz .LBB20_49
; %bb.47:                               ;   in Loop: Header=BB20_14 Depth=1
	s_ashr_i32 s43, s42, 31
	v_mov_b32_e32 v40, 0
	v_lshl_add_u64 v[26:27], s[42:43], 2, v[22:23]
	s_mov_b64 s[14:15], 0
	v_mov_b32_e32 v39, 0
	v_mov_b32_e32 v24, 0
	;; [unrolled: 1-line block ×3, first 2 shown]
.LBB20_48:                              ;   Parent Loop BB20_14 Depth=1
                                        ; =>  This Inner Loop Header: Depth=2
	s_cmp_eq_u32 s14, 1
	s_cselect_b64 vcc, -1, 0
	s_cmp_eq_u32 s14, 2
	v_cndmask_b32_e32 v42, v2, v3, vcc
	s_cselect_b64 vcc, -1, 0
	s_cmp_eq_u32 s14, 3
	v_cndmask_b32_e32 v48, v42, v4, vcc
	s_cselect_b64 vcc, -1, 0
	s_add_i32 s16, s46, s14
	s_add_i32 s18, s44, s14
	;; [unrolled: 1-line block ×3, first 2 shown]
	s_ashr_i32 s17, s16, 31
	s_ashr_i32 s19, s18, 31
	;; [unrolled: 1-line block ×3, first 2 shown]
	v_lshl_add_u64 v[42:43], s[16:17], 2, v[6:7]
	v_lshl_add_u64 v[44:45], s[18:19], 2, v[6:7]
	global_load_dword v41, v[26:27], off
	v_lshl_add_u64 v[46:47], s[20:21], 2, v[6:7]
	global_load_dword v42, v[42:43], off
	s_nop 0
	global_load_dword v43, v[44:45], off
	s_nop 0
	global_load_dword v44, v[46:47], off
	s_add_u32 s14, s14, 1
	v_cndmask_b32_e32 v45, v48, v5, vcc
	s_addc_u32 s15, s15, 0
	v_lshl_add_u64 v[26:27], v[26:27], 0, 4
	s_cmp_lg_u32 s54, s14
	s_waitcnt vmcnt(3)
	v_fmac_f32_e32 v40, v45, v41
	s_waitcnt vmcnt(2)
	v_fmac_f32_e32 v39, v45, v42
	;; [unrolled: 2-line block ×4, first 2 shown]
	s_cbranch_scc1 .LBB20_48
.LBB20_49:                              ;   in Loop: Header=BB20_14 Depth=1
	s_or_b64 exec, exec, s[50:51]
	s_or_b64 exec, exec, s[48:49]
	s_and_saveexec_b64 s[14:15], s[0:1]
	s_cbranch_execnz .LBB20_17
	s_branch .LBB20_18
.LBB20_50:                              ;   in Loop: Header=BB20_14 Depth=1
	ds_read_b32 v26, v37
	s_or_b64 exec, exec, s[14:15]
	s_and_saveexec_b64 s[14:15], s[0:1]
	s_cbranch_execz .LBB20_22
.LBB20_51:                              ;   in Loop: Header=BB20_14 Depth=1
	s_waitcnt lgkmcnt(0)
	ds_bpermute_b32 v27, v35, v26
	s_waitcnt lgkmcnt(0)
	v_add_f32_e32 v26, v26, v27
	ds_bpermute_b32 v27, v36, v26
	s_waitcnt lgkmcnt(0)
	v_add_f32_e32 v26, v26, v27
	s_or_b64 exec, exec, s[14:15]
	s_and_saveexec_b64 s[14:15], s[0:1]
	s_cbranch_execnz .LBB20_23
	s_branch .LBB20_24
.LBB20_52:                              ;   in Loop: Header=BB20_14 Depth=1
	ds_read_b32 v27, v37
	s_or_b64 exec, exec, s[14:15]
	s_and_saveexec_b64 s[14:15], s[0:1]
	s_cbranch_execz .LBB20_28
.LBB20_53:                              ;   in Loop: Header=BB20_14 Depth=1
	s_waitcnt lgkmcnt(0)
	ds_bpermute_b32 v39, v35, v27
	s_waitcnt lgkmcnt(0)
	v_add_f32_e32 v27, v27, v39
	ds_bpermute_b32 v39, v36, v27
	s_waitcnt lgkmcnt(0)
	v_add_f32_e32 v27, v27, v39
	s_or_b64 exec, exec, s[14:15]
	s_and_saveexec_b64 s[14:15], s[0:1]
	s_cbranch_execnz .LBB20_29
	s_branch .LBB20_30
.LBB20_54:                              ;   in Loop: Header=BB20_14 Depth=1
	ds_read_b32 v24, v37
	s_or_b64 exec, exec, s[14:15]
	s_and_saveexec_b64 s[14:15], s[0:1]
	s_cbranch_execz .LBB20_34
.LBB20_55:                              ;   in Loop: Header=BB20_14 Depth=1
	s_waitcnt lgkmcnt(0)
	ds_bpermute_b32 v39, v35, v24
	s_waitcnt lgkmcnt(0)
	v_add_f32_e32 v24, v24, v39
	ds_bpermute_b32 v39, v36, v24
	s_waitcnt lgkmcnt(0)
	v_add_f32_e32 v24, v24, v39
	s_or_b64 exec, exec, s[14:15]
	s_and_saveexec_b64 s[14:15], s[0:1]
	s_cbranch_execnz .LBB20_35
	s_branch .LBB20_36
.LBB20_56:                              ;   in Loop: Header=BB20_14 Depth=1
	ds_read_b32 v25, v37
	s_or_b64 exec, exec, s[14:15]
	s_and_saveexec_b64 s[14:15], s[0:1]
	s_cbranch_execz .LBB20_40
.LBB20_57:                              ;   in Loop: Header=BB20_14 Depth=1
	s_waitcnt lgkmcnt(0)
	ds_bpermute_b32 v39, v35, v25
	s_waitcnt lgkmcnt(0)
	v_add_f32_e32 v25, v25, v39
	ds_bpermute_b32 v39, v36, v25
	s_waitcnt lgkmcnt(0)
	v_add_f32_e32 v25, v25, v39
	s_or_b64 exec, exec, s[14:15]
	s_and_saveexec_b64 s[14:15], s[12:13]
	s_cbranch_execz .LBB20_13
.LBB20_58:                              ;   in Loop: Header=BB20_14 Depth=1
	s_mul_i32 s16, s23, s30
	s_add_i32 s38, s16, s2
	s_lshl_b64 s[16:17], s[38:39], 2
	s_add_u32 s16, s55, s16
	v_mul_f32_e32 v26, s33, v26
	s_addc_u32 s17, s56, s17
	s_add_i32 s38, s38, s30
	global_store_dword v13, v26, s[16:17]
	s_lshl_b64 s[16:17], s[38:39], 2
	s_add_u32 s16, s55, s16
	v_mul_f32_e32 v26, s33, v27
	s_addc_u32 s17, s56, s17
	s_add_i32 s38, s38, s30
	global_store_dword v13, v26, s[16:17]
	;; [unrolled: 6-line block ×3, first 2 shown]
	s_lshl_b64 s[16:17], s[38:39], 2
	s_add_u32 s16, s55, s16
	s_waitcnt lgkmcnt(0)
	v_mul_f32_e32 v24, s33, v25
	s_addc_u32 s17, s56, s17
	global_store_dword v13, v24, s[16:17]
	s_branch .LBB20_13
.LBB20_59:
	s_mov_b32 s23, 0
                                        ; implicit-def: $vgpr2_vgpr3_vgpr4_vgpr5
.LBB20_60:
	s_cmp_ge_i32 s23, s29
	s_cbranch_scc1 .LBB20_84
; %bb.61:
	v_mbcnt_hi_u32_b32 v12, -1, v28
	v_and_b32_e32 v13, 63, v12
	v_cmp_gt_u32_e32 vcc, 32, v13
	s_mov_b32 s3, 0
	s_cmp_gt_i32 s54, 0
	v_cndmask_b32_e64 v14, 0, 1, vcc
	v_lshlrev_b32_e32 v14, 5, v14
	v_cmp_gt_u32_e32 vcc, 48, v13
	v_add_lshl_u32 v23, v14, v12, 2
	s_cselect_b64 s[38:39], -1, 0
	v_cndmask_b32_e64 v14, 0, 1, vcc
	v_lshlrev_b32_e32 v14, 4, v14
	v_cmp_gt_u32_e32 vcc, 56, v13
	v_add_lshl_u32 v24, v14, v12, 2
	s_lshl_b64 s[14:15], s[2:3], 2
	v_cndmask_b32_e64 v14, 0, 1, vcc
	v_lshlrev_b32_e32 v14, 3, v14
	v_cmp_gt_u32_e32 vcc, 60, v13
	s_waitcnt lgkmcnt(0)
	v_add_lshl_u32 v25, v14, v12, 2
	s_add_u32 s2, s55, s14
	v_cndmask_b32_e64 v14, 0, 1, vcc
	v_cmp_ge_i32_e64 s[0:1], s28, v29
	v_cmp_ge_i32_e64 s[4:5], s28, v30
	v_lshlrev_b32_e32 v14, 2, v14
	v_cmp_gt_u32_e32 vcc, 62, v13
	s_addc_u32 s28, s56, s15
	v_add_u32_e32 v16, s31, v8
	v_add_lshl_u32 v26, v14, v12, 2
	v_cndmask_b32_e64 v14, 0, 1, vcc
	v_add_u32_e32 v18, s31, v16
	s_add_u32 s14, s36, s26
	v_lshlrev_b32_e32 v14, 1, v14
	v_ashrrev_i32_e32 v17, 31, v16
	v_ashrrev_i32_e32 v19, 31, v18
	s_addc_u32 s15, s37, s27
	v_add_lshl_u32 v27, v14, v12, 2
	v_cmp_ne_u32_e32 vcc, 63, v13
	v_lshl_add_u64 v[14:15], v[16:17], 2, s[34:35]
	v_lshl_add_u64 v[16:17], v[18:19], 2, s[34:35]
	v_add_u32_e32 v18, s31, v18
	s_add_u32 s14, s24, s14
	v_lshlrev_b32_e32 v22, 2, v1
	v_addc_co_u32_e32 v12, vcc, 0, v12, vcc
	v_cmp_eq_u32_e64 s[8:9], 0, v1
	v_and_b32_e32 v1, 12, v9
	v_ashrrev_i32_e32 v9, 31, v8
	v_ashrrev_i32_e32 v19, 31, v18
	s_addc_u32 s15, s25, s15
	v_cmp_gt_u32_e64 s[6:7], 64, v0
	v_lshlrev_b32_e32 v28, 2, v12
	v_cmp_gt_u32_e64 s[10:11], 4, v0
	v_cmp_eq_u32_e64 s[12:13], 0, v0
	v_lshl_add_u64 v[12:13], v[8:9], 2, s[34:35]
	v_lshl_add_u64 v[18:19], v[18:19], 2, s[34:35]
	v_lshl_add_u64 v[10:11], v[10:11], 2, s[14:15]
	s_mul_i32 s24, s23, s22
	v_mov_b32_e32 v9, 0
	s_branch .LBB20_63
.LBB20_62:                              ;   in Loop: Header=BB20_63 Depth=1
	s_or_b64 exec, exec, s[14:15]
	s_add_i32 s23, s23, 1
	s_add_i32 s24, s24, s22
	s_cmp_ge_i32 s23, s29
	s_cbranch_scc1 .LBB20_84
.LBB20_63:                              ; =>This Loop Header: Depth=1
                                        ;     Child Loop BB20_76 Depth 2
                                        ;     Child Loop BB20_79 Depth 2
	s_waitcnt lgkmcnt(0)
	v_mov_b32_e32 v0, s3
	s_and_saveexec_b64 s[14:15], s[0:1]
	s_xor_b64 s[14:15], exec, s[14:15]
	s_cbranch_execnz .LBB20_72
; %bb.64:                               ;   in Loop: Header=BB20_63 Depth=1
	s_andn2_saveexec_b64 s[26:27], s[14:15]
	s_cbranch_execnz .LBB20_73
.LBB20_65:                              ;   in Loop: Header=BB20_63 Depth=1
	s_or_b64 exec, exec, s[26:27]
	s_and_saveexec_b64 s[14:15], s[6:7]
	s_cbranch_execz .LBB20_67
.LBB20_66:                              ;   in Loop: Header=BB20_63 Depth=1
	ds_write_b32 v22, v9
.LBB20_67:                              ;   in Loop: Header=BB20_63 Depth=1
	s_or_b64 exec, exec, s[14:15]
	ds_bpermute_b32 v20, v23, v0
	s_waitcnt lgkmcnt(0)
	s_barrier
	v_add_f32_e32 v0, v0, v20
	ds_bpermute_b32 v20, v24, v0
	s_waitcnt lgkmcnt(0)
	v_add_f32_e32 v0, v0, v20
	ds_bpermute_b32 v20, v25, v0
	s_waitcnt lgkmcnt(0)
	;; [unrolled: 3-line block ×4, first 2 shown]
	v_add_f32_e32 v0, v0, v20
	ds_bpermute_b32 v20, v28, v0
	s_and_saveexec_b64 s[14:15], s[8:9]
	s_cbranch_execz .LBB20_69
; %bb.68:                               ;   in Loop: Header=BB20_63 Depth=1
	s_waitcnt lgkmcnt(0)
	v_add_f32_e32 v0, v0, v20
	ds_write_b32 v1, v0
.LBB20_69:                              ;   in Loop: Header=BB20_63 Depth=1
	s_or_b64 exec, exec, s[14:15]
	v_mov_b32_e32 v0, 0
	s_waitcnt lgkmcnt(0)
	s_barrier
	s_and_saveexec_b64 s[14:15], s[10:11]
	s_cbranch_execnz .LBB20_81
; %bb.70:                               ;   in Loop: Header=BB20_63 Depth=1
	s_or_b64 exec, exec, s[14:15]
	s_and_saveexec_b64 s[14:15], s[6:7]
	s_cbranch_execnz .LBB20_82
.LBB20_71:                              ;   in Loop: Header=BB20_63 Depth=1
	s_or_b64 exec, exec, s[14:15]
	s_and_saveexec_b64 s[14:15], s[12:13]
	s_cbranch_execz .LBB20_62
	s_branch .LBB20_83
.LBB20_72:                              ;   in Loop: Header=BB20_63 Depth=1
	s_mul_i32 s16, s23, s22
	s_ashr_i32 s17, s16, 31
	v_lshl_add_u64 v[20:21], s[16:17], 2, v[6:7]
	global_load_dwordx4 v[30:33], v[20:21], off
	global_load_dword v2, v[12:13], off
	global_load_dword v3, v[14:15], off
	;; [unrolled: 1-line block ×4, first 2 shown]
	s_waitcnt vmcnt(2)
	v_pk_mul_f32 v[20:21], v[2:3], v[30:31]
	s_nop 0
	v_add_f32_e32 v0, 0, v20
	v_add_f32_e32 v0, v0, v21
	s_waitcnt vmcnt(0)
	v_pk_mul_f32 v[20:21], v[4:5], v[32:33]
	s_nop 0
	v_add_f32_e32 v0, v0, v20
	v_add_f32_e32 v0, v0, v21
	s_andn2_saveexec_b64 s[26:27], s[14:15]
	s_cbranch_execz .LBB20_65
.LBB20_73:                              ;   in Loop: Header=BB20_63 Depth=1
	s_and_saveexec_b64 s[36:37], s[4:5]
	s_cbranch_execz .LBB20_80
; %bb.74:                               ;   in Loop: Header=BB20_63 Depth=1
	v_cndmask_b32_e64 v20, 0, 1, s[38:39]
	v_cmp_ne_u32_e64 s[14:15], 1, v20
	s_andn2_b64 vcc, exec, s[38:39]
	s_cbranch_vccnz .LBB20_77
; %bb.75:                               ;   in Loop: Header=BB20_63 Depth=1
	s_mov_b64 s[40:41], 0
	v_mov_b32_e32 v20, v8
.LBB20_76:                              ;   Parent Loop BB20_63 Depth=1
                                        ; =>  This Inner Loop Header: Depth=2
	v_ashrrev_i32_e32 v21, 31, v20
	v_lshl_add_u64 v[30:31], v[20:21], 2, s[34:35]
	global_load_dword v21, v[30:31], off
	s_cmp_eq_u32 s40, 3
	s_cselect_b64 vcc, -1, 0
	s_cmp_eq_u32 s40, 2
	s_cselect_b64 s[16:17], -1, 0
	s_cmp_eq_u32 s40, 1
	s_cselect_b64 s[18:19], -1, 0
	;; [unrolled: 2-line block ×3, first 2 shown]
	s_add_u32 s40, s40, 1
	s_addc_u32 s41, s41, 0
	v_add_u32_e32 v20, s31, v20
	s_cmp_eq_u32 s54, s40
	s_waitcnt vmcnt(0)
	v_cndmask_b32_e32 v5, v5, v21, vcc
	v_cndmask_b32_e64 v4, v4, v21, s[16:17]
	v_cndmask_b32_e64 v3, v3, v21, s[18:19]
	;; [unrolled: 1-line block ×3, first 2 shown]
	s_cbranch_scc0 .LBB20_76
.LBB20_77:                              ;   in Loop: Header=BB20_63 Depth=1
	s_and_b64 vcc, exec, s[14:15]
	s_cbranch_vccnz .LBB20_80
; %bb.78:                               ;   in Loop: Header=BB20_63 Depth=1
	s_ashr_i32 s25, s24, 31
	v_lshl_add_u64 v[20:21], s[24:25], 2, v[10:11]
	s_mov_b64 s[14:15], 0
.LBB20_79:                              ;   Parent Loop BB20_63 Depth=1
                                        ; =>  This Inner Loop Header: Depth=2
	global_load_dword v29, v[20:21], off
	s_cmp_eq_u32 s14, 1
	s_cselect_b64 vcc, -1, 0
	s_cmp_eq_u32 s14, 2
	v_cndmask_b32_e32 v30, v2, v3, vcc
	s_cselect_b64 vcc, -1, 0
	s_cmp_eq_u32 s14, 3
	v_cndmask_b32_e32 v30, v30, v4, vcc
	s_cselect_b64 vcc, -1, 0
	s_add_u32 s14, s14, 1
	v_cndmask_b32_e32 v30, v30, v5, vcc
	s_addc_u32 s15, s15, 0
	v_lshl_add_u64 v[20:21], v[20:21], 0, 4
	s_cmp_lg_u32 s54, s14
	s_waitcnt vmcnt(0)
	v_fmac_f32_e32 v0, v30, v29
	s_cbranch_scc1 .LBB20_79
.LBB20_80:                              ;   in Loop: Header=BB20_63 Depth=1
	s_or_b64 exec, exec, s[36:37]
	s_or_b64 exec, exec, s[26:27]
	s_and_saveexec_b64 s[14:15], s[6:7]
	s_cbranch_execnz .LBB20_66
	s_branch .LBB20_67
.LBB20_81:                              ;   in Loop: Header=BB20_63 Depth=1
	ds_read_b32 v0, v22
	s_or_b64 exec, exec, s[14:15]
	s_and_saveexec_b64 s[14:15], s[6:7]
	s_cbranch_execz .LBB20_71
.LBB20_82:                              ;   in Loop: Header=BB20_63 Depth=1
	s_waitcnt lgkmcnt(0)
	ds_bpermute_b32 v20, v27, v0
	s_waitcnt lgkmcnt(0)
	v_add_f32_e32 v0, v0, v20
	ds_bpermute_b32 v20, v28, v0
	s_waitcnt lgkmcnt(0)
	v_add_f32_e32 v0, v0, v20
	s_or_b64 exec, exec, s[14:15]
	s_and_saveexec_b64 s[14:15], s[12:13]
	s_cbranch_execz .LBB20_62
.LBB20_83:                              ;   in Loop: Header=BB20_63 Depth=1
	s_mul_hi_u32 s17, s23, s30
	s_mul_i32 s16, s23, s30
	s_lshl_b64 s[16:17], s[16:17], 2
	s_add_u32 s16, s2, s16
	s_waitcnt lgkmcnt(0)
	v_mul_f32_e32 v0, s33, v0
	s_addc_u32 s17, s28, s17
	global_store_dword v9, v0, s[16:17]
	s_branch .LBB20_62
.LBB20_84:
	s_endpgm
	.section	.rodata,"a",@progbits
	.p2align	6, 0x0
	.amdhsa_kernel _ZL23rocblas_gemvt_sn_kernelILb0ELi256ELi4EifPKffEviiT4_lPKT3_lilS5_lilPT5_i
		.amdhsa_group_segment_fixed_size 256
		.amdhsa_private_segment_fixed_size 0
		.amdhsa_kernarg_size 360
		.amdhsa_user_sgpr_count 2
		.amdhsa_user_sgpr_dispatch_ptr 0
		.amdhsa_user_sgpr_queue_ptr 0
		.amdhsa_user_sgpr_kernarg_segment_ptr 1
		.amdhsa_user_sgpr_dispatch_id 0
		.amdhsa_user_sgpr_kernarg_preload_length 0
		.amdhsa_user_sgpr_kernarg_preload_offset 0
		.amdhsa_user_sgpr_private_segment_size 0
		.amdhsa_uses_dynamic_stack 0
		.amdhsa_enable_private_segment 0
		.amdhsa_system_sgpr_workgroup_id_x 1
		.amdhsa_system_sgpr_workgroup_id_y 0
		.amdhsa_system_sgpr_workgroup_id_z 1
		.amdhsa_system_sgpr_workgroup_info 0
		.amdhsa_system_vgpr_workitem_id 0
		.amdhsa_next_free_vgpr 54
		.amdhsa_next_free_sgpr 60
		.amdhsa_accum_offset 56
		.amdhsa_reserve_vcc 1
		.amdhsa_float_round_mode_32 0
		.amdhsa_float_round_mode_16_64 0
		.amdhsa_float_denorm_mode_32 3
		.amdhsa_float_denorm_mode_16_64 3
		.amdhsa_dx10_clamp 1
		.amdhsa_ieee_mode 1
		.amdhsa_fp16_overflow 0
		.amdhsa_tg_split 0
		.amdhsa_exception_fp_ieee_invalid_op 0
		.amdhsa_exception_fp_denorm_src 0
		.amdhsa_exception_fp_ieee_div_zero 0
		.amdhsa_exception_fp_ieee_overflow 0
		.amdhsa_exception_fp_ieee_underflow 0
		.amdhsa_exception_fp_ieee_inexact 0
		.amdhsa_exception_int_div_zero 0
	.end_amdhsa_kernel
	.section	.text._ZL23rocblas_gemvt_sn_kernelILb0ELi256ELi4EifPKffEviiT4_lPKT3_lilS5_lilPT5_i,"axG",@progbits,_ZL23rocblas_gemvt_sn_kernelILb0ELi256ELi4EifPKffEviiT4_lPKT3_lilS5_lilPT5_i,comdat
.Lfunc_end20:
	.size	_ZL23rocblas_gemvt_sn_kernelILb0ELi256ELi4EifPKffEviiT4_lPKT3_lilS5_lilPT5_i, .Lfunc_end20-_ZL23rocblas_gemvt_sn_kernelILb0ELi256ELi4EifPKffEviiT4_lPKT3_lilS5_lilPT5_i
                                        ; -- End function
	.section	.AMDGPU.csdata,"",@progbits
; Kernel info:
; codeLenInByte = 3944
; NumSgprs: 66
; NumVgprs: 54
; NumAgprs: 0
; TotalNumVgprs: 54
; ScratchSize: 0
; MemoryBound: 0
; FloatMode: 240
; IeeeMode: 1
; LDSByteSize: 256 bytes/workgroup (compile time only)
; SGPRBlocks: 8
; VGPRBlocks: 6
; NumSGPRsForWavesPerEU: 66
; NumVGPRsForWavesPerEU: 54
; AccumOffset: 56
; Occupancy: 8
; WaveLimiterHint : 1
; COMPUTE_PGM_RSRC2:SCRATCH_EN: 0
; COMPUTE_PGM_RSRC2:USER_SGPR: 2
; COMPUTE_PGM_RSRC2:TRAP_HANDLER: 0
; COMPUTE_PGM_RSRC2:TGID_X_EN: 1
; COMPUTE_PGM_RSRC2:TGID_Y_EN: 0
; COMPUTE_PGM_RSRC2:TGID_Z_EN: 1
; COMPUTE_PGM_RSRC2:TIDIG_COMP_CNT: 0
; COMPUTE_PGM_RSRC3_GFX90A:ACCUM_OFFSET: 13
; COMPUTE_PGM_RSRC3_GFX90A:TG_SPLIT: 0
	.section	.text._ZL23rocblas_gemvt_sn_kernelILb0ELi256ELi4ElfPKffEviiT4_lPKT3_lilS5_lilPT5_i,"axG",@progbits,_ZL23rocblas_gemvt_sn_kernelILb0ELi256ELi4ElfPKffEviiT4_lPKT3_lilS5_lilPT5_i,comdat
	.globl	_ZL23rocblas_gemvt_sn_kernelILb0ELi256ELi4ElfPKffEviiT4_lPKT3_lilS5_lilPT5_i ; -- Begin function _ZL23rocblas_gemvt_sn_kernelILb0ELi256ELi4ElfPKffEviiT4_lPKT3_lilS5_lilPT5_i
	.p2align	8
	.type	_ZL23rocblas_gemvt_sn_kernelILb0ELi256ELi4ElfPKffEviiT4_lPKT3_lilS5_lilPT5_i,@function
_ZL23rocblas_gemvt_sn_kernelILb0ELi256ELi4ElfPKffEviiT4_lPKT3_lilS5_lilPT5_i: ; @_ZL23rocblas_gemvt_sn_kernelILb0ELi256ELi4ElfPKffEviiT4_lPKT3_lilS5_lilPT5_i
; %bb.0:
	s_load_dwordx8 s[20:27], s[0:1], 0x8
	s_load_dwordx2 s[28:29], s[0:1], 0x0
	s_mov_b32 s6, s3
	s_mov_b32 s31, 0
	s_waitcnt lgkmcnt(0)
	s_mul_i32 s3, s3, s23
	s_mul_hi_u32 s4, s6, s22
	s_add_i32 s5, s4, s3
	s_mul_i32 s4, s6, s22
	s_lshl_b64 s[4:5], s[4:5], 2
	s_add_u32 s4, s20, s4
	s_addc_u32 s5, s21, s5
	s_load_dword s33, s[4:5], 0x0
	s_load_dwordx4 s[8:11], s[0:1], 0x50
	s_load_dword s30, s[0:1], 0x68
	s_ashr_i32 s7, s29, 31
	s_mul_hi_u32 s3, s29, s6
	s_mul_i32 s4, s7, s6
	s_add_i32 s13, s3, s4
	s_mul_i32 s12, s29, s6
	s_waitcnt lgkmcnt(0)
	s_mul_i32 s3, s13, s30
	s_mul_hi_u32 s4, s12, s30
	s_add_i32 s5, s4, s3
	s_mul_i32 s4, s12, s30
	s_lshl_b64 s[4:5], s[4:5], 2
	s_add_u32 s64, s10, s4
	s_addc_u32 s65, s11, s5
	v_cmp_neq_f32_e64 s[4:5], s33, 0
	s_and_b64 vcc, exec, s[4:5]
	v_cmp_eq_u32_e64 s[4:5], 0, v0
	s_cbranch_vccnz .LBB21_10
; %bb.1:
	s_cmp_gt_i32 s29, 0
	s_cselect_b64 s[14:15], -1, 0
	s_and_b64 s[14:15], s[4:5], s[14:15]
	s_and_saveexec_b64 s[4:5], s[14:15]
	s_cbranch_execz .LBB21_9
; %bb.2:
	s_cmp_gt_u32 s29, 1
	s_cselect_b64 s[14:15], -1, 0
	s_cmp_eq_u32 s30, 1
	s_cselect_b64 s[18:19], -1, 0
	s_mov_b32 s3, 0
	s_and_b64 s[14:15], s[14:15], s[18:19]
	s_mov_b64 s[16:17], -1
	s_andn2_b64 vcc, exec, s[14:15]
	s_mov_b32 s14, s3
	s_cbranch_vccnz .LBB21_6
; %bb.3:
	s_lshl_b64 s[14:15], s[2:3], 2
	s_add_u32 s16, s64, s14
	s_addc_u32 s17, s65, s15
	s_and_b32 s14, s29, 0x7ffffffe
	v_mov_b32_e32 v2, 0
	v_mov_b32_e32 v3, v2
	s_mov_b32 s15, s14
.LBB21_4:                               ; =>This Inner Loop Header: Depth=1
	global_store_dwordx2 v2, v[2:3], s[16:17]
	s_add_u32 s16, s16, 8
	s_addc_u32 s17, s17, 0
	s_add_i32 s15, s15, -2
	s_cmp_lg_u32 s15, 0
	s_cbranch_scc1 .LBB21_4
; %bb.5:
	s_cmp_lg_u32 s14, s29
	s_cselect_b64 s[16:17], -1, 0
.LBB21_6:
	s_and_b64 vcc, exec, s[16:17]
	s_cbranch_vccz .LBB21_9
; %bb.7:
	s_mov_b32 s15, 0
	s_sub_i32 s16, s29, s14
	s_lshl_b64 s[12:13], s[12:13], 2
	s_lshl_b64 s[14:15], s[14:15], 2
	s_add_u32 s12, s12, s14
	s_addc_u32 s13, s13, s15
	s_mul_i32 s13, s13, s30
	s_mul_hi_u32 s14, s12, s30
	s_add_i32 s14, s14, s13
	s_mul_i32 s15, s12, s30
	s_lshl_b64 s[12:13], s[2:3], 2
	s_add_u32 s3, s15, s12
	s_addc_u32 s12, s14, s13
	s_add_u32 s10, s10, s3
	s_addc_u32 s11, s11, s12
	s_lshl_b64 s[12:13], s[30:31], 2
	v_mov_b32_e32 v1, 0
.LBB21_8:                               ; =>This Inner Loop Header: Depth=1
	s_add_i32 s16, s16, -1
	global_store_dword v1, v1, s[10:11]
	s_add_u32 s10, s10, s12
	s_addc_u32 s11, s11, s13
	s_cmp_eq_u32 s16, 0
	s_cbranch_scc0 .LBB21_8
.LBB21_9:
	s_or_b64 exec, exec, s[4:5]
	s_cbranch_execz .LBB21_11
	s_branch .LBB21_84
.LBB21_10:
.LBB21_11:
	s_load_dword s34, s[0:1], 0x28
	s_load_dword s36, s[0:1], 0x48
	s_load_dwordx2 s[4:5], s[0:1], 0x40
	s_load_dwordx4 s[20:23], s[0:1], 0x30
	s_mul_i32 s0, s6, s9
	s_mul_hi_u32 s1, s6, s8
	s_add_i32 s1, s1, s0
	s_mul_i32 s0, s6, s8
	s_waitcnt lgkmcnt(0)
	s_ashr_i32 s35, s34, 31
	s_ashr_i32 s37, s36, 31
	s_lshl_b64 s[38:39], s[0:1], 2
	s_add_u32 s0, s22, s38
	s_addc_u32 s1, s23, s39
	s_lshl_b64 s[42:43], s[4:5], 2
	s_add_u32 s44, s0, s42
	s_addc_u32 s45, s1, s43
	s_mul_i32 s0, s6, s21
	s_mul_hi_u32 s1, s6, s20
	s_add_i32 s1, s1, s0
	s_mul_i32 s0, s6, s20
	s_lshl_b64 s[40:41], s[0:1], 2
	s_add_u32 s0, s24, s40
	s_addc_u32 s1, s25, s41
	s_lshl_b64 s[26:27], s[26:27], 2
	s_add_u32 s0, s0, s26
	s_addc_u32 s1, s1, s27
	s_lshl_b32 s3, s2, 10
	v_lshl_or_b32 v8, v0, 2, s3
	v_ashrrev_i32_e32 v9, 31, v8
	v_lshl_add_u64 v[6:7], v[8:9], 2, s[0:1]
	s_lshr_b32 s0, s7, 30
	s_add_i32 s0, s29, s0
	s_and_b32 s66, s0, -4
	s_ashr_i32 s0, s28, 31
	s_lshr_b32 s0, s0, 30
	s_add_i32 s0, s28, s0
	s_and_b32 s0, s0, -4
	s_sub_i32 s31, s28, s0
	s_cmp_lt_i32 s66, 1
	v_add_u32_e32 v31, 4, v8
	v_add_u32_e32 v32, s31, v8
	v_and_b32_e32 v28, 63, v0
	v_cmp_gt_u32_e64 s[0:1], 64, v0
	v_mbcnt_lo_u32_b32 v30, -1, 0
	v_cmp_gt_u32_e64 s[4:5], 4, v0
	v_lshrrev_b32_e32 v29, 4, v0
	v_or_b32_e32 v27, 1, v8
	v_or_b32_e32 v26, 2, v8
	;; [unrolled: 1-line block ×3, first 2 shown]
	s_cbranch_scc1 .LBB21_59
; %bb.12:
	v_mbcnt_hi_u32_b32 v2, -1, v30
	v_and_b32_e32 v3, 63, v2
	v_cmp_gt_u32_e32 vcc, 32, v3
	s_mov_b32 s3, 0
	s_cmp_gt_i32 s31, 0
	v_cndmask_b32_e64 v4, 0, 1, vcc
	v_lshlrev_b32_e32 v4, 5, v4
	v_cmp_gt_u32_e32 vcc, 48, v3
	v_add_lshl_u32 v33, v4, v2, 2
	s_cselect_b64 s[46:47], -1, 0
	v_cndmask_b32_e64 v4, 0, 1, vcc
	v_lshlrev_b32_e32 v4, 4, v4
	v_cmp_gt_u32_e32 vcc, 56, v3
	v_add_lshl_u32 v34, v4, v2, 2
	s_lshl_b64 s[14:15], s[2:3], 2
	v_cndmask_b32_e64 v4, 0, 1, vcc
	v_lshlrev_b32_e32 v4, 3, v4
	v_cmp_gt_u32_e32 vcc, 60, v3
	v_add_lshl_u32 v35, v4, v2, 2
	s_add_u32 s67, s64, s14
	v_cndmask_b32_e64 v4, 0, 1, vcc
	v_lshlrev_b32_e32 v4, 2, v4
	v_cmp_gt_u32_e32 vcc, 62, v3
	v_add_lshl_u32 v36, v4, v2, 2
	s_addc_u32 s68, s65, s15
	v_cndmask_b32_e64 v4, 0, 1, vcc
	v_lshlrev_b32_e32 v4, 1, v4
	v_add_lshl_u32 v37, v4, v2, 2
	v_cmp_ne_u32_e32 vcc, 63, v3
	v_mad_i64_i32 v[4:5], s[14:15], s36, v27, 0
	s_nop 0
	v_addc_co_u32_e32 v2, vcc, 0, v2, vcc
	v_lshl_add_u64 v[12:13], v[4:5], 2, s[44:45]
	v_mad_i64_i32 v[4:5], s[14:15], s36, v26, 0
	v_lshlrev_b32_e32 v38, 2, v2
	v_mad_i64_i32 v[2:3], s[14:15], s36, v8, 0
	v_lshl_add_u64 v[14:15], v[4:5], 2, s[44:45]
	v_mad_i64_i32 v[4:5], s[14:15], s36, v1, 0
	s_add_u32 s14, s22, s42
	s_addc_u32 s15, s23, s43
	s_add_u32 s14, s14, s38
	v_lshlrev_b64 v[2:3], 2, v[2:3]
	s_addc_u32 s15, s15, s39
	v_cmp_ge_i32_e64 s[6:7], s28, v31
	v_cmp_ge_i32_e64 s[8:9], s28, v32
	v_cmp_eq_u32_e64 s[10:11], 0, v28
	v_lshlrev_b32_e32 v39, 2, v28
	v_and_b32_e32 v40, 12, v29
	v_cmp_eq_u32_e64 s[12:13], 0, v0
	v_lshl_add_u64 v[10:11], s[44:45], 0, v[2:3]
	v_lshl_add_u64 v[16:17], v[4:5], 2, s[44:45]
	v_lshl_add_u64 v[18:19], s[14:15], 0, v[2:3]
	s_lshl_b64 s[48:49], s[36:37], 2
	s_lshl_b64 s[50:51], s[34:35], 4
	s_lshl_b64 s[52:53], s[34:35], 2
	s_lshl_b64 s[54:55], s[34:35], 3
	s_mul_hi_i32 s57, s34, 12
	s_mul_i32 s56, s34, 12
	v_mov_b32_e32 v41, 0
	v_mov_b64_e32 v[20:21], v[6:7]
                                        ; implicit-def: $vgpr2_vgpr3_vgpr4_vgpr5
	s_branch .LBB21_14
.LBB21_13:                              ;   in Loop: Header=BB21_14 Depth=1
	s_or_b64 exec, exec, s[14:15]
	s_add_i32 s3, s3, 4
	s_cmp_ge_i32 s3, s66
	v_lshl_add_u64 v[20:21], v[20:21], 0, s[50:51]
	s_cbranch_scc1 .LBB21_60
.LBB21_14:                              ; =>This Loop Header: Depth=1
                                        ;     Child Loop BB21_45 Depth 2
                                        ;     Child Loop BB21_48 Depth 2
                                        ; implicit-def: $vgpr23
                                        ; implicit-def: $vgpr42
                                        ; implicit-def: $vgpr43
	s_and_saveexec_b64 s[14:15], s[6:7]
	s_xor_b64 s[14:15], exec, s[14:15]
	s_cbranch_execnz .LBB21_41
; %bb.15:                               ;   in Loop: Header=BB21_14 Depth=1
	s_andn2_saveexec_b64 s[58:59], s[14:15]
	s_cbranch_execnz .LBB21_42
.LBB21_16:                              ;   in Loop: Header=BB21_14 Depth=1
	s_or_b64 exec, exec, s[58:59]
	s_and_saveexec_b64 s[14:15], s[0:1]
	s_cbranch_execz .LBB21_18
.LBB21_17:                              ;   in Loop: Header=BB21_14 Depth=1
	ds_write_b32 v39, v41
.LBB21_18:                              ;   in Loop: Header=BB21_14 Depth=1
	s_or_b64 exec, exec, s[14:15]
	ds_bpermute_b32 v24, v33, v43
	s_waitcnt lgkmcnt(0)
	s_barrier
	v_add_f32_e32 v24, v43, v24
	ds_bpermute_b32 v25, v34, v24
	s_waitcnt lgkmcnt(0)
	v_add_f32_e32 v24, v24, v25
	ds_bpermute_b32 v25, v35, v24
	s_waitcnt lgkmcnt(0)
	;; [unrolled: 3-line block ×4, first 2 shown]
	v_add_f32_e32 v24, v24, v25
	ds_bpermute_b32 v25, v38, v24
	s_and_saveexec_b64 s[14:15], s[10:11]
	s_cbranch_execz .LBB21_20
; %bb.19:                               ;   in Loop: Header=BB21_14 Depth=1
	s_waitcnt lgkmcnt(0)
	v_add_f32_e32 v24, v24, v25
	ds_write_b32 v40, v24
.LBB21_20:                              ;   in Loop: Header=BB21_14 Depth=1
	s_or_b64 exec, exec, s[14:15]
	v_mov_b32_e32 v24, 0
	s_waitcnt lgkmcnt(0)
	s_barrier
	s_and_saveexec_b64 s[14:15], s[4:5]
	s_cbranch_execnz .LBB21_50
; %bb.21:                               ;   in Loop: Header=BB21_14 Depth=1
	s_or_b64 exec, exec, s[14:15]
	s_and_saveexec_b64 s[14:15], s[0:1]
	s_cbranch_execnz .LBB21_51
.LBB21_22:                              ;   in Loop: Header=BB21_14 Depth=1
	s_or_b64 exec, exec, s[14:15]
	s_and_saveexec_b64 s[14:15], s[0:1]
	s_cbranch_execz .LBB21_24
.LBB21_23:                              ;   in Loop: Header=BB21_14 Depth=1
	ds_write_b32 v39, v41
.LBB21_24:                              ;   in Loop: Header=BB21_14 Depth=1
	s_or_b64 exec, exec, s[14:15]
	ds_bpermute_b32 v25, v33, v42
	s_waitcnt lgkmcnt(0)
	s_barrier
	v_add_f32_e32 v25, v42, v25
	ds_bpermute_b32 v42, v34, v25
	s_waitcnt lgkmcnt(0)
	v_add_f32_e32 v25, v25, v42
	ds_bpermute_b32 v42, v35, v25
	s_waitcnt lgkmcnt(0)
	;; [unrolled: 3-line block ×4, first 2 shown]
	v_add_f32_e32 v25, v25, v42
	ds_bpermute_b32 v42, v38, v25
	s_and_saveexec_b64 s[14:15], s[10:11]
	s_cbranch_execz .LBB21_26
; %bb.25:                               ;   in Loop: Header=BB21_14 Depth=1
	s_waitcnt lgkmcnt(0)
	v_add_f32_e32 v25, v25, v42
	ds_write_b32 v40, v25
.LBB21_26:                              ;   in Loop: Header=BB21_14 Depth=1
	s_or_b64 exec, exec, s[14:15]
	v_mov_b32_e32 v25, 0
	s_waitcnt lgkmcnt(0)
	s_barrier
	s_and_saveexec_b64 s[14:15], s[4:5]
	s_cbranch_execnz .LBB21_52
; %bb.27:                               ;   in Loop: Header=BB21_14 Depth=1
	s_or_b64 exec, exec, s[14:15]
	s_and_saveexec_b64 s[14:15], s[0:1]
	s_cbranch_execnz .LBB21_53
.LBB21_28:                              ;   in Loop: Header=BB21_14 Depth=1
	s_or_b64 exec, exec, s[14:15]
	s_and_saveexec_b64 s[14:15], s[0:1]
	s_cbranch_execz .LBB21_30
.LBB21_29:                              ;   in Loop: Header=BB21_14 Depth=1
	ds_write_b32 v39, v41
.LBB21_30:                              ;   in Loop: Header=BB21_14 Depth=1
	s_or_b64 exec, exec, s[14:15]
	ds_bpermute_b32 v42, v33, v22
	s_waitcnt lgkmcnt(0)
	s_barrier
	v_add_f32_e32 v22, v22, v42
	ds_bpermute_b32 v42, v34, v22
	s_waitcnt lgkmcnt(0)
	v_add_f32_e32 v22, v22, v42
	ds_bpermute_b32 v42, v35, v22
	s_waitcnt lgkmcnt(0)
	;; [unrolled: 3-line block ×4, first 2 shown]
	v_add_f32_e32 v22, v22, v42
	ds_bpermute_b32 v42, v38, v22
	s_and_saveexec_b64 s[14:15], s[10:11]
	s_cbranch_execz .LBB21_32
; %bb.31:                               ;   in Loop: Header=BB21_14 Depth=1
	s_waitcnt lgkmcnt(0)
	v_add_f32_e32 v22, v22, v42
	ds_write_b32 v40, v22
.LBB21_32:                              ;   in Loop: Header=BB21_14 Depth=1
	s_or_b64 exec, exec, s[14:15]
	v_mov_b32_e32 v22, 0
	s_waitcnt lgkmcnt(0)
	s_barrier
	s_and_saveexec_b64 s[14:15], s[4:5]
	s_cbranch_execnz .LBB21_54
; %bb.33:                               ;   in Loop: Header=BB21_14 Depth=1
	s_or_b64 exec, exec, s[14:15]
	s_and_saveexec_b64 s[14:15], s[0:1]
	s_cbranch_execnz .LBB21_55
.LBB21_34:                              ;   in Loop: Header=BB21_14 Depth=1
	s_or_b64 exec, exec, s[14:15]
	s_and_saveexec_b64 s[14:15], s[0:1]
	s_cbranch_execz .LBB21_36
.LBB21_35:                              ;   in Loop: Header=BB21_14 Depth=1
	ds_write_b32 v39, v41
.LBB21_36:                              ;   in Loop: Header=BB21_14 Depth=1
	s_or_b64 exec, exec, s[14:15]
	ds_bpermute_b32 v42, v33, v23
	s_waitcnt lgkmcnt(0)
	s_barrier
	v_add_f32_e32 v23, v23, v42
	ds_bpermute_b32 v42, v34, v23
	s_waitcnt lgkmcnt(0)
	v_add_f32_e32 v23, v23, v42
	ds_bpermute_b32 v42, v35, v23
	s_waitcnt lgkmcnt(0)
	;; [unrolled: 3-line block ×4, first 2 shown]
	v_add_f32_e32 v23, v23, v42
	ds_bpermute_b32 v42, v38, v23
	s_and_saveexec_b64 s[14:15], s[10:11]
	s_cbranch_execz .LBB21_38
; %bb.37:                               ;   in Loop: Header=BB21_14 Depth=1
	s_waitcnt lgkmcnt(0)
	v_add_f32_e32 v23, v23, v42
	ds_write_b32 v40, v23
.LBB21_38:                              ;   in Loop: Header=BB21_14 Depth=1
	s_or_b64 exec, exec, s[14:15]
	v_mov_b32_e32 v23, 0
	s_waitcnt lgkmcnt(0)
	s_barrier
	s_and_saveexec_b64 s[14:15], s[4:5]
	s_cbranch_execnz .LBB21_56
; %bb.39:                               ;   in Loop: Header=BB21_14 Depth=1
	s_or_b64 exec, exec, s[14:15]
	s_and_saveexec_b64 s[14:15], s[0:1]
	s_cbranch_execnz .LBB21_57
.LBB21_40:                              ;   in Loop: Header=BB21_14 Depth=1
	s_or_b64 exec, exec, s[14:15]
	s_and_saveexec_b64 s[14:15], s[12:13]
	s_cbranch_execz .LBB21_13
	s_branch .LBB21_58
.LBB21_41:                              ;   in Loop: Header=BB21_14 Depth=1
	s_mul_i32 s16, s3, s35
	s_mul_hi_u32 s17, s3, s34
	s_add_i32 s17, s17, s16
	s_mul_i32 s16, s3, s34
	v_lshl_add_u64 v[42:43], s[16:17], 2, v[6:7]
	s_or_b32 s16, s3, 1
	s_mul_i32 s17, s16, s35
	s_mul_hi_u32 s18, s16, s34
	s_add_i32 s17, s18, s17
	s_mul_i32 s16, s16, s34
	v_lshl_add_u64 v[46:47], s[16:17], 2, v[6:7]
	s_or_b32 s16, s3, 2
	s_mul_i32 s17, s16, s35
	s_mul_hi_u32 s18, s16, s34
	s_add_i32 s17, s18, s17
	s_mul_i32 s16, s16, s34
	s_waitcnt lgkmcnt(0)
	v_lshl_add_u64 v[22:23], s[16:17], 2, v[6:7]
	s_or_b32 s16, s3, 3
	s_mul_i32 s17, s16, s35
	s_mul_hi_u32 s18, s16, s34
	s_add_i32 s17, s18, s17
	s_mul_i32 s16, s16, s34
	v_lshl_add_u64 v[50:51], s[16:17], 2, v[6:7]
	global_load_dword v2, v[10:11], off
	global_load_dword v3, v[12:13], off
	;; [unrolled: 1-line block ×4, first 2 shown]
	s_nop 0
	global_load_dwordx4 v[22:25], v[22:23], off
	s_nop 0
	global_load_dwordx4 v[42:45], v[42:43], off
	s_waitcnt vmcnt(1)
	v_mul_f32_e32 v22, v2, v22
	global_load_dwordx4 v[46:49], v[46:47], off
	s_waitcnt vmcnt(1)
	v_pk_mul_f32 v[42:43], v[2:3], v[42:43]
	global_load_dwordx4 v[50:53], v[50:51], off
	v_add_f32_e32 v42, 0, v42
	v_mul_f32_e32 v54, v3, v23
	v_pk_mul_f32 v[44:45], v[4:5], v[44:45]
	v_add_f32_e32 v42, v42, v43
	v_mul_f32_e32 v24, v4, v24
	v_mul_f32_e32 v56, v5, v25
	v_add_f32_e32 v42, v42, v44
	s_waitcnt vmcnt(1)
	v_pk_mul_f32 v[46:47], v[2:3], v[46:47]
	s_nop 0
	v_add_f32_e32 v43, 0, v46
	s_waitcnt vmcnt(0)
	v_pk_mul_f32 v[50:51], v[2:3], v[50:51]
	v_pk_mul_f32 v[52:53], v[4:5], v[52:53]
	v_mov_b32_e32 v23, v50
	v_mov_b32_e32 v55, v51
	v_pk_add_f32 v[22:23], v[22:23], 0 op_sel_hi:[1,0]
	v_pk_mul_f32 v[48:49], v[4:5], v[48:49]
	v_mov_b32_e32 v25, v52
	v_add_f32_e32 v46, v43, v47
	v_pk_add_f32 v[22:23], v[22:23], v[54:55]
	v_add_f32_e32 v43, v42, v45
	v_add_f32_e32 v42, v46, v48
	v_pk_add_f32 v[22:23], v[22:23], v[24:25]
	v_mov_b32_e32 v57, v53
	v_add_f32_e32 v42, v42, v49
	v_pk_add_f32 v[22:23], v[22:23], v[56:57]
	s_andn2_saveexec_b64 s[58:59], s[14:15]
	s_cbranch_execz .LBB21_16
.LBB21_42:                              ;   in Loop: Header=BB21_14 Depth=1
	s_waitcnt lgkmcnt(0)
	v_mov_b32_e32 v23, 0
	v_mov_b32_e32 v22, 0
	;; [unrolled: 1-line block ×4, first 2 shown]
	s_and_saveexec_b64 s[60:61], s[8:9]
	s_cbranch_execz .LBB21_49
; %bb.43:                               ;   in Loop: Header=BB21_14 Depth=1
	v_cndmask_b32_e64 v22, 0, 1, s[46:47]
	v_cmp_ne_u32_e64 s[14:15], 1, v22
	s_andn2_b64 vcc, exec, s[46:47]
	s_cbranch_vccnz .LBB21_46
; %bb.44:                               ;   in Loop: Header=BB21_14 Depth=1
	s_mov_b64 s[62:63], 0
	v_mov_b64_e32 v[22:23], v[18:19]
.LBB21_45:                              ;   Parent Loop BB21_14 Depth=1
                                        ; =>  This Inner Loop Header: Depth=2
	global_load_dword v24, v[22:23], off
	s_cmp_eq_u32 s62, 3
	s_cselect_b64 vcc, -1, 0
	s_cmp_eq_u32 s62, 2
	s_cselect_b64 s[16:17], -1, 0
	s_cmp_eq_u32 s62, 1
	s_cselect_b64 s[18:19], -1, 0
	;; [unrolled: 2-line block ×3, first 2 shown]
	s_add_u32 s62, s62, 1
	s_addc_u32 s63, s63, 0
	v_lshl_add_u64 v[22:23], v[22:23], 0, s[48:49]
	s_cmp_eq_u32 s31, s62
	s_waitcnt vmcnt(0)
	v_cndmask_b32_e32 v5, v5, v24, vcc
	v_cndmask_b32_e64 v4, v4, v24, s[16:17]
	v_cndmask_b32_e64 v3, v3, v24, s[18:19]
	;; [unrolled: 1-line block ×3, first 2 shown]
	s_cbranch_scc0 .LBB21_45
.LBB21_46:                              ;   in Loop: Header=BB21_14 Depth=1
	s_and_b64 vcc, exec, s[14:15]
	v_mov_b32_e32 v23, 0
	v_mov_b32_e32 v22, 0
	;; [unrolled: 1-line block ×4, first 2 shown]
	s_cbranch_vccnz .LBB21_49
; %bb.47:                               ;   in Loop: Header=BB21_14 Depth=1
	v_mov_b32_e32 v43, 0
	s_mov_b64 s[14:15], 0
	v_mov_b64_e32 v[24:25], v[20:21]
	v_mov_b32_e32 v42, 0
	v_mov_b32_e32 v22, 0
	;; [unrolled: 1-line block ×3, first 2 shown]
.LBB21_48:                              ;   Parent Loop BB21_14 Depth=1
                                        ; =>  This Inner Loop Header: Depth=2
	v_lshl_add_u64 v[44:45], v[24:25], 0, s[52:53]
	v_lshl_add_u64 v[46:47], v[24:25], 0, s[54:55]
	global_load_dword v50, v[24:25], off
	v_lshl_add_u64 v[48:49], v[24:25], 0, s[56:57]
	global_load_dword v44, v[44:45], off
	s_nop 0
	global_load_dword v45, v[46:47], off
	s_nop 0
	global_load_dword v46, v[48:49], off
	s_cmp_eq_u32 s14, 1
	s_cselect_b64 vcc, -1, 0
	s_cmp_eq_u32 s14, 2
	v_cndmask_b32_e32 v47, v2, v3, vcc
	s_cselect_b64 vcc, -1, 0
	s_cmp_eq_u32 s14, 3
	v_cndmask_b32_e32 v47, v47, v4, vcc
	s_cselect_b64 vcc, -1, 0
	s_add_u32 s14, s14, 1
	v_cndmask_b32_e32 v47, v47, v5, vcc
	s_addc_u32 s15, s15, 0
	v_lshl_add_u64 v[24:25], v[24:25], 0, 4
	s_cmp_lg_u32 s31, s14
	s_waitcnt vmcnt(2)
	v_fmac_f32_e32 v42, v47, v44
	v_fmac_f32_e32 v43, v47, v50
	s_waitcnt vmcnt(1)
	v_fmac_f32_e32 v22, v47, v45
	s_waitcnt vmcnt(0)
	v_fmac_f32_e32 v23, v47, v46
	s_cbranch_scc1 .LBB21_48
.LBB21_49:                              ;   in Loop: Header=BB21_14 Depth=1
	s_or_b64 exec, exec, s[60:61]
	s_or_b64 exec, exec, s[58:59]
	s_and_saveexec_b64 s[14:15], s[0:1]
	s_cbranch_execnz .LBB21_17
	s_branch .LBB21_18
.LBB21_50:                              ;   in Loop: Header=BB21_14 Depth=1
	ds_read_b32 v24, v39
	s_or_b64 exec, exec, s[14:15]
	s_and_saveexec_b64 s[14:15], s[0:1]
	s_cbranch_execz .LBB21_22
.LBB21_51:                              ;   in Loop: Header=BB21_14 Depth=1
	s_waitcnt lgkmcnt(0)
	ds_bpermute_b32 v25, v37, v24
	s_waitcnt lgkmcnt(0)
	v_add_f32_e32 v24, v24, v25
	ds_bpermute_b32 v25, v38, v24
	s_waitcnt lgkmcnt(0)
	v_add_f32_e32 v24, v24, v25
	s_or_b64 exec, exec, s[14:15]
	s_and_saveexec_b64 s[14:15], s[0:1]
	s_cbranch_execnz .LBB21_23
	s_branch .LBB21_24
.LBB21_52:                              ;   in Loop: Header=BB21_14 Depth=1
	ds_read_b32 v25, v39
	s_or_b64 exec, exec, s[14:15]
	s_and_saveexec_b64 s[14:15], s[0:1]
	s_cbranch_execz .LBB21_28
.LBB21_53:                              ;   in Loop: Header=BB21_14 Depth=1
	s_waitcnt lgkmcnt(0)
	ds_bpermute_b32 v42, v37, v25
	s_waitcnt lgkmcnt(0)
	v_add_f32_e32 v25, v25, v42
	ds_bpermute_b32 v42, v38, v25
	s_waitcnt lgkmcnt(0)
	v_add_f32_e32 v25, v25, v42
	s_or_b64 exec, exec, s[14:15]
	s_and_saveexec_b64 s[14:15], s[0:1]
	s_cbranch_execnz .LBB21_29
	s_branch .LBB21_30
.LBB21_54:                              ;   in Loop: Header=BB21_14 Depth=1
	ds_read_b32 v22, v39
	s_or_b64 exec, exec, s[14:15]
	s_and_saveexec_b64 s[14:15], s[0:1]
	s_cbranch_execz .LBB21_34
.LBB21_55:                              ;   in Loop: Header=BB21_14 Depth=1
	s_waitcnt lgkmcnt(0)
	ds_bpermute_b32 v42, v37, v22
	s_waitcnt lgkmcnt(0)
	v_add_f32_e32 v22, v22, v42
	ds_bpermute_b32 v42, v38, v22
	s_waitcnt lgkmcnt(0)
	v_add_f32_e32 v22, v22, v42
	s_or_b64 exec, exec, s[14:15]
	s_and_saveexec_b64 s[14:15], s[0:1]
	s_cbranch_execnz .LBB21_35
	s_branch .LBB21_36
.LBB21_56:                              ;   in Loop: Header=BB21_14 Depth=1
	ds_read_b32 v23, v39
	s_or_b64 exec, exec, s[14:15]
	s_and_saveexec_b64 s[14:15], s[0:1]
	s_cbranch_execz .LBB21_40
.LBB21_57:                              ;   in Loop: Header=BB21_14 Depth=1
	s_waitcnt lgkmcnt(0)
	ds_bpermute_b32 v42, v37, v23
	s_waitcnt lgkmcnt(0)
	v_add_f32_e32 v23, v23, v42
	ds_bpermute_b32 v42, v38, v23
	s_waitcnt lgkmcnt(0)
	v_add_f32_e32 v23, v23, v42
	s_or_b64 exec, exec, s[14:15]
	s_and_saveexec_b64 s[14:15], s[12:13]
	s_cbranch_execz .LBB21_13
.LBB21_58:                              ;   in Loop: Header=BB21_14 Depth=1
	s_mul_hi_u32 s17, s3, s30
	s_mul_i32 s16, s3, s30
	s_lshl_b64 s[16:17], s[16:17], 2
	s_add_u32 s16, s67, s16
	v_mul_f32_e32 v24, s33, v24
	s_addc_u32 s17, s68, s17
	global_store_dword v41, v24, s[16:17]
	s_or_b32 s16, s3, 1
	s_mul_hi_u32 s17, s16, s30
	s_mul_i32 s16, s16, s30
	s_lshl_b64 s[16:17], s[16:17], 2
	s_add_u32 s16, s67, s16
	v_mul_f32_e32 v24, s33, v25
	s_addc_u32 s17, s68, s17
	global_store_dword v41, v24, s[16:17]
	s_or_b32 s16, s3, 2
	;; [unrolled: 8-line block ×3, first 2 shown]
	s_mul_hi_u32 s17, s16, s30
	s_mul_i32 s16, s16, s30
	s_lshl_b64 s[16:17], s[16:17], 2
	s_add_u32 s16, s67, s16
	s_waitcnt lgkmcnt(0)
	v_mul_f32_e32 v22, s33, v23
	s_addc_u32 s17, s68, s17
	global_store_dword v41, v22, s[16:17]
	s_branch .LBB21_13
.LBB21_59:
	s_mov_b32 s3, 0
                                        ; implicit-def: $vgpr2_vgpr3_vgpr4_vgpr5
.LBB21_60:
	s_cmp_ge_i32 s3, s29
	s_cbranch_scc1 .LBB21_84
; %bb.61:
	v_mbcnt_hi_u32_b32 v10, -1, v30
	v_and_b32_e32 v11, 63, v10
	v_cmp_gt_u32_e32 vcc, 32, v11
	s_mov_b32 s47, 0
	s_cmp_gt_i32 s31, 0
	v_cndmask_b32_e64 v12, 0, 1, vcc
	v_lshlrev_b32_e32 v12, 5, v12
	v_cmp_gt_u32_e32 vcc, 48, v11
	s_waitcnt lgkmcnt(0)
	v_add_lshl_u32 v23, v12, v10, 2
	s_mov_b32 s46, s2
	v_cndmask_b32_e64 v12, 0, 1, vcc
	v_lshlrev_b32_e32 v12, 4, v12
	v_cmp_gt_u32_e32 vcc, 56, v11
	v_add_lshl_u32 v24, v12, v10, 2
	s_cselect_b64 s[48:49], -1, 0
	v_cndmask_b32_e64 v12, 0, 1, vcc
	v_lshlrev_b32_e32 v12, 3, v12
	v_cmp_gt_u32_e32 vcc, 60, v11
	v_add_lshl_u32 v25, v12, v10, 2
	s_lshl_b64 s[14:15], s[46:47], 2
	v_cndmask_b32_e64 v12, 0, 1, vcc
	v_lshlrev_b32_e32 v12, 2, v12
	v_cmp_gt_u32_e32 vcc, 62, v11
	v_add_lshl_u32 v30, v12, v10, 2
	v_cmp_ge_i32_e64 s[0:1], s28, v31
	v_cndmask_b32_e64 v12, 0, 1, vcc
	v_lshlrev_b32_e32 v12, 1, v12
	v_cmp_ne_u32_e32 vcc, 63, v11
	v_add_lshl_u32 v31, v12, v10, 2
	s_add_u32 s2, s64, s14
	v_addc_co_u32_e32 v10, vcc, 0, v10, vcc
	v_cmp_ge_i32_e64 s[4:5], s28, v32
	v_cmp_gt_u32_e64 s[6:7], 64, v0
	v_lshlrev_b32_e32 v32, 2, v10
	v_cmp_gt_u32_e64 s[10:11], 4, v0
	v_cmp_eq_u32_e64 s[12:13], 0, v0
	s_addc_u32 s28, s65, s15
	v_mad_i64_i32 v[10:11], s[14:15], s36, v8, 0
	v_mad_i64_i32 v[12:13], s[14:15], s36, v27, 0
	;; [unrolled: 1-line block ×4, first 2 shown]
	s_add_u32 s14, s22, s42
	s_addc_u32 s15, s23, s43
	s_add_u32 s14, s14, s38
	v_lshlrev_b64 v[18:19], 2, v[10:11]
	s_addc_u32 s15, s15, s39
	v_lshl_add_u64 v[10:11], s[44:45], 0, v[18:19]
	v_lshl_add_u64 v[18:19], s[14:15], 0, v[18:19]
	s_mul_i32 s14, s35, s3
	s_mul_hi_u32 s15, s34, s3
	s_add_i32 s15, s15, s14
	s_mul_i32 s14, s34, s3
	s_lshl_b64 s[22:23], s[36:37], 2
	s_lshl_b64 s[14:15], s[14:15], 2
	s_add_u32 s14, s40, s14
	s_addc_u32 s15, s41, s15
	s_add_u32 s14, s14, s26
	s_addc_u32 s15, s15, s27
	;; [unrolled: 2-line block ×3, first 2 shown]
	v_lshlrev_b32_e32 v22, 2, v28
	v_cmp_eq_u32_e64 s[8:9], 0, v28
	v_and_b32_e32 v28, 12, v29
	v_lshl_add_u64 v[12:13], v[12:13], 2, s[44:45]
	v_lshl_add_u64 v[14:15], v[14:15], 2, s[44:45]
	;; [unrolled: 1-line block ×4, first 2 shown]
	s_lshl_b64 s[24:25], s[34:35], 2
	v_mov_b32_e32 v1, 0
	s_branch .LBB21_63
.LBB21_62:                              ;   in Loop: Header=BB21_63 Depth=1
	s_or_b64 exec, exec, s[14:15]
	s_add_i32 s3, s3, 1
	s_cmp_ge_i32 s3, s29
	v_lshl_add_u64 v[8:9], v[8:9], 0, s[24:25]
	s_cbranch_scc1 .LBB21_84
.LBB21_63:                              ; =>This Loop Header: Depth=1
                                        ;     Child Loop BB21_76 Depth 2
                                        ;     Child Loop BB21_79 Depth 2
	s_waitcnt lgkmcnt(0)
	v_mov_b32_e32 v0, s47
	s_and_saveexec_b64 s[14:15], s[0:1]
	s_xor_b64 s[14:15], exec, s[14:15]
	s_cbranch_execnz .LBB21_72
; %bb.64:                               ;   in Loop: Header=BB21_63 Depth=1
	s_andn2_saveexec_b64 s[26:27], s[14:15]
	s_cbranch_execnz .LBB21_73
.LBB21_65:                              ;   in Loop: Header=BB21_63 Depth=1
	s_or_b64 exec, exec, s[26:27]
	s_and_saveexec_b64 s[14:15], s[6:7]
	s_cbranch_execz .LBB21_67
.LBB21_66:                              ;   in Loop: Header=BB21_63 Depth=1
	ds_write_b32 v22, v1
.LBB21_67:                              ;   in Loop: Header=BB21_63 Depth=1
	s_or_b64 exec, exec, s[14:15]
	ds_bpermute_b32 v20, v23, v0
	s_waitcnt lgkmcnt(0)
	s_barrier
	v_add_f32_e32 v0, v0, v20
	ds_bpermute_b32 v20, v24, v0
	s_waitcnt lgkmcnt(0)
	v_add_f32_e32 v0, v0, v20
	ds_bpermute_b32 v20, v25, v0
	s_waitcnt lgkmcnt(0)
	;; [unrolled: 3-line block ×4, first 2 shown]
	v_add_f32_e32 v0, v0, v20
	ds_bpermute_b32 v20, v32, v0
	s_and_saveexec_b64 s[14:15], s[8:9]
	s_cbranch_execz .LBB21_69
; %bb.68:                               ;   in Loop: Header=BB21_63 Depth=1
	s_waitcnt lgkmcnt(0)
	v_add_f32_e32 v0, v0, v20
	ds_write_b32 v28, v0
.LBB21_69:                              ;   in Loop: Header=BB21_63 Depth=1
	s_or_b64 exec, exec, s[14:15]
	v_mov_b32_e32 v0, 0
	s_waitcnt lgkmcnt(0)
	s_barrier
	s_and_saveexec_b64 s[14:15], s[10:11]
	s_cbranch_execnz .LBB21_81
; %bb.70:                               ;   in Loop: Header=BB21_63 Depth=1
	s_or_b64 exec, exec, s[14:15]
	s_and_saveexec_b64 s[14:15], s[6:7]
	s_cbranch_execnz .LBB21_82
.LBB21_71:                              ;   in Loop: Header=BB21_63 Depth=1
	s_or_b64 exec, exec, s[14:15]
	s_and_saveexec_b64 s[14:15], s[12:13]
	s_cbranch_execz .LBB21_62
	s_branch .LBB21_83
.LBB21_72:                              ;   in Loop: Header=BB21_63 Depth=1
	s_mul_i32 s16, s3, s35
	s_mul_hi_u32 s17, s3, s34
	s_add_i32 s17, s17, s16
	s_mul_i32 s16, s3, s34
	v_lshl_add_u64 v[20:21], s[16:17], 2, v[6:7]
	global_load_dwordx4 v[34:37], v[20:21], off
	global_load_dword v2, v[10:11], off
	global_load_dword v3, v[12:13], off
	;; [unrolled: 1-line block ×4, first 2 shown]
	s_waitcnt vmcnt(3)
	v_fma_f32 v0, v2, v34, 0
	s_waitcnt vmcnt(2)
	v_fmac_f32_e32 v0, v3, v35
	s_waitcnt vmcnt(1)
	v_fmac_f32_e32 v0, v4, v36
	;; [unrolled: 2-line block ×3, first 2 shown]
	s_andn2_saveexec_b64 s[26:27], s[14:15]
	s_cbranch_execz .LBB21_65
.LBB21_73:                              ;   in Loop: Header=BB21_63 Depth=1
	s_and_saveexec_b64 s[36:37], s[4:5]
	s_cbranch_execz .LBB21_80
; %bb.74:                               ;   in Loop: Header=BB21_63 Depth=1
	v_cndmask_b32_e64 v20, 0, 1, s[48:49]
	v_cmp_ne_u32_e64 s[14:15], 1, v20
	s_andn2_b64 vcc, exec, s[48:49]
	s_cbranch_vccnz .LBB21_77
; %bb.75:                               ;   in Loop: Header=BB21_63 Depth=1
	s_mov_b64 s[38:39], 0
	v_mov_b64_e32 v[20:21], v[18:19]
.LBB21_76:                              ;   Parent Loop BB21_63 Depth=1
                                        ; =>  This Inner Loop Header: Depth=2
	global_load_dword v26, v[20:21], off
	s_cmp_eq_u32 s38, 3
	s_cselect_b64 vcc, -1, 0
	s_cmp_eq_u32 s38, 2
	s_cselect_b64 s[16:17], -1, 0
	s_cmp_eq_u32 s38, 1
	s_cselect_b64 s[18:19], -1, 0
	;; [unrolled: 2-line block ×3, first 2 shown]
	s_add_u32 s38, s38, 1
	s_addc_u32 s39, s39, 0
	v_lshl_add_u64 v[20:21], v[20:21], 0, s[22:23]
	s_cmp_eq_u32 s31, s38
	s_waitcnt vmcnt(0)
	v_cndmask_b32_e32 v5, v5, v26, vcc
	v_cndmask_b32_e64 v4, v4, v26, s[16:17]
	v_cndmask_b32_e64 v3, v3, v26, s[18:19]
	;; [unrolled: 1-line block ×3, first 2 shown]
	s_cbranch_scc0 .LBB21_76
.LBB21_77:                              ;   in Loop: Header=BB21_63 Depth=1
	s_and_b64 vcc, exec, s[14:15]
	s_cbranch_vccnz .LBB21_80
; %bb.78:                               ;   in Loop: Header=BB21_63 Depth=1
	s_mov_b64 s[14:15], 0
	v_mov_b64_e32 v[20:21], v[8:9]
.LBB21_79:                              ;   Parent Loop BB21_63 Depth=1
                                        ; =>  This Inner Loop Header: Depth=2
	global_load_dword v26, v[20:21], off
	s_cmp_eq_u32 s14, 1
	s_cselect_b64 vcc, -1, 0
	s_cmp_eq_u32 s14, 2
	v_cndmask_b32_e32 v27, v2, v3, vcc
	s_cselect_b64 vcc, -1, 0
	s_cmp_eq_u32 s14, 3
	v_cndmask_b32_e32 v27, v27, v4, vcc
	s_cselect_b64 vcc, -1, 0
	s_add_u32 s14, s14, 1
	v_cndmask_b32_e32 v27, v27, v5, vcc
	s_addc_u32 s15, s15, 0
	v_lshl_add_u64 v[20:21], v[20:21], 0, 4
	s_cmp_lg_u32 s31, s14
	s_waitcnt vmcnt(0)
	v_fmac_f32_e32 v0, v27, v26
	s_cbranch_scc1 .LBB21_79
.LBB21_80:                              ;   in Loop: Header=BB21_63 Depth=1
	s_or_b64 exec, exec, s[36:37]
	s_or_b64 exec, exec, s[26:27]
	s_and_saveexec_b64 s[14:15], s[6:7]
	s_cbranch_execnz .LBB21_66
	s_branch .LBB21_67
.LBB21_81:                              ;   in Loop: Header=BB21_63 Depth=1
	ds_read_b32 v0, v22
	s_or_b64 exec, exec, s[14:15]
	s_and_saveexec_b64 s[14:15], s[6:7]
	s_cbranch_execz .LBB21_71
.LBB21_82:                              ;   in Loop: Header=BB21_63 Depth=1
	s_waitcnt lgkmcnt(0)
	ds_bpermute_b32 v20, v31, v0
	s_waitcnt lgkmcnt(0)
	v_add_f32_e32 v0, v0, v20
	ds_bpermute_b32 v20, v32, v0
	s_waitcnt lgkmcnt(0)
	v_add_f32_e32 v0, v0, v20
	s_or_b64 exec, exec, s[14:15]
	s_and_saveexec_b64 s[14:15], s[12:13]
	s_cbranch_execz .LBB21_62
.LBB21_83:                              ;   in Loop: Header=BB21_63 Depth=1
	s_mul_hi_u32 s17, s3, s30
	s_mul_i32 s16, s3, s30
	s_lshl_b64 s[16:17], s[16:17], 2
	s_add_u32 s16, s2, s16
	s_waitcnt lgkmcnt(0)
	v_mul_f32_e32 v0, s33, v0
	s_addc_u32 s17, s28, s17
	global_store_dword v1, v0, s[16:17]
	s_branch .LBB21_62
.LBB21_84:
	s_endpgm
	.section	.rodata,"a",@progbits
	.p2align	6, 0x0
	.amdhsa_kernel _ZL23rocblas_gemvt_sn_kernelILb0ELi256ELi4ElfPKffEviiT4_lPKT3_lilS5_lilPT5_i
		.amdhsa_group_segment_fixed_size 256
		.amdhsa_private_segment_fixed_size 0
		.amdhsa_kernarg_size 360
		.amdhsa_user_sgpr_count 2
		.amdhsa_user_sgpr_dispatch_ptr 0
		.amdhsa_user_sgpr_queue_ptr 0
		.amdhsa_user_sgpr_kernarg_segment_ptr 1
		.amdhsa_user_sgpr_dispatch_id 0
		.amdhsa_user_sgpr_kernarg_preload_length 0
		.amdhsa_user_sgpr_kernarg_preload_offset 0
		.amdhsa_user_sgpr_private_segment_size 0
		.amdhsa_uses_dynamic_stack 0
		.amdhsa_enable_private_segment 0
		.amdhsa_system_sgpr_workgroup_id_x 1
		.amdhsa_system_sgpr_workgroup_id_y 0
		.amdhsa_system_sgpr_workgroup_id_z 1
		.amdhsa_system_sgpr_workgroup_info 0
		.amdhsa_system_vgpr_workitem_id 0
		.amdhsa_next_free_vgpr 58
		.amdhsa_next_free_sgpr 69
		.amdhsa_accum_offset 60
		.amdhsa_reserve_vcc 1
		.amdhsa_float_round_mode_32 0
		.amdhsa_float_round_mode_16_64 0
		.amdhsa_float_denorm_mode_32 3
		.amdhsa_float_denorm_mode_16_64 3
		.amdhsa_dx10_clamp 1
		.amdhsa_ieee_mode 1
		.amdhsa_fp16_overflow 0
		.amdhsa_tg_split 0
		.amdhsa_exception_fp_ieee_invalid_op 0
		.amdhsa_exception_fp_denorm_src 0
		.amdhsa_exception_fp_ieee_div_zero 0
		.amdhsa_exception_fp_ieee_overflow 0
		.amdhsa_exception_fp_ieee_underflow 0
		.amdhsa_exception_fp_ieee_inexact 0
		.amdhsa_exception_int_div_zero 0
	.end_amdhsa_kernel
	.section	.text._ZL23rocblas_gemvt_sn_kernelILb0ELi256ELi4ElfPKffEviiT4_lPKT3_lilS5_lilPT5_i,"axG",@progbits,_ZL23rocblas_gemvt_sn_kernelILb0ELi256ELi4ElfPKffEviiT4_lPKT3_lilS5_lilPT5_i,comdat
.Lfunc_end21:
	.size	_ZL23rocblas_gemvt_sn_kernelILb0ELi256ELi4ElfPKffEviiT4_lPKT3_lilS5_lilPT5_i, .Lfunc_end21-_ZL23rocblas_gemvt_sn_kernelILb0ELi256ELi4ElfPKffEviiT4_lPKT3_lilS5_lilPT5_i
                                        ; -- End function
	.section	.AMDGPU.csdata,"",@progbits
; Kernel info:
; codeLenInByte = 4032
; NumSgprs: 75
; NumVgprs: 58
; NumAgprs: 0
; TotalNumVgprs: 58
; ScratchSize: 0
; MemoryBound: 0
; FloatMode: 240
; IeeeMode: 1
; LDSByteSize: 256 bytes/workgroup (compile time only)
; SGPRBlocks: 9
; VGPRBlocks: 7
; NumSGPRsForWavesPerEU: 75
; NumVGPRsForWavesPerEU: 58
; AccumOffset: 60
; Occupancy: 8
; WaveLimiterHint : 1
; COMPUTE_PGM_RSRC2:SCRATCH_EN: 0
; COMPUTE_PGM_RSRC2:USER_SGPR: 2
; COMPUTE_PGM_RSRC2:TRAP_HANDLER: 0
; COMPUTE_PGM_RSRC2:TGID_X_EN: 1
; COMPUTE_PGM_RSRC2:TGID_Y_EN: 0
; COMPUTE_PGM_RSRC2:TGID_Z_EN: 1
; COMPUTE_PGM_RSRC2:TIDIG_COMP_CNT: 0
; COMPUTE_PGM_RSRC3_GFX90A:ACCUM_OFFSET: 14
; COMPUTE_PGM_RSRC3_GFX90A:TG_SPLIT: 0
	.section	.text._ZL23rocblas_gemvt_sn_kernelILb0ELi256ELi4EifffEviiT4_lPKT3_lilS3_lilPT5_i,"axG",@progbits,_ZL23rocblas_gemvt_sn_kernelILb0ELi256ELi4EifffEviiT4_lPKT3_lilS3_lilPT5_i,comdat
	.globl	_ZL23rocblas_gemvt_sn_kernelILb0ELi256ELi4EifffEviiT4_lPKT3_lilS3_lilPT5_i ; -- Begin function _ZL23rocblas_gemvt_sn_kernelILb0ELi256ELi4EifffEviiT4_lPKT3_lilS3_lilPT5_i
	.p2align	8
	.type	_ZL23rocblas_gemvt_sn_kernelILb0ELi256ELi4EifffEviiT4_lPKT3_lilS3_lilPT5_i,@function
_ZL23rocblas_gemvt_sn_kernelILb0ELi256ELi4EifffEviiT4_lPKT3_lilS3_lilPT5_i: ; @_ZL23rocblas_gemvt_sn_kernelILb0ELi256ELi4EifffEviiT4_lPKT3_lilS3_lilPT5_i
; %bb.0:
	s_load_dwordx4 s[24:27], s[0:1], 0x0
	s_load_dwordx4 s[8:11], s[0:1], 0x50
	s_load_dword s22, s[0:1], 0x68
	s_mov_b32 s6, s3
	s_mov_b32 s23, 0
	s_waitcnt lgkmcnt(0)
	s_ashr_i32 s7, s25, 31
	s_mul_hi_u32 s3, s25, s3
	s_mul_i32 s4, s7, s6
	s_add_i32 s13, s3, s4
	s_mul_i32 s12, s25, s6
	s_mul_i32 s3, s13, s22
	s_mul_hi_u32 s4, s12, s22
	s_add_i32 s5, s4, s3
	s_mul_i32 s4, s12, s22
	s_lshl_b64 s[4:5], s[4:5], 2
	s_add_u32 s56, s10, s4
	s_addc_u32 s57, s11, s5
	v_cmp_neq_f32_e64 s[4:5], s26, 0
	s_and_b64 vcc, exec, s[4:5]
	v_cmp_eq_u32_e64 s[4:5], 0, v0
	s_cbranch_vccnz .LBB22_10
; %bb.1:
	s_cmp_gt_i32 s25, 0
	s_cselect_b64 s[14:15], -1, 0
	s_and_b64 s[14:15], s[4:5], s[14:15]
	s_and_saveexec_b64 s[4:5], s[14:15]
	s_cbranch_execz .LBB22_9
; %bb.2:
	s_cmp_gt_u32 s25, 1
	s_cselect_b64 s[14:15], -1, 0
	s_cmp_eq_u32 s22, 1
	s_cselect_b64 s[18:19], -1, 0
	s_mov_b32 s3, 0
	s_and_b64 s[14:15], s[14:15], s[18:19]
	s_mov_b64 s[16:17], -1
	s_andn2_b64 vcc, exec, s[14:15]
	s_mov_b32 s14, s3
	s_cbranch_vccnz .LBB22_6
; %bb.3:
	s_lshl_b64 s[14:15], s[2:3], 2
	s_add_u32 s16, s56, s14
	s_addc_u32 s17, s57, s15
	s_and_b32 s14, s25, 0x7ffffffe
	v_mov_b32_e32 v2, 0
	v_mov_b32_e32 v3, v2
	s_mov_b32 s15, s14
.LBB22_4:                               ; =>This Inner Loop Header: Depth=1
	global_store_dwordx2 v2, v[2:3], s[16:17]
	s_add_u32 s16, s16, 8
	s_addc_u32 s17, s17, 0
	s_add_i32 s15, s15, -2
	s_cmp_lg_u32 s15, 0
	s_cbranch_scc1 .LBB22_4
; %bb.5:
	s_cmp_lg_u32 s14, s25
	s_cselect_b64 s[16:17], -1, 0
.LBB22_6:
	s_and_b64 vcc, exec, s[16:17]
	s_cbranch_vccz .LBB22_9
; %bb.7:
	s_mov_b32 s15, 0
	s_sub_i32 s16, s25, s14
	s_lshl_b64 s[12:13], s[12:13], 2
	s_lshl_b64 s[14:15], s[14:15], 2
	s_add_u32 s12, s12, s14
	s_addc_u32 s13, s13, s15
	s_mul_i32 s13, s13, s22
	s_mul_hi_u32 s14, s12, s22
	s_add_i32 s14, s14, s13
	s_mul_i32 s15, s12, s22
	s_lshl_b64 s[12:13], s[2:3], 2
	s_add_u32 s3, s15, s12
	s_addc_u32 s12, s14, s13
	s_add_u32 s10, s10, s3
	s_addc_u32 s11, s11, s12
	s_lshl_b64 s[12:13], s[22:23], 2
	v_mov_b32_e32 v1, 0
.LBB22_8:                               ; =>This Inner Loop Header: Depth=1
	s_add_i32 s16, s16, -1
	global_store_dword v1, v1, s[10:11]
	s_add_u32 s10, s10, s12
	s_addc_u32 s11, s11, s13
	s_cmp_eq_u32 s16, 0
	s_cbranch_scc0 .LBB22_8
.LBB22_9:
	s_or_b64 exec, exec, s[4:5]
	s_cbranch_execz .LBB22_11
	s_branch .LBB22_84
.LBB22_10:
.LBB22_11:
	s_load_dwordx4 s[28:31], s[0:1], 0x18
	s_load_dword s34, s[0:1], 0x28
	s_load_dwordx4 s[12:15], s[0:1], 0x30
	s_load_dwordx2 s[4:5], s[0:1], 0x40
	s_load_dword s23, s[0:1], 0x48
	s_mul_i32 s0, s6, s9
	s_mul_hi_u32 s1, s6, s8
	s_add_i32 s1, s1, s0
	s_mul_i32 s0, s6, s8
	s_lshl_b64 s[0:1], s[0:1], 2
	s_waitcnt lgkmcnt(0)
	s_add_u32 s3, s14, s0
	s_addc_u32 s8, s15, s1
	s_lshl_b64 s[0:1], s[4:5], 2
	s_add_u32 s36, s3, s0
	s_addc_u32 s37, s8, s1
	s_mul_i32 s0, s6, s13
	s_mul_hi_u32 s1, s6, s12
	s_add_i32 s1, s1, s0
	s_mul_i32 s0, s6, s12
	s_lshl_b64 s[38:39], s[0:1], 2
	s_add_u32 s0, s28, s38
	s_addc_u32 s1, s29, s39
	s_lshl_b64 s[30:31], s[30:31], 2
	s_add_u32 s0, s0, s30
	s_addc_u32 s1, s1, s31
	s_lshl_b32 s3, s2, 10
	v_lshl_or_b32 v10, v0, 2, s3
	v_ashrrev_i32_e32 v11, 31, v10
	v_lshl_add_u64 v[6:7], v[10:11], 2, s[0:1]
	s_lshr_b32 s0, s7, 30
	s_add_i32 s0, s25, s0
	s_and_b32 s3, s0, -4
	s_ashr_i32 s0, s24, 31
	s_lshr_b32 s0, s0, 30
	s_add_i32 s0, s24, s0
	s_and_b32 s0, s0, -4
	s_sub_i32 s27, s24, s0
	s_cmp_lt_i32 s3, 1
	v_add_u32_e32 v29, 4, v10
	v_add_u32_e32 v30, s27, v10
	v_and_b32_e32 v1, 63, v0
	v_cmp_gt_u32_e64 s[0:1], 64, v0
	v_mbcnt_lo_u32_b32 v28, -1, 0
	v_cmp_gt_u32_e64 s[4:5], 4, v0
	v_lshrrev_b32_e32 v9, 4, v0
	v_mul_lo_u32 v8, v10, s23
	s_cbranch_scc1 .LBB22_59
; %bb.12:
	v_mbcnt_hi_u32_b32 v2, -1, v28
	v_and_b32_e32 v3, 63, v2
	v_cmp_gt_u32_e32 vcc, 32, v3
	v_mul_lo_u32 v12, v10, s23
	s_cmp_gt_i32 s27, 0
	v_cndmask_b32_e64 v4, 0, 1, vcc
	v_lshlrev_b32_e32 v4, 5, v4
	v_cmp_gt_u32_e32 vcc, 48, v3
	v_add_lshl_u32 v31, v4, v2, 2
	s_cselect_b64 s[42:43], -1, 0
	v_cndmask_b32_e64 v4, 0, 1, vcc
	v_lshlrev_b32_e32 v4, 4, v4
	v_cmp_gt_u32_e32 vcc, 56, v3
	v_add_lshl_u32 v32, v4, v2, 2
	s_lshl_b32 s58, s34, 2
	v_cndmask_b32_e64 v4, 0, 1, vcc
	v_lshlrev_b32_e32 v4, 3, v4
	v_cmp_gt_u32_e32 vcc, 60, v3
	v_add_lshl_u32 v33, v4, v2, 2
	s_lshl_b32 s40, s34, 1
	v_cndmask_b32_e64 v4, 0, 1, vcc
	v_lshlrev_b32_e32 v4, 2, v4
	v_cmp_gt_u32_e32 vcc, 62, v3
	v_add_lshl_u32 v34, v4, v2, 2
	s_add_u32 s14, s38, s30
	v_cndmask_b32_e64 v4, 0, 1, vcc
	v_lshlrev_b32_e32 v4, 1, v4
	v_cmp_ne_u32_e32 vcc, 63, v3
	v_add_lshl_u32 v35, v4, v2, 2
	s_addc_u32 s15, s39, s31
	v_addc_co_u32_e32 v2, vcc, 0, v2, vcc
	v_lshlrev_b32_e32 v36, 2, v2
	v_add_u32_e32 v2, s23, v12
	v_ashrrev_i32_e32 v3, 31, v2
	v_lshl_add_u64 v[16:17], v[2:3], 2, s[36:37]
	v_add_u32_e32 v2, s23, v2
	v_ashrrev_i32_e32 v3, 31, v2
	s_mov_b32 s41, 0
	v_lshl_add_u64 v[18:19], v[2:3], 2, s[36:37]
	v_add_u32_e32 v2, s23, v2
	s_add_u32 s14, s28, s14
	v_ashrrev_i32_e32 v13, 31, v12
	v_ashrrev_i32_e32 v3, 31, v2
	s_mov_b32 s35, s41
	s_addc_u32 s15, s29, s15
	v_cmp_ge_i32_e64 s[6:7], s24, v29
	v_cmp_ge_i32_e64 s[8:9], s24, v30
	v_cmp_eq_u32_e64 s[10:11], 0, v1
	v_lshlrev_b32_e32 v37, 2, v1
	v_and_b32_e32 v38, 12, v9
	v_cmp_eq_u32_e64 s[12:13], 0, v0
	v_lshl_add_u64 v[14:15], v[12:13], 2, s[36:37]
	v_lshl_add_u64 v[20:21], v[2:3], 2, s[36:37]
	s_mul_i32 s59, s34, 3
	s_mov_b32 s60, s41
	v_lshl_add_u64 v[22:23], v[10:11], 2, s[14:15]
	v_mov_b32_e32 v13, 0
	s_mov_b32 s44, s41
	s_mov_b64 s[46:47], s[40:41]
	s_mov_b64 s[48:49], s[34:35]
	s_mov_b32 s33, 0
                                        ; implicit-def: $vgpr2_vgpr3_vgpr4_vgpr5
	s_branch .LBB22_14
.LBB22_13:                              ;   in Loop: Header=BB22_14 Depth=1
	s_or_b64 exec, exec, s[14:15]
	s_add_i32 s33, s33, 4
	s_add_u32 s48, s48, s58
	s_addc_u32 s49, s49, 0
	s_add_u32 s46, s46, s58
	s_addc_u32 s47, s47, 0
	;; [unrolled: 2-line block ×3, first 2 shown]
	s_add_i32 s44, s44, s58
	s_cmp_ge_i32 s33, s3
	s_cbranch_scc1 .LBB22_60
.LBB22_14:                              ; =>This Loop Header: Depth=1
                                        ;     Child Loop BB22_45 Depth 2
                                        ;     Child Loop BB22_48 Depth 2
                                        ; implicit-def: $vgpr25
                                        ; implicit-def: $vgpr39
                                        ; implicit-def: $vgpr40
	s_and_saveexec_b64 s[14:15], s[6:7]
	s_xor_b64 s[14:15], exec, s[14:15]
	s_cbranch_execnz .LBB22_41
; %bb.15:                               ;   in Loop: Header=BB22_14 Depth=1
	s_andn2_saveexec_b64 s[50:51], s[14:15]
	s_cbranch_execnz .LBB22_42
.LBB22_16:                              ;   in Loop: Header=BB22_14 Depth=1
	s_or_b64 exec, exec, s[50:51]
	s_and_saveexec_b64 s[14:15], s[0:1]
	s_cbranch_execz .LBB22_18
.LBB22_17:                              ;   in Loop: Header=BB22_14 Depth=1
	ds_write_b32 v37, v13
.LBB22_18:                              ;   in Loop: Header=BB22_14 Depth=1
	s_or_b64 exec, exec, s[14:15]
	ds_bpermute_b32 v26, v31, v40
	s_waitcnt lgkmcnt(0)
	s_barrier
	v_add_f32_e32 v26, v40, v26
	ds_bpermute_b32 v27, v32, v26
	s_waitcnt lgkmcnt(0)
	v_add_f32_e32 v26, v26, v27
	ds_bpermute_b32 v27, v33, v26
	s_waitcnt lgkmcnt(0)
	;; [unrolled: 3-line block ×4, first 2 shown]
	v_add_f32_e32 v26, v26, v27
	ds_bpermute_b32 v27, v36, v26
	s_and_saveexec_b64 s[14:15], s[10:11]
	s_cbranch_execz .LBB22_20
; %bb.19:                               ;   in Loop: Header=BB22_14 Depth=1
	s_waitcnt lgkmcnt(0)
	v_add_f32_e32 v26, v26, v27
	ds_write_b32 v38, v26
.LBB22_20:                              ;   in Loop: Header=BB22_14 Depth=1
	s_or_b64 exec, exec, s[14:15]
	v_mov_b32_e32 v26, 0
	s_waitcnt lgkmcnt(0)
	s_barrier
	s_and_saveexec_b64 s[14:15], s[4:5]
	s_cbranch_execnz .LBB22_50
; %bb.21:                               ;   in Loop: Header=BB22_14 Depth=1
	s_or_b64 exec, exec, s[14:15]
	s_and_saveexec_b64 s[14:15], s[0:1]
	s_cbranch_execnz .LBB22_51
.LBB22_22:                              ;   in Loop: Header=BB22_14 Depth=1
	s_or_b64 exec, exec, s[14:15]
	s_and_saveexec_b64 s[14:15], s[0:1]
	s_cbranch_execz .LBB22_24
.LBB22_23:                              ;   in Loop: Header=BB22_14 Depth=1
	ds_write_b32 v37, v13
.LBB22_24:                              ;   in Loop: Header=BB22_14 Depth=1
	s_or_b64 exec, exec, s[14:15]
	ds_bpermute_b32 v27, v31, v39
	s_waitcnt lgkmcnt(0)
	s_barrier
	v_add_f32_e32 v27, v39, v27
	ds_bpermute_b32 v39, v32, v27
	s_waitcnt lgkmcnt(0)
	v_add_f32_e32 v27, v27, v39
	ds_bpermute_b32 v39, v33, v27
	s_waitcnt lgkmcnt(0)
	v_add_f32_e32 v27, v27, v39
	ds_bpermute_b32 v39, v34, v27
	s_waitcnt lgkmcnt(0)
	v_add_f32_e32 v27, v27, v39
	ds_bpermute_b32 v39, v35, v27
	s_waitcnt lgkmcnt(0)
	v_add_f32_e32 v27, v27, v39
	ds_bpermute_b32 v39, v36, v27
	s_and_saveexec_b64 s[14:15], s[10:11]
	s_cbranch_execz .LBB22_26
; %bb.25:                               ;   in Loop: Header=BB22_14 Depth=1
	s_waitcnt lgkmcnt(0)
	v_add_f32_e32 v27, v27, v39
	ds_write_b32 v38, v27
.LBB22_26:                              ;   in Loop: Header=BB22_14 Depth=1
	s_or_b64 exec, exec, s[14:15]
	v_mov_b32_e32 v27, 0
	s_waitcnt lgkmcnt(0)
	s_barrier
	s_and_saveexec_b64 s[14:15], s[4:5]
	s_cbranch_execnz .LBB22_52
; %bb.27:                               ;   in Loop: Header=BB22_14 Depth=1
	s_or_b64 exec, exec, s[14:15]
	s_and_saveexec_b64 s[14:15], s[0:1]
	s_cbranch_execnz .LBB22_53
.LBB22_28:                              ;   in Loop: Header=BB22_14 Depth=1
	s_or_b64 exec, exec, s[14:15]
	s_and_saveexec_b64 s[14:15], s[0:1]
	s_cbranch_execz .LBB22_30
.LBB22_29:                              ;   in Loop: Header=BB22_14 Depth=1
	ds_write_b32 v37, v13
.LBB22_30:                              ;   in Loop: Header=BB22_14 Depth=1
	s_or_b64 exec, exec, s[14:15]
	ds_bpermute_b32 v39, v31, v24
	s_waitcnt lgkmcnt(0)
	s_barrier
	v_add_f32_e32 v24, v24, v39
	ds_bpermute_b32 v39, v32, v24
	s_waitcnt lgkmcnt(0)
	v_add_f32_e32 v24, v24, v39
	ds_bpermute_b32 v39, v33, v24
	s_waitcnt lgkmcnt(0)
	;; [unrolled: 3-line block ×4, first 2 shown]
	v_add_f32_e32 v24, v24, v39
	ds_bpermute_b32 v39, v36, v24
	s_and_saveexec_b64 s[14:15], s[10:11]
	s_cbranch_execz .LBB22_32
; %bb.31:                               ;   in Loop: Header=BB22_14 Depth=1
	s_waitcnt lgkmcnt(0)
	v_add_f32_e32 v24, v24, v39
	ds_write_b32 v38, v24
.LBB22_32:                              ;   in Loop: Header=BB22_14 Depth=1
	s_or_b64 exec, exec, s[14:15]
	v_mov_b32_e32 v24, 0
	s_waitcnt lgkmcnt(0)
	s_barrier
	s_and_saveexec_b64 s[14:15], s[4:5]
	s_cbranch_execnz .LBB22_54
; %bb.33:                               ;   in Loop: Header=BB22_14 Depth=1
	s_or_b64 exec, exec, s[14:15]
	s_and_saveexec_b64 s[14:15], s[0:1]
	s_cbranch_execnz .LBB22_55
.LBB22_34:                              ;   in Loop: Header=BB22_14 Depth=1
	s_or_b64 exec, exec, s[14:15]
	s_and_saveexec_b64 s[14:15], s[0:1]
	s_cbranch_execz .LBB22_36
.LBB22_35:                              ;   in Loop: Header=BB22_14 Depth=1
	ds_write_b32 v37, v13
.LBB22_36:                              ;   in Loop: Header=BB22_14 Depth=1
	s_or_b64 exec, exec, s[14:15]
	ds_bpermute_b32 v39, v31, v25
	s_waitcnt lgkmcnt(0)
	s_barrier
	v_add_f32_e32 v25, v25, v39
	ds_bpermute_b32 v39, v32, v25
	s_waitcnt lgkmcnt(0)
	v_add_f32_e32 v25, v25, v39
	ds_bpermute_b32 v39, v33, v25
	s_waitcnt lgkmcnt(0)
	;; [unrolled: 3-line block ×4, first 2 shown]
	v_add_f32_e32 v25, v25, v39
	ds_bpermute_b32 v39, v36, v25
	s_and_saveexec_b64 s[14:15], s[10:11]
	s_cbranch_execz .LBB22_38
; %bb.37:                               ;   in Loop: Header=BB22_14 Depth=1
	s_waitcnt lgkmcnt(0)
	v_add_f32_e32 v25, v25, v39
	ds_write_b32 v38, v25
.LBB22_38:                              ;   in Loop: Header=BB22_14 Depth=1
	s_or_b64 exec, exec, s[14:15]
	v_mov_b32_e32 v25, 0
	s_waitcnt lgkmcnt(0)
	s_barrier
	s_and_saveexec_b64 s[14:15], s[4:5]
	s_cbranch_execnz .LBB22_56
; %bb.39:                               ;   in Loop: Header=BB22_14 Depth=1
	s_or_b64 exec, exec, s[14:15]
	s_and_saveexec_b64 s[14:15], s[0:1]
	s_cbranch_execnz .LBB22_57
.LBB22_40:                              ;   in Loop: Header=BB22_14 Depth=1
	s_or_b64 exec, exec, s[14:15]
	s_and_saveexec_b64 s[14:15], s[12:13]
	s_cbranch_execz .LBB22_13
	s_branch .LBB22_58
.LBB22_41:                              ;   in Loop: Header=BB22_14 Depth=1
	s_mul_i32 s16, s33, s34
	s_ashr_i32 s17, s16, 31
	s_waitcnt lgkmcnt(0)
	v_lshl_add_u64 v[24:25], s[16:17], 2, v[6:7]
	s_add_i32 s16, s16, s34
	s_ashr_i32 s17, s16, 31
	v_lshl_add_u64 v[40:41], s[16:17], 2, v[6:7]
	s_add_i32 s16, s16, s34
	s_ashr_i32 s17, s16, 31
	global_load_dword v2, v[14:15], off
	global_load_dword v3, v[16:17], off
	;; [unrolled: 1-line block ×4, first 2 shown]
	v_lshl_add_u64 v[44:45], s[16:17], 2, v[6:7]
	global_load_dwordx4 v[24:27], v[24:25], off
	s_add_i32 s16, s16, s34
	global_load_dwordx4 v[40:43], v[40:41], off
	s_ashr_i32 s17, s16, 31
	v_lshl_add_u64 v[48:49], s[16:17], 2, v[6:7]
	global_load_dwordx4 v[44:47], v[44:45], off
	s_waitcnt vmcnt(2)
	v_pk_mul_f32 v[24:25], v[2:3], v[24:25]
	global_load_dwordx4 v[48:51], v[48:49], off
	v_add_f32_e32 v39, 0, v24
	v_pk_mul_f32 v[26:27], v[4:5], v[26:27]
	v_add_f32_e32 v25, v39, v25
	s_waitcnt vmcnt(2)
	v_pk_mul_f32 v[40:41], v[2:3], v[40:41]
	v_add_f32_e32 v25, v25, v26
	s_waitcnt vmcnt(1)
	v_mul_f32_e32 v24, v2, v44
	v_add_f32_e32 v39, 0, v40
	v_add_f32_e32 v40, v25, v27
	v_mul_f32_e32 v44, v3, v45
	v_pk_mul_f32 v[42:43], v[4:5], v[42:43]
	v_mul_f32_e32 v46, v4, v46
	v_mul_f32_e32 v52, v5, v47
	v_add_f32_e32 v39, v39, v41
	v_add_f32_e32 v26, v39, v42
	;; [unrolled: 1-line block ×3, first 2 shown]
	s_waitcnt vmcnt(0)
	v_pk_mul_f32 v[48:49], v[2:3], v[48:49]
	s_nop 0
	v_mov_b32_e32 v25, v48
	v_pk_mul_f32 v[50:51], v[4:5], v[50:51]
	v_mov_b32_e32 v45, v49
	v_pk_add_f32 v[24:25], v[24:25], 0 op_sel_hi:[1,0]
	v_mov_b32_e32 v47, v50
	v_pk_add_f32 v[24:25], v[24:25], v[44:45]
	v_mov_b32_e32 v53, v51
	v_pk_add_f32 v[24:25], v[24:25], v[46:47]
	s_nop 0
	v_pk_add_f32 v[24:25], v[24:25], v[52:53]
	s_andn2_saveexec_b64 s[50:51], s[14:15]
	s_cbranch_execz .LBB22_16
.LBB22_42:                              ;   in Loop: Header=BB22_14 Depth=1
	s_waitcnt lgkmcnt(0)
	v_mov_b32_e32 v25, 0
	v_mov_b32_e32 v24, 0
	;; [unrolled: 1-line block ×4, first 2 shown]
	s_and_saveexec_b64 s[52:53], s[8:9]
	s_cbranch_execz .LBB22_49
; %bb.43:                               ;   in Loop: Header=BB22_14 Depth=1
	v_cndmask_b32_e64 v24, 0, 1, s[42:43]
	v_cmp_ne_u32_e64 s[14:15], 1, v24
	s_andn2_b64 vcc, exec, s[42:43]
	s_cbranch_vccnz .LBB22_46
; %bb.44:                               ;   in Loop: Header=BB22_14 Depth=1
	s_mov_b64 s[54:55], 0
	v_mov_b32_e32 v24, v12
.LBB22_45:                              ;   Parent Loop BB22_14 Depth=1
                                        ; =>  This Inner Loop Header: Depth=2
	v_ashrrev_i32_e32 v25, 31, v24
	v_lshl_add_u64 v[26:27], v[24:25], 2, s[36:37]
	global_load_dword v25, v[26:27], off
	s_cmp_eq_u32 s54, 3
	s_cselect_b64 vcc, -1, 0
	s_cmp_eq_u32 s54, 2
	s_cselect_b64 s[16:17], -1, 0
	s_cmp_eq_u32 s54, 1
	s_cselect_b64 s[18:19], -1, 0
	;; [unrolled: 2-line block ×3, first 2 shown]
	s_add_u32 s54, s54, 1
	s_addc_u32 s55, s55, 0
	v_add_u32_e32 v24, s23, v24
	s_cmp_eq_u32 s27, s54
	s_waitcnt vmcnt(0)
	v_cndmask_b32_e32 v5, v5, v25, vcc
	v_cndmask_b32_e64 v4, v4, v25, s[16:17]
	v_cndmask_b32_e64 v3, v3, v25, s[18:19]
	;; [unrolled: 1-line block ×3, first 2 shown]
	s_cbranch_scc0 .LBB22_45
.LBB22_46:                              ;   in Loop: Header=BB22_14 Depth=1
	s_and_b64 vcc, exec, s[14:15]
	v_mov_b32_e32 v25, 0
	v_mov_b32_e32 v24, 0
	;; [unrolled: 1-line block ×4, first 2 shown]
	s_cbranch_vccnz .LBB22_49
; %bb.47:                               ;   in Loop: Header=BB22_14 Depth=1
	s_ashr_i32 s45, s44, 31
	v_mov_b32_e32 v40, 0
	v_lshl_add_u64 v[26:27], s[44:45], 2, v[22:23]
	s_mov_b64 s[14:15], 0
	v_mov_b32_e32 v39, 0
	v_mov_b32_e32 v24, 0
	;; [unrolled: 1-line block ×3, first 2 shown]
.LBB22_48:                              ;   Parent Loop BB22_14 Depth=1
                                        ; =>  This Inner Loop Header: Depth=2
	s_cmp_eq_u32 s14, 1
	s_cselect_b64 vcc, -1, 0
	s_cmp_eq_u32 s14, 2
	v_cndmask_b32_e32 v42, v2, v3, vcc
	s_cselect_b64 vcc, -1, 0
	s_cmp_eq_u32 s14, 3
	v_cndmask_b32_e32 v48, v42, v4, vcc
	s_cselect_b64 vcc, -1, 0
	s_add_i32 s16, s48, s14
	s_add_i32 s18, s46, s14
	s_add_i32 s20, s59, s14
	s_ashr_i32 s17, s16, 31
	s_ashr_i32 s19, s18, 31
	;; [unrolled: 1-line block ×3, first 2 shown]
	v_lshl_add_u64 v[42:43], s[16:17], 2, v[6:7]
	v_lshl_add_u64 v[44:45], s[18:19], 2, v[6:7]
	global_load_dword v41, v[26:27], off
	v_lshl_add_u64 v[46:47], s[20:21], 2, v[6:7]
	global_load_dword v42, v[42:43], off
	s_nop 0
	global_load_dword v43, v[44:45], off
	s_nop 0
	global_load_dword v44, v[46:47], off
	s_add_u32 s14, s14, 1
	v_cndmask_b32_e32 v45, v48, v5, vcc
	s_addc_u32 s15, s15, 0
	v_lshl_add_u64 v[26:27], v[26:27], 0, 4
	s_cmp_lg_u32 s27, s14
	s_waitcnt vmcnt(3)
	v_fmac_f32_e32 v40, v45, v41
	s_waitcnt vmcnt(2)
	v_fmac_f32_e32 v39, v45, v42
	;; [unrolled: 2-line block ×4, first 2 shown]
	s_cbranch_scc1 .LBB22_48
.LBB22_49:                              ;   in Loop: Header=BB22_14 Depth=1
	s_or_b64 exec, exec, s[52:53]
	s_or_b64 exec, exec, s[50:51]
	s_and_saveexec_b64 s[14:15], s[0:1]
	s_cbranch_execnz .LBB22_17
	s_branch .LBB22_18
.LBB22_50:                              ;   in Loop: Header=BB22_14 Depth=1
	ds_read_b32 v26, v37
	s_or_b64 exec, exec, s[14:15]
	s_and_saveexec_b64 s[14:15], s[0:1]
	s_cbranch_execz .LBB22_22
.LBB22_51:                              ;   in Loop: Header=BB22_14 Depth=1
	s_waitcnt lgkmcnt(0)
	ds_bpermute_b32 v27, v35, v26
	s_waitcnt lgkmcnt(0)
	v_add_f32_e32 v26, v26, v27
	ds_bpermute_b32 v27, v36, v26
	s_waitcnt lgkmcnt(0)
	v_add_f32_e32 v26, v26, v27
	s_or_b64 exec, exec, s[14:15]
	s_and_saveexec_b64 s[14:15], s[0:1]
	s_cbranch_execnz .LBB22_23
	s_branch .LBB22_24
.LBB22_52:                              ;   in Loop: Header=BB22_14 Depth=1
	ds_read_b32 v27, v37
	s_or_b64 exec, exec, s[14:15]
	s_and_saveexec_b64 s[14:15], s[0:1]
	s_cbranch_execz .LBB22_28
.LBB22_53:                              ;   in Loop: Header=BB22_14 Depth=1
	s_waitcnt lgkmcnt(0)
	ds_bpermute_b32 v39, v35, v27
	s_waitcnt lgkmcnt(0)
	v_add_f32_e32 v27, v27, v39
	ds_bpermute_b32 v39, v36, v27
	s_waitcnt lgkmcnt(0)
	v_add_f32_e32 v27, v27, v39
	s_or_b64 exec, exec, s[14:15]
	s_and_saveexec_b64 s[14:15], s[0:1]
	s_cbranch_execnz .LBB22_29
	s_branch .LBB22_30
.LBB22_54:                              ;   in Loop: Header=BB22_14 Depth=1
	ds_read_b32 v24, v37
	s_or_b64 exec, exec, s[14:15]
	s_and_saveexec_b64 s[14:15], s[0:1]
	s_cbranch_execz .LBB22_34
.LBB22_55:                              ;   in Loop: Header=BB22_14 Depth=1
	s_waitcnt lgkmcnt(0)
	ds_bpermute_b32 v39, v35, v24
	s_waitcnt lgkmcnt(0)
	v_add_f32_e32 v24, v24, v39
	ds_bpermute_b32 v39, v36, v24
	s_waitcnt lgkmcnt(0)
	v_add_f32_e32 v24, v24, v39
	s_or_b64 exec, exec, s[14:15]
	s_and_saveexec_b64 s[14:15], s[0:1]
	s_cbranch_execnz .LBB22_35
	s_branch .LBB22_36
.LBB22_56:                              ;   in Loop: Header=BB22_14 Depth=1
	ds_read_b32 v25, v37
	s_or_b64 exec, exec, s[14:15]
	s_and_saveexec_b64 s[14:15], s[0:1]
	s_cbranch_execz .LBB22_40
.LBB22_57:                              ;   in Loop: Header=BB22_14 Depth=1
	s_waitcnt lgkmcnt(0)
	ds_bpermute_b32 v39, v35, v25
	s_waitcnt lgkmcnt(0)
	v_add_f32_e32 v25, v25, v39
	ds_bpermute_b32 v39, v36, v25
	s_waitcnt lgkmcnt(0)
	v_add_f32_e32 v25, v25, v39
	s_or_b64 exec, exec, s[14:15]
	s_and_saveexec_b64 s[14:15], s[12:13]
	s_cbranch_execz .LBB22_13
.LBB22_58:                              ;   in Loop: Header=BB22_14 Depth=1
	s_mul_i32 s16, s33, s22
	s_add_i32 s40, s16, s2
	s_lshl_b64 s[16:17], s[40:41], 2
	s_add_u32 s16, s56, s16
	v_mul_f32_e32 v26, s26, v26
	s_addc_u32 s17, s57, s17
	s_add_i32 s40, s40, s22
	global_store_dword v13, v26, s[16:17]
	s_lshl_b64 s[16:17], s[40:41], 2
	s_add_u32 s16, s56, s16
	v_mul_f32_e32 v26, s26, v27
	s_addc_u32 s17, s57, s17
	s_add_i32 s40, s40, s22
	global_store_dword v13, v26, s[16:17]
	;; [unrolled: 6-line block ×3, first 2 shown]
	s_lshl_b64 s[16:17], s[40:41], 2
	s_add_u32 s16, s56, s16
	s_waitcnt lgkmcnt(0)
	v_mul_f32_e32 v24, s26, v25
	s_addc_u32 s17, s57, s17
	global_store_dword v13, v24, s[16:17]
	s_branch .LBB22_13
.LBB22_59:
	s_mov_b32 s33, 0
                                        ; implicit-def: $vgpr2_vgpr3_vgpr4_vgpr5
.LBB22_60:
	s_cmp_ge_i32 s33, s25
	s_cbranch_scc1 .LBB22_84
; %bb.61:
	v_mbcnt_hi_u32_b32 v12, -1, v28
	v_and_b32_e32 v13, 63, v12
	v_cmp_gt_u32_e32 vcc, 32, v13
	s_mov_b32 s3, 0
	s_cmp_gt_i32 s27, 0
	v_cndmask_b32_e64 v14, 0, 1, vcc
	v_lshlrev_b32_e32 v14, 5, v14
	v_cmp_gt_u32_e32 vcc, 48, v13
	v_add_lshl_u32 v23, v14, v12, 2
	s_cselect_b64 s[40:41], -1, 0
	v_cndmask_b32_e64 v14, 0, 1, vcc
	v_lshlrev_b32_e32 v14, 4, v14
	v_cmp_gt_u32_e32 vcc, 56, v13
	v_add_lshl_u32 v24, v14, v12, 2
	s_lshl_b64 s[14:15], s[2:3], 2
	v_cndmask_b32_e64 v14, 0, 1, vcc
	v_lshlrev_b32_e32 v14, 3, v14
	v_cmp_gt_u32_e32 vcc, 60, v13
	s_waitcnt lgkmcnt(0)
	v_add_lshl_u32 v25, v14, v12, 2
	s_add_u32 s2, s56, s14
	v_cndmask_b32_e64 v14, 0, 1, vcc
	v_cmp_ge_i32_e64 s[0:1], s24, v29
	v_cmp_ge_i32_e64 s[4:5], s24, v30
	v_lshlrev_b32_e32 v14, 2, v14
	v_cmp_gt_u32_e32 vcc, 62, v13
	s_addc_u32 s24, s57, s15
	v_add_u32_e32 v16, s23, v8
	v_add_lshl_u32 v26, v14, v12, 2
	v_cndmask_b32_e64 v14, 0, 1, vcc
	v_add_u32_e32 v18, s23, v16
	s_add_u32 s14, s38, s30
	v_lshlrev_b32_e32 v14, 1, v14
	v_ashrrev_i32_e32 v17, 31, v16
	v_ashrrev_i32_e32 v19, 31, v18
	s_addc_u32 s15, s39, s31
	v_add_lshl_u32 v27, v14, v12, 2
	v_cmp_ne_u32_e32 vcc, 63, v13
	v_lshl_add_u64 v[14:15], v[16:17], 2, s[36:37]
	v_lshl_add_u64 v[16:17], v[18:19], 2, s[36:37]
	v_add_u32_e32 v18, s23, v18
	s_add_u32 s14, s28, s14
	v_lshlrev_b32_e32 v22, 2, v1
	v_addc_co_u32_e32 v12, vcc, 0, v12, vcc
	v_cmp_eq_u32_e64 s[8:9], 0, v1
	v_and_b32_e32 v1, 12, v9
	v_ashrrev_i32_e32 v9, 31, v8
	v_ashrrev_i32_e32 v19, 31, v18
	s_addc_u32 s15, s29, s15
	v_cmp_gt_u32_e64 s[6:7], 64, v0
	v_lshlrev_b32_e32 v28, 2, v12
	v_cmp_gt_u32_e64 s[10:11], 4, v0
	v_cmp_eq_u32_e64 s[12:13], 0, v0
	v_lshl_add_u64 v[12:13], v[8:9], 2, s[36:37]
	v_lshl_add_u64 v[18:19], v[18:19], 2, s[36:37]
	;; [unrolled: 1-line block ×3, first 2 shown]
	s_mul_i32 s28, s33, s34
	v_mov_b32_e32 v9, 0
	s_branch .LBB22_63
.LBB22_62:                              ;   in Loop: Header=BB22_63 Depth=1
	s_or_b64 exec, exec, s[14:15]
	s_add_i32 s33, s33, 1
	s_add_i32 s28, s28, s34
	s_cmp_ge_i32 s33, s25
	s_cbranch_scc1 .LBB22_84
.LBB22_63:                              ; =>This Loop Header: Depth=1
                                        ;     Child Loop BB22_76 Depth 2
                                        ;     Child Loop BB22_79 Depth 2
	s_waitcnt lgkmcnt(0)
	v_mov_b32_e32 v0, s3
	s_and_saveexec_b64 s[14:15], s[0:1]
	s_xor_b64 s[14:15], exec, s[14:15]
	s_cbranch_execnz .LBB22_72
; %bb.64:                               ;   in Loop: Header=BB22_63 Depth=1
	s_andn2_saveexec_b64 s[30:31], s[14:15]
	s_cbranch_execnz .LBB22_73
.LBB22_65:                              ;   in Loop: Header=BB22_63 Depth=1
	s_or_b64 exec, exec, s[30:31]
	s_and_saveexec_b64 s[14:15], s[6:7]
	s_cbranch_execz .LBB22_67
.LBB22_66:                              ;   in Loop: Header=BB22_63 Depth=1
	ds_write_b32 v22, v9
.LBB22_67:                              ;   in Loop: Header=BB22_63 Depth=1
	s_or_b64 exec, exec, s[14:15]
	ds_bpermute_b32 v20, v23, v0
	s_waitcnt lgkmcnt(0)
	s_barrier
	v_add_f32_e32 v0, v0, v20
	ds_bpermute_b32 v20, v24, v0
	s_waitcnt lgkmcnt(0)
	v_add_f32_e32 v0, v0, v20
	ds_bpermute_b32 v20, v25, v0
	s_waitcnt lgkmcnt(0)
	;; [unrolled: 3-line block ×4, first 2 shown]
	v_add_f32_e32 v0, v0, v20
	ds_bpermute_b32 v20, v28, v0
	s_and_saveexec_b64 s[14:15], s[8:9]
	s_cbranch_execz .LBB22_69
; %bb.68:                               ;   in Loop: Header=BB22_63 Depth=1
	s_waitcnt lgkmcnt(0)
	v_add_f32_e32 v0, v0, v20
	ds_write_b32 v1, v0
.LBB22_69:                              ;   in Loop: Header=BB22_63 Depth=1
	s_or_b64 exec, exec, s[14:15]
	v_mov_b32_e32 v0, 0
	s_waitcnt lgkmcnt(0)
	s_barrier
	s_and_saveexec_b64 s[14:15], s[10:11]
	s_cbranch_execnz .LBB22_81
; %bb.70:                               ;   in Loop: Header=BB22_63 Depth=1
	s_or_b64 exec, exec, s[14:15]
	s_and_saveexec_b64 s[14:15], s[6:7]
	s_cbranch_execnz .LBB22_82
.LBB22_71:                              ;   in Loop: Header=BB22_63 Depth=1
	s_or_b64 exec, exec, s[14:15]
	s_and_saveexec_b64 s[14:15], s[12:13]
	s_cbranch_execz .LBB22_62
	s_branch .LBB22_83
.LBB22_72:                              ;   in Loop: Header=BB22_63 Depth=1
	s_mul_i32 s16, s33, s34
	s_ashr_i32 s17, s16, 31
	v_lshl_add_u64 v[20:21], s[16:17], 2, v[6:7]
	global_load_dwordx4 v[30:33], v[20:21], off
	global_load_dword v2, v[12:13], off
	global_load_dword v3, v[14:15], off
	;; [unrolled: 1-line block ×4, first 2 shown]
	s_waitcnt vmcnt(2)
	v_pk_mul_f32 v[20:21], v[2:3], v[30:31]
	s_nop 0
	v_add_f32_e32 v0, 0, v20
	v_add_f32_e32 v0, v0, v21
	s_waitcnt vmcnt(0)
	v_pk_mul_f32 v[20:21], v[4:5], v[32:33]
	s_nop 0
	v_add_f32_e32 v0, v0, v20
	v_add_f32_e32 v0, v0, v21
	s_andn2_saveexec_b64 s[30:31], s[14:15]
	s_cbranch_execz .LBB22_65
.LBB22_73:                              ;   in Loop: Header=BB22_63 Depth=1
	s_and_saveexec_b64 s[38:39], s[4:5]
	s_cbranch_execz .LBB22_80
; %bb.74:                               ;   in Loop: Header=BB22_63 Depth=1
	v_cndmask_b32_e64 v20, 0, 1, s[40:41]
	v_cmp_ne_u32_e64 s[14:15], 1, v20
	s_andn2_b64 vcc, exec, s[40:41]
	s_cbranch_vccnz .LBB22_77
; %bb.75:                               ;   in Loop: Header=BB22_63 Depth=1
	s_mov_b64 s[42:43], 0
	v_mov_b32_e32 v20, v8
.LBB22_76:                              ;   Parent Loop BB22_63 Depth=1
                                        ; =>  This Inner Loop Header: Depth=2
	v_ashrrev_i32_e32 v21, 31, v20
	v_lshl_add_u64 v[30:31], v[20:21], 2, s[36:37]
	global_load_dword v21, v[30:31], off
	s_cmp_eq_u32 s42, 3
	s_cselect_b64 vcc, -1, 0
	s_cmp_eq_u32 s42, 2
	s_cselect_b64 s[16:17], -1, 0
	s_cmp_eq_u32 s42, 1
	s_cselect_b64 s[18:19], -1, 0
	s_cmp_eq_u32 s42, 0
	s_cselect_b64 s[20:21], -1, 0
	s_add_u32 s42, s42, 1
	s_addc_u32 s43, s43, 0
	v_add_u32_e32 v20, s23, v20
	s_cmp_eq_u32 s27, s42
	s_waitcnt vmcnt(0)
	v_cndmask_b32_e32 v5, v5, v21, vcc
	v_cndmask_b32_e64 v4, v4, v21, s[16:17]
	v_cndmask_b32_e64 v3, v3, v21, s[18:19]
	;; [unrolled: 1-line block ×3, first 2 shown]
	s_cbranch_scc0 .LBB22_76
.LBB22_77:                              ;   in Loop: Header=BB22_63 Depth=1
	s_and_b64 vcc, exec, s[14:15]
	s_cbranch_vccnz .LBB22_80
; %bb.78:                               ;   in Loop: Header=BB22_63 Depth=1
	s_ashr_i32 s29, s28, 31
	v_lshl_add_u64 v[20:21], s[28:29], 2, v[10:11]
	s_mov_b64 s[14:15], 0
.LBB22_79:                              ;   Parent Loop BB22_63 Depth=1
                                        ; =>  This Inner Loop Header: Depth=2
	global_load_dword v29, v[20:21], off
	s_cmp_eq_u32 s14, 1
	s_cselect_b64 vcc, -1, 0
	s_cmp_eq_u32 s14, 2
	v_cndmask_b32_e32 v30, v2, v3, vcc
	s_cselect_b64 vcc, -1, 0
	s_cmp_eq_u32 s14, 3
	v_cndmask_b32_e32 v30, v30, v4, vcc
	s_cselect_b64 vcc, -1, 0
	s_add_u32 s14, s14, 1
	v_cndmask_b32_e32 v30, v30, v5, vcc
	s_addc_u32 s15, s15, 0
	v_lshl_add_u64 v[20:21], v[20:21], 0, 4
	s_cmp_lg_u32 s27, s14
	s_waitcnt vmcnt(0)
	v_fmac_f32_e32 v0, v30, v29
	s_cbranch_scc1 .LBB22_79
.LBB22_80:                              ;   in Loop: Header=BB22_63 Depth=1
	s_or_b64 exec, exec, s[38:39]
	s_or_b64 exec, exec, s[30:31]
	s_and_saveexec_b64 s[14:15], s[6:7]
	s_cbranch_execnz .LBB22_66
	s_branch .LBB22_67
.LBB22_81:                              ;   in Loop: Header=BB22_63 Depth=1
	ds_read_b32 v0, v22
	s_or_b64 exec, exec, s[14:15]
	s_and_saveexec_b64 s[14:15], s[6:7]
	s_cbranch_execz .LBB22_71
.LBB22_82:                              ;   in Loop: Header=BB22_63 Depth=1
	s_waitcnt lgkmcnt(0)
	ds_bpermute_b32 v20, v27, v0
	s_waitcnt lgkmcnt(0)
	v_add_f32_e32 v0, v0, v20
	ds_bpermute_b32 v20, v28, v0
	s_waitcnt lgkmcnt(0)
	v_add_f32_e32 v0, v0, v20
	s_or_b64 exec, exec, s[14:15]
	s_and_saveexec_b64 s[14:15], s[12:13]
	s_cbranch_execz .LBB22_62
.LBB22_83:                              ;   in Loop: Header=BB22_63 Depth=1
	s_mul_hi_u32 s17, s33, s22
	s_mul_i32 s16, s33, s22
	s_lshl_b64 s[16:17], s[16:17], 2
	s_add_u32 s16, s2, s16
	s_waitcnt lgkmcnt(0)
	v_mul_f32_e32 v0, s26, v0
	s_addc_u32 s17, s24, s17
	global_store_dword v9, v0, s[16:17]
	s_branch .LBB22_62
.LBB22_84:
	s_endpgm
	.section	.rodata,"a",@progbits
	.p2align	6, 0x0
	.amdhsa_kernel _ZL23rocblas_gemvt_sn_kernelILb0ELi256ELi4EifffEviiT4_lPKT3_lilS3_lilPT5_i
		.amdhsa_group_segment_fixed_size 256
		.amdhsa_private_segment_fixed_size 0
		.amdhsa_kernarg_size 360
		.amdhsa_user_sgpr_count 2
		.amdhsa_user_sgpr_dispatch_ptr 0
		.amdhsa_user_sgpr_queue_ptr 0
		.amdhsa_user_sgpr_kernarg_segment_ptr 1
		.amdhsa_user_sgpr_dispatch_id 0
		.amdhsa_user_sgpr_kernarg_preload_length 0
		.amdhsa_user_sgpr_kernarg_preload_offset 0
		.amdhsa_user_sgpr_private_segment_size 0
		.amdhsa_uses_dynamic_stack 0
		.amdhsa_enable_private_segment 0
		.amdhsa_system_sgpr_workgroup_id_x 1
		.amdhsa_system_sgpr_workgroup_id_y 0
		.amdhsa_system_sgpr_workgroup_id_z 1
		.amdhsa_system_sgpr_workgroup_info 0
		.amdhsa_system_vgpr_workitem_id 0
		.amdhsa_next_free_vgpr 54
		.amdhsa_next_free_sgpr 61
		.amdhsa_accum_offset 56
		.amdhsa_reserve_vcc 1
		.amdhsa_float_round_mode_32 0
		.amdhsa_float_round_mode_16_64 0
		.amdhsa_float_denorm_mode_32 3
		.amdhsa_float_denorm_mode_16_64 3
		.amdhsa_dx10_clamp 1
		.amdhsa_ieee_mode 1
		.amdhsa_fp16_overflow 0
		.amdhsa_tg_split 0
		.amdhsa_exception_fp_ieee_invalid_op 0
		.amdhsa_exception_fp_denorm_src 0
		.amdhsa_exception_fp_ieee_div_zero 0
		.amdhsa_exception_fp_ieee_overflow 0
		.amdhsa_exception_fp_ieee_underflow 0
		.amdhsa_exception_fp_ieee_inexact 0
		.amdhsa_exception_int_div_zero 0
	.end_amdhsa_kernel
	.section	.text._ZL23rocblas_gemvt_sn_kernelILb0ELi256ELi4EifffEviiT4_lPKT3_lilS3_lilPT5_i,"axG",@progbits,_ZL23rocblas_gemvt_sn_kernelILb0ELi256ELi4EifffEviiT4_lPKT3_lilS3_lilPT5_i,comdat
.Lfunc_end22:
	.size	_ZL23rocblas_gemvt_sn_kernelILb0ELi256ELi4EifffEviiT4_lPKT3_lilS3_lilPT5_i, .Lfunc_end22-_ZL23rocblas_gemvt_sn_kernelILb0ELi256ELi4EifffEviiT4_lPKT3_lilS3_lilPT5_i
                                        ; -- End function
	.section	.AMDGPU.csdata,"",@progbits
; Kernel info:
; codeLenInByte = 3904
; NumSgprs: 67
; NumVgprs: 54
; NumAgprs: 0
; TotalNumVgprs: 54
; ScratchSize: 0
; MemoryBound: 0
; FloatMode: 240
; IeeeMode: 1
; LDSByteSize: 256 bytes/workgroup (compile time only)
; SGPRBlocks: 8
; VGPRBlocks: 6
; NumSGPRsForWavesPerEU: 67
; NumVGPRsForWavesPerEU: 54
; AccumOffset: 56
; Occupancy: 8
; WaveLimiterHint : 1
; COMPUTE_PGM_RSRC2:SCRATCH_EN: 0
; COMPUTE_PGM_RSRC2:USER_SGPR: 2
; COMPUTE_PGM_RSRC2:TRAP_HANDLER: 0
; COMPUTE_PGM_RSRC2:TGID_X_EN: 1
; COMPUTE_PGM_RSRC2:TGID_Y_EN: 0
; COMPUTE_PGM_RSRC2:TGID_Z_EN: 1
; COMPUTE_PGM_RSRC2:TIDIG_COMP_CNT: 0
; COMPUTE_PGM_RSRC3_GFX90A:ACCUM_OFFSET: 13
; COMPUTE_PGM_RSRC3_GFX90A:TG_SPLIT: 0
	.section	.text._ZL23rocblas_gemvt_sn_kernelILb0ELi256ELi4ElfffEviiT4_lPKT3_lilS3_lilPT5_i,"axG",@progbits,_ZL23rocblas_gemvt_sn_kernelILb0ELi256ELi4ElfffEviiT4_lPKT3_lilS3_lilPT5_i,comdat
	.globl	_ZL23rocblas_gemvt_sn_kernelILb0ELi256ELi4ElfffEviiT4_lPKT3_lilS3_lilPT5_i ; -- Begin function _ZL23rocblas_gemvt_sn_kernelILb0ELi256ELi4ElfffEviiT4_lPKT3_lilS3_lilPT5_i
	.p2align	8
	.type	_ZL23rocblas_gemvt_sn_kernelILb0ELi256ELi4ElfffEviiT4_lPKT3_lilS3_lilPT5_i,@function
_ZL23rocblas_gemvt_sn_kernelILb0ELi256ELi4ElfffEviiT4_lPKT3_lilS3_lilPT5_i: ; @_ZL23rocblas_gemvt_sn_kernelILb0ELi256ELi4ElfffEviiT4_lPKT3_lilS3_lilPT5_i
; %bb.0:
	s_load_dwordx4 s[24:27], s[0:1], 0x0
	s_load_dwordx4 s[8:11], s[0:1], 0x50
	s_load_dword s34, s[0:1], 0x68
	s_mov_b32 s6, s3
	s_mov_b32 s35, 0
	s_waitcnt lgkmcnt(0)
	s_ashr_i32 s7, s25, 31
	s_mul_hi_u32 s3, s25, s3
	s_mul_i32 s4, s7, s6
	s_add_i32 s13, s3, s4
	s_mul_i32 s12, s25, s6
	s_mul_i32 s3, s13, s34
	s_mul_hi_u32 s4, s12, s34
	s_add_i32 s5, s4, s3
	s_mul_i32 s4, s12, s34
	s_lshl_b64 s[4:5], s[4:5], 2
	s_add_u32 s33, s10, s4
	s_addc_u32 s66, s11, s5
	v_cmp_neq_f32_e64 s[4:5], s26, 0
	s_and_b64 vcc, exec, s[4:5]
	v_cmp_eq_u32_e64 s[4:5], 0, v0
	s_cbranch_vccnz .LBB23_10
; %bb.1:
	s_cmp_gt_i32 s25, 0
	s_cselect_b64 s[14:15], -1, 0
	s_and_b64 s[14:15], s[4:5], s[14:15]
	s_and_saveexec_b64 s[4:5], s[14:15]
	s_cbranch_execz .LBB23_9
; %bb.2:
	s_cmp_gt_u32 s25, 1
	s_cselect_b64 s[14:15], -1, 0
	s_cmp_eq_u32 s34, 1
	s_cselect_b64 s[18:19], -1, 0
	s_mov_b32 s3, 0
	s_and_b64 s[14:15], s[14:15], s[18:19]
	s_mov_b64 s[16:17], -1
	s_andn2_b64 vcc, exec, s[14:15]
	s_mov_b32 s14, s3
	s_cbranch_vccnz .LBB23_6
; %bb.3:
	s_lshl_b64 s[14:15], s[2:3], 2
	s_add_u32 s16, s33, s14
	s_addc_u32 s17, s66, s15
	s_and_b32 s14, s25, 0x7ffffffe
	v_mov_b32_e32 v2, 0
	v_mov_b32_e32 v3, v2
	s_mov_b32 s15, s14
.LBB23_4:                               ; =>This Inner Loop Header: Depth=1
	global_store_dwordx2 v2, v[2:3], s[16:17]
	s_add_u32 s16, s16, 8
	s_addc_u32 s17, s17, 0
	s_add_i32 s15, s15, -2
	s_cmp_lg_u32 s15, 0
	s_cbranch_scc1 .LBB23_4
; %bb.5:
	s_cmp_lg_u32 s14, s25
	s_cselect_b64 s[16:17], -1, 0
.LBB23_6:
	s_and_b64 vcc, exec, s[16:17]
	s_cbranch_vccz .LBB23_9
; %bb.7:
	s_mov_b32 s15, 0
	s_sub_i32 s16, s25, s14
	s_lshl_b64 s[12:13], s[12:13], 2
	s_lshl_b64 s[14:15], s[14:15], 2
	s_add_u32 s12, s12, s14
	s_addc_u32 s13, s13, s15
	s_mul_i32 s13, s13, s34
	s_mul_hi_u32 s14, s12, s34
	s_add_i32 s14, s14, s13
	s_mul_i32 s15, s12, s34
	s_lshl_b64 s[12:13], s[2:3], 2
	s_add_u32 s3, s15, s12
	s_addc_u32 s12, s14, s13
	s_add_u32 s10, s10, s3
	s_addc_u32 s11, s11, s12
	s_lshl_b64 s[12:13], s[34:35], 2
	v_mov_b32_e32 v1, 0
.LBB23_8:                               ; =>This Inner Loop Header: Depth=1
	s_add_i32 s16, s16, -1
	global_store_dword v1, v1, s[10:11]
	s_add_u32 s10, s10, s12
	s_addc_u32 s11, s11, s13
	s_cmp_eq_u32 s16, 0
	s_cbranch_scc0 .LBB23_8
.LBB23_9:
	s_or_b64 exec, exec, s[4:5]
	s_cbranch_execz .LBB23_11
	s_branch .LBB23_84
.LBB23_10:
.LBB23_11:
	s_load_dword s36, s[0:1], 0x28
	s_load_dword s38, s[0:1], 0x48
	s_load_dwordx4 s[28:31], s[0:1], 0x18
	s_load_dwordx4 s[20:23], s[0:1], 0x30
	s_load_dwordx2 s[4:5], s[0:1], 0x40
	s_mul_i32 s0, s6, s9
	s_mul_hi_u32 s1, s6, s8
	s_add_i32 s1, s1, s0
	s_mul_i32 s0, s6, s8
	s_waitcnt lgkmcnt(0)
	s_ashr_i32 s37, s36, 31
	s_ashr_i32 s39, s38, 31
	s_lshl_b64 s[40:41], s[0:1], 2
	s_add_u32 s0, s22, s40
	s_addc_u32 s1, s23, s41
	s_lshl_b64 s[44:45], s[4:5], 2
	s_add_u32 s46, s0, s44
	s_addc_u32 s47, s1, s45
	s_mul_i32 s0, s6, s21
	s_mul_hi_u32 s1, s6, s20
	s_add_i32 s1, s1, s0
	s_mul_i32 s0, s6, s20
	s_lshl_b64 s[42:43], s[0:1], 2
	s_add_u32 s0, s28, s42
	s_addc_u32 s1, s29, s43
	s_lshl_b64 s[30:31], s[30:31], 2
	s_add_u32 s0, s0, s30
	s_addc_u32 s1, s1, s31
	s_lshl_b32 s3, s2, 10
	v_lshl_or_b32 v8, v0, 2, s3
	v_ashrrev_i32_e32 v9, 31, v8
	v_lshl_add_u64 v[6:7], v[8:9], 2, s[0:1]
	s_lshr_b32 s0, s7, 30
	s_add_i32 s0, s25, s0
	s_and_b32 s35, s0, -4
	s_ashr_i32 s0, s24, 31
	s_lshr_b32 s0, s0, 30
	s_add_i32 s0, s24, s0
	s_and_b32 s0, s0, -4
	s_sub_i32 s27, s24, s0
	s_cmp_lt_i32 s35, 1
	v_add_u32_e32 v31, 4, v8
	v_add_u32_e32 v32, s27, v8
	v_and_b32_e32 v28, 63, v0
	v_cmp_gt_u32_e64 s[0:1], 64, v0
	v_mbcnt_lo_u32_b32 v30, -1, 0
	v_cmp_gt_u32_e64 s[4:5], 4, v0
	v_lshrrev_b32_e32 v29, 4, v0
	v_or_b32_e32 v27, 1, v8
	v_or_b32_e32 v26, 2, v8
	;; [unrolled: 1-line block ×3, first 2 shown]
	s_cbranch_scc1 .LBB23_59
; %bb.12:
	v_mbcnt_hi_u32_b32 v2, -1, v30
	v_and_b32_e32 v3, 63, v2
	v_cmp_gt_u32_e32 vcc, 32, v3
	s_mov_b32 s3, 0
	s_cmp_gt_i32 s27, 0
	v_cndmask_b32_e64 v4, 0, 1, vcc
	v_lshlrev_b32_e32 v4, 5, v4
	v_cmp_gt_u32_e32 vcc, 48, v3
	v_add_lshl_u32 v33, v4, v2, 2
	s_cselect_b64 s[48:49], -1, 0
	v_cndmask_b32_e64 v4, 0, 1, vcc
	v_lshlrev_b32_e32 v4, 4, v4
	v_cmp_gt_u32_e32 vcc, 56, v3
	v_add_lshl_u32 v34, v4, v2, 2
	s_lshl_b64 s[14:15], s[2:3], 2
	v_cndmask_b32_e64 v4, 0, 1, vcc
	v_lshlrev_b32_e32 v4, 3, v4
	v_cmp_gt_u32_e32 vcc, 60, v3
	v_add_lshl_u32 v35, v4, v2, 2
	s_add_u32 s67, s33, s14
	v_cndmask_b32_e64 v4, 0, 1, vcc
	v_lshlrev_b32_e32 v4, 2, v4
	v_cmp_gt_u32_e32 vcc, 62, v3
	v_add_lshl_u32 v36, v4, v2, 2
	s_addc_u32 s68, s66, s15
	v_cndmask_b32_e64 v4, 0, 1, vcc
	v_lshlrev_b32_e32 v4, 1, v4
	v_add_lshl_u32 v37, v4, v2, 2
	v_cmp_ne_u32_e32 vcc, 63, v3
	v_mad_i64_i32 v[4:5], s[14:15], s38, v27, 0
	s_nop 0
	v_addc_co_u32_e32 v2, vcc, 0, v2, vcc
	v_lshl_add_u64 v[12:13], v[4:5], 2, s[46:47]
	v_mad_i64_i32 v[4:5], s[14:15], s38, v26, 0
	v_lshlrev_b32_e32 v38, 2, v2
	v_mad_i64_i32 v[2:3], s[14:15], s38, v8, 0
	v_lshl_add_u64 v[14:15], v[4:5], 2, s[46:47]
	v_mad_i64_i32 v[4:5], s[14:15], s38, v1, 0
	s_add_u32 s14, s22, s44
	s_addc_u32 s15, s23, s45
	s_add_u32 s14, s14, s40
	v_lshlrev_b64 v[2:3], 2, v[2:3]
	s_addc_u32 s15, s15, s41
	v_cmp_ge_i32_e64 s[6:7], s24, v31
	v_cmp_ge_i32_e64 s[8:9], s24, v32
	v_cmp_eq_u32_e64 s[10:11], 0, v28
	v_lshlrev_b32_e32 v39, 2, v28
	v_and_b32_e32 v40, 12, v29
	v_cmp_eq_u32_e64 s[12:13], 0, v0
	v_lshl_add_u64 v[10:11], s[46:47], 0, v[2:3]
	v_lshl_add_u64 v[16:17], v[4:5], 2, s[46:47]
	;; [unrolled: 1-line block ×3, first 2 shown]
	s_lshl_b64 s[50:51], s[38:39], 2
	s_lshl_b64 s[52:53], s[36:37], 4
	;; [unrolled: 1-line block ×4, first 2 shown]
	s_mul_hi_i32 s59, s36, 12
	s_mul_i32 s58, s36, 12
	v_mov_b32_e32 v41, 0
	v_mov_b64_e32 v[20:21], v[6:7]
                                        ; implicit-def: $vgpr2_vgpr3_vgpr4_vgpr5
	s_branch .LBB23_14
.LBB23_13:                              ;   in Loop: Header=BB23_14 Depth=1
	s_or_b64 exec, exec, s[14:15]
	s_add_i32 s3, s3, 4
	s_cmp_ge_i32 s3, s35
	v_lshl_add_u64 v[20:21], v[20:21], 0, s[52:53]
	s_cbranch_scc1 .LBB23_60
.LBB23_14:                              ; =>This Loop Header: Depth=1
                                        ;     Child Loop BB23_45 Depth 2
                                        ;     Child Loop BB23_48 Depth 2
                                        ; implicit-def: $vgpr23
                                        ; implicit-def: $vgpr42
                                        ; implicit-def: $vgpr43
	s_and_saveexec_b64 s[14:15], s[6:7]
	s_xor_b64 s[14:15], exec, s[14:15]
	s_cbranch_execnz .LBB23_41
; %bb.15:                               ;   in Loop: Header=BB23_14 Depth=1
	s_andn2_saveexec_b64 s[60:61], s[14:15]
	s_cbranch_execnz .LBB23_42
.LBB23_16:                              ;   in Loop: Header=BB23_14 Depth=1
	s_or_b64 exec, exec, s[60:61]
	s_and_saveexec_b64 s[14:15], s[0:1]
	s_cbranch_execz .LBB23_18
.LBB23_17:                              ;   in Loop: Header=BB23_14 Depth=1
	ds_write_b32 v39, v41
.LBB23_18:                              ;   in Loop: Header=BB23_14 Depth=1
	s_or_b64 exec, exec, s[14:15]
	ds_bpermute_b32 v24, v33, v43
	s_waitcnt lgkmcnt(0)
	s_barrier
	v_add_f32_e32 v24, v43, v24
	ds_bpermute_b32 v25, v34, v24
	s_waitcnt lgkmcnt(0)
	v_add_f32_e32 v24, v24, v25
	ds_bpermute_b32 v25, v35, v24
	s_waitcnt lgkmcnt(0)
	;; [unrolled: 3-line block ×4, first 2 shown]
	v_add_f32_e32 v24, v24, v25
	ds_bpermute_b32 v25, v38, v24
	s_and_saveexec_b64 s[14:15], s[10:11]
	s_cbranch_execz .LBB23_20
; %bb.19:                               ;   in Loop: Header=BB23_14 Depth=1
	s_waitcnt lgkmcnt(0)
	v_add_f32_e32 v24, v24, v25
	ds_write_b32 v40, v24
.LBB23_20:                              ;   in Loop: Header=BB23_14 Depth=1
	s_or_b64 exec, exec, s[14:15]
	v_mov_b32_e32 v24, 0
	s_waitcnt lgkmcnt(0)
	s_barrier
	s_and_saveexec_b64 s[14:15], s[4:5]
	s_cbranch_execnz .LBB23_50
; %bb.21:                               ;   in Loop: Header=BB23_14 Depth=1
	s_or_b64 exec, exec, s[14:15]
	s_and_saveexec_b64 s[14:15], s[0:1]
	s_cbranch_execnz .LBB23_51
.LBB23_22:                              ;   in Loop: Header=BB23_14 Depth=1
	s_or_b64 exec, exec, s[14:15]
	s_and_saveexec_b64 s[14:15], s[0:1]
	s_cbranch_execz .LBB23_24
.LBB23_23:                              ;   in Loop: Header=BB23_14 Depth=1
	ds_write_b32 v39, v41
.LBB23_24:                              ;   in Loop: Header=BB23_14 Depth=1
	s_or_b64 exec, exec, s[14:15]
	ds_bpermute_b32 v25, v33, v42
	s_waitcnt lgkmcnt(0)
	s_barrier
	v_add_f32_e32 v25, v42, v25
	ds_bpermute_b32 v42, v34, v25
	s_waitcnt lgkmcnt(0)
	v_add_f32_e32 v25, v25, v42
	ds_bpermute_b32 v42, v35, v25
	s_waitcnt lgkmcnt(0)
	;; [unrolled: 3-line block ×4, first 2 shown]
	v_add_f32_e32 v25, v25, v42
	ds_bpermute_b32 v42, v38, v25
	s_and_saveexec_b64 s[14:15], s[10:11]
	s_cbranch_execz .LBB23_26
; %bb.25:                               ;   in Loop: Header=BB23_14 Depth=1
	s_waitcnt lgkmcnt(0)
	v_add_f32_e32 v25, v25, v42
	ds_write_b32 v40, v25
.LBB23_26:                              ;   in Loop: Header=BB23_14 Depth=1
	s_or_b64 exec, exec, s[14:15]
	v_mov_b32_e32 v25, 0
	s_waitcnt lgkmcnt(0)
	s_barrier
	s_and_saveexec_b64 s[14:15], s[4:5]
	s_cbranch_execnz .LBB23_52
; %bb.27:                               ;   in Loop: Header=BB23_14 Depth=1
	s_or_b64 exec, exec, s[14:15]
	s_and_saveexec_b64 s[14:15], s[0:1]
	s_cbranch_execnz .LBB23_53
.LBB23_28:                              ;   in Loop: Header=BB23_14 Depth=1
	s_or_b64 exec, exec, s[14:15]
	s_and_saveexec_b64 s[14:15], s[0:1]
	s_cbranch_execz .LBB23_30
.LBB23_29:                              ;   in Loop: Header=BB23_14 Depth=1
	ds_write_b32 v39, v41
.LBB23_30:                              ;   in Loop: Header=BB23_14 Depth=1
	s_or_b64 exec, exec, s[14:15]
	ds_bpermute_b32 v42, v33, v22
	s_waitcnt lgkmcnt(0)
	s_barrier
	v_add_f32_e32 v22, v22, v42
	ds_bpermute_b32 v42, v34, v22
	s_waitcnt lgkmcnt(0)
	v_add_f32_e32 v22, v22, v42
	ds_bpermute_b32 v42, v35, v22
	s_waitcnt lgkmcnt(0)
	;; [unrolled: 3-line block ×4, first 2 shown]
	v_add_f32_e32 v22, v22, v42
	ds_bpermute_b32 v42, v38, v22
	s_and_saveexec_b64 s[14:15], s[10:11]
	s_cbranch_execz .LBB23_32
; %bb.31:                               ;   in Loop: Header=BB23_14 Depth=1
	s_waitcnt lgkmcnt(0)
	v_add_f32_e32 v22, v22, v42
	ds_write_b32 v40, v22
.LBB23_32:                              ;   in Loop: Header=BB23_14 Depth=1
	s_or_b64 exec, exec, s[14:15]
	v_mov_b32_e32 v22, 0
	s_waitcnt lgkmcnt(0)
	s_barrier
	s_and_saveexec_b64 s[14:15], s[4:5]
	s_cbranch_execnz .LBB23_54
; %bb.33:                               ;   in Loop: Header=BB23_14 Depth=1
	s_or_b64 exec, exec, s[14:15]
	s_and_saveexec_b64 s[14:15], s[0:1]
	s_cbranch_execnz .LBB23_55
.LBB23_34:                              ;   in Loop: Header=BB23_14 Depth=1
	s_or_b64 exec, exec, s[14:15]
	s_and_saveexec_b64 s[14:15], s[0:1]
	s_cbranch_execz .LBB23_36
.LBB23_35:                              ;   in Loop: Header=BB23_14 Depth=1
	ds_write_b32 v39, v41
.LBB23_36:                              ;   in Loop: Header=BB23_14 Depth=1
	s_or_b64 exec, exec, s[14:15]
	ds_bpermute_b32 v42, v33, v23
	s_waitcnt lgkmcnt(0)
	s_barrier
	v_add_f32_e32 v23, v23, v42
	ds_bpermute_b32 v42, v34, v23
	s_waitcnt lgkmcnt(0)
	v_add_f32_e32 v23, v23, v42
	ds_bpermute_b32 v42, v35, v23
	s_waitcnt lgkmcnt(0)
	;; [unrolled: 3-line block ×4, first 2 shown]
	v_add_f32_e32 v23, v23, v42
	ds_bpermute_b32 v42, v38, v23
	s_and_saveexec_b64 s[14:15], s[10:11]
	s_cbranch_execz .LBB23_38
; %bb.37:                               ;   in Loop: Header=BB23_14 Depth=1
	s_waitcnt lgkmcnt(0)
	v_add_f32_e32 v23, v23, v42
	ds_write_b32 v40, v23
.LBB23_38:                              ;   in Loop: Header=BB23_14 Depth=1
	s_or_b64 exec, exec, s[14:15]
	v_mov_b32_e32 v23, 0
	s_waitcnt lgkmcnt(0)
	s_barrier
	s_and_saveexec_b64 s[14:15], s[4:5]
	s_cbranch_execnz .LBB23_56
; %bb.39:                               ;   in Loop: Header=BB23_14 Depth=1
	s_or_b64 exec, exec, s[14:15]
	s_and_saveexec_b64 s[14:15], s[0:1]
	s_cbranch_execnz .LBB23_57
.LBB23_40:                              ;   in Loop: Header=BB23_14 Depth=1
	s_or_b64 exec, exec, s[14:15]
	s_and_saveexec_b64 s[14:15], s[12:13]
	s_cbranch_execz .LBB23_13
	s_branch .LBB23_58
.LBB23_41:                              ;   in Loop: Header=BB23_14 Depth=1
	s_mul_i32 s16, s3, s37
	s_mul_hi_u32 s17, s3, s36
	s_add_i32 s17, s17, s16
	s_mul_i32 s16, s3, s36
	v_lshl_add_u64 v[42:43], s[16:17], 2, v[6:7]
	s_or_b32 s16, s3, 1
	s_mul_i32 s17, s16, s37
	s_mul_hi_u32 s18, s16, s36
	s_add_i32 s17, s18, s17
	s_mul_i32 s16, s16, s36
	v_lshl_add_u64 v[46:47], s[16:17], 2, v[6:7]
	s_or_b32 s16, s3, 2
	s_mul_i32 s17, s16, s37
	s_mul_hi_u32 s18, s16, s36
	s_add_i32 s17, s18, s17
	s_mul_i32 s16, s16, s36
	s_waitcnt lgkmcnt(0)
	v_lshl_add_u64 v[22:23], s[16:17], 2, v[6:7]
	s_or_b32 s16, s3, 3
	s_mul_i32 s17, s16, s37
	s_mul_hi_u32 s18, s16, s36
	s_add_i32 s17, s18, s17
	s_mul_i32 s16, s16, s36
	v_lshl_add_u64 v[50:51], s[16:17], 2, v[6:7]
	global_load_dword v2, v[10:11], off
	global_load_dword v3, v[12:13], off
	;; [unrolled: 1-line block ×4, first 2 shown]
	s_nop 0
	global_load_dwordx4 v[22:25], v[22:23], off
	s_nop 0
	global_load_dwordx4 v[42:45], v[42:43], off
	s_waitcnt vmcnt(1)
	v_mul_f32_e32 v22, v2, v22
	global_load_dwordx4 v[46:49], v[46:47], off
	s_waitcnt vmcnt(1)
	v_pk_mul_f32 v[42:43], v[2:3], v[42:43]
	global_load_dwordx4 v[50:53], v[50:51], off
	v_add_f32_e32 v42, 0, v42
	v_mul_f32_e32 v54, v3, v23
	v_pk_mul_f32 v[44:45], v[4:5], v[44:45]
	v_add_f32_e32 v42, v42, v43
	v_mul_f32_e32 v24, v4, v24
	v_mul_f32_e32 v56, v5, v25
	v_add_f32_e32 v42, v42, v44
	s_waitcnt vmcnt(1)
	v_pk_mul_f32 v[46:47], v[2:3], v[46:47]
	s_nop 0
	v_add_f32_e32 v43, 0, v46
	s_waitcnt vmcnt(0)
	v_pk_mul_f32 v[50:51], v[2:3], v[50:51]
	v_pk_mul_f32 v[52:53], v[4:5], v[52:53]
	v_mov_b32_e32 v23, v50
	v_mov_b32_e32 v55, v51
	v_pk_add_f32 v[22:23], v[22:23], 0 op_sel_hi:[1,0]
	v_pk_mul_f32 v[48:49], v[4:5], v[48:49]
	v_mov_b32_e32 v25, v52
	v_add_f32_e32 v46, v43, v47
	v_pk_add_f32 v[22:23], v[22:23], v[54:55]
	v_add_f32_e32 v43, v42, v45
	v_add_f32_e32 v42, v46, v48
	v_pk_add_f32 v[22:23], v[22:23], v[24:25]
	v_mov_b32_e32 v57, v53
	v_add_f32_e32 v42, v42, v49
	v_pk_add_f32 v[22:23], v[22:23], v[56:57]
	s_andn2_saveexec_b64 s[60:61], s[14:15]
	s_cbranch_execz .LBB23_16
.LBB23_42:                              ;   in Loop: Header=BB23_14 Depth=1
	s_waitcnt lgkmcnt(0)
	v_mov_b32_e32 v23, 0
	v_mov_b32_e32 v22, 0
	;; [unrolled: 1-line block ×4, first 2 shown]
	s_and_saveexec_b64 s[62:63], s[8:9]
	s_cbranch_execz .LBB23_49
; %bb.43:                               ;   in Loop: Header=BB23_14 Depth=1
	v_cndmask_b32_e64 v22, 0, 1, s[48:49]
	v_cmp_ne_u32_e64 s[14:15], 1, v22
	s_andn2_b64 vcc, exec, s[48:49]
	s_cbranch_vccnz .LBB23_46
; %bb.44:                               ;   in Loop: Header=BB23_14 Depth=1
	s_mov_b64 s[64:65], 0
	v_mov_b64_e32 v[22:23], v[18:19]
.LBB23_45:                              ;   Parent Loop BB23_14 Depth=1
                                        ; =>  This Inner Loop Header: Depth=2
	global_load_dword v24, v[22:23], off
	s_cmp_eq_u32 s64, 3
	s_cselect_b64 vcc, -1, 0
	s_cmp_eq_u32 s64, 2
	s_cselect_b64 s[16:17], -1, 0
	s_cmp_eq_u32 s64, 1
	s_cselect_b64 s[18:19], -1, 0
	;; [unrolled: 2-line block ×3, first 2 shown]
	s_add_u32 s64, s64, 1
	s_addc_u32 s65, s65, 0
	v_lshl_add_u64 v[22:23], v[22:23], 0, s[50:51]
	s_cmp_eq_u32 s27, s64
	s_waitcnt vmcnt(0)
	v_cndmask_b32_e32 v5, v5, v24, vcc
	v_cndmask_b32_e64 v4, v4, v24, s[16:17]
	v_cndmask_b32_e64 v3, v3, v24, s[18:19]
	;; [unrolled: 1-line block ×3, first 2 shown]
	s_cbranch_scc0 .LBB23_45
.LBB23_46:                              ;   in Loop: Header=BB23_14 Depth=1
	s_and_b64 vcc, exec, s[14:15]
	v_mov_b32_e32 v23, 0
	v_mov_b32_e32 v22, 0
	;; [unrolled: 1-line block ×4, first 2 shown]
	s_cbranch_vccnz .LBB23_49
; %bb.47:                               ;   in Loop: Header=BB23_14 Depth=1
	v_mov_b32_e32 v43, 0
	s_mov_b64 s[14:15], 0
	v_mov_b64_e32 v[24:25], v[20:21]
	v_mov_b32_e32 v42, 0
	v_mov_b32_e32 v22, 0
	;; [unrolled: 1-line block ×3, first 2 shown]
.LBB23_48:                              ;   Parent Loop BB23_14 Depth=1
                                        ; =>  This Inner Loop Header: Depth=2
	v_lshl_add_u64 v[44:45], v[24:25], 0, s[54:55]
	v_lshl_add_u64 v[46:47], v[24:25], 0, s[56:57]
	global_load_dword v50, v[24:25], off
	v_lshl_add_u64 v[48:49], v[24:25], 0, s[58:59]
	global_load_dword v44, v[44:45], off
	s_nop 0
	global_load_dword v45, v[46:47], off
	s_nop 0
	global_load_dword v46, v[48:49], off
	s_cmp_eq_u32 s14, 1
	s_cselect_b64 vcc, -1, 0
	s_cmp_eq_u32 s14, 2
	v_cndmask_b32_e32 v47, v2, v3, vcc
	s_cselect_b64 vcc, -1, 0
	s_cmp_eq_u32 s14, 3
	v_cndmask_b32_e32 v47, v47, v4, vcc
	s_cselect_b64 vcc, -1, 0
	s_add_u32 s14, s14, 1
	v_cndmask_b32_e32 v47, v47, v5, vcc
	s_addc_u32 s15, s15, 0
	v_lshl_add_u64 v[24:25], v[24:25], 0, 4
	s_cmp_lg_u32 s27, s14
	s_waitcnt vmcnt(2)
	v_fmac_f32_e32 v42, v47, v44
	v_fmac_f32_e32 v43, v47, v50
	s_waitcnt vmcnt(1)
	v_fmac_f32_e32 v22, v47, v45
	s_waitcnt vmcnt(0)
	v_fmac_f32_e32 v23, v47, v46
	s_cbranch_scc1 .LBB23_48
.LBB23_49:                              ;   in Loop: Header=BB23_14 Depth=1
	s_or_b64 exec, exec, s[62:63]
	s_or_b64 exec, exec, s[60:61]
	s_and_saveexec_b64 s[14:15], s[0:1]
	s_cbranch_execnz .LBB23_17
	s_branch .LBB23_18
.LBB23_50:                              ;   in Loop: Header=BB23_14 Depth=1
	ds_read_b32 v24, v39
	s_or_b64 exec, exec, s[14:15]
	s_and_saveexec_b64 s[14:15], s[0:1]
	s_cbranch_execz .LBB23_22
.LBB23_51:                              ;   in Loop: Header=BB23_14 Depth=1
	s_waitcnt lgkmcnt(0)
	ds_bpermute_b32 v25, v37, v24
	s_waitcnt lgkmcnt(0)
	v_add_f32_e32 v24, v24, v25
	ds_bpermute_b32 v25, v38, v24
	s_waitcnt lgkmcnt(0)
	v_add_f32_e32 v24, v24, v25
	s_or_b64 exec, exec, s[14:15]
	s_and_saveexec_b64 s[14:15], s[0:1]
	s_cbranch_execnz .LBB23_23
	s_branch .LBB23_24
.LBB23_52:                              ;   in Loop: Header=BB23_14 Depth=1
	ds_read_b32 v25, v39
	s_or_b64 exec, exec, s[14:15]
	s_and_saveexec_b64 s[14:15], s[0:1]
	s_cbranch_execz .LBB23_28
.LBB23_53:                              ;   in Loop: Header=BB23_14 Depth=1
	s_waitcnt lgkmcnt(0)
	ds_bpermute_b32 v42, v37, v25
	s_waitcnt lgkmcnt(0)
	v_add_f32_e32 v25, v25, v42
	ds_bpermute_b32 v42, v38, v25
	s_waitcnt lgkmcnt(0)
	v_add_f32_e32 v25, v25, v42
	s_or_b64 exec, exec, s[14:15]
	s_and_saveexec_b64 s[14:15], s[0:1]
	s_cbranch_execnz .LBB23_29
	s_branch .LBB23_30
.LBB23_54:                              ;   in Loop: Header=BB23_14 Depth=1
	ds_read_b32 v22, v39
	s_or_b64 exec, exec, s[14:15]
	s_and_saveexec_b64 s[14:15], s[0:1]
	s_cbranch_execz .LBB23_34
.LBB23_55:                              ;   in Loop: Header=BB23_14 Depth=1
	s_waitcnt lgkmcnt(0)
	ds_bpermute_b32 v42, v37, v22
	s_waitcnt lgkmcnt(0)
	v_add_f32_e32 v22, v22, v42
	ds_bpermute_b32 v42, v38, v22
	s_waitcnt lgkmcnt(0)
	v_add_f32_e32 v22, v22, v42
	s_or_b64 exec, exec, s[14:15]
	s_and_saveexec_b64 s[14:15], s[0:1]
	s_cbranch_execnz .LBB23_35
	s_branch .LBB23_36
.LBB23_56:                              ;   in Loop: Header=BB23_14 Depth=1
	ds_read_b32 v23, v39
	s_or_b64 exec, exec, s[14:15]
	s_and_saveexec_b64 s[14:15], s[0:1]
	s_cbranch_execz .LBB23_40
.LBB23_57:                              ;   in Loop: Header=BB23_14 Depth=1
	s_waitcnt lgkmcnt(0)
	ds_bpermute_b32 v42, v37, v23
	s_waitcnt lgkmcnt(0)
	v_add_f32_e32 v23, v23, v42
	ds_bpermute_b32 v42, v38, v23
	s_waitcnt lgkmcnt(0)
	v_add_f32_e32 v23, v23, v42
	s_or_b64 exec, exec, s[14:15]
	s_and_saveexec_b64 s[14:15], s[12:13]
	s_cbranch_execz .LBB23_13
.LBB23_58:                              ;   in Loop: Header=BB23_14 Depth=1
	s_mul_hi_u32 s17, s3, s34
	s_mul_i32 s16, s3, s34
	s_lshl_b64 s[16:17], s[16:17], 2
	s_add_u32 s16, s67, s16
	v_mul_f32_e32 v24, s26, v24
	s_addc_u32 s17, s68, s17
	global_store_dword v41, v24, s[16:17]
	s_or_b32 s16, s3, 1
	s_mul_hi_u32 s17, s16, s34
	s_mul_i32 s16, s16, s34
	s_lshl_b64 s[16:17], s[16:17], 2
	s_add_u32 s16, s67, s16
	v_mul_f32_e32 v24, s26, v25
	s_addc_u32 s17, s68, s17
	global_store_dword v41, v24, s[16:17]
	s_or_b32 s16, s3, 2
	;; [unrolled: 8-line block ×3, first 2 shown]
	s_mul_hi_u32 s17, s16, s34
	s_mul_i32 s16, s16, s34
	s_lshl_b64 s[16:17], s[16:17], 2
	s_add_u32 s16, s67, s16
	s_waitcnt lgkmcnt(0)
	v_mul_f32_e32 v22, s26, v23
	s_addc_u32 s17, s68, s17
	global_store_dword v41, v22, s[16:17]
	s_branch .LBB23_13
.LBB23_59:
	s_mov_b32 s3, 0
                                        ; implicit-def: $vgpr2_vgpr3_vgpr4_vgpr5
.LBB23_60:
	s_cmp_ge_i32 s3, s25
	s_cbranch_scc1 .LBB23_84
; %bb.61:
	v_mbcnt_hi_u32_b32 v10, -1, v30
	v_and_b32_e32 v11, 63, v10
	v_cmp_gt_u32_e32 vcc, 32, v11
	s_mov_b32 s49, 0
	s_cmp_gt_i32 s27, 0
	v_cndmask_b32_e64 v12, 0, 1, vcc
	v_lshlrev_b32_e32 v12, 5, v12
	v_cmp_gt_u32_e32 vcc, 48, v11
	s_waitcnt lgkmcnt(0)
	v_add_lshl_u32 v23, v12, v10, 2
	s_mov_b32 s48, s2
	v_cndmask_b32_e64 v12, 0, 1, vcc
	v_lshlrev_b32_e32 v12, 4, v12
	v_cmp_gt_u32_e32 vcc, 56, v11
	v_add_lshl_u32 v24, v12, v10, 2
	s_cselect_b64 s[50:51], -1, 0
	v_cndmask_b32_e64 v12, 0, 1, vcc
	v_lshlrev_b32_e32 v12, 3, v12
	v_cmp_gt_u32_e32 vcc, 60, v11
	v_add_lshl_u32 v25, v12, v10, 2
	s_lshl_b64 s[14:15], s[48:49], 2
	v_cndmask_b32_e64 v12, 0, 1, vcc
	v_lshlrev_b32_e32 v12, 2, v12
	v_cmp_gt_u32_e32 vcc, 62, v11
	v_add_lshl_u32 v30, v12, v10, 2
	v_cmp_ge_i32_e64 s[0:1], s24, v31
	v_cndmask_b32_e64 v12, 0, 1, vcc
	v_lshlrev_b32_e32 v12, 1, v12
	v_cmp_ne_u32_e32 vcc, 63, v11
	v_add_lshl_u32 v31, v12, v10, 2
	s_add_u32 s2, s33, s14
	v_addc_co_u32_e32 v10, vcc, 0, v10, vcc
	v_cmp_ge_i32_e64 s[4:5], s24, v32
	v_cmp_gt_u32_e64 s[6:7], 64, v0
	v_lshlrev_b32_e32 v32, 2, v10
	v_cmp_gt_u32_e64 s[10:11], 4, v0
	v_cmp_eq_u32_e64 s[12:13], 0, v0
	s_addc_u32 s24, s66, s15
	v_mad_i64_i32 v[10:11], s[14:15], s38, v8, 0
	v_mad_i64_i32 v[12:13], s[14:15], s38, v27, 0
	;; [unrolled: 1-line block ×4, first 2 shown]
	s_add_u32 s14, s22, s44
	s_addc_u32 s15, s23, s45
	s_add_u32 s14, s14, s40
	v_lshlrev_b64 v[18:19], 2, v[10:11]
	s_addc_u32 s15, s15, s41
	v_lshl_add_u64 v[10:11], s[46:47], 0, v[18:19]
	v_lshl_add_u64 v[18:19], s[14:15], 0, v[18:19]
	s_mul_i32 s14, s37, s3
	s_mul_hi_u32 s15, s36, s3
	s_add_i32 s15, s15, s14
	s_mul_i32 s14, s36, s3
	s_lshl_b64 s[22:23], s[38:39], 2
	s_lshl_b64 s[14:15], s[14:15], 2
	s_add_u32 s14, s42, s14
	s_addc_u32 s15, s43, s15
	s_add_u32 s14, s14, s30
	s_addc_u32 s15, s15, s31
	;; [unrolled: 2-line block ×3, first 2 shown]
	v_lshlrev_b32_e32 v22, 2, v28
	v_cmp_eq_u32_e64 s[8:9], 0, v28
	v_and_b32_e32 v28, 12, v29
	v_lshl_add_u64 v[12:13], v[12:13], 2, s[46:47]
	v_lshl_add_u64 v[14:15], v[14:15], 2, s[46:47]
	;; [unrolled: 1-line block ×4, first 2 shown]
	s_lshl_b64 s[28:29], s[36:37], 2
	v_mov_b32_e32 v1, 0
	s_branch .LBB23_63
.LBB23_62:                              ;   in Loop: Header=BB23_63 Depth=1
	s_or_b64 exec, exec, s[14:15]
	s_add_i32 s3, s3, 1
	s_cmp_ge_i32 s3, s25
	v_lshl_add_u64 v[8:9], v[8:9], 0, s[28:29]
	s_cbranch_scc1 .LBB23_84
.LBB23_63:                              ; =>This Loop Header: Depth=1
                                        ;     Child Loop BB23_76 Depth 2
                                        ;     Child Loop BB23_79 Depth 2
	s_waitcnt lgkmcnt(0)
	v_mov_b32_e32 v0, s49
	s_and_saveexec_b64 s[14:15], s[0:1]
	s_xor_b64 s[14:15], exec, s[14:15]
	s_cbranch_execnz .LBB23_72
; %bb.64:                               ;   in Loop: Header=BB23_63 Depth=1
	s_andn2_saveexec_b64 s[30:31], s[14:15]
	s_cbranch_execnz .LBB23_73
.LBB23_65:                              ;   in Loop: Header=BB23_63 Depth=1
	s_or_b64 exec, exec, s[30:31]
	s_and_saveexec_b64 s[14:15], s[6:7]
	s_cbranch_execz .LBB23_67
.LBB23_66:                              ;   in Loop: Header=BB23_63 Depth=1
	ds_write_b32 v22, v1
.LBB23_67:                              ;   in Loop: Header=BB23_63 Depth=1
	s_or_b64 exec, exec, s[14:15]
	ds_bpermute_b32 v20, v23, v0
	s_waitcnt lgkmcnt(0)
	s_barrier
	v_add_f32_e32 v0, v0, v20
	ds_bpermute_b32 v20, v24, v0
	s_waitcnt lgkmcnt(0)
	v_add_f32_e32 v0, v0, v20
	ds_bpermute_b32 v20, v25, v0
	s_waitcnt lgkmcnt(0)
	;; [unrolled: 3-line block ×4, first 2 shown]
	v_add_f32_e32 v0, v0, v20
	ds_bpermute_b32 v20, v32, v0
	s_and_saveexec_b64 s[14:15], s[8:9]
	s_cbranch_execz .LBB23_69
; %bb.68:                               ;   in Loop: Header=BB23_63 Depth=1
	s_waitcnt lgkmcnt(0)
	v_add_f32_e32 v0, v0, v20
	ds_write_b32 v28, v0
.LBB23_69:                              ;   in Loop: Header=BB23_63 Depth=1
	s_or_b64 exec, exec, s[14:15]
	v_mov_b32_e32 v0, 0
	s_waitcnt lgkmcnt(0)
	s_barrier
	s_and_saveexec_b64 s[14:15], s[10:11]
	s_cbranch_execnz .LBB23_81
; %bb.70:                               ;   in Loop: Header=BB23_63 Depth=1
	s_or_b64 exec, exec, s[14:15]
	s_and_saveexec_b64 s[14:15], s[6:7]
	s_cbranch_execnz .LBB23_82
.LBB23_71:                              ;   in Loop: Header=BB23_63 Depth=1
	s_or_b64 exec, exec, s[14:15]
	s_and_saveexec_b64 s[14:15], s[12:13]
	s_cbranch_execz .LBB23_62
	s_branch .LBB23_83
.LBB23_72:                              ;   in Loop: Header=BB23_63 Depth=1
	s_mul_i32 s16, s3, s37
	s_mul_hi_u32 s17, s3, s36
	s_add_i32 s17, s17, s16
	s_mul_i32 s16, s3, s36
	v_lshl_add_u64 v[20:21], s[16:17], 2, v[6:7]
	global_load_dwordx4 v[34:37], v[20:21], off
	global_load_dword v2, v[10:11], off
	global_load_dword v3, v[12:13], off
	;; [unrolled: 1-line block ×4, first 2 shown]
	s_waitcnt vmcnt(3)
	v_fma_f32 v0, v2, v34, 0
	s_waitcnt vmcnt(2)
	v_fmac_f32_e32 v0, v3, v35
	s_waitcnt vmcnt(1)
	v_fmac_f32_e32 v0, v4, v36
	;; [unrolled: 2-line block ×3, first 2 shown]
	s_andn2_saveexec_b64 s[30:31], s[14:15]
	s_cbranch_execz .LBB23_65
.LBB23_73:                              ;   in Loop: Header=BB23_63 Depth=1
	s_and_saveexec_b64 s[38:39], s[4:5]
	s_cbranch_execz .LBB23_80
; %bb.74:                               ;   in Loop: Header=BB23_63 Depth=1
	v_cndmask_b32_e64 v20, 0, 1, s[50:51]
	v_cmp_ne_u32_e64 s[14:15], 1, v20
	s_andn2_b64 vcc, exec, s[50:51]
	s_cbranch_vccnz .LBB23_77
; %bb.75:                               ;   in Loop: Header=BB23_63 Depth=1
	s_mov_b64 s[40:41], 0
	v_mov_b64_e32 v[20:21], v[18:19]
.LBB23_76:                              ;   Parent Loop BB23_63 Depth=1
                                        ; =>  This Inner Loop Header: Depth=2
	global_load_dword v26, v[20:21], off
	s_cmp_eq_u32 s40, 3
	s_cselect_b64 vcc, -1, 0
	s_cmp_eq_u32 s40, 2
	s_cselect_b64 s[16:17], -1, 0
	s_cmp_eq_u32 s40, 1
	s_cselect_b64 s[18:19], -1, 0
	;; [unrolled: 2-line block ×3, first 2 shown]
	s_add_u32 s40, s40, 1
	s_addc_u32 s41, s41, 0
	v_lshl_add_u64 v[20:21], v[20:21], 0, s[22:23]
	s_cmp_eq_u32 s27, s40
	s_waitcnt vmcnt(0)
	v_cndmask_b32_e32 v5, v5, v26, vcc
	v_cndmask_b32_e64 v4, v4, v26, s[16:17]
	v_cndmask_b32_e64 v3, v3, v26, s[18:19]
	;; [unrolled: 1-line block ×3, first 2 shown]
	s_cbranch_scc0 .LBB23_76
.LBB23_77:                              ;   in Loop: Header=BB23_63 Depth=1
	s_and_b64 vcc, exec, s[14:15]
	s_cbranch_vccnz .LBB23_80
; %bb.78:                               ;   in Loop: Header=BB23_63 Depth=1
	s_mov_b64 s[14:15], 0
	v_mov_b64_e32 v[20:21], v[8:9]
.LBB23_79:                              ;   Parent Loop BB23_63 Depth=1
                                        ; =>  This Inner Loop Header: Depth=2
	global_load_dword v26, v[20:21], off
	s_cmp_eq_u32 s14, 1
	s_cselect_b64 vcc, -1, 0
	s_cmp_eq_u32 s14, 2
	v_cndmask_b32_e32 v27, v2, v3, vcc
	s_cselect_b64 vcc, -1, 0
	s_cmp_eq_u32 s14, 3
	v_cndmask_b32_e32 v27, v27, v4, vcc
	s_cselect_b64 vcc, -1, 0
	s_add_u32 s14, s14, 1
	v_cndmask_b32_e32 v27, v27, v5, vcc
	s_addc_u32 s15, s15, 0
	v_lshl_add_u64 v[20:21], v[20:21], 0, 4
	s_cmp_lg_u32 s27, s14
	s_waitcnt vmcnt(0)
	v_fmac_f32_e32 v0, v27, v26
	s_cbranch_scc1 .LBB23_79
.LBB23_80:                              ;   in Loop: Header=BB23_63 Depth=1
	s_or_b64 exec, exec, s[38:39]
	s_or_b64 exec, exec, s[30:31]
	s_and_saveexec_b64 s[14:15], s[6:7]
	s_cbranch_execnz .LBB23_66
	s_branch .LBB23_67
.LBB23_81:                              ;   in Loop: Header=BB23_63 Depth=1
	ds_read_b32 v0, v22
	s_or_b64 exec, exec, s[14:15]
	s_and_saveexec_b64 s[14:15], s[6:7]
	s_cbranch_execz .LBB23_71
.LBB23_82:                              ;   in Loop: Header=BB23_63 Depth=1
	s_waitcnt lgkmcnt(0)
	ds_bpermute_b32 v20, v31, v0
	s_waitcnt lgkmcnt(0)
	v_add_f32_e32 v0, v0, v20
	ds_bpermute_b32 v20, v32, v0
	s_waitcnt lgkmcnt(0)
	v_add_f32_e32 v0, v0, v20
	s_or_b64 exec, exec, s[14:15]
	s_and_saveexec_b64 s[14:15], s[12:13]
	s_cbranch_execz .LBB23_62
.LBB23_83:                              ;   in Loop: Header=BB23_63 Depth=1
	s_mul_hi_u32 s17, s3, s34
	s_mul_i32 s16, s3, s34
	s_lshl_b64 s[16:17], s[16:17], 2
	s_add_u32 s16, s2, s16
	s_waitcnt lgkmcnt(0)
	v_mul_f32_e32 v0, s26, v0
	s_addc_u32 s17, s24, s17
	global_store_dword v1, v0, s[16:17]
	s_branch .LBB23_62
.LBB23_84:
	s_endpgm
	.section	.rodata,"a",@progbits
	.p2align	6, 0x0
	.amdhsa_kernel _ZL23rocblas_gemvt_sn_kernelILb0ELi256ELi4ElfffEviiT4_lPKT3_lilS3_lilPT5_i
		.amdhsa_group_segment_fixed_size 256
		.amdhsa_private_segment_fixed_size 0
		.amdhsa_kernarg_size 360
		.amdhsa_user_sgpr_count 2
		.amdhsa_user_sgpr_dispatch_ptr 0
		.amdhsa_user_sgpr_queue_ptr 0
		.amdhsa_user_sgpr_kernarg_segment_ptr 1
		.amdhsa_user_sgpr_dispatch_id 0
		.amdhsa_user_sgpr_kernarg_preload_length 0
		.amdhsa_user_sgpr_kernarg_preload_offset 0
		.amdhsa_user_sgpr_private_segment_size 0
		.amdhsa_uses_dynamic_stack 0
		.amdhsa_enable_private_segment 0
		.amdhsa_system_sgpr_workgroup_id_x 1
		.amdhsa_system_sgpr_workgroup_id_y 0
		.amdhsa_system_sgpr_workgroup_id_z 1
		.amdhsa_system_sgpr_workgroup_info 0
		.amdhsa_system_vgpr_workitem_id 0
		.amdhsa_next_free_vgpr 58
		.amdhsa_next_free_sgpr 69
		.amdhsa_accum_offset 60
		.amdhsa_reserve_vcc 1
		.amdhsa_float_round_mode_32 0
		.amdhsa_float_round_mode_16_64 0
		.amdhsa_float_denorm_mode_32 3
		.amdhsa_float_denorm_mode_16_64 3
		.amdhsa_dx10_clamp 1
		.amdhsa_ieee_mode 1
		.amdhsa_fp16_overflow 0
		.amdhsa_tg_split 0
		.amdhsa_exception_fp_ieee_invalid_op 0
		.amdhsa_exception_fp_denorm_src 0
		.amdhsa_exception_fp_ieee_div_zero 0
		.amdhsa_exception_fp_ieee_overflow 0
		.amdhsa_exception_fp_ieee_underflow 0
		.amdhsa_exception_fp_ieee_inexact 0
		.amdhsa_exception_int_div_zero 0
	.end_amdhsa_kernel
	.section	.text._ZL23rocblas_gemvt_sn_kernelILb0ELi256ELi4ElfffEviiT4_lPKT3_lilS3_lilPT5_i,"axG",@progbits,_ZL23rocblas_gemvt_sn_kernelILb0ELi256ELi4ElfffEviiT4_lPKT3_lilS3_lilPT5_i,comdat
.Lfunc_end23:
	.size	_ZL23rocblas_gemvt_sn_kernelILb0ELi256ELi4ElfffEviiT4_lPKT3_lilS3_lilPT5_i, .Lfunc_end23-_ZL23rocblas_gemvt_sn_kernelILb0ELi256ELi4ElfffEviiT4_lPKT3_lilS3_lilPT5_i
                                        ; -- End function
	.section	.AMDGPU.csdata,"",@progbits
; Kernel info:
; codeLenInByte = 3992
; NumSgprs: 75
; NumVgprs: 58
; NumAgprs: 0
; TotalNumVgprs: 58
; ScratchSize: 0
; MemoryBound: 0
; FloatMode: 240
; IeeeMode: 1
; LDSByteSize: 256 bytes/workgroup (compile time only)
; SGPRBlocks: 9
; VGPRBlocks: 7
; NumSGPRsForWavesPerEU: 75
; NumVGPRsForWavesPerEU: 58
; AccumOffset: 60
; Occupancy: 8
; WaveLimiterHint : 1
; COMPUTE_PGM_RSRC2:SCRATCH_EN: 0
; COMPUTE_PGM_RSRC2:USER_SGPR: 2
; COMPUTE_PGM_RSRC2:TRAP_HANDLER: 0
; COMPUTE_PGM_RSRC2:TGID_X_EN: 1
; COMPUTE_PGM_RSRC2:TGID_Y_EN: 0
; COMPUTE_PGM_RSRC2:TGID_Z_EN: 1
; COMPUTE_PGM_RSRC2:TIDIG_COMP_CNT: 0
; COMPUTE_PGM_RSRC3_GFX90A:ACCUM_OFFSET: 14
; COMPUTE_PGM_RSRC3_GFX90A:TG_SPLIT: 0
	.section	.text._ZL36rocblas_gemvt_double_buffered_kernelILb0ELi128ELi8ELi8EfPKffEviiT4_lPKT3_lilS5_lilPT5_lili,"axG",@progbits,_ZL36rocblas_gemvt_double_buffered_kernelILb0ELi128ELi8ELi8EfPKffEviiT4_lPKT3_lilS5_lilPT5_lili,comdat
	.globl	_ZL36rocblas_gemvt_double_buffered_kernelILb0ELi128ELi8ELi8EfPKffEviiT4_lPKT3_lilS5_lilPT5_lili ; -- Begin function _ZL36rocblas_gemvt_double_buffered_kernelILb0ELi128ELi8ELi8EfPKffEviiT4_lPKT3_lilS5_lilPT5_lili
	.p2align	8
	.type	_ZL36rocblas_gemvt_double_buffered_kernelILb0ELi128ELi8ELi8EfPKffEviiT4_lPKT3_lilS5_lilPT5_lili,@function
_ZL36rocblas_gemvt_double_buffered_kernelILb0ELi128ELi8ELi8EfPKffEviiT4_lPKT3_lilS5_lilPT5_lili: ; @_ZL36rocblas_gemvt_double_buffered_kernelILb0ELi128ELi8ELi8EfPKffEviiT4_lPKT3_lilS5_lilPT5_lili
; %bb.0:
	s_load_dwordx8 s[8:15], s[0:1], 0x8
	s_waitcnt lgkmcnt(0)
	s_mul_i32 s5, s4, s11
	s_mul_hi_u32 s6, s4, s10
	s_add_i32 s7, s6, s5
	s_mul_i32 s6, s4, s10
	s_lshl_b64 s[6:7], s[6:7], 2
	s_add_u32 s6, s8, s6
	s_addc_u32 s7, s9, s7
	s_load_dword s5, s[6:7], 0x0
	s_waitcnt lgkmcnt(0)
	v_cmp_eq_f32_e64 s[6:7], s5, 0
	s_and_b64 vcc, exec, s[6:7]
	s_cbranch_vccnz .LBB24_10
; %bb.1:
	s_load_dword s6, s[0:1], 0x84
	s_load_dword s7, s[0:1], 0x0
	s_waitcnt lgkmcnt(0)
	v_cvt_f32_u32_e32 v1, s6
	s_ashr_i32 s8, s7, 31
	s_lshr_b32 s8, s8, 25
	s_sub_i32 s9, 0, s6
	v_rcp_iflag_f32_e32 v1, v1
	s_add_i32 s7, s7, s8
	s_ashr_i32 s7, s7, 7
	v_mul_f32_e32 v1, 0x4f7ffffe, v1
	v_cvt_u32_f32_e32 v1, v1
	s_nop 0
	v_readfirstlane_b32 s8, v1
	s_mul_i32 s9, s9, s8
	s_mul_hi_u32 s9, s8, s9
	s_add_i32 s8, s8, s9
	s_mul_hi_u32 s8, s7, s8
	s_mul_i32 s9, s8, s6
	s_sub_i32 s9, s7, s9
	s_add_i32 s10, s8, 1
	s_sub_i32 s11, s9, s6
	s_cmp_ge_u32 s9, s6
	s_cselect_b32 s8, s10, s8
	s_cselect_b32 s9, s11, s9
	s_add_i32 s10, s8, 1
	s_cmp_ge_u32 s9, s6
	s_cselect_b32 s25, s10, s8
	s_mul_i32 s6, s25, s6
	s_sub_i32 s24, s7, s6
	s_cmp_lt_u32 s3, s24
	s_cselect_b64 s[6:7], -1, 0
	s_cmp_lg_u64 s[6:7], 0
	s_addc_u32 s22, s25, 0
	s_cmp_eq_u32 s22, 0
	s_cbranch_scc1 .LBB24_10
; %bb.2:
	s_load_dwordx4 s[8:11], s[0:1], 0x50
	s_load_dwordx2 s[16:17], s[0:1], 0x60
	v_and_b32_e32 v26, 0x3ff, v0
	v_bfe_u32 v27, v0, 10, 10
	s_lshl_b32 s6, s2, 7
	v_lshl_add_u32 v4, v27, 7, v26
	v_and_b32_e32 v0, 63, v26
	s_ashr_i32 s7, s6, 31
	v_lshrrev_b32_e32 v28, 3, v4
	s_mov_b32 s23, 0
	v_and_b32_e32 v29, 0x7ff8, v28
	s_cmp_lt_i32 s22, 1
	v_mov_b32_e32 v37, 0
	v_lshlrev_b32_e32 v2, 2, v0
	v_mov_b32_e32 v39, 0
	v_mov_b32_e32 v41, 0
	;; [unrolled: 1-line block ×7, first 2 shown]
	s_cbranch_scc1 .LBB24_8
; %bb.3:
	s_load_dword s20, s[0:1], 0x28
	s_load_dwordx4 s[28:31], s[0:1], 0x30
	s_load_dwordx2 s[26:27], s[0:1], 0x40
	s_load_dword s18, s[0:1], 0x48
	v_mov_b32_e32 v1, 0
	s_waitcnt lgkmcnt(0)
	s_ashr_i32 s21, s20, 31
	s_mul_i32 s2, s4, s29
	s_mul_hi_u32 s29, s4, s28
	s_add_i32 s29, s29, s2
	s_mul_i32 s28, s4, s28
	s_ashr_i32 s19, s18, 31
	s_lshl_b64 s[28:29], s[28:29], 2
	v_mad_i64_i32 v[6:7], s[34:35], s20, v29, v[0:1]
	s_add_u32 s2, s12, s28
	s_addc_u32 s33, s13, s29
	s_lshl_b64 s[34:35], s[14:15], 2
	s_add_u32 s14, s2, s34
	s_mul_i32 s2, s4, s9
	s_mul_hi_u32 s9, s4, s8
	s_addc_u32 s15, s33, s35
	s_add_i32 s9, s9, s2
	s_mul_i32 s8, s4, s8
	s_lshl_b64 s[8:9], s[8:9], 2
	s_mul_i32 s25, s25, s3
	v_cvt_f64_i32_e32 v[10:11], s3
	v_cvt_f64_u32_e32 v[12:13], s24
	s_add_u32 s2, s30, s8
	v_cvt_f64_u32_e32 v[8:9], s25
	v_min_f64 v[10:11], v[10:11], v[12:13]
	s_addc_u32 s30, s31, s9
	s_lshl_b64 s[8:9], s[26:27], 2
	v_add_f64 v[8:9], v[10:11], v[8:9]
	s_add_u32 s8, s2, s8
	v_cvt_i32_f64_e32 v3, v[8:9]
	s_mul_hi_i32 s3, s20, s6
	s_mul_i32 s2, s20, s6
	s_addc_u32 s9, s30, s9
	s_lshl_b64 s[2:3], s[2:3], 2
	v_lshlrev_b32_e32 v8, 7, v3
	s_add_u32 s2, s14, s2
	v_ashrrev_i32_e32 v9, 31, v8
	s_addc_u32 s3, s15, s3
	v_lshlrev_b64 v[20:21], 2, v[8:9]
	v_lshl_add_u64 v[8:9], s[2:3], 0, v[20:21]
	v_lshl_add_u64 v[6:7], v[6:7], 2, v[8:9]
	s_lshl_b64 s[2:3], s[20:21], 2
	v_lshl_add_u64 v[8:9], v[6:7], 0, s[2:3]
	global_load_dword v30, v[6:7], off
	global_load_dword v31, v[8:9], off
	v_lshl_add_u64 v[6:7], v[8:9], 0, s[2:3]
	global_load_dword v32, v[6:7], off
	v_lshl_add_u64 v[6:7], v[6:7], 0, s[2:3]
	;; [unrolled: 2-line block ×6, first 2 shown]
	global_load_dword v38, v[6:7], off
	v_lshrrev_b32_e32 v4, 1, v4
	v_and_b32_e32 v4, 0x1ffe0, v4
	v_mov_b32_e32 v5, v1
	v_lshl_add_u64 v[6:7], s[12:13], 0, v[20:21]
	v_lshl_add_u64 v[22:23], s[6:7], 2, v[4:5]
	;; [unrolled: 1-line block ×5, first 2 shown]
	v_mad_u64_u32 v[6:7], s[12:13], v4, s20, v[18:19]
	v_mul_lo_u32 v4, v4, s21
	v_mul_lo_u32 v5, v5, s20
	v_add3_u32 v7, v5, v7, v4
	s_mov_b64 s[12:13], 0x200
	v_lshl_add_u64 v[4:5], v[6:7], 0, s[12:13]
	v_lshl_add_u64 v[6:7], v[22:23], 0, 8
	v_mad_u64_u32 v[8:9], s[26:27], v6, s20, v[18:19]
	v_mul_lo_u32 v6, v6, s21
	v_mul_lo_u32 v7, v7, s20
	v_add3_u32 v9, v7, v9, v6
	v_lshl_add_u64 v[6:7], v[8:9], 0, s[12:13]
	v_lshl_add_u64 v[8:9], v[22:23], 0, 12
	v_mad_u64_u32 v[10:11], s[26:27], v8, s20, v[18:19]
	v_mul_lo_u32 v8, v8, s21
	v_mul_lo_u32 v9, v9, s20
	v_add3_u32 v11, v9, v11, v8
	;; [unrolled: 6-line block ×5, first 2 shown]
	v_lshl_add_u64 v[14:15], v[16:17], 0, s[12:13]
	v_lshl_add_u64 v[16:17], v[22:23], 0, 28
	v_mad_u64_u32 v[24:25], s[26:27], v16, s20, v[18:19]
	v_mul_lo_u32 v16, v16, s21
	v_mul_lo_u32 v17, v17, s20
	v_mad_u64_u32 v[18:19], s[26:27], v22, s20, v[18:19]
	v_mul_lo_u32 v22, v22, s21
	v_mul_lo_u32 v23, v23, s20
	v_add3_u32 v25, v17, v25, v16
	v_add3_u32 v19, v23, v19, v22
	v_or_b32_e32 v22, v20, v2
	v_lshl_add_u64 v[16:17], v[24:25], 0, s[12:13]
	v_mul_lo_u32 v24, v21, s18
	v_mul_lo_u32 v23, v22, s19
	v_mad_u64_u32 v[20:21], s[20:21], v22, s18, 0
	v_or_b32_e32 v22, 0x100, v22
	s_lshl_b64 s[14:15], s[18:19], 9
	v_add3_u32 v21, v21, v23, v24
	v_mul_lo_u32 v25, v22, s19
	v_mad_u64_u32 v[22:23], s[18:19], v22, s18, 0
	s_add_i32 s24, s22, -1
	v_mov_b32_e32 v3, v1
	v_add3_u32 v23, v23, v25, v24
	s_mov_b64 s[18:19], 0x100
	v_mov_b32_e32 v44, v1
	v_mov_b32_e32 v42, v1
	v_mov_b32_e32 v43, v1
	v_mov_b32_e32 v40, v1
	v_mov_b32_e32 v41, v1
	v_mov_b32_e32 v39, v1
	v_mov_b32_e32 v37, v1
	s_waitcnt vmcnt(7)
	v_mov_b32_e32 v45, v30
	s_waitcnt vmcnt(6)
	v_mov_b32_e32 v46, v31
	;; [unrolled: 2-line block ×8, first 2 shown]
.LBB24_4:                               ; =>This Inner Loop Header: Depth=1
	v_lshl_add_u64 v[24:25], v[18:19], 0, v[2:3]
	v_lshl_add_u64 v[54:55], v[24:25], 0, s[18:19]
	;; [unrolled: 1-line block ×6, first 2 shown]
	global_load_dword v53, v[24:25], off offset:256
	global_load_dword v54, v[56:57], off
	global_load_dword v55, v[58:59], off
                                        ; kill: killed $vgpr56_vgpr57
                                        ; kill: killed $vgpr58_vgpr59
	s_nop 0
	global_load_dword v56, v[60:61], off
	global_load_dword v57, v[62:63], off
	v_lshl_add_u64 v[60:61], v[62:63], 0, s[2:3]
	global_load_dword v58, v[60:61], off
	v_lshl_add_u64 v[60:61], v[60:61], 0, s[2:3]
	;; [unrolled: 2-line block ×3, first 2 shown]
	v_lshl_add_u64 v[62:63], s[8:9], 0, v[20:21]
	global_load_dword v60, v[60:61], off
	s_cmp_lg_u32 s24, s23
	global_load_dword v61, v[62:63], off
	s_cbranch_scc0 .LBB24_6
; %bb.5:                                ;   in Loop: Header=BB24_4 Depth=1
	global_load_dword v45, v[24:25], off offset:512
	v_lshl_add_u64 v[24:25], v[4:5], 0, v[2:3]
	global_load_dword v46, v[24:25], off
	v_lshl_add_u64 v[24:25], v[6:7], 0, v[2:3]
	global_load_dword v47, v[24:25], off
	;; [unrolled: 2-line block ×7, first 2 shown]
.LBB24_6:                               ;   in Loop: Header=BB24_4 Depth=1
	v_lshl_add_u64 v[24:25], s[8:9], 0, v[22:23]
	global_load_dword v24, v[24:25], off
	s_add_i32 s23, s23, 1
	s_add_u32 s8, s8, s14
	s_waitcnt vmcnt(1)
	v_fmac_f32_e32 v1, v30, v61
	v_fmac_f32_e32 v44, v31, v61
	;; [unrolled: 1-line block ×8, first 2 shown]
	s_addc_u32 s9, s9, s15
	v_lshl_add_u64 v[4:5], v[4:5], 0, s[12:13]
	v_lshl_add_u64 v[6:7], v[6:7], 0, s[12:13]
	;; [unrolled: 1-line block ×7, first 2 shown]
	s_cmp_ge_i32 s23, s22
	v_lshl_add_u64 v[18:19], v[18:19], 0, s[12:13]
	s_waitcnt vmcnt(0)
	v_fmac_f32_e32 v1, v53, v24
	v_fmac_f32_e32 v44, v54, v24
	;; [unrolled: 1-line block ×8, first 2 shown]
	s_cbranch_scc1 .LBB24_8
; %bb.7:                                ;   in Loop: Header=BB24_4 Depth=1
	v_mov_b32_e32 v30, v45
	v_mov_b32_e32 v31, v46
	;; [unrolled: 1-line block ×8, first 2 shown]
	s_branch .LBB24_4
.LBB24_8:
	v_lshl_or_b32 v3, v29, 8, v2
	ds_write2st64_b32 v3, v1, v44 offset1:1
	ds_write2st64_b32 v3, v42, v43 offset0:2 offset1:3
	ds_write2st64_b32 v3, v40, v41 offset0:4 offset1:5
	ds_write_b32 v3, v39 offset:1536
	v_lshlrev_b32_e32 v1, 8, v28
	s_movk_i32 s2, 0x700
	v_or3_b32 v1, v1, v2, s2
	v_cmp_eq_u32_e32 vcc, 0, v27
	ds_write_b32 v1, v37
	s_waitcnt lgkmcnt(0)
	s_barrier
	s_and_saveexec_b64 s[2:3], vcc
	s_cbranch_execz .LBB24_10
; %bb.9:
	v_lshlrev_b32_e32 v1, 6, v26
	v_add_u32_e32 v3, 1, v26
	v_add_u32_e32 v4, 2, v26
	;; [unrolled: 1-line block ×7, first 2 shown]
	v_or_b32_e32 v0, v0, v1
	v_and_or_b32 v3, v3, 63, v1
	v_and_or_b32 v4, v4, 63, v1
	;; [unrolled: 1-line block ×7, first 2 shown]
	v_lshlrev_b32_e32 v2, 2, v0
	v_lshlrev_b32_e32 v3, 2, v3
	;; [unrolled: 1-line block ×8, first 2 shown]
	s_load_dwordx2 s[8:9], s[0:1], 0x70
	s_load_dword s2, s[0:1], 0x68
	ds_read_b32 v2, v2
	ds_read_b32 v3, v3
	;; [unrolled: 1-line block ×8, first 2 shown]
	s_waitcnt lgkmcnt(0)
	v_add_f32_e32 v2, 0, v2
	v_add_f32_e32 v2, v2, v3
	;; [unrolled: 1-line block ×8, first 2 shown]
	v_add_u32_e32 v3, 8, v26
	v_add_u32_e32 v4, 9, v26
	;; [unrolled: 1-line block ×8, first 2 shown]
	v_and_or_b32 v3, v3, 63, v1
	v_and_or_b32 v4, v4, 63, v1
	v_and_or_b32 v5, v5, 63, v1
	v_and_or_b32 v6, v6, 63, v1
	v_and_or_b32 v7, v7, 63, v1
	v_and_or_b32 v8, v8, 63, v1
	v_and_or_b32 v9, v9, 63, v1
	v_and_or_b32 v10, v10, 63, v1
	v_lshlrev_b32_e32 v3, 2, v3
	v_lshlrev_b32_e32 v4, 2, v4
	;; [unrolled: 1-line block ×8, first 2 shown]
	ds_read_b32 v3, v3
	ds_read_b32 v4, v4
	;; [unrolled: 1-line block ×8, first 2 shown]
	s_waitcnt lgkmcnt(7)
	v_add_f32_e32 v2, v2, v3
	s_waitcnt lgkmcnt(6)
	v_add_f32_e32 v2, v2, v4
	;; [unrolled: 2-line block ×8, first 2 shown]
	v_add_u32_e32 v3, 16, v26
	v_add_u32_e32 v4, 17, v26
	;; [unrolled: 1-line block ×8, first 2 shown]
	v_and_or_b32 v3, v3, 63, v1
	v_and_or_b32 v4, v4, 63, v1
	;; [unrolled: 1-line block ×8, first 2 shown]
	v_lshlrev_b32_e32 v3, 2, v3
	v_lshlrev_b32_e32 v4, 2, v4
	;; [unrolled: 1-line block ×8, first 2 shown]
	ds_read_b32 v3, v3
	ds_read_b32 v4, v4
	;; [unrolled: 1-line block ×8, first 2 shown]
	s_waitcnt lgkmcnt(7)
	v_add_f32_e32 v2, v2, v3
	s_waitcnt lgkmcnt(6)
	v_add_f32_e32 v2, v2, v4
	;; [unrolled: 2-line block ×8, first 2 shown]
	v_add_u32_e32 v3, 24, v26
	v_add_u32_e32 v4, 25, v26
	;; [unrolled: 1-line block ×8, first 2 shown]
	v_and_or_b32 v3, v3, 63, v1
	v_and_or_b32 v4, v4, 63, v1
	;; [unrolled: 1-line block ×8, first 2 shown]
	v_lshlrev_b32_e32 v3, 2, v3
	v_lshlrev_b32_e32 v4, 2, v4
	;; [unrolled: 1-line block ×8, first 2 shown]
	ds_read_b32 v3, v3
	ds_read_b32 v4, v4
	;; [unrolled: 1-line block ×8, first 2 shown]
	s_waitcnt lgkmcnt(7)
	v_add_f32_e32 v2, v2, v3
	s_waitcnt lgkmcnt(6)
	v_add_f32_e32 v2, v2, v4
	;; [unrolled: 2-line block ×7, first 2 shown]
	v_add_u32_e32 v3, 33, v26
	v_add_u32_e32 v4, 34, v26
	;; [unrolled: 1-line block ×7, first 2 shown]
	v_xor_b32_e32 v0, 32, v0
	v_and_or_b32 v3, v3, 63, v1
	v_and_or_b32 v4, v4, 63, v1
	;; [unrolled: 1-line block ×7, first 2 shown]
	v_lshlrev_b32_e32 v0, 2, v0
	v_lshlrev_b32_e32 v3, 2, v3
	;; [unrolled: 1-line block ×8, first 2 shown]
	s_waitcnt lgkmcnt(0)
	v_add_f32_e32 v2, v2, v10
	ds_read_b32 v0, v0
	ds_read_b32 v3, v3
	;; [unrolled: 1-line block ×8, first 2 shown]
	s_waitcnt lgkmcnt(7)
	v_add_f32_e32 v0, v2, v0
	s_waitcnt lgkmcnt(6)
	v_add_f32_e32 v0, v0, v3
	;; [unrolled: 2-line block ×8, first 2 shown]
	v_add_u32_e32 v2, 40, v26
	v_add_u32_e32 v3, 41, v26
	;; [unrolled: 1-line block ×8, first 2 shown]
	v_and_or_b32 v2, v2, 63, v1
	v_and_or_b32 v3, v3, 63, v1
	;; [unrolled: 1-line block ×8, first 2 shown]
	v_lshlrev_b32_e32 v2, 2, v2
	v_lshlrev_b32_e32 v3, 2, v3
	;; [unrolled: 1-line block ×8, first 2 shown]
	ds_read_b32 v2, v2
	ds_read_b32 v3, v3
	;; [unrolled: 1-line block ×8, first 2 shown]
	s_waitcnt lgkmcnt(7)
	v_add_f32_e32 v0, v0, v2
	s_waitcnt lgkmcnt(6)
	v_add_f32_e32 v0, v0, v3
	;; [unrolled: 2-line block ×8, first 2 shown]
	v_add_u32_e32 v2, 48, v26
	v_add_u32_e32 v3, 49, v26
	;; [unrolled: 1-line block ×8, first 2 shown]
	v_and_or_b32 v2, v2, 63, v1
	v_and_or_b32 v3, v3, 63, v1
	;; [unrolled: 1-line block ×8, first 2 shown]
	v_lshlrev_b32_e32 v2, 2, v2
	v_lshlrev_b32_e32 v3, 2, v3
	;; [unrolled: 1-line block ×8, first 2 shown]
	ds_read_b32 v2, v2
	ds_read_b32 v3, v3
	;; [unrolled: 1-line block ×8, first 2 shown]
	s_waitcnt lgkmcnt(7)
	v_add_f32_e32 v0, v0, v2
	s_waitcnt lgkmcnt(6)
	v_add_f32_e32 v0, v0, v3
	;; [unrolled: 2-line block ×8, first 2 shown]
	v_add_u32_e32 v2, 56, v26
	v_add_u32_e32 v3, 57, v26
	v_add_u32_e32 v4, 58, v26
	v_add_u32_e32 v5, 59, v26
	v_add_u32_e32 v6, 60, v26
	v_add_u32_e32 v7, 61, v26
	v_add_u32_e32 v8, 62, v26
	v_add_u32_e32 v9, -1, v26
	s_mul_i32 s1, s4, s9
	s_mul_hi_u32 s3, s4, s8
	v_and_or_b32 v2, v2, 63, v1
	v_and_or_b32 v3, v3, 63, v1
	;; [unrolled: 1-line block ×8, first 2 shown]
	s_mul_i32 s0, s4, s8
	s_add_i32 s1, s3, s1
	v_lshlrev_b32_e32 v2, 2, v2
	v_lshlrev_b32_e32 v3, 2, v3
	;; [unrolled: 1-line block ×8, first 2 shown]
	s_lshl_b64 s[0:1], s[0:1], 2
	ds_read_b32 v2, v2
	ds_read_b32 v3, v3
	;; [unrolled: 1-line block ×8, first 2 shown]
	s_waitcnt lgkmcnt(7)
	v_add_f32_e32 v0, v0, v2
	s_add_u32 s3, s10, s0
	s_waitcnt lgkmcnt(6)
	v_add_f32_e32 v0, v0, v3
	s_addc_u32 s4, s11, s1
	s_lshl_b64 s[0:1], s[16:17], 2
	s_waitcnt lgkmcnt(5)
	v_add_f32_e32 v0, v0, v4
	s_add_u32 s3, s3, s0
	s_waitcnt lgkmcnt(4)
	v_add_f32_e32 v0, v0, v5
	s_addc_u32 s4, s4, s1
	s_mul_hi_i32 s1, s2, s6
	s_mul_i32 s0, s2, s6
	s_waitcnt lgkmcnt(3)
	v_add_f32_e32 v0, v0, v6
	s_lshl_b64 s[0:1], s[0:1], 2
	s_waitcnt lgkmcnt(2)
	v_add_f32_e32 v0, v0, v7
	s_add_u32 s0, s3, s0
	s_waitcnt lgkmcnt(1)
	v_add_f32_e32 v0, v0, v8
	s_addc_u32 s1, s4, s1
	s_waitcnt lgkmcnt(0)
	v_add_f32_e32 v2, v0, v1
	v_mad_i64_i32 v[0:1], s[2:3], s2, v26, 0
	v_lshl_add_u64 v[0:1], v[0:1], 2, s[0:1]
	v_mul_f32_e32 v2, s5, v2
	global_atomic_add_f32 v[0:1], v2, off
.LBB24_10:
	s_endpgm
	.section	.rodata,"a",@progbits
	.p2align	6, 0x0
	.amdhsa_kernel _ZL36rocblas_gemvt_double_buffered_kernelILb0ELi128ELi8ELi8EfPKffEviiT4_lPKT3_lilS5_lilPT5_lili
		.amdhsa_group_segment_fixed_size 32768
		.amdhsa_private_segment_fixed_size 0
		.amdhsa_kernarg_size 384
		.amdhsa_user_sgpr_count 2
		.amdhsa_user_sgpr_dispatch_ptr 0
		.amdhsa_user_sgpr_queue_ptr 0
		.amdhsa_user_sgpr_kernarg_segment_ptr 1
		.amdhsa_user_sgpr_dispatch_id 0
		.amdhsa_user_sgpr_kernarg_preload_length 0
		.amdhsa_user_sgpr_kernarg_preload_offset 0
		.amdhsa_user_sgpr_private_segment_size 0
		.amdhsa_uses_dynamic_stack 0
		.amdhsa_enable_private_segment 0
		.amdhsa_system_sgpr_workgroup_id_x 1
		.amdhsa_system_sgpr_workgroup_id_y 1
		.amdhsa_system_sgpr_workgroup_id_z 1
		.amdhsa_system_sgpr_workgroup_info 0
		.amdhsa_system_vgpr_workitem_id 1
		.amdhsa_next_free_vgpr 64
		.amdhsa_next_free_sgpr 36
		.amdhsa_accum_offset 64
		.amdhsa_reserve_vcc 1
		.amdhsa_float_round_mode_32 0
		.amdhsa_float_round_mode_16_64 0
		.amdhsa_float_denorm_mode_32 3
		.amdhsa_float_denorm_mode_16_64 3
		.amdhsa_dx10_clamp 1
		.amdhsa_ieee_mode 1
		.amdhsa_fp16_overflow 0
		.amdhsa_tg_split 0
		.amdhsa_exception_fp_ieee_invalid_op 0
		.amdhsa_exception_fp_denorm_src 0
		.amdhsa_exception_fp_ieee_div_zero 0
		.amdhsa_exception_fp_ieee_overflow 0
		.amdhsa_exception_fp_ieee_underflow 0
		.amdhsa_exception_fp_ieee_inexact 0
		.amdhsa_exception_int_div_zero 0
	.end_amdhsa_kernel
	.section	.text._ZL36rocblas_gemvt_double_buffered_kernelILb0ELi128ELi8ELi8EfPKffEviiT4_lPKT3_lilS5_lilPT5_lili,"axG",@progbits,_ZL36rocblas_gemvt_double_buffered_kernelILb0ELi128ELi8ELi8EfPKffEviiT4_lPKT3_lilS5_lilPT5_lili,comdat
.Lfunc_end24:
	.size	_ZL36rocblas_gemvt_double_buffered_kernelILb0ELi128ELi8ELi8EfPKffEviiT4_lPKT3_lilS5_lilPT5_lili, .Lfunc_end24-_ZL36rocblas_gemvt_double_buffered_kernelILb0ELi128ELi8ELi8EfPKffEviiT4_lPKT3_lilS5_lilPT5_lili
                                        ; -- End function
	.section	.AMDGPU.csdata,"",@progbits
; Kernel info:
; codeLenInByte = 3980
; NumSgprs: 42
; NumVgprs: 64
; NumAgprs: 0
; TotalNumVgprs: 64
; ScratchSize: 0
; MemoryBound: 0
; FloatMode: 240
; IeeeMode: 1
; LDSByteSize: 32768 bytes/workgroup (compile time only)
; SGPRBlocks: 5
; VGPRBlocks: 7
; NumSGPRsForWavesPerEU: 42
; NumVGPRsForWavesPerEU: 64
; AccumOffset: 64
; Occupancy: 8
; WaveLimiterHint : 0
; COMPUTE_PGM_RSRC2:SCRATCH_EN: 0
; COMPUTE_PGM_RSRC2:USER_SGPR: 2
; COMPUTE_PGM_RSRC2:TRAP_HANDLER: 0
; COMPUTE_PGM_RSRC2:TGID_X_EN: 1
; COMPUTE_PGM_RSRC2:TGID_Y_EN: 1
; COMPUTE_PGM_RSRC2:TGID_Z_EN: 1
; COMPUTE_PGM_RSRC2:TIDIG_COMP_CNT: 1
; COMPUTE_PGM_RSRC3_GFX90A:ACCUM_OFFSET: 15
; COMPUTE_PGM_RSRC3_GFX90A:TG_SPLIT: 0
	.section	.text._ZL36rocblas_gemvt_double_buffered_kernelILb0ELi128ELi8ELi8EfffEviiT4_lPKT3_lilS3_lilPT5_lili,"axG",@progbits,_ZL36rocblas_gemvt_double_buffered_kernelILb0ELi128ELi8ELi8EfffEviiT4_lPKT3_lilS3_lilPT5_lili,comdat
	.globl	_ZL36rocblas_gemvt_double_buffered_kernelILb0ELi128ELi8ELi8EfffEviiT4_lPKT3_lilS3_lilPT5_lili ; -- Begin function _ZL36rocblas_gemvt_double_buffered_kernelILb0ELi128ELi8ELi8EfffEviiT4_lPKT3_lilS3_lilPT5_lili
	.p2align	8
	.type	_ZL36rocblas_gemvt_double_buffered_kernelILb0ELi128ELi8ELi8EfffEviiT4_lPKT3_lilS3_lilPT5_lili,@function
_ZL36rocblas_gemvt_double_buffered_kernelILb0ELi128ELi8ELi8EfffEviiT4_lPKT3_lilS3_lilPT5_lili: ; @_ZL36rocblas_gemvt_double_buffered_kernelILb0ELi128ELi8ELi8EfffEviiT4_lPKT3_lilS3_lilPT5_lili
; %bb.0:
	s_load_dword s5, s[0:1], 0x8
	s_waitcnt lgkmcnt(0)
	v_cmp_eq_f32_e64 s[6:7], s5, 0
	s_and_b64 vcc, exec, s[6:7]
	s_cbranch_vccnz .LBB25_10
; %bb.1:
	s_load_dword s6, s[0:1], 0x84
	s_load_dword s7, s[0:1], 0x0
	s_waitcnt lgkmcnt(0)
	v_cvt_f32_u32_e32 v1, s6
	s_ashr_i32 s8, s7, 31
	s_lshr_b32 s8, s8, 25
	s_sub_i32 s9, 0, s6
	v_rcp_iflag_f32_e32 v1, v1
	s_add_i32 s7, s7, s8
	s_ashr_i32 s7, s7, 7
	v_mul_f32_e32 v1, 0x4f7ffffe, v1
	v_cvt_u32_f32_e32 v1, v1
	s_nop 0
	v_readfirstlane_b32 s8, v1
	s_mul_i32 s9, s9, s8
	s_mul_hi_u32 s9, s8, s9
	s_add_i32 s8, s8, s9
	s_mul_hi_u32 s8, s7, s8
	s_mul_i32 s9, s8, s6
	s_sub_i32 s9, s7, s9
	s_add_i32 s10, s8, 1
	s_sub_i32 s11, s9, s6
	s_cmp_ge_u32 s9, s6
	s_cselect_b32 s8, s10, s8
	s_cselect_b32 s9, s11, s9
	s_add_i32 s10, s8, 1
	s_cmp_ge_u32 s9, s6
	s_cselect_b32 s25, s10, s8
	s_mul_i32 s6, s25, s6
	s_sub_i32 s24, s7, s6
	s_cmp_lt_u32 s3, s24
	s_cselect_b64 s[6:7], -1, 0
	s_cmp_lg_u64 s[6:7], 0
	s_addc_u32 s22, s25, 0
	s_cmp_eq_u32 s22, 0
	s_cbranch_scc1 .LBB25_10
; %bb.2:
	s_load_dwordx4 s[8:11], s[0:1], 0x50
	s_load_dwordx2 s[6:7], s[0:1], 0x60
	v_and_b32_e32 v26, 0x3ff, v0
	v_bfe_u32 v27, v0, 10, 10
	s_lshl_b32 s16, s2, 7
	v_lshl_add_u32 v4, v27, 7, v26
	v_and_b32_e32 v0, 63, v26
	s_ashr_i32 s17, s16, 31
	v_lshrrev_b32_e32 v28, 3, v4
	s_mov_b32 s23, 0
	v_and_b32_e32 v29, 0x7ff8, v28
	s_cmp_lt_i32 s22, 1
	v_mov_b32_e32 v37, 0
	v_lshlrev_b32_e32 v2, 2, v0
	v_mov_b32_e32 v39, 0
	v_mov_b32_e32 v41, 0
	;; [unrolled: 1-line block ×7, first 2 shown]
	s_cbranch_scc1 .LBB25_8
; %bb.3:
	s_load_dword s20, s[0:1], 0x28
	s_load_dwordx4 s[12:15], s[0:1], 0x18
	s_load_dwordx4 s[28:31], s[0:1], 0x30
	s_load_dwordx2 s[26:27], s[0:1], 0x40
	s_load_dword s18, s[0:1], 0x48
	s_waitcnt lgkmcnt(0)
	s_ashr_i32 s21, s20, 31
	v_mov_b32_e32 v1, 0
	s_mul_i32 s2, s4, s29
	s_mul_hi_u32 s29, s4, s28
	s_add_i32 s29, s29, s2
	s_mul_i32 s28, s4, s28
	s_ashr_i32 s19, s18, 31
	s_lshl_b64 s[28:29], s[28:29], 2
	v_mad_i64_i32 v[6:7], s[34:35], s20, v29, v[0:1]
	s_add_u32 s2, s12, s28
	s_addc_u32 s33, s13, s29
	s_lshl_b64 s[34:35], s[14:15], 2
	s_add_u32 s14, s2, s34
	s_mul_i32 s2, s4, s9
	s_mul_hi_u32 s9, s4, s8
	s_addc_u32 s15, s33, s35
	s_add_i32 s9, s9, s2
	s_mul_i32 s8, s4, s8
	s_lshl_b64 s[8:9], s[8:9], 2
	s_mul_i32 s25, s25, s3
	v_cvt_f64_i32_e32 v[10:11], s3
	v_cvt_f64_u32_e32 v[12:13], s24
	s_add_u32 s2, s30, s8
	v_cvt_f64_u32_e32 v[8:9], s25
	v_min_f64 v[10:11], v[10:11], v[12:13]
	s_addc_u32 s30, s31, s9
	s_lshl_b64 s[8:9], s[26:27], 2
	v_add_f64 v[8:9], v[10:11], v[8:9]
	s_add_u32 s8, s2, s8
	v_cvt_i32_f64_e32 v3, v[8:9]
	s_mul_hi_i32 s3, s20, s16
	s_mul_i32 s2, s20, s16
	s_addc_u32 s9, s30, s9
	s_lshl_b64 s[2:3], s[2:3], 2
	v_lshlrev_b32_e32 v8, 7, v3
	s_add_u32 s2, s14, s2
	v_ashrrev_i32_e32 v9, 31, v8
	s_addc_u32 s3, s15, s3
	v_lshlrev_b64 v[20:21], 2, v[8:9]
	v_lshl_add_u64 v[8:9], s[2:3], 0, v[20:21]
	v_lshl_add_u64 v[6:7], v[6:7], 2, v[8:9]
	s_lshl_b64 s[2:3], s[20:21], 2
	v_lshl_add_u64 v[8:9], v[6:7], 0, s[2:3]
	global_load_dword v30, v[6:7], off
	global_load_dword v31, v[8:9], off
	v_lshl_add_u64 v[6:7], v[8:9], 0, s[2:3]
	global_load_dword v32, v[6:7], off
	v_lshl_add_u64 v[6:7], v[6:7], 0, s[2:3]
	;; [unrolled: 2-line block ×6, first 2 shown]
	global_load_dword v38, v[6:7], off
	v_lshrrev_b32_e32 v4, 1, v4
	v_and_b32_e32 v4, 0x1ffe0, v4
	v_mov_b32_e32 v5, v1
	v_lshl_add_u64 v[6:7], s[12:13], 0, v[20:21]
	v_lshl_add_u64 v[22:23], s[16:17], 2, v[4:5]
	;; [unrolled: 1-line block ×5, first 2 shown]
	v_mad_u64_u32 v[6:7], s[12:13], v4, s20, v[18:19]
	v_mul_lo_u32 v4, v4, s21
	v_mul_lo_u32 v5, v5, s20
	v_add3_u32 v7, v5, v7, v4
	s_mov_b64 s[12:13], 0x200
	v_lshl_add_u64 v[4:5], v[6:7], 0, s[12:13]
	v_lshl_add_u64 v[6:7], v[22:23], 0, 8
	v_mad_u64_u32 v[8:9], s[26:27], v6, s20, v[18:19]
	v_mul_lo_u32 v6, v6, s21
	v_mul_lo_u32 v7, v7, s20
	v_add3_u32 v9, v7, v9, v6
	v_lshl_add_u64 v[6:7], v[8:9], 0, s[12:13]
	v_lshl_add_u64 v[8:9], v[22:23], 0, 12
	v_mad_u64_u32 v[10:11], s[26:27], v8, s20, v[18:19]
	v_mul_lo_u32 v8, v8, s21
	v_mul_lo_u32 v9, v9, s20
	v_add3_u32 v11, v9, v11, v8
	v_lshl_add_u64 v[8:9], v[10:11], 0, s[12:13]
	v_lshl_add_u64 v[10:11], v[22:23], 0, 16
	v_mad_u64_u32 v[12:13], s[26:27], v10, s20, v[18:19]
	v_mul_lo_u32 v10, v10, s21
	v_mul_lo_u32 v11, v11, s20
	v_add3_u32 v13, v11, v13, v10
	v_lshl_add_u64 v[10:11], v[12:13], 0, s[12:13]
	v_lshl_add_u64 v[12:13], v[22:23], 0, 20
	v_mad_u64_u32 v[14:15], s[26:27], v12, s20, v[18:19]
	v_mul_lo_u32 v12, v12, s21
	v_mul_lo_u32 v13, v13, s20
	v_add3_u32 v15, v13, v15, v12
	v_lshl_add_u64 v[12:13], v[14:15], 0, s[12:13]
	v_lshl_add_u64 v[14:15], v[22:23], 0, 24
	v_mad_u64_u32 v[16:17], s[26:27], v14, s20, v[18:19]
	v_mul_lo_u32 v14, v14, s21
	v_mul_lo_u32 v15, v15, s20
	v_add3_u32 v17, v15, v17, v14
	v_lshl_add_u64 v[14:15], v[16:17], 0, s[12:13]
	v_lshl_add_u64 v[16:17], v[22:23], 0, 28
	v_mad_u64_u32 v[24:25], s[26:27], v16, s20, v[18:19]
	v_mul_lo_u32 v16, v16, s21
	v_mul_lo_u32 v17, v17, s20
	v_mad_u64_u32 v[18:19], s[26:27], v22, s20, v[18:19]
	v_mul_lo_u32 v22, v22, s21
	v_mul_lo_u32 v23, v23, s20
	v_add3_u32 v25, v17, v25, v16
	v_add3_u32 v19, v23, v19, v22
	v_or_b32_e32 v22, v20, v2
	v_lshl_add_u64 v[16:17], v[24:25], 0, s[12:13]
	v_mul_lo_u32 v24, v21, s18
	v_mul_lo_u32 v23, v22, s19
	v_mad_u64_u32 v[20:21], s[20:21], v22, s18, 0
	v_or_b32_e32 v22, 0x100, v22
	s_lshl_b64 s[14:15], s[18:19], 9
	v_add3_u32 v21, v21, v23, v24
	v_mul_lo_u32 v25, v22, s19
	v_mad_u64_u32 v[22:23], s[18:19], v22, s18, 0
	s_add_i32 s24, s22, -1
	v_mov_b32_e32 v3, v1
	v_add3_u32 v23, v23, v25, v24
	s_mov_b64 s[18:19], 0x100
	v_mov_b32_e32 v44, v1
	v_mov_b32_e32 v42, v1
	;; [unrolled: 1-line block ×7, first 2 shown]
	s_waitcnt vmcnt(7)
	v_mov_b32_e32 v45, v30
	s_waitcnt vmcnt(6)
	v_mov_b32_e32 v46, v31
	;; [unrolled: 2-line block ×8, first 2 shown]
.LBB25_4:                               ; =>This Inner Loop Header: Depth=1
	v_lshl_add_u64 v[24:25], v[18:19], 0, v[2:3]
	v_lshl_add_u64 v[54:55], v[24:25], 0, s[18:19]
	v_lshl_add_u64 v[56:57], v[54:55], 0, s[2:3]
	v_lshl_add_u64 v[58:59], v[56:57], 0, s[2:3]
	v_lshl_add_u64 v[60:61], v[58:59], 0, s[2:3]
	v_lshl_add_u64 v[62:63], v[60:61], 0, s[2:3]
	global_load_dword v53, v[24:25], off offset:256
	global_load_dword v54, v[56:57], off
	global_load_dword v55, v[58:59], off
                                        ; kill: killed $vgpr58_vgpr59
                                        ; kill: killed $vgpr56_vgpr57
	s_nop 0
	global_load_dword v56, v[60:61], off
	global_load_dword v57, v[62:63], off
	v_lshl_add_u64 v[60:61], v[62:63], 0, s[2:3]
	global_load_dword v58, v[60:61], off
	v_lshl_add_u64 v[60:61], v[60:61], 0, s[2:3]
	;; [unrolled: 2-line block ×3, first 2 shown]
	v_lshl_add_u64 v[62:63], s[8:9], 0, v[20:21]
	global_load_dword v60, v[60:61], off
	s_cmp_lg_u32 s24, s23
	global_load_dword v61, v[62:63], off
	s_cbranch_scc0 .LBB25_6
; %bb.5:                                ;   in Loop: Header=BB25_4 Depth=1
	global_load_dword v45, v[24:25], off offset:512
	v_lshl_add_u64 v[24:25], v[4:5], 0, v[2:3]
	global_load_dword v46, v[24:25], off
	v_lshl_add_u64 v[24:25], v[6:7], 0, v[2:3]
	global_load_dword v47, v[24:25], off
	;; [unrolled: 2-line block ×7, first 2 shown]
.LBB25_6:                               ;   in Loop: Header=BB25_4 Depth=1
	v_lshl_add_u64 v[24:25], s[8:9], 0, v[22:23]
	global_load_dword v24, v[24:25], off
	s_add_i32 s23, s23, 1
	s_add_u32 s8, s8, s14
	s_waitcnt vmcnt(1)
	v_fmac_f32_e32 v1, v30, v61
	v_fmac_f32_e32 v44, v31, v61
	;; [unrolled: 1-line block ×8, first 2 shown]
	s_addc_u32 s9, s9, s15
	v_lshl_add_u64 v[4:5], v[4:5], 0, s[12:13]
	v_lshl_add_u64 v[6:7], v[6:7], 0, s[12:13]
	;; [unrolled: 1-line block ×7, first 2 shown]
	s_cmp_ge_i32 s23, s22
	v_lshl_add_u64 v[18:19], v[18:19], 0, s[12:13]
	s_waitcnt vmcnt(0)
	v_fmac_f32_e32 v1, v53, v24
	v_fmac_f32_e32 v44, v54, v24
	;; [unrolled: 1-line block ×8, first 2 shown]
	s_cbranch_scc1 .LBB25_8
; %bb.7:                                ;   in Loop: Header=BB25_4 Depth=1
	v_mov_b32_e32 v30, v45
	v_mov_b32_e32 v31, v46
	v_mov_b32_e32 v32, v47
	v_mov_b32_e32 v33, v48
	v_mov_b32_e32 v34, v49
	v_mov_b32_e32 v35, v50
	v_mov_b32_e32 v36, v51
	v_mov_b32_e32 v38, v52
	s_branch .LBB25_4
.LBB25_8:
	v_lshl_or_b32 v3, v29, 8, v2
	ds_write2st64_b32 v3, v1, v44 offset1:1
	ds_write2st64_b32 v3, v42, v43 offset0:2 offset1:3
	ds_write2st64_b32 v3, v40, v41 offset0:4 offset1:5
	ds_write_b32 v3, v39 offset:1536
	v_lshlrev_b32_e32 v1, 8, v28
	s_movk_i32 s2, 0x700
	v_or3_b32 v1, v1, v2, s2
	v_cmp_eq_u32_e32 vcc, 0, v27
	ds_write_b32 v1, v37
	s_waitcnt lgkmcnt(0)
	s_barrier
	s_and_saveexec_b64 s[2:3], vcc
	s_cbranch_execz .LBB25_10
; %bb.9:
	v_lshlrev_b32_e32 v1, 6, v26
	v_add_u32_e32 v3, 1, v26
	v_add_u32_e32 v4, 2, v26
	;; [unrolled: 1-line block ×7, first 2 shown]
	v_or_b32_e32 v0, v0, v1
	v_and_or_b32 v3, v3, 63, v1
	v_and_or_b32 v4, v4, 63, v1
	;; [unrolled: 1-line block ×7, first 2 shown]
	v_lshlrev_b32_e32 v2, 2, v0
	v_lshlrev_b32_e32 v3, 2, v3
	;; [unrolled: 1-line block ×8, first 2 shown]
	s_load_dwordx2 s[8:9], s[0:1], 0x70
	s_load_dword s2, s[0:1], 0x68
	ds_read_b32 v2, v2
	ds_read_b32 v3, v3
	;; [unrolled: 1-line block ×8, first 2 shown]
	s_waitcnt lgkmcnt(0)
	v_add_f32_e32 v2, 0, v2
	v_add_f32_e32 v2, v2, v3
	;; [unrolled: 1-line block ×8, first 2 shown]
	v_add_u32_e32 v3, 8, v26
	v_add_u32_e32 v4, 9, v26
	v_add_u32_e32 v5, 10, v26
	v_add_u32_e32 v6, 11, v26
	v_add_u32_e32 v7, 12, v26
	v_add_u32_e32 v8, 13, v26
	v_add_u32_e32 v9, 14, v26
	v_add_u32_e32 v10, 15, v26
	v_and_or_b32 v3, v3, 63, v1
	v_and_or_b32 v4, v4, 63, v1
	;; [unrolled: 1-line block ×8, first 2 shown]
	v_lshlrev_b32_e32 v3, 2, v3
	v_lshlrev_b32_e32 v4, 2, v4
	;; [unrolled: 1-line block ×8, first 2 shown]
	ds_read_b32 v3, v3
	ds_read_b32 v4, v4
	;; [unrolled: 1-line block ×8, first 2 shown]
	s_waitcnt lgkmcnt(7)
	v_add_f32_e32 v2, v2, v3
	s_waitcnt lgkmcnt(6)
	v_add_f32_e32 v2, v2, v4
	;; [unrolled: 2-line block ×8, first 2 shown]
	v_add_u32_e32 v3, 16, v26
	v_add_u32_e32 v4, 17, v26
	v_add_u32_e32 v5, 18, v26
	v_add_u32_e32 v6, 19, v26
	v_add_u32_e32 v7, 20, v26
	v_add_u32_e32 v8, 21, v26
	v_add_u32_e32 v9, 22, v26
	v_add_u32_e32 v10, 23, v26
	v_and_or_b32 v3, v3, 63, v1
	v_and_or_b32 v4, v4, 63, v1
	;; [unrolled: 1-line block ×8, first 2 shown]
	v_lshlrev_b32_e32 v3, 2, v3
	v_lshlrev_b32_e32 v4, 2, v4
	;; [unrolled: 1-line block ×8, first 2 shown]
	ds_read_b32 v3, v3
	ds_read_b32 v4, v4
	;; [unrolled: 1-line block ×8, first 2 shown]
	s_waitcnt lgkmcnt(7)
	v_add_f32_e32 v2, v2, v3
	s_waitcnt lgkmcnt(6)
	v_add_f32_e32 v2, v2, v4
	;; [unrolled: 2-line block ×8, first 2 shown]
	v_add_u32_e32 v3, 24, v26
	v_add_u32_e32 v4, 25, v26
	;; [unrolled: 1-line block ×8, first 2 shown]
	v_and_or_b32 v3, v3, 63, v1
	v_and_or_b32 v4, v4, 63, v1
	;; [unrolled: 1-line block ×8, first 2 shown]
	v_lshlrev_b32_e32 v3, 2, v3
	v_lshlrev_b32_e32 v4, 2, v4
	;; [unrolled: 1-line block ×8, first 2 shown]
	ds_read_b32 v3, v3
	ds_read_b32 v4, v4
	ds_read_b32 v5, v5
	ds_read_b32 v6, v6
	ds_read_b32 v7, v7
	ds_read_b32 v8, v8
	ds_read_b32 v9, v9
	ds_read_b32 v10, v10
	s_waitcnt lgkmcnt(7)
	v_add_f32_e32 v2, v2, v3
	s_waitcnt lgkmcnt(6)
	v_add_f32_e32 v2, v2, v4
	;; [unrolled: 2-line block ×7, first 2 shown]
	v_add_u32_e32 v3, 33, v26
	v_add_u32_e32 v4, 34, v26
	;; [unrolled: 1-line block ×7, first 2 shown]
	v_xor_b32_e32 v0, 32, v0
	v_and_or_b32 v3, v3, 63, v1
	v_and_or_b32 v4, v4, 63, v1
	;; [unrolled: 1-line block ×7, first 2 shown]
	v_lshlrev_b32_e32 v0, 2, v0
	v_lshlrev_b32_e32 v3, 2, v3
	;; [unrolled: 1-line block ×8, first 2 shown]
	s_waitcnt lgkmcnt(0)
	v_add_f32_e32 v2, v2, v10
	ds_read_b32 v0, v0
	ds_read_b32 v3, v3
	;; [unrolled: 1-line block ×8, first 2 shown]
	s_waitcnt lgkmcnt(7)
	v_add_f32_e32 v0, v2, v0
	s_waitcnt lgkmcnt(6)
	v_add_f32_e32 v0, v0, v3
	;; [unrolled: 2-line block ×8, first 2 shown]
	v_add_u32_e32 v2, 40, v26
	v_add_u32_e32 v3, 41, v26
	v_add_u32_e32 v4, 42, v26
	v_add_u32_e32 v5, 43, v26
	v_add_u32_e32 v6, 44, v26
	v_add_u32_e32 v7, 45, v26
	v_add_u32_e32 v8, 46, v26
	v_add_u32_e32 v9, 47, v26
	v_and_or_b32 v2, v2, 63, v1
	v_and_or_b32 v3, v3, 63, v1
	v_and_or_b32 v4, v4, 63, v1
	v_and_or_b32 v5, v5, 63, v1
	v_and_or_b32 v6, v6, 63, v1
	v_and_or_b32 v7, v7, 63, v1
	v_and_or_b32 v8, v8, 63, v1
	v_and_or_b32 v9, v9, 63, v1
	v_lshlrev_b32_e32 v2, 2, v2
	v_lshlrev_b32_e32 v3, 2, v3
	;; [unrolled: 1-line block ×8, first 2 shown]
	ds_read_b32 v2, v2
	ds_read_b32 v3, v3
	;; [unrolled: 1-line block ×8, first 2 shown]
	s_waitcnt lgkmcnt(7)
	v_add_f32_e32 v0, v0, v2
	s_waitcnt lgkmcnt(6)
	v_add_f32_e32 v0, v0, v3
	;; [unrolled: 2-line block ×8, first 2 shown]
	v_add_u32_e32 v2, 48, v26
	v_add_u32_e32 v3, 49, v26
	;; [unrolled: 1-line block ×8, first 2 shown]
	v_and_or_b32 v2, v2, 63, v1
	v_and_or_b32 v3, v3, 63, v1
	;; [unrolled: 1-line block ×8, first 2 shown]
	v_lshlrev_b32_e32 v2, 2, v2
	v_lshlrev_b32_e32 v3, 2, v3
	;; [unrolled: 1-line block ×8, first 2 shown]
	ds_read_b32 v2, v2
	ds_read_b32 v3, v3
	;; [unrolled: 1-line block ×8, first 2 shown]
	s_waitcnt lgkmcnt(7)
	v_add_f32_e32 v0, v0, v2
	s_waitcnt lgkmcnt(6)
	v_add_f32_e32 v0, v0, v3
	;; [unrolled: 2-line block ×8, first 2 shown]
	v_add_u32_e32 v2, 56, v26
	v_add_u32_e32 v3, 57, v26
	v_add_u32_e32 v4, 58, v26
	v_add_u32_e32 v5, 59, v26
	v_add_u32_e32 v6, 60, v26
	v_add_u32_e32 v7, 61, v26
	v_add_u32_e32 v8, 62, v26
	v_add_u32_e32 v9, -1, v26
	s_mul_i32 s1, s4, s9
	s_mul_hi_u32 s3, s4, s8
	v_and_or_b32 v2, v2, 63, v1
	v_and_or_b32 v3, v3, 63, v1
	;; [unrolled: 1-line block ×8, first 2 shown]
	s_mul_i32 s0, s4, s8
	s_add_i32 s1, s3, s1
	v_lshlrev_b32_e32 v2, 2, v2
	v_lshlrev_b32_e32 v3, 2, v3
	v_lshlrev_b32_e32 v4, 2, v4
	v_lshlrev_b32_e32 v5, 2, v5
	v_lshlrev_b32_e32 v6, 2, v6
	v_lshlrev_b32_e32 v7, 2, v7
	v_lshlrev_b32_e32 v8, 2, v8
	v_lshlrev_b32_e32 v1, 2, v1
	s_lshl_b64 s[0:1], s[0:1], 2
	ds_read_b32 v2, v2
	ds_read_b32 v3, v3
	;; [unrolled: 1-line block ×8, first 2 shown]
	s_waitcnt lgkmcnt(7)
	v_add_f32_e32 v0, v0, v2
	s_add_u32 s3, s10, s0
	s_waitcnt lgkmcnt(6)
	v_add_f32_e32 v0, v0, v3
	s_addc_u32 s4, s11, s1
	s_lshl_b64 s[0:1], s[6:7], 2
	s_waitcnt lgkmcnt(5)
	v_add_f32_e32 v0, v0, v4
	s_add_u32 s3, s3, s0
	s_waitcnt lgkmcnt(4)
	v_add_f32_e32 v0, v0, v5
	s_addc_u32 s4, s4, s1
	s_mul_hi_i32 s1, s2, s16
	s_mul_i32 s0, s2, s16
	s_waitcnt lgkmcnt(3)
	v_add_f32_e32 v0, v0, v6
	s_lshl_b64 s[0:1], s[0:1], 2
	s_waitcnt lgkmcnt(2)
	v_add_f32_e32 v0, v0, v7
	s_add_u32 s0, s3, s0
	s_waitcnt lgkmcnt(1)
	v_add_f32_e32 v0, v0, v8
	s_addc_u32 s1, s4, s1
	s_waitcnt lgkmcnt(0)
	v_add_f32_e32 v2, v0, v1
	v_mad_i64_i32 v[0:1], s[2:3], s2, v26, 0
	v_lshl_add_u64 v[0:1], v[0:1], 2, s[0:1]
	v_mul_f32_e32 v2, s5, v2
	global_atomic_add_f32 v[0:1], v2, off
.LBB25_10:
	s_endpgm
	.section	.rodata,"a",@progbits
	.p2align	6, 0x0
	.amdhsa_kernel _ZL36rocblas_gemvt_double_buffered_kernelILb0ELi128ELi8ELi8EfffEviiT4_lPKT3_lilS3_lilPT5_lili
		.amdhsa_group_segment_fixed_size 32768
		.amdhsa_private_segment_fixed_size 0
		.amdhsa_kernarg_size 384
		.amdhsa_user_sgpr_count 2
		.amdhsa_user_sgpr_dispatch_ptr 0
		.amdhsa_user_sgpr_queue_ptr 0
		.amdhsa_user_sgpr_kernarg_segment_ptr 1
		.amdhsa_user_sgpr_dispatch_id 0
		.amdhsa_user_sgpr_kernarg_preload_length 0
		.amdhsa_user_sgpr_kernarg_preload_offset 0
		.amdhsa_user_sgpr_private_segment_size 0
		.amdhsa_uses_dynamic_stack 0
		.amdhsa_enable_private_segment 0
		.amdhsa_system_sgpr_workgroup_id_x 1
		.amdhsa_system_sgpr_workgroup_id_y 1
		.amdhsa_system_sgpr_workgroup_id_z 1
		.amdhsa_system_sgpr_workgroup_info 0
		.amdhsa_system_vgpr_workitem_id 1
		.amdhsa_next_free_vgpr 64
		.amdhsa_next_free_sgpr 36
		.amdhsa_accum_offset 64
		.amdhsa_reserve_vcc 1
		.amdhsa_float_round_mode_32 0
		.amdhsa_float_round_mode_16_64 0
		.amdhsa_float_denorm_mode_32 3
		.amdhsa_float_denorm_mode_16_64 3
		.amdhsa_dx10_clamp 1
		.amdhsa_ieee_mode 1
		.amdhsa_fp16_overflow 0
		.amdhsa_tg_split 0
		.amdhsa_exception_fp_ieee_invalid_op 0
		.amdhsa_exception_fp_denorm_src 0
		.amdhsa_exception_fp_ieee_div_zero 0
		.amdhsa_exception_fp_ieee_overflow 0
		.amdhsa_exception_fp_ieee_underflow 0
		.amdhsa_exception_fp_ieee_inexact 0
		.amdhsa_exception_int_div_zero 0
	.end_amdhsa_kernel
	.section	.text._ZL36rocblas_gemvt_double_buffered_kernelILb0ELi128ELi8ELi8EfffEviiT4_lPKT3_lilS3_lilPT5_lili,"axG",@progbits,_ZL36rocblas_gemvt_double_buffered_kernelILb0ELi128ELi8ELi8EfffEviiT4_lPKT3_lilS3_lilPT5_lili,comdat
.Lfunc_end25:
	.size	_ZL36rocblas_gemvt_double_buffered_kernelILb0ELi128ELi8ELi8EfffEviiT4_lPKT3_lilS3_lilPT5_lili, .Lfunc_end25-_ZL36rocblas_gemvt_double_buffered_kernelILb0ELi128ELi8ELi8EfffEviiT4_lPKT3_lilS3_lilPT5_lili
                                        ; -- End function
	.section	.AMDGPU.csdata,"",@progbits
; Kernel info:
; codeLenInByte = 3948
; NumSgprs: 42
; NumVgprs: 64
; NumAgprs: 0
; TotalNumVgprs: 64
; ScratchSize: 0
; MemoryBound: 0
; FloatMode: 240
; IeeeMode: 1
; LDSByteSize: 32768 bytes/workgroup (compile time only)
; SGPRBlocks: 5
; VGPRBlocks: 7
; NumSGPRsForWavesPerEU: 42
; NumVGPRsForWavesPerEU: 64
; AccumOffset: 64
; Occupancy: 8
; WaveLimiterHint : 0
; COMPUTE_PGM_RSRC2:SCRATCH_EN: 0
; COMPUTE_PGM_RSRC2:USER_SGPR: 2
; COMPUTE_PGM_RSRC2:TRAP_HANDLER: 0
; COMPUTE_PGM_RSRC2:TGID_X_EN: 1
; COMPUTE_PGM_RSRC2:TGID_Y_EN: 1
; COMPUTE_PGM_RSRC2:TGID_Z_EN: 1
; COMPUTE_PGM_RSRC2:TIDIG_COMP_CNT: 1
; COMPUTE_PGM_RSRC3_GFX90A:ACCUM_OFFSET: 15
; COMPUTE_PGM_RSRC3_GFX90A:TG_SPLIT: 0
	.section	.text._ZL32rocblas_gemvt_warp_reduce_kernelILb0ELi256EifPKffEviiT3_lPKT2_lT1_lS5_lS6_lS2_lPT4_lS6_li,"axG",@progbits,_ZL32rocblas_gemvt_warp_reduce_kernelILb0ELi256EifPKffEviiT3_lPKT2_lT1_lS5_lS6_lS2_lPT4_lS6_li,comdat
	.globl	_ZL32rocblas_gemvt_warp_reduce_kernelILb0ELi256EifPKffEviiT3_lPKT2_lT1_lS5_lS6_lS2_lPT4_lS6_li ; -- Begin function _ZL32rocblas_gemvt_warp_reduce_kernelILb0ELi256EifPKffEviiT3_lPKT2_lT1_lS5_lS6_lS2_lPT4_lS6_li
	.p2align	8
	.type	_ZL32rocblas_gemvt_warp_reduce_kernelILb0ELi256EifPKffEviiT3_lPKT2_lT1_lS5_lS6_lS2_lPT4_lS6_li,@function
_ZL32rocblas_gemvt_warp_reduce_kernelILb0ELi256EifPKffEviiT3_lPKT2_lT1_lS5_lS6_lS2_lPT4_lS6_li: ; @_ZL32rocblas_gemvt_warp_reduce_kernelILb0ELi256EifPKffEviiT3_lPKT2_lT1_lS5_lS6_lS2_lPT4_lS6_li
; %bb.0:
	s_load_dwordx8 s[4:11], s[0:1], 0x8
	s_load_dwordx8 s[12:19], s[0:1], 0x50
	s_waitcnt lgkmcnt(0)
	s_mul_i32 s7, s3, s7
	s_mul_hi_u32 s20, s3, s6
	s_add_i32 s7, s20, s7
	s_mul_i32 s6, s3, s6
	s_lshl_b64 s[6:7], s[6:7], 2
	s_add_u32 s4, s4, s6
	s_addc_u32 s5, s5, s7
	s_load_dword s23, s[4:5], 0x0
	s_mul_i32 s4, s3, s17
	s_mul_hi_u32 s5, s3, s16
	s_add_i32 s5, s5, s4
	s_mul_i32 s4, s3, s16
	s_lshl_b64 s[4:5], s[4:5], 2
	s_add_u32 s4, s14, s4
	s_addc_u32 s5, s15, s5
	s_load_dword s22, s[4:5], 0x0
	s_waitcnt lgkmcnt(0)
	v_cmp_eq_f32_e64 s[4:5], s23, 0
	v_cmp_eq_f32_e64 s[6:7], s22, 1.0
	s_and_b64 s[4:5], s[4:5], s[6:7]
	s_and_b64 vcc, exec, s[4:5]
	s_cbranch_vccnz .LBB26_29
; %bb.1:
	s_load_dwordx2 s[4:5], s[0:1], 0x80
	s_load_dwordx2 s[6:7], s[0:1], 0x70
	s_load_dword s24, s[0:1], 0x78
	s_waitcnt lgkmcnt(0)
	s_mul_i32 s5, s3, s5
	s_mul_hi_u32 s14, s3, s4
	s_mul_i32 s4, s3, s4
	s_add_i32 s5, s14, s5
	s_lshl_b64 s[4:5], s[4:5], 2
	s_add_u32 s14, s18, s4
	s_addc_u32 s15, s19, s5
	s_lshl_b64 s[4:5], s[6:7], 2
	s_add_u32 s20, s14, s4
	s_addc_u32 s21, s15, s5
	v_cmp_neq_f32_e64 s[4:5], s23, 0
	s_and_b64 vcc, exec, s[4:5]
	v_cmp_eq_u32_e64 s[4:5], 0, v0
	s_cbranch_vccnz .LBB26_6
; %bb.2:
	s_mov_b64 s[16:17], 0
	s_mov_b64 s[6:7], 0
                                        ; implicit-def: $vgpr1
                                        ; implicit-def: $sgpr14_sgpr15
	s_and_saveexec_b64 s[18:19], s[4:5]
	s_cbranch_execz .LBB26_7
; %bb.3:
	v_cmp_eq_f32_e64 s[4:5], s22, 0
	s_mul_i32 s14, s2, s24
	v_mov_b32_e32 v1, 0
	s_ashr_i32 s15, s14, 31
	s_and_b64 vcc, exec, s[4:5]
	s_cbranch_vccnz .LBB26_5
; %bb.4:
	s_lshl_b64 s[4:5], s[14:15], 2
	s_add_u32 s4, s20, s4
	s_addc_u32 s5, s21, s5
	s_load_dword s4, s[4:5], 0x0
	s_waitcnt lgkmcnt(0)
	v_mov_b32_e32 v1, s4
	v_mul_f32_e32 v1, s22, v1
.LBB26_5:
	s_mov_b64 s[6:7], exec
	s_or_b64 exec, exec, s[18:19]
	s_and_b64 vcc, exec, s[16:17]
	s_cbranch_vccnz .LBB26_8
	s_branch .LBB26_27
.LBB26_6:
	s_mov_b64 s[6:7], 0
                                        ; implicit-def: $vgpr1
                                        ; implicit-def: $sgpr14_sgpr15
	s_cbranch_execnz .LBB26_8
	s_branch .LBB26_27
.LBB26_7:
	s_or_b64 exec, exec, s[18:19]
	s_and_b64 vcc, exec, s[16:17]
	s_cbranch_vccz .LBB26_27
.LBB26_8:
	s_load_dword s14, s[0:1], 0x0
	s_load_dword s25, s[0:1], 0x28
	s_load_dwordx4 s[16:19], s[0:1], 0x30
	s_load_dwordx2 s[4:5], s[0:1], 0x40
	s_mul_i32 s13, s3, s13
	s_mul_hi_u32 s15, s3, s12
	s_add_i32 s13, s15, s13
	s_mul_i32 s12, s3, s12
	s_lshl_b64 s[12:13], s[12:13], 2
	s_waitcnt lgkmcnt(0)
	s_add_u32 s12, s18, s12
	s_addc_u32 s13, s19, s13
	s_lshl_b64 s[4:5], s[4:5], 2
	s_add_u32 s4, s12, s4
	s_load_dword s15, s[0:1], 0x48
	s_mul_i32 s0, s3, s17
	s_mul_hi_u32 s1, s3, s16
	s_addc_u32 s5, s13, s5
	s_add_i32 s1, s1, s0
	s_mul_i32 s0, s3, s16
	s_lshl_b64 s[0:1], s[0:1], 2
	s_add_u32 s3, s8, s0
	s_addc_u32 s8, s9, s1
	s_lshl_b64 s[0:1], s[10:11], 2
	s_add_u32 s3, s3, s0
	s_mul_i32 s0, s2, s25
	s_addc_u32 s8, s8, s1
	s_ashr_i32 s1, s0, 31
	v_cmp_gt_i32_e32 vcc, s14, v0
	s_lshl_b64 s[0:1], s[0:1], 2
	s_add_u32 s0, s0, s3
	v_cndmask_b32_e32 v1, 0, v0, vcc
	v_lshlrev_b32_e32 v2, 2, v1
	v_mov_b32_e32 v3, 0
	s_addc_u32 s1, s1, s8
	v_lshl_add_u64 v[4:5], s[0:1], 0, v[2:3]
	s_ashr_i32 s0, s14, 31
	s_lshr_b32 s0, s0, 24
	s_add_i32 s0, s14, s0
	s_and_b32 s0, s0, 0xffffff00
	v_cmp_gt_i32_e32 vcc, s0, v0
	s_and_saveexec_b64 s[8:9], vcc
	s_cbranch_execz .LBB26_12
; %bb.9:
	s_waitcnt lgkmcnt(0)
	v_mul_lo_u32 v6, v0, s15
	s_lshl_b32 s1, s15, 8
	s_mov_b64 s[10:11], 0
	v_mov_b32_e32 v3, 0
	s_mov_b64 s[12:13], 0x400
	v_mov_b64_e32 v[8:9], v[4:5]
	v_mov_b32_e32 v1, v0
.LBB26_10:                              ; =>This Inner Loop Header: Depth=1
	v_ashrrev_i32_e32 v7, 31, v6
	v_lshl_add_u64 v[10:11], v[6:7], 2, s[4:5]
	global_load_dword v2, v[8:9], off
	global_load_dword v7, v[10:11], off
	v_add_u32_e32 v1, 0x100, v1
	v_cmp_le_i32_e32 vcc, s0, v1
	v_lshl_add_u64 v[8:9], v[8:9], 0, s[12:13]
	v_add_u32_e32 v6, s1, v6
	s_or_b64 s[10:11], vcc, s[10:11]
	s_waitcnt vmcnt(0)
	v_fmac_f32_e32 v3, v2, v7
	s_andn2_b64 exec, exec, s[10:11]
	s_cbranch_execnz .LBB26_10
; %bb.11:
	s_or_b64 exec, exec, s[10:11]
.LBB26_12:
	s_or_b64 exec, exec, s[8:9]
	v_add_u32_e32 v1, s0, v0
	v_cmp_gt_i32_e32 vcc, s14, v1
	s_and_saveexec_b64 s[8:9], vcc
	s_cbranch_execz .LBB26_14
; %bb.13:
	s_ashr_i32 s1, s0, 31
	v_lshl_add_u64 v[4:5], s[0:1], 2, v[4:5]
	global_load_dword v2, v[4:5], off
	s_waitcnt lgkmcnt(0)
	v_mul_lo_u32 v4, v1, s15
	v_ashrrev_i32_e32 v5, 31, v4
	v_lshl_add_u64 v[4:5], v[4:5], 2, s[4:5]
	global_load_dword v1, v[4:5], off
	s_waitcnt vmcnt(0)
	v_fmac_f32_e32 v3, v2, v1
.LBB26_14:
	s_or_b64 exec, exec, s[8:9]
	v_and_b32_e32 v2, 63, v0
	v_cmp_gt_u32_e32 vcc, 64, v0
	v_lshlrev_b32_e32 v1, 2, v2
	s_and_saveexec_b64 s[0:1], vcc
	s_cbranch_execz .LBB26_16
; %bb.15:
	v_mov_b32_e32 v4, 0
	ds_write_b32 v1, v4
.LBB26_16:
	s_or_b64 exec, exec, s[0:1]
	v_mbcnt_lo_u32_b32 v4, -1, 0
	v_mbcnt_hi_u32_b32 v4, -1, v4
	v_and_b32_e32 v5, 63, v4
	v_cmp_gt_u32_e64 s[0:1], 32, v5
	s_waitcnt lgkmcnt(0)
	s_barrier
	v_cndmask_b32_e64 v6, 0, 1, s[0:1]
	v_lshlrev_b32_e32 v6, 5, v6
	v_add_lshl_u32 v6, v6, v4, 2
	ds_bpermute_b32 v6, v6, v3
	v_cmp_gt_u32_e64 s[0:1], 48, v5
	s_waitcnt lgkmcnt(0)
	v_add_f32_e32 v3, v3, v6
	v_cndmask_b32_e64 v7, 0, 1, s[0:1]
	v_lshlrev_b32_e32 v7, 4, v7
	v_add_lshl_u32 v6, v7, v4, 2
	ds_bpermute_b32 v6, v6, v3
	v_cmp_gt_u32_e64 s[0:1], 56, v5
	s_waitcnt lgkmcnt(0)
	v_add_f32_e32 v3, v3, v6
	;; [unrolled: 7-line block ×4, first 2 shown]
	v_cndmask_b32_e64 v7, 0, 1, s[0:1]
	v_lshlrev_b32_e32 v7, 1, v7
	v_add_lshl_u32 v3, v7, v4, 2
	ds_bpermute_b32 v7, v3, v6
	v_cmp_ne_u32_e64 s[0:1], 63, v5
	s_waitcnt lgkmcnt(0)
	v_add_f32_e32 v5, v6, v7
	v_addc_co_u32_e64 v4, s[0:1], 0, v4, s[0:1]
	v_lshlrev_b32_e32 v4, 2, v4
	ds_bpermute_b32 v6, v4, v5
	v_cmp_eq_u32_e64 s[0:1], 0, v2
	s_and_saveexec_b64 s[4:5], s[0:1]
	s_cbranch_execz .LBB26_18
; %bb.17:
	v_lshrrev_b32_e32 v2, 4, v0
	v_and_b32_e32 v2, 12, v2
	s_waitcnt lgkmcnt(0)
	v_add_f32_e32 v5, v5, v6
	ds_write_b32 v2, v5
.LBB26_18:
	s_or_b64 exec, exec, s[4:5]
	v_cmp_gt_u32_e64 s[0:1], 4, v0
	v_mov_b32_e32 v2, 0
	s_waitcnt lgkmcnt(0)
	s_barrier
	s_and_saveexec_b64 s[4:5], s[0:1]
	s_cbranch_execz .LBB26_20
; %bb.19:
	ds_read_b32 v2, v1
	s_or_b64 exec, exec, s[4:5]
	s_and_saveexec_b64 s[0:1], vcc
	s_cbranch_execz .LBB26_22
	s_branch .LBB26_21
.LBB26_20:
	s_or_b64 exec, exec, s[4:5]
	s_and_saveexec_b64 s[0:1], vcc
	s_cbranch_execz .LBB26_22
.LBB26_21:
	s_waitcnt lgkmcnt(0)
	ds_bpermute_b32 v1, v3, v2
	s_waitcnt lgkmcnt(0)
	v_add_f32_e32 v1, v2, v1
	ds_bpermute_b32 v2, v4, v1
	s_waitcnt lgkmcnt(0)
	v_add_f32_e32 v2, v1, v2
.LBB26_22:
	s_or_b64 exec, exec, s[0:1]
	v_cmp_eq_u32_e32 vcc, 0, v0
                                        ; implicit-def: $vgpr1
                                        ; implicit-def: $sgpr14_sgpr15
	s_and_saveexec_b64 s[0:1], vcc
	s_cbranch_execz .LBB26_26
; %bb.23:
	v_cmp_eq_f32_e64 s[4:5], s22, 0
	s_mul_i32 s14, s2, s24
	s_waitcnt lgkmcnt(0)
	v_mul_f32_e32 v1, s23, v2
	s_ashr_i32 s15, s14, 31
	s_and_b64 vcc, exec, s[4:5]
	s_cbranch_vccnz .LBB26_25
; %bb.24:
	s_lshl_b64 s[2:3], s[14:15], 2
	s_add_u32 s2, s20, s2
	s_addc_u32 s3, s21, s3
	s_load_dword s2, s[2:3], 0x0
	s_waitcnt lgkmcnt(0)
	v_mov_b32_e32 v0, s2
	v_fmac_f32_e32 v1, s22, v0
.LBB26_25:
	s_or_b64 s[6:7], s[6:7], exec
.LBB26_26:
	s_or_b64 exec, exec, s[0:1]
.LBB26_27:
	s_and_saveexec_b64 s[0:1], s[6:7]
	s_cbranch_execz .LBB26_29
; %bb.28:
	s_lshl_b64 s[0:1], s[14:15], 2
	s_add_u32 s0, s20, s0
	s_addc_u32 s1, s21, s1
	v_mov_b32_e32 v0, 0
	global_store_dword v0, v1, s[0:1]
.LBB26_29:
	s_endpgm
	.section	.rodata,"a",@progbits
	.p2align	6, 0x0
	.amdhsa_kernel _ZL32rocblas_gemvt_warp_reduce_kernelILb0ELi256EifPKffEviiT3_lPKT2_lT1_lS5_lS6_lS2_lPT4_lS6_li
		.amdhsa_group_segment_fixed_size 256
		.amdhsa_private_segment_fixed_size 0
		.amdhsa_kernarg_size 140
		.amdhsa_user_sgpr_count 2
		.amdhsa_user_sgpr_dispatch_ptr 0
		.amdhsa_user_sgpr_queue_ptr 0
		.amdhsa_user_sgpr_kernarg_segment_ptr 1
		.amdhsa_user_sgpr_dispatch_id 0
		.amdhsa_user_sgpr_kernarg_preload_length 0
		.amdhsa_user_sgpr_kernarg_preload_offset 0
		.amdhsa_user_sgpr_private_segment_size 0
		.amdhsa_uses_dynamic_stack 0
		.amdhsa_enable_private_segment 0
		.amdhsa_system_sgpr_workgroup_id_x 1
		.amdhsa_system_sgpr_workgroup_id_y 0
		.amdhsa_system_sgpr_workgroup_id_z 1
		.amdhsa_system_sgpr_workgroup_info 0
		.amdhsa_system_vgpr_workitem_id 0
		.amdhsa_next_free_vgpr 12
		.amdhsa_next_free_sgpr 26
		.amdhsa_accum_offset 12
		.amdhsa_reserve_vcc 1
		.amdhsa_float_round_mode_32 0
		.amdhsa_float_round_mode_16_64 0
		.amdhsa_float_denorm_mode_32 3
		.amdhsa_float_denorm_mode_16_64 3
		.amdhsa_dx10_clamp 1
		.amdhsa_ieee_mode 1
		.amdhsa_fp16_overflow 0
		.amdhsa_tg_split 0
		.amdhsa_exception_fp_ieee_invalid_op 0
		.amdhsa_exception_fp_denorm_src 0
		.amdhsa_exception_fp_ieee_div_zero 0
		.amdhsa_exception_fp_ieee_overflow 0
		.amdhsa_exception_fp_ieee_underflow 0
		.amdhsa_exception_fp_ieee_inexact 0
		.amdhsa_exception_int_div_zero 0
	.end_amdhsa_kernel
	.section	.text._ZL32rocblas_gemvt_warp_reduce_kernelILb0ELi256EifPKffEviiT3_lPKT2_lT1_lS5_lS6_lS2_lPT4_lS6_li,"axG",@progbits,_ZL32rocblas_gemvt_warp_reduce_kernelILb0ELi256EifPKffEviiT3_lPKT2_lT1_lS5_lS6_lS2_lPT4_lS6_li,comdat
.Lfunc_end26:
	.size	_ZL32rocblas_gemvt_warp_reduce_kernelILb0ELi256EifPKffEviiT3_lPKT2_lT1_lS5_lS6_lS2_lPT4_lS6_li, .Lfunc_end26-_ZL32rocblas_gemvt_warp_reduce_kernelILb0ELi256EifPKffEviiT3_lPKT2_lT1_lS5_lS6_lS2_lPT4_lS6_li
                                        ; -- End function
	.section	.AMDGPU.csdata,"",@progbits
; Kernel info:
; codeLenInByte = 1316
; NumSgprs: 32
; NumVgprs: 12
; NumAgprs: 0
; TotalNumVgprs: 12
; ScratchSize: 0
; MemoryBound: 0
; FloatMode: 240
; IeeeMode: 1
; LDSByteSize: 256 bytes/workgroup (compile time only)
; SGPRBlocks: 3
; VGPRBlocks: 1
; NumSGPRsForWavesPerEU: 32
; NumVGPRsForWavesPerEU: 12
; AccumOffset: 12
; Occupancy: 8
; WaveLimiterHint : 1
; COMPUTE_PGM_RSRC2:SCRATCH_EN: 0
; COMPUTE_PGM_RSRC2:USER_SGPR: 2
; COMPUTE_PGM_RSRC2:TRAP_HANDLER: 0
; COMPUTE_PGM_RSRC2:TGID_X_EN: 1
; COMPUTE_PGM_RSRC2:TGID_Y_EN: 0
; COMPUTE_PGM_RSRC2:TGID_Z_EN: 1
; COMPUTE_PGM_RSRC2:TIDIG_COMP_CNT: 0
; COMPUTE_PGM_RSRC3_GFX90A:ACCUM_OFFSET: 2
; COMPUTE_PGM_RSRC3_GFX90A:TG_SPLIT: 0
	.section	.text._ZL32rocblas_gemvt_warp_reduce_kernelILb0ELi256ElfPKffEviiT3_lPKT2_lT1_lS5_lS6_lS2_lPT4_lS6_li,"axG",@progbits,_ZL32rocblas_gemvt_warp_reduce_kernelILb0ELi256ElfPKffEviiT3_lPKT2_lT1_lS5_lS6_lS2_lPT4_lS6_li,comdat
	.globl	_ZL32rocblas_gemvt_warp_reduce_kernelILb0ELi256ElfPKffEviiT3_lPKT2_lT1_lS5_lS6_lS2_lPT4_lS6_li ; -- Begin function _ZL32rocblas_gemvt_warp_reduce_kernelILb0ELi256ElfPKffEviiT3_lPKT2_lT1_lS5_lS6_lS2_lPT4_lS6_li
	.p2align	8
	.type	_ZL32rocblas_gemvt_warp_reduce_kernelILb0ELi256ElfPKffEviiT3_lPKT2_lT1_lS5_lS6_lS2_lPT4_lS6_li,@function
_ZL32rocblas_gemvt_warp_reduce_kernelILb0ELi256ElfPKffEviiT3_lPKT2_lT1_lS5_lS6_lS2_lPT4_lS6_li: ; @_ZL32rocblas_gemvt_warp_reduce_kernelILb0ELi256ElfPKffEviiT3_lPKT2_lT1_lS5_lS6_lS2_lPT4_lS6_li
; %bb.0:
	s_load_dwordx16 s[36:51], s[0:1], 0x8
	s_load_dwordx16 s[8:23], s[0:1], 0x48
	s_waitcnt lgkmcnt(0)
	s_mul_i32 s4, s3, s39
	s_mul_hi_u32 s5, s3, s38
	s_add_i32 s5, s5, s4
	s_mul_i32 s4, s3, s38
	s_lshl_b64 s[4:5], s[4:5], 2
	s_add_u32 s4, s36, s4
	s_addc_u32 s5, s37, s5
	s_load_dword s25, s[4:5], 0x0
	s_mul_i32 s4, s3, s15
	s_mul_hi_u32 s5, s3, s14
	s_add_i32 s5, s5, s4
	s_mul_i32 s4, s3, s14
	s_lshl_b64 s[4:5], s[4:5], 2
	s_add_u32 s4, s12, s4
	s_addc_u32 s5, s13, s5
	s_load_dword s24, s[4:5], 0x0
	s_waitcnt lgkmcnt(0)
	v_cmp_eq_f32_e64 s[4:5], s25, 0
	v_cmp_eq_f32_e64 s[6:7], s24, 1.0
	s_and_b64 s[4:5], s[4:5], s[6:7]
	s_and_b64 vcc, exec, s[4:5]
	s_cbranch_vccnz .LBB27_29
; %bb.1:
	s_mul_i32 s4, s3, s23
	s_mul_hi_u32 s5, s3, s22
	s_add_i32 s5, s5, s4
	s_mul_i32 s4, s3, s22
	s_lshl_b64 s[4:5], s[4:5], 2
	s_add_u32 s6, s16, s4
	s_addc_u32 s7, s17, s5
	s_lshl_b64 s[4:5], s[18:19], 2
	s_add_u32 s18, s6, s4
	s_addc_u32 s19, s7, s5
	v_cmp_neq_f32_e64 s[4:5], s25, 0
	s_and_b64 vcc, exec, s[4:5]
	v_cmp_eq_u32_e64 s[4:5], 0, v0
	s_cbranch_vccnz .LBB27_6
; %bb.2:
	s_mov_b64 s[14:15], 0
	s_mov_b64 s[6:7], 0
                                        ; implicit-def: $vgpr1
                                        ; implicit-def: $sgpr12_sgpr13
	s_and_saveexec_b64 s[16:17], s[4:5]
	s_cbranch_execz .LBB27_7
; %bb.3:
	s_ashr_i32 s6, s2, 31
	s_mul_i32 s7, s2, s21
	s_mul_hi_u32 s12, s2, s20
	v_cmp_eq_f32_e64 s[4:5], s24, 0
	s_add_i32 s7, s12, s7
	s_mul_i32 s6, s6, s20
	v_mov_b32_e32 v1, 0
	s_add_i32 s13, s7, s6
	s_mul_i32 s12, s2, s20
	s_and_b64 vcc, exec, s[4:5]
	s_cbranch_vccnz .LBB27_5
; %bb.4:
	s_lshl_b64 s[4:5], s[12:13], 2
	s_add_u32 s4, s18, s4
	s_addc_u32 s5, s19, s5
	s_load_dword s4, s[4:5], 0x0
	s_waitcnt lgkmcnt(0)
	v_mov_b32_e32 v1, s4
	v_mul_f32_e32 v1, s24, v1
.LBB27_5:
	s_mov_b64 s[6:7], exec
	s_or_b64 exec, exec, s[16:17]
	s_and_b64 vcc, exec, s[14:15]
	s_cbranch_vccnz .LBB27_8
	s_branch .LBB27_27
.LBB27_6:
	s_mov_b64 s[6:7], 0
                                        ; implicit-def: $vgpr1
                                        ; implicit-def: $sgpr12_sgpr13
	s_cbranch_execnz .LBB27_8
	s_branch .LBB27_27
.LBB27_7:
	s_or_b64 exec, exec, s[16:17]
	s_and_b64 vcc, exec, s[14:15]
	s_cbranch_vccz .LBB27_27
.LBB27_8:
	s_mul_i32 s4, s3, s11
	s_mul_hi_u32 s5, s3, s10
	s_add_i32 s5, s5, s4
	s_mul_i32 s4, s3, s10
	s_load_dword s1, s[0:1], 0x0
	s_mul_i32 s0, s3, s47
	s_mul_hi_u32 s10, s3, s46
	s_add_i32 s11, s10, s0
	s_mul_i32 s10, s3, s46
	s_lshl_b64 s[10:11], s[10:11], 2
	s_add_u32 s0, s40, s10
	s_addc_u32 s3, s41, s11
	s_lshl_b64 s[10:11], s[42:43], 2
	s_add_u32 s0, s0, s10
	s_addc_u32 s12, s3, s11
	s_ashr_i32 s3, s2, 31
	s_mul_i32 s10, s2, s45
	s_mul_hi_u32 s11, s2, s44
	s_add_i32 s10, s11, s10
	s_mul_i32 s11, s3, s44
	s_add_i32 s11, s10, s11
	s_mul_i32 s10, s2, s44
	s_lshl_b64 s[10:11], s[10:11], 2
	s_add_u32 s10, s10, s0
	s_addc_u32 s11, s11, s12
	s_waitcnt lgkmcnt(0)
	s_ashr_i32 s0, s1, 31
	v_cmp_gt_i32_e32 vcc, s1, v0
	s_lshr_b32 s0, s0, 24
	s_add_i32 s0, s1, s0
	v_cndmask_b32_e32 v1, 0, v0, vcc
	v_lshlrev_b32_e32 v2, 2, v1
	v_mov_b32_e32 v3, 0
	s_and_b32 s0, s0, 0xffffff00
	v_lshl_add_u64 v[4:5], s[10:11], 0, v[2:3]
	v_cmp_gt_i32_e32 vcc, s0, v0
	s_and_saveexec_b64 s[10:11], vcc
	s_cbranch_execz .LBB27_12
; %bb.9:
	v_mad_u64_u32 v[2:3], s[14:15], s8, v0, 0
	v_mov_b32_e32 v6, v3
	v_mad_u64_u32 v[6:7], s[14:15], s9, v0, v[6:7]
	s_lshl_b64 s[12:13], s[4:5], 2
	s_lshl_b64 s[14:15], s[50:51], 2
	s_add_u32 s14, s48, s14
	s_addc_u32 s15, s49, s15
	s_add_u32 s12, s14, s12
	v_mov_b32_e32 v3, v6
	s_addc_u32 s13, s15, s13
	v_lshl_add_u64 v[6:7], v[2:3], 2, s[12:13]
	s_lshl_b64 s[14:15], s[8:9], 10
	s_mov_b64 s[12:13], 0
	v_mov_b32_e32 v3, 0
	s_mov_b64 s[16:17], 0x400
	v_mov_b64_e32 v[8:9], v[4:5]
	v_mov_b32_e32 v1, v0
.LBB27_10:                              ; =>This Inner Loop Header: Depth=1
	global_load_dword v2, v[8:9], off
	global_load_dword v10, v[6:7], off
	v_add_u32_e32 v1, 0x100, v1
	v_cmp_le_i32_e32 vcc, s0, v1
	v_lshl_add_u64 v[8:9], v[8:9], 0, s[16:17]
	v_lshl_add_u64 v[6:7], v[6:7], 0, s[14:15]
	s_or_b64 s[12:13], vcc, s[12:13]
	s_waitcnt vmcnt(0)
	v_fmac_f32_e32 v3, v2, v10
	s_andn2_b64 exec, exec, s[12:13]
	s_cbranch_execnz .LBB27_10
; %bb.11:
	s_or_b64 exec, exec, s[12:13]
.LBB27_12:
	s_or_b64 exec, exec, s[10:11]
	v_add_u32_e32 v1, s0, v0
	v_cmp_gt_i32_e32 vcc, s1, v1
	s_and_saveexec_b64 s[10:11], vcc
	s_cbranch_execz .LBB27_14
; %bb.13:
	s_lshl_b64 s[4:5], s[4:5], 2
	s_add_u32 s1, s48, s4
	s_addc_u32 s12, s49, s5
	s_lshl_b64 s[4:5], s[50:51], 2
	s_add_u32 s4, s1, s4
	s_addc_u32 s5, s12, s5
	s_ashr_i32 s1, s0, 31
	v_lshl_add_u64 v[4:5], s[0:1], 2, v[4:5]
	global_load_dword v2, v[4:5], off
	v_ashrrev_i32_e32 v4, 31, v1
	v_mul_lo_u32 v6, v1, s9
	v_mul_lo_u32 v7, v4, s8
	v_mad_u64_u32 v[4:5], s[0:1], v1, s8, 0
	v_add3_u32 v5, v5, v6, v7
	v_lshl_add_u64 v[4:5], v[4:5], 2, s[4:5]
	global_load_dword v1, v[4:5], off
	s_waitcnt vmcnt(0)
	v_fmac_f32_e32 v3, v2, v1
.LBB27_14:
	s_or_b64 exec, exec, s[10:11]
	v_and_b32_e32 v2, 63, v0
	v_cmp_gt_u32_e32 vcc, 64, v0
	v_lshlrev_b32_e32 v1, 2, v2
	s_and_saveexec_b64 s[0:1], vcc
	s_cbranch_execz .LBB27_16
; %bb.15:
	v_mov_b32_e32 v4, 0
	ds_write_b32 v1, v4
.LBB27_16:
	s_or_b64 exec, exec, s[0:1]
	v_mbcnt_lo_u32_b32 v4, -1, 0
	v_mbcnt_hi_u32_b32 v4, -1, v4
	v_and_b32_e32 v5, 63, v4
	v_cmp_gt_u32_e64 s[0:1], 32, v5
	s_waitcnt lgkmcnt(0)
	s_barrier
	v_cndmask_b32_e64 v6, 0, 1, s[0:1]
	v_lshlrev_b32_e32 v6, 5, v6
	v_add_lshl_u32 v6, v6, v4, 2
	ds_bpermute_b32 v6, v6, v3
	v_cmp_gt_u32_e64 s[0:1], 48, v5
	s_waitcnt lgkmcnt(0)
	v_add_f32_e32 v3, v3, v6
	v_cndmask_b32_e64 v7, 0, 1, s[0:1]
	v_lshlrev_b32_e32 v7, 4, v7
	v_add_lshl_u32 v6, v7, v4, 2
	ds_bpermute_b32 v6, v6, v3
	v_cmp_gt_u32_e64 s[0:1], 56, v5
	s_waitcnt lgkmcnt(0)
	v_add_f32_e32 v3, v3, v6
	;; [unrolled: 7-line block ×4, first 2 shown]
	v_cndmask_b32_e64 v7, 0, 1, s[0:1]
	v_lshlrev_b32_e32 v7, 1, v7
	v_add_lshl_u32 v3, v7, v4, 2
	ds_bpermute_b32 v7, v3, v6
	v_cmp_ne_u32_e64 s[0:1], 63, v5
	s_waitcnt lgkmcnt(0)
	v_add_f32_e32 v5, v6, v7
	v_addc_co_u32_e64 v4, s[0:1], 0, v4, s[0:1]
	v_lshlrev_b32_e32 v4, 2, v4
	ds_bpermute_b32 v6, v4, v5
	v_cmp_eq_u32_e64 s[0:1], 0, v2
	s_and_saveexec_b64 s[4:5], s[0:1]
	s_cbranch_execz .LBB27_18
; %bb.17:
	v_lshrrev_b32_e32 v2, 4, v0
	v_and_b32_e32 v2, 12, v2
	s_waitcnt lgkmcnt(0)
	v_add_f32_e32 v5, v5, v6
	ds_write_b32 v2, v5
.LBB27_18:
	s_or_b64 exec, exec, s[4:5]
	v_cmp_gt_u32_e64 s[0:1], 4, v0
	v_mov_b32_e32 v2, 0
	s_waitcnt lgkmcnt(0)
	s_barrier
	s_and_saveexec_b64 s[4:5], s[0:1]
	s_cbranch_execz .LBB27_20
; %bb.19:
	ds_read_b32 v2, v1
	s_or_b64 exec, exec, s[4:5]
	s_and_saveexec_b64 s[0:1], vcc
	s_cbranch_execz .LBB27_22
	s_branch .LBB27_21
.LBB27_20:
	s_or_b64 exec, exec, s[4:5]
	s_and_saveexec_b64 s[0:1], vcc
	s_cbranch_execz .LBB27_22
.LBB27_21:
	s_waitcnt lgkmcnt(0)
	ds_bpermute_b32 v1, v3, v2
	s_waitcnt lgkmcnt(0)
	v_add_f32_e32 v1, v2, v1
	ds_bpermute_b32 v2, v4, v1
	s_waitcnt lgkmcnt(0)
	v_add_f32_e32 v2, v1, v2
.LBB27_22:
	s_or_b64 exec, exec, s[0:1]
	v_cmp_eq_u32_e32 vcc, 0, v0
                                        ; implicit-def: $vgpr1
                                        ; implicit-def: $sgpr12_sgpr13
	s_and_saveexec_b64 s[0:1], vcc
	s_cbranch_execz .LBB27_26
; %bb.23:
	s_mul_i32 s8, s2, s21
	s_mul_hi_u32 s9, s2, s20
	v_cmp_eq_f32_e64 s[4:5], s24, 0
	s_add_i32 s8, s9, s8
	s_mul_i32 s3, s3, s20
	s_waitcnt lgkmcnt(0)
	v_mul_f32_e32 v1, s25, v2
	s_add_i32 s13, s8, s3
	s_mul_i32 s12, s2, s20
	s_and_b64 vcc, exec, s[4:5]
	s_cbranch_vccnz .LBB27_25
; %bb.24:
	s_lshl_b64 s[2:3], s[12:13], 2
	s_add_u32 s2, s18, s2
	s_addc_u32 s3, s19, s3
	s_load_dword s2, s[2:3], 0x0
	s_waitcnt lgkmcnt(0)
	v_mov_b32_e32 v0, s2
	v_fmac_f32_e32 v1, s24, v0
.LBB27_25:
	s_or_b64 s[6:7], s[6:7], exec
.LBB27_26:
	s_or_b64 exec, exec, s[0:1]
.LBB27_27:
	s_and_saveexec_b64 s[0:1], s[6:7]
	s_cbranch_execz .LBB27_29
; %bb.28:
	s_lshl_b64 s[0:1], s[12:13], 2
	s_add_u32 s0, s18, s0
	s_addc_u32 s1, s19, s1
	v_mov_b32_e32 v0, 0
	global_store_dword v0, v1, s[0:1]
.LBB27_29:
	s_endpgm
	.section	.rodata,"a",@progbits
	.p2align	6, 0x0
	.amdhsa_kernel _ZL32rocblas_gemvt_warp_reduce_kernelILb0ELi256ElfPKffEviiT3_lPKT2_lT1_lS5_lS6_lS2_lPT4_lS6_li
		.amdhsa_group_segment_fixed_size 256
		.amdhsa_private_segment_fixed_size 0
		.amdhsa_kernarg_size 140
		.amdhsa_user_sgpr_count 2
		.amdhsa_user_sgpr_dispatch_ptr 0
		.amdhsa_user_sgpr_queue_ptr 0
		.amdhsa_user_sgpr_kernarg_segment_ptr 1
		.amdhsa_user_sgpr_dispatch_id 0
		.amdhsa_user_sgpr_kernarg_preload_length 0
		.amdhsa_user_sgpr_kernarg_preload_offset 0
		.amdhsa_user_sgpr_private_segment_size 0
		.amdhsa_uses_dynamic_stack 0
		.amdhsa_enable_private_segment 0
		.amdhsa_system_sgpr_workgroup_id_x 1
		.amdhsa_system_sgpr_workgroup_id_y 0
		.amdhsa_system_sgpr_workgroup_id_z 1
		.amdhsa_system_sgpr_workgroup_info 0
		.amdhsa_system_vgpr_workitem_id 0
		.amdhsa_next_free_vgpr 11
		.amdhsa_next_free_sgpr 52
		.amdhsa_accum_offset 12
		.amdhsa_reserve_vcc 1
		.amdhsa_float_round_mode_32 0
		.amdhsa_float_round_mode_16_64 0
		.amdhsa_float_denorm_mode_32 3
		.amdhsa_float_denorm_mode_16_64 3
		.amdhsa_dx10_clamp 1
		.amdhsa_ieee_mode 1
		.amdhsa_fp16_overflow 0
		.amdhsa_tg_split 0
		.amdhsa_exception_fp_ieee_invalid_op 0
		.amdhsa_exception_fp_denorm_src 0
		.amdhsa_exception_fp_ieee_div_zero 0
		.amdhsa_exception_fp_ieee_overflow 0
		.amdhsa_exception_fp_ieee_underflow 0
		.amdhsa_exception_fp_ieee_inexact 0
		.amdhsa_exception_int_div_zero 0
	.end_amdhsa_kernel
	.section	.text._ZL32rocblas_gemvt_warp_reduce_kernelILb0ELi256ElfPKffEviiT3_lPKT2_lT1_lS5_lS6_lS2_lPT4_lS6_li,"axG",@progbits,_ZL32rocblas_gemvt_warp_reduce_kernelILb0ELi256ElfPKffEviiT3_lPKT2_lT1_lS5_lS6_lS2_lPT4_lS6_li,comdat
.Lfunc_end27:
	.size	_ZL32rocblas_gemvt_warp_reduce_kernelILb0ELi256ElfPKffEviiT3_lPKT2_lT1_lS5_lS6_lS2_lPT4_lS6_li, .Lfunc_end27-_ZL32rocblas_gemvt_warp_reduce_kernelILb0ELi256ElfPKffEviiT3_lPKT2_lT1_lS5_lS6_lS2_lPT4_lS6_li
                                        ; -- End function
	.section	.AMDGPU.csdata,"",@progbits
; Kernel info:
; codeLenInByte = 1368
; NumSgprs: 58
; NumVgprs: 11
; NumAgprs: 0
; TotalNumVgprs: 11
; ScratchSize: 0
; MemoryBound: 0
; FloatMode: 240
; IeeeMode: 1
; LDSByteSize: 256 bytes/workgroup (compile time only)
; SGPRBlocks: 7
; VGPRBlocks: 1
; NumSGPRsForWavesPerEU: 58
; NumVGPRsForWavesPerEU: 11
; AccumOffset: 12
; Occupancy: 8
; WaveLimiterHint : 0
; COMPUTE_PGM_RSRC2:SCRATCH_EN: 0
; COMPUTE_PGM_RSRC2:USER_SGPR: 2
; COMPUTE_PGM_RSRC2:TRAP_HANDLER: 0
; COMPUTE_PGM_RSRC2:TGID_X_EN: 1
; COMPUTE_PGM_RSRC2:TGID_Y_EN: 0
; COMPUTE_PGM_RSRC2:TGID_Z_EN: 1
; COMPUTE_PGM_RSRC2:TIDIG_COMP_CNT: 0
; COMPUTE_PGM_RSRC3_GFX90A:ACCUM_OFFSET: 2
; COMPUTE_PGM_RSRC3_GFX90A:TG_SPLIT: 0
	.section	.text._ZL32rocblas_gemvt_warp_reduce_kernelILb0ELi256EifffEviiT3_lPKT2_lT1_lS3_lS4_lS0_lPT4_lS4_li,"axG",@progbits,_ZL32rocblas_gemvt_warp_reduce_kernelILb0ELi256EifffEviiT3_lPKT2_lT1_lS3_lS4_lS0_lPT4_lS4_li,comdat
	.globl	_ZL32rocblas_gemvt_warp_reduce_kernelILb0ELi256EifffEviiT3_lPKT2_lT1_lS3_lS4_lS0_lPT4_lS4_li ; -- Begin function _ZL32rocblas_gemvt_warp_reduce_kernelILb0ELi256EifffEviiT3_lPKT2_lT1_lS3_lS4_lS0_lPT4_lS4_li
	.p2align	8
	.type	_ZL32rocblas_gemvt_warp_reduce_kernelILb0ELi256EifffEviiT3_lPKT2_lT1_lS3_lS4_lS0_lPT4_lS4_li,@function
_ZL32rocblas_gemvt_warp_reduce_kernelILb0ELi256EifffEviiT3_lPKT2_lT1_lS3_lS4_lS0_lPT4_lS4_li: ; @_ZL32rocblas_gemvt_warp_reduce_kernelILb0ELi256EifffEviiT3_lPKT2_lT1_lS3_lS4_lS0_lPT4_lS4_li
; %bb.0:
	s_load_dword s17, s[0:1], 0x8
	s_load_dword s16, s[0:1], 0x58
	s_waitcnt lgkmcnt(0)
	v_cmp_eq_f32_e64 s[4:5], s17, 0
	v_cmp_eq_f32_e64 s[6:7], s16, 1.0
	s_and_b64 s[4:5], s[4:5], s[6:7]
	s_and_b64 vcc, exec, s[4:5]
	s_cbranch_vccnz .LBB28_29
; %bb.1:
	s_load_dwordx2 s[8:9], s[0:1], 0x80
	s_load_dwordx4 s[4:7], s[0:1], 0x68
	s_load_dword s18, s[0:1], 0x78
	s_waitcnt lgkmcnt(0)
	s_mul_i32 s9, s3, s9
	s_mul_hi_u32 s10, s3, s8
	s_mul_i32 s8, s3, s8
	s_add_i32 s9, s10, s9
	s_lshl_b64 s[8:9], s[8:9], 2
	s_add_u32 s8, s4, s8
	s_addc_u32 s9, s5, s9
	s_lshl_b64 s[4:5], s[6:7], 2
	s_add_u32 s14, s8, s4
	s_addc_u32 s15, s9, s5
	v_cmp_neq_f32_e64 s[4:5], s17, 0
	s_and_b64 vcc, exec, s[4:5]
	v_cmp_eq_u32_e64 s[4:5], 0, v0
	s_cbranch_vccnz .LBB28_6
; %bb.2:
	s_mov_b64 s[10:11], 0
	s_mov_b64 s[6:7], 0
                                        ; implicit-def: $vgpr1
                                        ; implicit-def: $sgpr8_sgpr9
	s_and_saveexec_b64 s[12:13], s[4:5]
	s_cbranch_execz .LBB28_7
; %bb.3:
	v_cmp_eq_f32_e64 s[4:5], s16, 0
	s_mul_i32 s8, s2, s18
	v_mov_b32_e32 v1, 0
	s_ashr_i32 s9, s8, 31
	s_and_b64 vcc, exec, s[4:5]
	s_cbranch_vccnz .LBB28_5
; %bb.4:
	s_lshl_b64 s[4:5], s[8:9], 2
	s_add_u32 s4, s14, s4
	s_addc_u32 s5, s15, s5
	s_load_dword s4, s[4:5], 0x0
	v_mov_b32_e32 v1, s16
	s_waitcnt lgkmcnt(0)
	v_mul_f32_e32 v1, s4, v1
.LBB28_5:
	s_mov_b64 s[6:7], exec
	s_or_b64 exec, exec, s[12:13]
	s_and_b64 vcc, exec, s[10:11]
	s_cbranch_vccnz .LBB28_8
	s_branch .LBB28_27
.LBB28_6:
	s_mov_b64 s[6:7], 0
                                        ; implicit-def: $vgpr1
                                        ; implicit-def: $sgpr8_sgpr9
	s_cbranch_execnz .LBB28_8
	s_branch .LBB28_27
.LBB28_7:
	s_or_b64 exec, exec, s[12:13]
	s_and_b64 vcc, exec, s[10:11]
	s_cbranch_vccz .LBB28_27
.LBB28_8:
	s_load_dwordx2 s[12:13], s[0:1], 0x50
	s_load_dword s5, s[0:1], 0x0
	s_load_dwordx4 s[8:11], s[0:1], 0x18
	s_load_dword s4, s[0:1], 0x28
	s_load_dwordx4 s[20:23], s[0:1], 0x30
	s_load_dwordx2 s[24:25], s[0:1], 0x40
	s_load_dword s19, s[0:1], 0x48
	s_waitcnt lgkmcnt(0)
	s_mul_i32 s0, s3, s13
	s_mul_hi_u32 s1, s3, s12
	s_add_i32 s1, s1, s0
	s_mul_i32 s0, s3, s12
	s_lshl_b64 s[0:1], s[0:1], 2
	s_add_u32 s12, s22, s0
	s_addc_u32 s13, s23, s1
	s_lshl_b64 s[0:1], s[24:25], 2
	s_add_u32 s0, s12, s0
	s_addc_u32 s1, s13, s1
	s_mul_i32 s12, s3, s21
	s_mul_hi_u32 s13, s3, s20
	s_add_i32 s13, s13, s12
	s_mul_i32 s12, s3, s20
	s_lshl_b64 s[12:13], s[12:13], 2
	s_add_u32 s3, s8, s12
	s_addc_u32 s12, s9, s13
	s_lshl_b64 s[8:9], s[10:11], 2
	s_add_u32 s3, s3, s8
	s_mul_i32 s8, s2, s4
	s_addc_u32 s10, s12, s9
	s_ashr_i32 s9, s8, 31
	s_lshl_b64 s[8:9], s[8:9], 2
	s_add_u32 s8, s8, s3
	s_addc_u32 s9, s9, s10
	s_ashr_i32 s3, s5, 31
	v_cmp_gt_i32_e32 vcc, s5, v0
	s_lshr_b32 s3, s3, 24
	s_add_i32 s3, s5, s3
	v_cndmask_b32_e32 v1, 0, v0, vcc
	v_lshlrev_b32_e32 v2, 2, v1
	v_mov_b32_e32 v3, 0
	s_and_b32 s4, s3, 0xffffff00
	v_lshl_add_u64 v[4:5], s[8:9], 0, v[2:3]
	v_cmp_gt_i32_e32 vcc, s4, v0
	s_and_saveexec_b64 s[8:9], vcc
	s_cbranch_execz .LBB28_12
; %bb.9:
	v_mul_lo_u32 v6, v0, s19
	s_lshl_b32 s3, s19, 8
	s_mov_b64 s[10:11], 0
	v_mov_b32_e32 v3, 0
	s_mov_b64 s[12:13], 0x400
	v_mov_b64_e32 v[8:9], v[4:5]
	v_mov_b32_e32 v1, v0
.LBB28_10:                              ; =>This Inner Loop Header: Depth=1
	v_ashrrev_i32_e32 v7, 31, v6
	v_lshl_add_u64 v[10:11], v[6:7], 2, s[0:1]
	global_load_dword v2, v[8:9], off
	global_load_dword v7, v[10:11], off
	v_add_u32_e32 v1, 0x100, v1
	v_cmp_le_i32_e32 vcc, s4, v1
	v_lshl_add_u64 v[8:9], v[8:9], 0, s[12:13]
	v_add_u32_e32 v6, s3, v6
	s_or_b64 s[10:11], vcc, s[10:11]
	s_waitcnt vmcnt(0)
	v_fmac_f32_e32 v3, v2, v7
	s_andn2_b64 exec, exec, s[10:11]
	s_cbranch_execnz .LBB28_10
; %bb.11:
	s_or_b64 exec, exec, s[10:11]
.LBB28_12:
	s_or_b64 exec, exec, s[8:9]
	v_add_u32_e32 v1, s4, v0
	v_cmp_gt_i32_e32 vcc, s5, v1
	s_and_saveexec_b64 s[8:9], vcc
	s_cbranch_execz .LBB28_14
; %bb.13:
	s_ashr_i32 s5, s4, 31
	v_lshl_add_u64 v[4:5], s[4:5], 2, v[4:5]
	global_load_dword v2, v[4:5], off
	v_mul_lo_u32 v4, v1, s19
	v_ashrrev_i32_e32 v5, 31, v4
	v_lshl_add_u64 v[4:5], v[4:5], 2, s[0:1]
	global_load_dword v1, v[4:5], off
	s_waitcnt vmcnt(0)
	v_fmac_f32_e32 v3, v2, v1
.LBB28_14:
	s_or_b64 exec, exec, s[8:9]
	v_and_b32_e32 v2, 63, v0
	v_cmp_gt_u32_e32 vcc, 64, v0
	v_lshlrev_b32_e32 v1, 2, v2
	s_and_saveexec_b64 s[0:1], vcc
	s_cbranch_execz .LBB28_16
; %bb.15:
	v_mov_b32_e32 v4, 0
	ds_write_b32 v1, v4
.LBB28_16:
	s_or_b64 exec, exec, s[0:1]
	v_mbcnt_lo_u32_b32 v4, -1, 0
	v_mbcnt_hi_u32_b32 v4, -1, v4
	v_and_b32_e32 v5, 63, v4
	v_cmp_gt_u32_e64 s[0:1], 32, v5
	s_waitcnt lgkmcnt(0)
	s_barrier
	v_cndmask_b32_e64 v6, 0, 1, s[0:1]
	v_lshlrev_b32_e32 v6, 5, v6
	v_add_lshl_u32 v6, v6, v4, 2
	ds_bpermute_b32 v6, v6, v3
	v_cmp_gt_u32_e64 s[0:1], 48, v5
	s_waitcnt lgkmcnt(0)
	v_add_f32_e32 v3, v3, v6
	v_cndmask_b32_e64 v7, 0, 1, s[0:1]
	v_lshlrev_b32_e32 v7, 4, v7
	v_add_lshl_u32 v6, v7, v4, 2
	ds_bpermute_b32 v6, v6, v3
	v_cmp_gt_u32_e64 s[0:1], 56, v5
	s_waitcnt lgkmcnt(0)
	v_add_f32_e32 v3, v3, v6
	;; [unrolled: 7-line block ×4, first 2 shown]
	v_cndmask_b32_e64 v7, 0, 1, s[0:1]
	v_lshlrev_b32_e32 v7, 1, v7
	v_add_lshl_u32 v3, v7, v4, 2
	ds_bpermute_b32 v7, v3, v6
	v_cmp_ne_u32_e64 s[0:1], 63, v5
	s_waitcnt lgkmcnt(0)
	v_add_f32_e32 v5, v6, v7
	v_addc_co_u32_e64 v4, s[0:1], 0, v4, s[0:1]
	v_lshlrev_b32_e32 v4, 2, v4
	ds_bpermute_b32 v6, v4, v5
	v_cmp_eq_u32_e64 s[0:1], 0, v2
	s_and_saveexec_b64 s[4:5], s[0:1]
	s_cbranch_execz .LBB28_18
; %bb.17:
	v_lshrrev_b32_e32 v2, 4, v0
	v_and_b32_e32 v2, 12, v2
	s_waitcnt lgkmcnt(0)
	v_add_f32_e32 v5, v5, v6
	ds_write_b32 v2, v5
.LBB28_18:
	s_or_b64 exec, exec, s[4:5]
	v_cmp_gt_u32_e64 s[0:1], 4, v0
	v_mov_b32_e32 v2, 0
	s_waitcnt lgkmcnt(0)
	s_barrier
	s_and_saveexec_b64 s[4:5], s[0:1]
	s_cbranch_execz .LBB28_20
; %bb.19:
	ds_read_b32 v2, v1
	s_or_b64 exec, exec, s[4:5]
	s_and_saveexec_b64 s[0:1], vcc
	s_cbranch_execz .LBB28_22
	s_branch .LBB28_21
.LBB28_20:
	s_or_b64 exec, exec, s[4:5]
	s_and_saveexec_b64 s[0:1], vcc
	s_cbranch_execz .LBB28_22
.LBB28_21:
	s_waitcnt lgkmcnt(0)
	ds_bpermute_b32 v1, v3, v2
	s_waitcnt lgkmcnt(0)
	v_add_f32_e32 v1, v2, v1
	ds_bpermute_b32 v2, v4, v1
	s_waitcnt lgkmcnt(0)
	v_add_f32_e32 v2, v1, v2
.LBB28_22:
	s_or_b64 exec, exec, s[0:1]
	v_cmp_eq_u32_e32 vcc, 0, v0
                                        ; implicit-def: $vgpr1
                                        ; implicit-def: $sgpr8_sgpr9
	s_and_saveexec_b64 s[0:1], vcc
	s_cbranch_execz .LBB28_26
; %bb.23:
	v_cmp_eq_f32_e64 s[4:5], s16, 0
	s_mul_i32 s8, s2, s18
	s_waitcnt lgkmcnt(0)
	v_mul_f32_e32 v1, s17, v2
	s_ashr_i32 s9, s8, 31
	s_and_b64 vcc, exec, s[4:5]
	s_cbranch_vccnz .LBB28_25
; %bb.24:
	s_lshl_b64 s[2:3], s[8:9], 2
	s_add_u32 s2, s14, s2
	s_addc_u32 s3, s15, s3
	s_load_dword s2, s[2:3], 0x0
	v_mov_b32_e32 v0, s16
	s_waitcnt lgkmcnt(0)
	v_fmac_f32_e32 v1, s2, v0
.LBB28_25:
	s_or_b64 s[6:7], s[6:7], exec
.LBB28_26:
	s_or_b64 exec, exec, s[0:1]
.LBB28_27:
	s_and_saveexec_b64 s[0:1], s[6:7]
	s_cbranch_execz .LBB28_29
; %bb.28:
	s_lshl_b64 s[0:1], s[8:9], 2
	s_add_u32 s0, s14, s0
	s_addc_u32 s1, s15, s1
	v_mov_b32_e32 v0, 0
	global_store_dword v0, v1, s[0:1]
.LBB28_29:
	s_endpgm
	.section	.rodata,"a",@progbits
	.p2align	6, 0x0
	.amdhsa_kernel _ZL32rocblas_gemvt_warp_reduce_kernelILb0ELi256EifffEviiT3_lPKT2_lT1_lS3_lS4_lS0_lPT4_lS4_li
		.amdhsa_group_segment_fixed_size 256
		.amdhsa_private_segment_fixed_size 0
		.amdhsa_kernarg_size 140
		.amdhsa_user_sgpr_count 2
		.amdhsa_user_sgpr_dispatch_ptr 0
		.amdhsa_user_sgpr_queue_ptr 0
		.amdhsa_user_sgpr_kernarg_segment_ptr 1
		.amdhsa_user_sgpr_dispatch_id 0
		.amdhsa_user_sgpr_kernarg_preload_length 0
		.amdhsa_user_sgpr_kernarg_preload_offset 0
		.amdhsa_user_sgpr_private_segment_size 0
		.amdhsa_uses_dynamic_stack 0
		.amdhsa_enable_private_segment 0
		.amdhsa_system_sgpr_workgroup_id_x 1
		.amdhsa_system_sgpr_workgroup_id_y 0
		.amdhsa_system_sgpr_workgroup_id_z 1
		.amdhsa_system_sgpr_workgroup_info 0
		.amdhsa_system_vgpr_workitem_id 0
		.amdhsa_next_free_vgpr 12
		.amdhsa_next_free_sgpr 26
		.amdhsa_accum_offset 12
		.amdhsa_reserve_vcc 1
		.amdhsa_float_round_mode_32 0
		.amdhsa_float_round_mode_16_64 0
		.amdhsa_float_denorm_mode_32 3
		.amdhsa_float_denorm_mode_16_64 3
		.amdhsa_dx10_clamp 1
		.amdhsa_ieee_mode 1
		.amdhsa_fp16_overflow 0
		.amdhsa_tg_split 0
		.amdhsa_exception_fp_ieee_invalid_op 0
		.amdhsa_exception_fp_denorm_src 0
		.amdhsa_exception_fp_ieee_div_zero 0
		.amdhsa_exception_fp_ieee_overflow 0
		.amdhsa_exception_fp_ieee_underflow 0
		.amdhsa_exception_fp_ieee_inexact 0
		.amdhsa_exception_int_div_zero 0
	.end_amdhsa_kernel
	.section	.text._ZL32rocblas_gemvt_warp_reduce_kernelILb0ELi256EifffEviiT3_lPKT2_lT1_lS3_lS4_lS0_lPT4_lS4_li,"axG",@progbits,_ZL32rocblas_gemvt_warp_reduce_kernelILb0ELi256EifffEviiT3_lPKT2_lT1_lS3_lS4_lS0_lPT4_lS4_li,comdat
.Lfunc_end28:
	.size	_ZL32rocblas_gemvt_warp_reduce_kernelILb0ELi256EifffEviiT3_lPKT2_lT1_lS3_lS4_lS0_lPT4_lS4_li, .Lfunc_end28-_ZL32rocblas_gemvt_warp_reduce_kernelILb0ELi256EifffEviiT3_lPKT2_lT1_lS3_lS4_lS0_lPT4_lS4_li
                                        ; -- End function
	.section	.AMDGPU.csdata,"",@progbits
; Kernel info:
; codeLenInByte = 1248
; NumSgprs: 32
; NumVgprs: 12
; NumAgprs: 0
; TotalNumVgprs: 12
; ScratchSize: 0
; MemoryBound: 0
; FloatMode: 240
; IeeeMode: 1
; LDSByteSize: 256 bytes/workgroup (compile time only)
; SGPRBlocks: 3
; VGPRBlocks: 1
; NumSGPRsForWavesPerEU: 32
; NumVGPRsForWavesPerEU: 12
; AccumOffset: 12
; Occupancy: 8
; WaveLimiterHint : 1
; COMPUTE_PGM_RSRC2:SCRATCH_EN: 0
; COMPUTE_PGM_RSRC2:USER_SGPR: 2
; COMPUTE_PGM_RSRC2:TRAP_HANDLER: 0
; COMPUTE_PGM_RSRC2:TGID_X_EN: 1
; COMPUTE_PGM_RSRC2:TGID_Y_EN: 0
; COMPUTE_PGM_RSRC2:TGID_Z_EN: 1
; COMPUTE_PGM_RSRC2:TIDIG_COMP_CNT: 0
; COMPUTE_PGM_RSRC3_GFX90A:ACCUM_OFFSET: 2
; COMPUTE_PGM_RSRC3_GFX90A:TG_SPLIT: 0
	.section	.text._ZL32rocblas_gemvt_warp_reduce_kernelILb0ELi256ElfffEviiT3_lPKT2_lT1_lS3_lS4_lS0_lPT4_lS4_li,"axG",@progbits,_ZL32rocblas_gemvt_warp_reduce_kernelILb0ELi256ElfffEviiT3_lPKT2_lT1_lS3_lS4_lS0_lPT4_lS4_li,comdat
	.globl	_ZL32rocblas_gemvt_warp_reduce_kernelILb0ELi256ElfffEviiT3_lPKT2_lT1_lS3_lS4_lS0_lPT4_lS4_li ; -- Begin function _ZL32rocblas_gemvt_warp_reduce_kernelILb0ELi256ElfffEviiT3_lPKT2_lT1_lS3_lS4_lS0_lPT4_lS4_li
	.p2align	8
	.type	_ZL32rocblas_gemvt_warp_reduce_kernelILb0ELi256ElfffEviiT3_lPKT2_lT1_lS3_lS4_lS0_lPT4_lS4_li,@function
_ZL32rocblas_gemvt_warp_reduce_kernelILb0ELi256ElfffEviiT3_lPKT2_lT1_lS3_lS4_lS0_lPT4_lS4_li: ; @_ZL32rocblas_gemvt_warp_reduce_kernelILb0ELi256ElfffEviiT3_lPKT2_lT1_lS3_lS4_lS0_lPT4_lS4_li
; %bb.0:
	s_load_dword s27, s[0:1], 0x8
	s_load_dword s26, s[0:1], 0x58
	s_waitcnt lgkmcnt(0)
	v_cmp_eq_f32_e64 s[4:5], s27, 0
	v_cmp_eq_f32_e64 s[6:7], s26, 1.0
	s_and_b64 s[4:5], s[4:5], s[6:7]
	s_and_b64 vcc, exec, s[4:5]
	s_cbranch_vccnz .LBB29_29
; %bb.1:
	s_load_dwordx8 s[16:23], s[0:1], 0x68
	v_cmp_neq_f32_e64 s[4:5], s27, 0
	s_waitcnt lgkmcnt(0)
	s_mul_i32 s7, s3, s23
	s_mul_hi_u32 s8, s3, s22
	s_mul_i32 s6, s3, s22
	s_add_i32 s7, s8, s7
	s_lshl_b64 s[6:7], s[6:7], 2
	s_add_u32 s8, s16, s6
	s_addc_u32 s9, s17, s7
	s_lshl_b64 s[6:7], s[18:19], 2
	s_add_u32 s24, s8, s6
	s_addc_u32 s25, s9, s7
	s_and_b64 vcc, exec, s[4:5]
	v_cmp_eq_u32_e64 s[4:5], 0, v0
	s_cbranch_vccnz .LBB29_6
; %bb.2:
	s_mov_b64 s[8:9], 0
	s_mov_b64 s[22:23], 0
                                        ; implicit-def: $vgpr1
                                        ; implicit-def: $sgpr6_sgpr7
	s_and_saveexec_b64 s[10:11], s[4:5]
	s_cbranch_execz .LBB29_7
; %bb.3:
	s_ashr_i32 s6, s2, 31
	s_mul_i32 s7, s2, s21
	s_mul_hi_u32 s12, s2, s20
	v_cmp_eq_f32_e64 s[4:5], s26, 0
	s_add_i32 s7, s12, s7
	s_mul_i32 s6, s6, s20
	v_mov_b32_e32 v1, 0
	s_add_i32 s7, s7, s6
	s_mul_i32 s6, s2, s20
	s_and_b64 vcc, exec, s[4:5]
	s_cbranch_vccnz .LBB29_5
; %bb.4:
	s_lshl_b64 s[4:5], s[6:7], 2
	s_add_u32 s4, s24, s4
	s_addc_u32 s5, s25, s5
	s_load_dword s4, s[4:5], 0x0
	v_mov_b32_e32 v1, s26
	s_waitcnt lgkmcnt(0)
	v_mul_f32_e32 v1, s4, v1
.LBB29_5:
	s_mov_b64 s[22:23], exec
	s_or_b64 exec, exec, s[10:11]
	s_and_b64 vcc, exec, s[8:9]
	s_cbranch_vccnz .LBB29_8
	s_branch .LBB29_27
.LBB29_6:
	s_mov_b64 s[22:23], 0
                                        ; implicit-def: $vgpr1
                                        ; implicit-def: $sgpr6_sgpr7
	s_cbranch_execnz .LBB29_8
	s_branch .LBB29_27
.LBB29_7:
	s_or_b64 exec, exec, s[10:11]
	s_and_b64 vcc, exec, s[8:9]
	s_cbranch_vccz .LBB29_27
.LBB29_8:
	s_load_dwordx16 s[4:19], s[0:1], 0x18
	s_load_dword s28, s[0:1], 0x0
	v_mov_b32_e32 v3, 0
	s_waitcnt lgkmcnt(0)
	s_mul_i32 s1, s3, s19
	s_mul_hi_u32 s19, s3, s18
	s_mul_i32 s0, s3, s18
	s_mul_i32 s11, s3, s11
	s_mul_hi_u32 s18, s3, s10
	s_add_i32 s11, s18, s11
	s_mul_i32 s10, s3, s10
	s_add_i32 s1, s19, s1
	s_lshl_b64 s[10:11], s[10:11], 2
	s_add_u32 s3, s4, s10
	s_addc_u32 s10, s5, s11
	s_lshl_b64 s[4:5], s[6:7], 2
	s_add_u32 s6, s3, s4
	s_addc_u32 s7, s10, s5
	s_ashr_i32 s3, s2, 31
	s_mul_i32 s4, s2, s9
	s_mul_hi_u32 s5, s2, s8
	s_add_i32 s4, s5, s4
	s_mul_i32 s5, s3, s8
	s_add_i32 s5, s4, s5
	s_mul_i32 s4, s2, s8
	v_cmp_gt_i32_e32 vcc, s28, v0
	s_lshl_b64 s[4:5], s[4:5], 2
	s_add_u32 s4, s4, s6
	v_cndmask_b32_e32 v1, 0, v0, vcc
	v_lshlrev_b32_e32 v2, 2, v1
	s_addc_u32 s5, s5, s7
	v_lshl_add_u64 v[4:5], s[4:5], 0, v[2:3]
	s_ashr_i32 s4, s28, 31
	s_lshr_b32 s4, s4, 24
	s_add_i32 s4, s28, s4
	s_and_b32 s4, s4, 0xffffff00
	v_cmp_gt_i32_e32 vcc, s4, v0
	s_and_saveexec_b64 s[6:7], vcc
	s_cbranch_execz .LBB29_12
; %bb.9:
	v_mad_u64_u32 v[2:3], s[10:11], s16, v0, 0
	v_mov_b32_e32 v6, v3
	v_mad_u64_u32 v[6:7], s[10:11], s17, v0, v[6:7]
	s_lshl_b64 s[8:9], s[0:1], 2
	s_lshl_b64 s[10:11], s[14:15], 2
	s_add_u32 s5, s12, s10
	s_addc_u32 s10, s13, s11
	s_add_u32 s8, s5, s8
	v_mov_b32_e32 v3, v6
	s_addc_u32 s9, s10, s9
	v_lshl_add_u64 v[6:7], v[2:3], 2, s[8:9]
	s_lshl_b64 s[10:11], s[16:17], 10
	s_mov_b64 s[8:9], 0
	v_mov_b32_e32 v3, 0
	s_mov_b64 s[18:19], 0x400
	v_mov_b64_e32 v[8:9], v[4:5]
	v_mov_b32_e32 v1, v0
.LBB29_10:                              ; =>This Inner Loop Header: Depth=1
	global_load_dword v2, v[8:9], off
	global_load_dword v10, v[6:7], off
	v_add_u32_e32 v1, 0x100, v1
	v_cmp_le_i32_e32 vcc, s4, v1
	v_lshl_add_u64 v[8:9], v[8:9], 0, s[18:19]
	v_lshl_add_u64 v[6:7], v[6:7], 0, s[10:11]
	s_or_b64 s[8:9], vcc, s[8:9]
	s_waitcnt vmcnt(0)
	v_fmac_f32_e32 v3, v2, v10
	s_andn2_b64 exec, exec, s[8:9]
	s_cbranch_execnz .LBB29_10
; %bb.11:
	s_or_b64 exec, exec, s[8:9]
.LBB29_12:
	s_or_b64 exec, exec, s[6:7]
	v_add_u32_e32 v1, s4, v0
	v_cmp_gt_i32_e32 vcc, s28, v1
	s_and_saveexec_b64 s[6:7], vcc
	s_cbranch_execz .LBB29_14
; %bb.13:
	s_lshl_b64 s[0:1], s[0:1], 2
	s_add_u32 s5, s12, s0
	s_addc_u32 s8, s13, s1
	s_lshl_b64 s[0:1], s[14:15], 2
	s_add_u32 s0, s5, s0
	s_addc_u32 s1, s8, s1
	s_ashr_i32 s5, s4, 31
	v_lshl_add_u64 v[4:5], s[4:5], 2, v[4:5]
	global_load_dword v2, v[4:5], off
	v_ashrrev_i32_e32 v4, 31, v1
	v_mul_lo_u32 v6, v1, s17
	v_mul_lo_u32 v7, v4, s16
	v_mad_u64_u32 v[4:5], s[4:5], v1, s16, 0
	v_add3_u32 v5, v5, v6, v7
	v_lshl_add_u64 v[4:5], v[4:5], 2, s[0:1]
	global_load_dword v1, v[4:5], off
	s_waitcnt vmcnt(0)
	v_fmac_f32_e32 v3, v2, v1
.LBB29_14:
	s_or_b64 exec, exec, s[6:7]
	v_and_b32_e32 v2, 63, v0
	v_cmp_gt_u32_e32 vcc, 64, v0
	v_lshlrev_b32_e32 v1, 2, v2
	s_and_saveexec_b64 s[0:1], vcc
	s_cbranch_execz .LBB29_16
; %bb.15:
	v_mov_b32_e32 v4, 0
	ds_write_b32 v1, v4
.LBB29_16:
	s_or_b64 exec, exec, s[0:1]
	v_mbcnt_lo_u32_b32 v4, -1, 0
	v_mbcnt_hi_u32_b32 v4, -1, v4
	v_and_b32_e32 v5, 63, v4
	v_cmp_gt_u32_e64 s[0:1], 32, v5
	s_waitcnt lgkmcnt(0)
	s_barrier
	v_cndmask_b32_e64 v6, 0, 1, s[0:1]
	v_lshlrev_b32_e32 v6, 5, v6
	v_add_lshl_u32 v6, v6, v4, 2
	ds_bpermute_b32 v6, v6, v3
	v_cmp_gt_u32_e64 s[0:1], 48, v5
	s_waitcnt lgkmcnt(0)
	v_add_f32_e32 v3, v3, v6
	v_cndmask_b32_e64 v7, 0, 1, s[0:1]
	v_lshlrev_b32_e32 v7, 4, v7
	v_add_lshl_u32 v6, v7, v4, 2
	ds_bpermute_b32 v6, v6, v3
	v_cmp_gt_u32_e64 s[0:1], 56, v5
	s_waitcnt lgkmcnt(0)
	v_add_f32_e32 v3, v3, v6
	;; [unrolled: 7-line block ×4, first 2 shown]
	v_cndmask_b32_e64 v7, 0, 1, s[0:1]
	v_lshlrev_b32_e32 v7, 1, v7
	v_add_lshl_u32 v3, v7, v4, 2
	ds_bpermute_b32 v7, v3, v6
	v_cmp_ne_u32_e64 s[0:1], 63, v5
	s_waitcnt lgkmcnt(0)
	v_add_f32_e32 v5, v6, v7
	v_addc_co_u32_e64 v4, s[0:1], 0, v4, s[0:1]
	v_lshlrev_b32_e32 v4, 2, v4
	ds_bpermute_b32 v6, v4, v5
	v_cmp_eq_u32_e64 s[0:1], 0, v2
	s_and_saveexec_b64 s[4:5], s[0:1]
	s_cbranch_execz .LBB29_18
; %bb.17:
	v_lshrrev_b32_e32 v2, 4, v0
	v_and_b32_e32 v2, 12, v2
	s_waitcnt lgkmcnt(0)
	v_add_f32_e32 v5, v5, v6
	ds_write_b32 v2, v5
.LBB29_18:
	s_or_b64 exec, exec, s[4:5]
	v_cmp_gt_u32_e64 s[0:1], 4, v0
	v_mov_b32_e32 v2, 0
	s_waitcnt lgkmcnt(0)
	s_barrier
	s_and_saveexec_b64 s[4:5], s[0:1]
	s_cbranch_execz .LBB29_20
; %bb.19:
	ds_read_b32 v2, v1
	s_or_b64 exec, exec, s[4:5]
	s_and_saveexec_b64 s[0:1], vcc
	s_cbranch_execz .LBB29_22
	s_branch .LBB29_21
.LBB29_20:
	s_or_b64 exec, exec, s[4:5]
	s_and_saveexec_b64 s[0:1], vcc
	s_cbranch_execz .LBB29_22
.LBB29_21:
	s_waitcnt lgkmcnt(0)
	ds_bpermute_b32 v1, v3, v2
	s_waitcnt lgkmcnt(0)
	v_add_f32_e32 v1, v2, v1
	ds_bpermute_b32 v2, v4, v1
	s_waitcnt lgkmcnt(0)
	v_add_f32_e32 v2, v1, v2
.LBB29_22:
	s_or_b64 exec, exec, s[0:1]
	v_cmp_eq_u32_e32 vcc, 0, v0
                                        ; implicit-def: $vgpr1
                                        ; implicit-def: $sgpr6_sgpr7
	s_and_saveexec_b64 s[0:1], vcc
	s_cbranch_execz .LBB29_26
; %bb.23:
	s_mul_i32 s6, s2, s21
	s_mul_hi_u32 s7, s2, s20
	v_cmp_eq_f32_e64 s[4:5], s26, 0
	s_add_i32 s6, s7, s6
	s_mul_i32 s3, s3, s20
	s_waitcnt lgkmcnt(0)
	v_mul_f32_e32 v1, s27, v2
	s_add_i32 s7, s6, s3
	s_mul_i32 s6, s2, s20
	s_and_b64 vcc, exec, s[4:5]
	s_cbranch_vccnz .LBB29_25
; %bb.24:
	s_lshl_b64 s[2:3], s[6:7], 2
	s_add_u32 s2, s24, s2
	s_addc_u32 s3, s25, s3
	s_load_dword s2, s[2:3], 0x0
	v_mov_b32_e32 v0, s26
	s_waitcnt lgkmcnt(0)
	v_fmac_f32_e32 v1, s2, v0
.LBB29_25:
	s_or_b64 s[22:23], s[22:23], exec
.LBB29_26:
	s_or_b64 exec, exec, s[0:1]
.LBB29_27:
	s_and_saveexec_b64 s[0:1], s[22:23]
	s_cbranch_execz .LBB29_29
; %bb.28:
	s_lshl_b64 s[0:1], s[6:7], 2
	s_add_u32 s0, s24, s0
	s_addc_u32 s1, s25, s1
	v_mov_b32_e32 v0, 0
	global_store_dword v0, v1, s[0:1]
.LBB29_29:
	s_endpgm
	.section	.rodata,"a",@progbits
	.p2align	6, 0x0
	.amdhsa_kernel _ZL32rocblas_gemvt_warp_reduce_kernelILb0ELi256ElfffEviiT3_lPKT2_lT1_lS3_lS4_lS0_lPT4_lS4_li
		.amdhsa_group_segment_fixed_size 256
		.amdhsa_private_segment_fixed_size 0
		.amdhsa_kernarg_size 140
		.amdhsa_user_sgpr_count 2
		.amdhsa_user_sgpr_dispatch_ptr 0
		.amdhsa_user_sgpr_queue_ptr 0
		.amdhsa_user_sgpr_kernarg_segment_ptr 1
		.amdhsa_user_sgpr_dispatch_id 0
		.amdhsa_user_sgpr_kernarg_preload_length 0
		.amdhsa_user_sgpr_kernarg_preload_offset 0
		.amdhsa_user_sgpr_private_segment_size 0
		.amdhsa_uses_dynamic_stack 0
		.amdhsa_enable_private_segment 0
		.amdhsa_system_sgpr_workgroup_id_x 1
		.amdhsa_system_sgpr_workgroup_id_y 0
		.amdhsa_system_sgpr_workgroup_id_z 1
		.amdhsa_system_sgpr_workgroup_info 0
		.amdhsa_system_vgpr_workitem_id 0
		.amdhsa_next_free_vgpr 11
		.amdhsa_next_free_sgpr 29
		.amdhsa_accum_offset 12
		.amdhsa_reserve_vcc 1
		.amdhsa_float_round_mode_32 0
		.amdhsa_float_round_mode_16_64 0
		.amdhsa_float_denorm_mode_32 3
		.amdhsa_float_denorm_mode_16_64 3
		.amdhsa_dx10_clamp 1
		.amdhsa_ieee_mode 1
		.amdhsa_fp16_overflow 0
		.amdhsa_tg_split 0
		.amdhsa_exception_fp_ieee_invalid_op 0
		.amdhsa_exception_fp_denorm_src 0
		.amdhsa_exception_fp_ieee_div_zero 0
		.amdhsa_exception_fp_ieee_overflow 0
		.amdhsa_exception_fp_ieee_underflow 0
		.amdhsa_exception_fp_ieee_inexact 0
		.amdhsa_exception_int_div_zero 0
	.end_amdhsa_kernel
	.section	.text._ZL32rocblas_gemvt_warp_reduce_kernelILb0ELi256ElfffEviiT3_lPKT2_lT1_lS3_lS4_lS0_lPT4_lS4_li,"axG",@progbits,_ZL32rocblas_gemvt_warp_reduce_kernelILb0ELi256ElfffEviiT3_lPKT2_lT1_lS3_lS4_lS0_lPT4_lS4_li,comdat
.Lfunc_end29:
	.size	_ZL32rocblas_gemvt_warp_reduce_kernelILb0ELi256ElfffEviiT3_lPKT2_lT1_lS3_lS4_lS0_lPT4_lS4_li, .Lfunc_end29-_ZL32rocblas_gemvt_warp_reduce_kernelILb0ELi256ElfffEviiT3_lPKT2_lT1_lS3_lS4_lS0_lPT4_lS4_li
                                        ; -- End function
	.section	.AMDGPU.csdata,"",@progbits
; Kernel info:
; codeLenInByte = 1312
; NumSgprs: 35
; NumVgprs: 11
; NumAgprs: 0
; TotalNumVgprs: 11
; ScratchSize: 0
; MemoryBound: 0
; FloatMode: 240
; IeeeMode: 1
; LDSByteSize: 256 bytes/workgroup (compile time only)
; SGPRBlocks: 4
; VGPRBlocks: 1
; NumSGPRsForWavesPerEU: 35
; NumVGPRsForWavesPerEU: 11
; AccumOffset: 12
; Occupancy: 8
; WaveLimiterHint : 1
; COMPUTE_PGM_RSRC2:SCRATCH_EN: 0
; COMPUTE_PGM_RSRC2:USER_SGPR: 2
; COMPUTE_PGM_RSRC2:TRAP_HANDLER: 0
; COMPUTE_PGM_RSRC2:TGID_X_EN: 1
; COMPUTE_PGM_RSRC2:TGID_Y_EN: 0
; COMPUTE_PGM_RSRC2:TGID_Z_EN: 1
; COMPUTE_PGM_RSRC2:TIDIG_COMP_CNT: 0
; COMPUTE_PGM_RSRC3_GFX90A:ACCUM_OFFSET: 2
; COMPUTE_PGM_RSRC3_GFX90A:TG_SPLIT: 0
	.section	.text._ZL20rocblas_gemvt_kernelILb0ELi256EfPKffEviiT2_lPKT1_lilS5_lilS2_lPT3_lili,"axG",@progbits,_ZL20rocblas_gemvt_kernelILb0ELi256EfPKffEviiT2_lPKT1_lilS5_lilS2_lPT3_lili,comdat
	.globl	_ZL20rocblas_gemvt_kernelILb0ELi256EfPKffEviiT2_lPKT1_lilS5_lilS2_lPT3_lili ; -- Begin function _ZL20rocblas_gemvt_kernelILb0ELi256EfPKffEviiT2_lPKT1_lilS5_lilS2_lPT3_lili
	.p2align	8
	.type	_ZL20rocblas_gemvt_kernelILb0ELi256EfPKffEviiT2_lPKT1_lilS5_lilS2_lPT3_lili,@function
_ZL20rocblas_gemvt_kernelILb0ELi256EfPKffEviiT2_lPKT1_lilS5_lilS2_lPT3_lili: ; @_ZL20rocblas_gemvt_kernelILb0ELi256EfPKffEviiT2_lPKT1_lilS5_lilS2_lPT3_lili
; %bb.0:
	s_load_dwordx8 s[4:11], s[0:1], 0x8
	s_load_dwordx8 s[12:19], s[0:1], 0x50
	s_waitcnt lgkmcnt(0)
	s_mul_i32 s7, s3, s7
	s_mul_hi_u32 s20, s3, s6
	s_add_i32 s7, s20, s7
	s_mul_i32 s6, s3, s6
	s_lshl_b64 s[6:7], s[6:7], 2
	s_add_u32 s4, s4, s6
	s_addc_u32 s5, s5, s7
	s_load_dword s22, s[4:5], 0x0
	s_mul_i32 s4, s3, s17
	s_mul_hi_u32 s5, s3, s16
	s_add_i32 s5, s5, s4
	s_mul_i32 s4, s3, s16
	s_lshl_b64 s[4:5], s[4:5], 2
	s_add_u32 s4, s14, s4
	s_addc_u32 s5, s15, s5
	s_load_dword s23, s[4:5], 0x0
	s_waitcnt lgkmcnt(0)
	v_cmp_eq_f32_e64 s[4:5], s22, 0
	v_cmp_eq_f32_e64 s[6:7], s23, 1.0
	s_and_b64 s[4:5], s[4:5], s[6:7]
	s_and_b64 vcc, exec, s[4:5]
	s_cbranch_vccnz .LBB30_36
; %bb.1:
	s_load_dwordx2 s[4:5], s[0:1], 0x80
	s_load_dwordx2 s[6:7], s[0:1], 0x70
	s_load_dword s24, s[0:1], 0x78
	s_waitcnt lgkmcnt(0)
	s_mul_i32 s5, s3, s5
	s_mul_hi_u32 s14, s3, s4
	s_mul_i32 s4, s3, s4
	s_add_i32 s5, s14, s5
	s_lshl_b64 s[4:5], s[4:5], 2
	s_add_u32 s14, s18, s4
	s_addc_u32 s15, s19, s5
	s_lshl_b64 s[4:5], s[6:7], 2
	s_add_u32 s20, s14, s4
	s_addc_u32 s21, s15, s5
	v_cmp_neq_f32_e64 s[4:5], s22, 0
	s_and_b64 vcc, exec, s[4:5]
	v_cmp_eq_u32_e64 s[4:5], 0, v0
	s_cbranch_vccnz .LBB30_6
; %bb.2:
	s_mov_b64 s[16:17], 0
	s_mov_b64 s[14:15], 0
                                        ; implicit-def: $vgpr1
                                        ; implicit-def: $sgpr6_sgpr7
	s_and_saveexec_b64 s[18:19], s[4:5]
	s_cbranch_execz .LBB30_7
; %bb.3:
	v_cmp_eq_f32_e64 s[4:5], s23, 0
	v_mov_b32_e32 v1, 0
	s_mul_hi_i32 s7, s24, s2
	s_mul_i32 s6, s24, s2
	s_and_b64 vcc, exec, s[4:5]
	s_cbranch_vccnz .LBB30_5
; %bb.4:
	s_lshl_b64 s[4:5], s[6:7], 2
	s_add_u32 s4, s20, s4
	s_addc_u32 s5, s21, s5
	s_load_dword s4, s[4:5], 0x0
	s_waitcnt lgkmcnt(0)
	v_mov_b32_e32 v1, s4
	v_mul_f32_e32 v1, s23, v1
.LBB30_5:
	s_mov_b64 s[14:15], exec
	s_or_b64 exec, exec, s[18:19]
	s_and_b64 vcc, exec, s[16:17]
	s_cbranch_vccnz .LBB30_8
	s_branch .LBB30_34
.LBB30_6:
	s_mov_b64 s[14:15], 0
                                        ; implicit-def: $vgpr1
                                        ; implicit-def: $sgpr6_sgpr7
	s_cbranch_execnz .LBB30_8
	s_branch .LBB30_34
.LBB30_7:
	s_or_b64 exec, exec, s[18:19]
	s_and_b64 vcc, exec, s[16:17]
	s_cbranch_vccz .LBB30_34
.LBB30_8:
	s_load_dword s18, s[0:1], 0x0
	s_load_dword s19, s[0:1], 0x28
	s_load_dwordx4 s[4:7], s[0:1], 0x30
	s_load_dwordx2 s[16:17], s[0:1], 0x40
	s_mul_i32 s13, s3, s13
	s_load_dword s0, s[0:1], 0x48
	s_mul_hi_u32 s25, s3, s12
	s_waitcnt lgkmcnt(0)
	s_mul_i32 s1, s3, s5
	s_mul_hi_u32 s5, s3, s4
	s_add_i32 s5, s5, s1
	s_mul_i32 s4, s3, s4
	s_add_i32 s13, s25, s13
	s_lshl_b64 s[4:5], s[4:5], 2
	s_add_u32 s1, s8, s4
	s_mul_i32 s12, s3, s12
	s_addc_u32 s3, s9, s5
	s_lshl_b64 s[4:5], s[10:11], 2
	s_add_u32 s1, s1, s4
	s_addc_u32 s9, s3, s5
	s_mul_hi_i32 s5, s19, s2
	s_mul_i32 s4, s19, s2
	s_lshl_b64 s[4:5], s[4:5], 2
	s_add_u32 s8, s4, s1
	s_addc_u32 s9, s5, s9
	s_ashr_i32 s1, s18, 31
	v_cmp_gt_i32_e32 vcc, s18, v0
	s_lshr_b32 s1, s1, 24
	s_add_i32 s1, s18, s1
	v_cndmask_b32_e32 v1, 0, v0, vcc
	v_lshlrev_b32_e32 v2, 2, v1
	v_mov_b32_e32 v3, 0
	s_and_b32 s4, s1, 0xffffff00
	s_mov_b32 s3, 0
	s_cmpk_lt_i32 s18, 0x100
	v_lshl_add_u64 v[4:5], s[8:9], 0, v[2:3]
	s_cbranch_scc1 .LBB30_11
; %bb.9:
	v_mad_i64_i32 v[2:3], s[10:11], s0, v0, 0
	s_ashr_i32 s1, s0, 31
	s_lshl_b64 s[8:9], s[12:13], 2
	s_lshl_b64 s[10:11], s[16:17], 2
	s_add_u32 s5, s6, s10
	s_addc_u32 s10, s7, s11
	s_add_u32 s8, s5, s8
	s_addc_u32 s9, s10, s9
	v_lshl_add_u64 v[6:7], v[2:3], 2, s[8:9]
	s_lshl_b64 s[8:9], s[0:1], 10
	v_mov_b32_e32 v3, 0
	s_mov_b64 s[10:11], 0x400
	v_mov_b64_e32 v[8:9], v[4:5]
.LBB30_10:                              ; =>This Inner Loop Header: Depth=1
	global_load_dword v1, v[8:9], off
	global_load_dword v2, v[6:7], off
	s_addk_i32 s3, 0x100
	v_lshl_add_u64 v[6:7], v[6:7], 0, s[8:9]
	v_lshl_add_u64 v[8:9], v[8:9], 0, s[10:11]
	s_cmp_ge_i32 s3, s4
	s_waitcnt vmcnt(0)
	v_fmac_f32_e32 v3, v1, v2
	s_cbranch_scc0 .LBB30_10
.LBB30_11:
	v_add_u32_e32 v1, s4, v0
	v_cmp_gt_i32_e32 vcc, s18, v1
	s_and_saveexec_b64 s[8:9], vcc
	s_cbranch_execz .LBB30_13
; %bb.12:
	s_lshl_b64 s[10:11], s[12:13], 2
	s_add_u32 s1, s6, s10
	s_addc_u32 s3, s7, s11
	s_lshl_b64 s[6:7], s[16:17], 2
	s_add_u32 s6, s1, s6
	s_addc_u32 s7, s3, s7
	s_ashr_i32 s5, s4, 31
	v_lshl_add_u64 v[4:5], s[4:5], 2, v[4:5]
	global_load_dword v2, v[4:5], off
	v_mad_i64_i32 v[4:5], s[0:1], s0, v1, 0
	v_lshl_add_u64 v[4:5], v[4:5], 2, s[6:7]
	global_load_dword v1, v[4:5], off
	s_waitcnt vmcnt(0)
	v_fmac_f32_e32 v3, v2, v1
.LBB30_13:
	s_or_b64 exec, exec, s[8:9]
	s_movk_i32 s0, 0x80
	v_lshlrev_b32_e32 v1, 2, v0
	v_cmp_gt_u32_e32 vcc, s0, v0
	ds_write_b32 v1, v3
	s_waitcnt lgkmcnt(0)
	s_barrier
	s_and_saveexec_b64 s[0:1], vcc
	s_cbranch_execz .LBB30_15
; %bb.14:
	ds_read2st64_b32 v[2:3], v1 offset1:2
	s_waitcnt lgkmcnt(0)
	v_add_f32_e32 v2, v3, v2
	ds_write_b32 v1, v2
.LBB30_15:
	s_or_b64 exec, exec, s[0:1]
	v_cmp_gt_u32_e32 vcc, 64, v0
	s_waitcnt lgkmcnt(0)
	s_barrier
	s_and_saveexec_b64 s[0:1], vcc
	s_cbranch_execz .LBB30_17
; %bb.16:
	ds_read2st64_b32 v[2:3], v1 offset1:1
	s_waitcnt lgkmcnt(0)
	v_add_f32_e32 v2, v3, v2
	ds_write_b32 v1, v2
.LBB30_17:
	s_or_b64 exec, exec, s[0:1]
	v_cmp_gt_u32_e32 vcc, 32, v0
	s_waitcnt lgkmcnt(0)
	s_barrier
	s_and_saveexec_b64 s[0:1], vcc
	s_cbranch_execz .LBB30_19
; %bb.18:
	ds_read2_b32 v[2:3], v1 offset1:32
	s_waitcnt lgkmcnt(0)
	v_add_f32_e32 v2, v3, v2
	ds_write_b32 v1, v2
.LBB30_19:
	s_or_b64 exec, exec, s[0:1]
	v_cmp_gt_u32_e32 vcc, 16, v0
	s_waitcnt lgkmcnt(0)
	s_barrier
	s_and_saveexec_b64 s[0:1], vcc
	s_cbranch_execz .LBB30_21
; %bb.20:
	ds_read2_b32 v[2:3], v1 offset1:16
	s_waitcnt lgkmcnt(0)
	v_add_f32_e32 v2, v3, v2
	ds_write_b32 v1, v2
.LBB30_21:
	s_or_b64 exec, exec, s[0:1]
	v_cmp_gt_u32_e32 vcc, 8, v0
	s_waitcnt lgkmcnt(0)
	s_barrier
	s_and_saveexec_b64 s[0:1], vcc
	s_cbranch_execz .LBB30_23
; %bb.22:
	ds_read2_b32 v[2:3], v1 offset1:8
	s_waitcnt lgkmcnt(0)
	v_add_f32_e32 v2, v3, v2
	ds_write_b32 v1, v2
.LBB30_23:
	s_or_b64 exec, exec, s[0:1]
	v_cmp_gt_u32_e32 vcc, 4, v0
	s_waitcnt lgkmcnt(0)
	s_barrier
	s_and_saveexec_b64 s[0:1], vcc
	s_cbranch_execz .LBB30_25
; %bb.24:
	ds_read2_b32 v[2:3], v1 offset1:4
	s_waitcnt lgkmcnt(0)
	v_add_f32_e32 v2, v3, v2
	ds_write_b32 v1, v2
.LBB30_25:
	s_or_b64 exec, exec, s[0:1]
	v_cmp_gt_u32_e32 vcc, 2, v0
	s_waitcnt lgkmcnt(0)
	s_barrier
	s_and_saveexec_b64 s[0:1], vcc
	s_cbranch_execz .LBB30_27
; %bb.26:
	ds_read2_b32 v[2:3], v1 offset1:2
	s_waitcnt lgkmcnt(0)
	v_add_f32_e32 v2, v3, v2
	ds_write_b32 v1, v2
.LBB30_27:
	s_or_b64 exec, exec, s[0:1]
	v_cmp_eq_u32_e32 vcc, 0, v0
	s_waitcnt lgkmcnt(0)
	s_barrier
	s_and_saveexec_b64 s[0:1], vcc
	s_cbranch_execz .LBB30_29
; %bb.28:
	v_mov_b32_e32 v2, 0
	ds_read_b64 v[0:1], v2
	s_waitcnt lgkmcnt(0)
	v_add_f32_e32 v0, v1, v0
	ds_write_b32 v2, v0
.LBB30_29:
	s_or_b64 exec, exec, s[0:1]
	s_waitcnt lgkmcnt(0)
	s_barrier
	s_waitcnt lgkmcnt(0)
                                        ; implicit-def: $vgpr1
                                        ; implicit-def: $sgpr6_sgpr7
	s_and_saveexec_b64 s[0:1], vcc
	s_cbranch_execz .LBB30_33
; %bb.30:
	v_mov_b32_e32 v0, 0
	ds_read_b32 v0, v0
	v_cmp_eq_f32_e64 s[4:5], s23, 0
	s_mul_hi_i32 s7, s24, s2
	s_mul_i32 s6, s24, s2
	s_and_b64 vcc, exec, s[4:5]
	s_waitcnt lgkmcnt(0)
	v_mul_f32_e32 v1, s22, v0
	s_cbranch_vccnz .LBB30_32
; %bb.31:
	s_lshl_b64 s[2:3], s[6:7], 2
	s_add_u32 s2, s20, s2
	s_addc_u32 s3, s21, s3
	s_load_dword s2, s[2:3], 0x0
	s_waitcnt lgkmcnt(0)
	v_mov_b32_e32 v0, s2
	v_fmac_f32_e32 v1, s23, v0
.LBB30_32:
	s_or_b64 s[14:15], s[14:15], exec
.LBB30_33:
	s_or_b64 exec, exec, s[0:1]
.LBB30_34:
	s_and_saveexec_b64 s[0:1], s[14:15]
	s_cbranch_execz .LBB30_36
; %bb.35:
	s_lshl_b64 s[0:1], s[6:7], 2
	s_add_u32 s0, s20, s0
	s_addc_u32 s1, s21, s1
	v_mov_b32_e32 v0, 0
	global_store_dword v0, v1, s[0:1]
.LBB30_36:
	s_endpgm
	.section	.rodata,"a",@progbits
	.p2align	6, 0x0
	.amdhsa_kernel _ZL20rocblas_gemvt_kernelILb0ELi256EfPKffEviiT2_lPKT1_lilS5_lilS2_lPT3_lili
		.amdhsa_group_segment_fixed_size 1024
		.amdhsa_private_segment_fixed_size 0
		.amdhsa_kernarg_size 140
		.amdhsa_user_sgpr_count 2
		.amdhsa_user_sgpr_dispatch_ptr 0
		.amdhsa_user_sgpr_queue_ptr 0
		.amdhsa_user_sgpr_kernarg_segment_ptr 1
		.amdhsa_user_sgpr_dispatch_id 0
		.amdhsa_user_sgpr_kernarg_preload_length 0
		.amdhsa_user_sgpr_kernarg_preload_offset 0
		.amdhsa_user_sgpr_private_segment_size 0
		.amdhsa_uses_dynamic_stack 0
		.amdhsa_enable_private_segment 0
		.amdhsa_system_sgpr_workgroup_id_x 1
		.amdhsa_system_sgpr_workgroup_id_y 0
		.amdhsa_system_sgpr_workgroup_id_z 1
		.amdhsa_system_sgpr_workgroup_info 0
		.amdhsa_system_vgpr_workitem_id 0
		.amdhsa_next_free_vgpr 10
		.amdhsa_next_free_sgpr 26
		.amdhsa_accum_offset 12
		.amdhsa_reserve_vcc 1
		.amdhsa_float_round_mode_32 0
		.amdhsa_float_round_mode_16_64 0
		.amdhsa_float_denorm_mode_32 3
		.amdhsa_float_denorm_mode_16_64 3
		.amdhsa_dx10_clamp 1
		.amdhsa_ieee_mode 1
		.amdhsa_fp16_overflow 0
		.amdhsa_tg_split 0
		.amdhsa_exception_fp_ieee_invalid_op 0
		.amdhsa_exception_fp_denorm_src 0
		.amdhsa_exception_fp_ieee_div_zero 0
		.amdhsa_exception_fp_ieee_overflow 0
		.amdhsa_exception_fp_ieee_underflow 0
		.amdhsa_exception_fp_ieee_inexact 0
		.amdhsa_exception_int_div_zero 0
	.end_amdhsa_kernel
	.section	.text._ZL20rocblas_gemvt_kernelILb0ELi256EfPKffEviiT2_lPKT1_lilS5_lilS2_lPT3_lili,"axG",@progbits,_ZL20rocblas_gemvt_kernelILb0ELi256EfPKffEviiT2_lPKT1_lilS5_lilS2_lPT3_lili,comdat
.Lfunc_end30:
	.size	_ZL20rocblas_gemvt_kernelILb0ELi256EfPKffEviiT2_lPKT1_lilS5_lilS2_lPT3_lili, .Lfunc_end30-_ZL20rocblas_gemvt_kernelILb0ELi256EfPKffEviiT2_lPKT1_lilS5_lilS2_lPT3_lili
                                        ; -- End function
	.section	.AMDGPU.csdata,"",@progbits
; Kernel info:
; codeLenInByte = 1268
; NumSgprs: 32
; NumVgprs: 10
; NumAgprs: 0
; TotalNumVgprs: 10
; ScratchSize: 0
; MemoryBound: 0
; FloatMode: 240
; IeeeMode: 1
; LDSByteSize: 1024 bytes/workgroup (compile time only)
; SGPRBlocks: 3
; VGPRBlocks: 1
; NumSGPRsForWavesPerEU: 32
; NumVGPRsForWavesPerEU: 10
; AccumOffset: 12
; Occupancy: 8
; WaveLimiterHint : 1
; COMPUTE_PGM_RSRC2:SCRATCH_EN: 0
; COMPUTE_PGM_RSRC2:USER_SGPR: 2
; COMPUTE_PGM_RSRC2:TRAP_HANDLER: 0
; COMPUTE_PGM_RSRC2:TGID_X_EN: 1
; COMPUTE_PGM_RSRC2:TGID_Y_EN: 0
; COMPUTE_PGM_RSRC2:TGID_Z_EN: 1
; COMPUTE_PGM_RSRC2:TIDIG_COMP_CNT: 0
; COMPUTE_PGM_RSRC3_GFX90A:ACCUM_OFFSET: 2
; COMPUTE_PGM_RSRC3_GFX90A:TG_SPLIT: 0
	.section	.text._ZL20rocblas_gemvt_kernelILb0ELi256EfffEviiT2_lPKT1_lilS3_lilS0_lPT3_lili,"axG",@progbits,_ZL20rocblas_gemvt_kernelILb0ELi256EfffEviiT2_lPKT1_lilS3_lilS0_lPT3_lili,comdat
	.globl	_ZL20rocblas_gemvt_kernelILb0ELi256EfffEviiT2_lPKT1_lilS3_lilS0_lPT3_lili ; -- Begin function _ZL20rocblas_gemvt_kernelILb0ELi256EfffEviiT2_lPKT1_lilS3_lilS0_lPT3_lili
	.p2align	8
	.type	_ZL20rocblas_gemvt_kernelILb0ELi256EfffEviiT2_lPKT1_lilS3_lilS0_lPT3_lili,@function
_ZL20rocblas_gemvt_kernelILb0ELi256EfffEviiT2_lPKT1_lilS3_lilS0_lPT3_lili: ; @_ZL20rocblas_gemvt_kernelILb0ELi256EfffEviiT2_lPKT1_lilS3_lilS0_lPT3_lili
; %bb.0:
	s_load_dword s21, s[0:1], 0x8
	s_load_dword s20, s[0:1], 0x58
	s_waitcnt lgkmcnt(0)
	v_cmp_eq_f32_e64 s[4:5], s21, 0
	v_cmp_eq_f32_e64 s[6:7], s20, 1.0
	s_and_b64 s[4:5], s[4:5], s[6:7]
	s_and_b64 vcc, exec, s[4:5]
	s_cbranch_vccnz .LBB31_36
; %bb.1:
	s_load_dwordx2 s[8:9], s[0:1], 0x80
	s_load_dwordx4 s[4:7], s[0:1], 0x68
	s_load_dword s22, s[0:1], 0x78
	s_waitcnt lgkmcnt(0)
	s_mul_i32 s9, s3, s9
	s_mul_hi_u32 s10, s3, s8
	s_mul_i32 s8, s3, s8
	s_add_i32 s9, s10, s9
	s_lshl_b64 s[8:9], s[8:9], 2
	s_add_u32 s8, s4, s8
	s_addc_u32 s9, s5, s9
	s_lshl_b64 s[4:5], s[6:7], 2
	s_add_u32 s18, s8, s4
	s_addc_u32 s19, s9, s5
	v_cmp_neq_f32_e64 s[4:5], s21, 0
	s_and_b64 vcc, exec, s[4:5]
	v_cmp_eq_u32_e64 s[4:5], 0, v0
	s_cbranch_vccnz .LBB31_6
; %bb.2:
	s_mov_b64 s[10:11], 0
	s_mov_b64 s[8:9], 0
                                        ; implicit-def: $vgpr1
                                        ; implicit-def: $sgpr6_sgpr7
	s_and_saveexec_b64 s[12:13], s[4:5]
	s_cbranch_execz .LBB31_7
; %bb.3:
	v_cmp_eq_f32_e64 s[4:5], s20, 0
	v_mov_b32_e32 v1, 0
	s_mul_hi_i32 s7, s22, s2
	s_mul_i32 s6, s22, s2
	s_and_b64 vcc, exec, s[4:5]
	s_cbranch_vccnz .LBB31_5
; %bb.4:
	s_lshl_b64 s[4:5], s[6:7], 2
	s_add_u32 s4, s18, s4
	s_addc_u32 s5, s19, s5
	s_load_dword s4, s[4:5], 0x0
	v_mov_b32_e32 v1, s20
	s_waitcnt lgkmcnt(0)
	v_mul_f32_e32 v1, s4, v1
.LBB31_5:
	s_mov_b64 s[8:9], exec
	s_or_b64 exec, exec, s[12:13]
	s_and_b64 vcc, exec, s[10:11]
	s_cbranch_vccnz .LBB31_8
	s_branch .LBB31_34
.LBB31_6:
	s_mov_b64 s[8:9], 0
                                        ; implicit-def: $vgpr1
                                        ; implicit-def: $sgpr6_sgpr7
	s_cbranch_execnz .LBB31_8
	s_branch .LBB31_34
.LBB31_7:
	s_or_b64 exec, exec, s[12:13]
	s_and_b64 vcc, exec, s[10:11]
	s_cbranch_vccz .LBB31_34
.LBB31_8:
	s_load_dwordx2 s[14:15], s[0:1], 0x50
	s_load_dword s23, s[0:1], 0x0
	s_load_dwordx4 s[24:27], s[0:1], 0x18
	s_load_dword s13, s[0:1], 0x28
	s_load_dwordx4 s[4:7], s[0:1], 0x30
	s_load_dwordx2 s[10:11], s[0:1], 0x40
	s_load_dword s12, s[0:1], 0x48
	s_waitcnt lgkmcnt(0)
	s_mul_i32 s0, s3, s15
	s_mul_hi_u32 s1, s3, s14
	s_add_i32 s1, s1, s0
	s_mul_i32 s0, s3, s14
	s_mul_i32 s5, s3, s5
	s_mul_hi_u32 s14, s3, s4
	s_add_i32 s5, s14, s5
	s_mul_i32 s4, s3, s4
	s_lshl_b64 s[4:5], s[4:5], 2
	s_add_u32 s3, s24, s4
	s_addc_u32 s14, s25, s5
	s_lshl_b64 s[4:5], s[26:27], 2
	s_add_u32 s15, s3, s4
	s_addc_u32 s16, s14, s5
	s_mul_hi_i32 s5, s13, s2
	s_mul_i32 s4, s13, s2
	s_lshl_b64 s[4:5], s[4:5], 2
	s_add_u32 s14, s4, s15
	s_addc_u32 s15, s5, s16
	s_ashr_i32 s4, s23, 31
	v_cmp_gt_i32_e32 vcc, s23, v0
	s_lshr_b32 s4, s4, 24
	s_add_i32 s4, s23, s4
	v_cndmask_b32_e32 v1, 0, v0, vcc
	v_lshlrev_b32_e32 v2, 2, v1
	v_mov_b32_e32 v3, 0
	s_and_b32 s4, s4, 0xffffff00
	s_mov_b32 s3, 0
	s_cmpk_lt_i32 s23, 0x100
	v_lshl_add_u64 v[4:5], s[14:15], 0, v[2:3]
	s_cbranch_scc1 .LBB31_11
; %bb.9:
	v_mad_i64_i32 v[2:3], s[16:17], s12, v0, 0
	s_ashr_i32 s13, s12, 31
	s_lshl_b64 s[14:15], s[0:1], 2
	s_lshl_b64 s[16:17], s[10:11], 2
	s_add_u32 s5, s6, s16
	s_addc_u32 s16, s7, s17
	s_add_u32 s14, s5, s14
	s_addc_u32 s15, s16, s15
	v_lshl_add_u64 v[6:7], v[2:3], 2, s[14:15]
	s_lshl_b64 s[14:15], s[12:13], 10
	v_mov_b32_e32 v3, 0
	s_mov_b64 s[16:17], 0x400
	v_mov_b64_e32 v[8:9], v[4:5]
.LBB31_10:                              ; =>This Inner Loop Header: Depth=1
	global_load_dword v1, v[8:9], off
	global_load_dword v2, v[6:7], off
	s_addk_i32 s3, 0x100
	v_lshl_add_u64 v[6:7], v[6:7], 0, s[14:15]
	v_lshl_add_u64 v[8:9], v[8:9], 0, s[16:17]
	s_cmp_ge_i32 s3, s4
	s_waitcnt vmcnt(0)
	v_fmac_f32_e32 v3, v1, v2
	s_cbranch_scc0 .LBB31_10
.LBB31_11:
	v_add_u32_e32 v1, s4, v0
	v_cmp_gt_i32_e32 vcc, s23, v1
	s_and_saveexec_b64 s[14:15], vcc
	s_cbranch_execz .LBB31_13
; %bb.12:
	s_lshl_b64 s[0:1], s[0:1], 2
	s_add_u32 s3, s6, s0
	s_addc_u32 s5, s7, s1
	s_lshl_b64 s[0:1], s[10:11], 2
	s_add_u32 s0, s3, s0
	s_addc_u32 s1, s5, s1
	s_ashr_i32 s5, s4, 31
	v_lshl_add_u64 v[4:5], s[4:5], 2, v[4:5]
	global_load_dword v2, v[4:5], off
	v_mad_i64_i32 v[4:5], s[4:5], s12, v1, 0
	v_lshl_add_u64 v[4:5], v[4:5], 2, s[0:1]
	global_load_dword v1, v[4:5], off
	s_waitcnt vmcnt(0)
	v_fmac_f32_e32 v3, v2, v1
.LBB31_13:
	s_or_b64 exec, exec, s[14:15]
	s_movk_i32 s0, 0x80
	v_lshlrev_b32_e32 v1, 2, v0
	v_cmp_gt_u32_e32 vcc, s0, v0
	ds_write_b32 v1, v3
	s_waitcnt lgkmcnt(0)
	s_barrier
	s_and_saveexec_b64 s[0:1], vcc
	s_cbranch_execz .LBB31_15
; %bb.14:
	ds_read2st64_b32 v[2:3], v1 offset1:2
	s_waitcnt lgkmcnt(0)
	v_add_f32_e32 v2, v3, v2
	ds_write_b32 v1, v2
.LBB31_15:
	s_or_b64 exec, exec, s[0:1]
	v_cmp_gt_u32_e32 vcc, 64, v0
	s_waitcnt lgkmcnt(0)
	s_barrier
	s_and_saveexec_b64 s[0:1], vcc
	s_cbranch_execz .LBB31_17
; %bb.16:
	ds_read2st64_b32 v[2:3], v1 offset1:1
	s_waitcnt lgkmcnt(0)
	v_add_f32_e32 v2, v3, v2
	ds_write_b32 v1, v2
.LBB31_17:
	s_or_b64 exec, exec, s[0:1]
	v_cmp_gt_u32_e32 vcc, 32, v0
	s_waitcnt lgkmcnt(0)
	s_barrier
	s_and_saveexec_b64 s[0:1], vcc
	s_cbranch_execz .LBB31_19
; %bb.18:
	ds_read2_b32 v[2:3], v1 offset1:32
	s_waitcnt lgkmcnt(0)
	v_add_f32_e32 v2, v3, v2
	ds_write_b32 v1, v2
.LBB31_19:
	s_or_b64 exec, exec, s[0:1]
	v_cmp_gt_u32_e32 vcc, 16, v0
	s_waitcnt lgkmcnt(0)
	s_barrier
	s_and_saveexec_b64 s[0:1], vcc
	s_cbranch_execz .LBB31_21
; %bb.20:
	ds_read2_b32 v[2:3], v1 offset1:16
	s_waitcnt lgkmcnt(0)
	v_add_f32_e32 v2, v3, v2
	ds_write_b32 v1, v2
.LBB31_21:
	;; [unrolled: 12-line block ×5, first 2 shown]
	s_or_b64 exec, exec, s[0:1]
	v_cmp_eq_u32_e32 vcc, 0, v0
	s_waitcnt lgkmcnt(0)
	s_barrier
	s_and_saveexec_b64 s[0:1], vcc
	s_cbranch_execz .LBB31_29
; %bb.28:
	v_mov_b32_e32 v2, 0
	ds_read_b64 v[0:1], v2
	s_waitcnt lgkmcnt(0)
	v_add_f32_e32 v0, v1, v0
	ds_write_b32 v2, v0
.LBB31_29:
	s_or_b64 exec, exec, s[0:1]
	s_waitcnt lgkmcnt(0)
	s_barrier
	s_waitcnt lgkmcnt(0)
                                        ; implicit-def: $vgpr1
                                        ; implicit-def: $sgpr6_sgpr7
	s_and_saveexec_b64 s[0:1], vcc
	s_cbranch_execz .LBB31_33
; %bb.30:
	v_mov_b32_e32 v0, 0
	ds_read_b32 v0, v0
	v_cmp_eq_f32_e64 s[4:5], s20, 0
	s_mul_hi_i32 s7, s22, s2
	s_mul_i32 s6, s22, s2
	s_and_b64 vcc, exec, s[4:5]
	s_waitcnt lgkmcnt(0)
	v_mul_f32_e32 v1, s21, v0
	s_cbranch_vccnz .LBB31_32
; %bb.31:
	s_lshl_b64 s[2:3], s[6:7], 2
	s_add_u32 s2, s18, s2
	s_addc_u32 s3, s19, s3
	s_load_dword s2, s[2:3], 0x0
	v_mov_b32_e32 v0, s20
	s_waitcnt lgkmcnt(0)
	v_fmac_f32_e32 v1, s2, v0
.LBB31_32:
	s_or_b64 s[8:9], s[8:9], exec
.LBB31_33:
	s_or_b64 exec, exec, s[0:1]
.LBB31_34:
	s_and_saveexec_b64 s[0:1], s[8:9]
	s_cbranch_execz .LBB31_36
; %bb.35:
	s_lshl_b64 s[0:1], s[6:7], 2
	s_add_u32 s0, s18, s0
	s_addc_u32 s1, s19, s1
	v_mov_b32_e32 v0, 0
	global_store_dword v0, v1, s[0:1]
.LBB31_36:
	s_endpgm
	.section	.rodata,"a",@progbits
	.p2align	6, 0x0
	.amdhsa_kernel _ZL20rocblas_gemvt_kernelILb0ELi256EfffEviiT2_lPKT1_lilS3_lilS0_lPT3_lili
		.amdhsa_group_segment_fixed_size 1024
		.amdhsa_private_segment_fixed_size 0
		.amdhsa_kernarg_size 140
		.amdhsa_user_sgpr_count 2
		.amdhsa_user_sgpr_dispatch_ptr 0
		.amdhsa_user_sgpr_queue_ptr 0
		.amdhsa_user_sgpr_kernarg_segment_ptr 1
		.amdhsa_user_sgpr_dispatch_id 0
		.amdhsa_user_sgpr_kernarg_preload_length 0
		.amdhsa_user_sgpr_kernarg_preload_offset 0
		.amdhsa_user_sgpr_private_segment_size 0
		.amdhsa_uses_dynamic_stack 0
		.amdhsa_enable_private_segment 0
		.amdhsa_system_sgpr_workgroup_id_x 1
		.amdhsa_system_sgpr_workgroup_id_y 0
		.amdhsa_system_sgpr_workgroup_id_z 1
		.amdhsa_system_sgpr_workgroup_info 0
		.amdhsa_system_vgpr_workitem_id 0
		.amdhsa_next_free_vgpr 10
		.amdhsa_next_free_sgpr 28
		.amdhsa_accum_offset 12
		.amdhsa_reserve_vcc 1
		.amdhsa_float_round_mode_32 0
		.amdhsa_float_round_mode_16_64 0
		.amdhsa_float_denorm_mode_32 3
		.amdhsa_float_denorm_mode_16_64 3
		.amdhsa_dx10_clamp 1
		.amdhsa_ieee_mode 1
		.amdhsa_fp16_overflow 0
		.amdhsa_tg_split 0
		.amdhsa_exception_fp_ieee_invalid_op 0
		.amdhsa_exception_fp_denorm_src 0
		.amdhsa_exception_fp_ieee_div_zero 0
		.amdhsa_exception_fp_ieee_overflow 0
		.amdhsa_exception_fp_ieee_underflow 0
		.amdhsa_exception_fp_ieee_inexact 0
		.amdhsa_exception_int_div_zero 0
	.end_amdhsa_kernel
	.section	.text._ZL20rocblas_gemvt_kernelILb0ELi256EfffEviiT2_lPKT1_lilS3_lilS0_lPT3_lili,"axG",@progbits,_ZL20rocblas_gemvt_kernelILb0ELi256EfffEviiT2_lPKT1_lilS3_lilS0_lPT3_lili,comdat
.Lfunc_end31:
	.size	_ZL20rocblas_gemvt_kernelILb0ELi256EfffEviiT2_lPKT1_lilS3_lilS0_lPT3_lili, .Lfunc_end31-_ZL20rocblas_gemvt_kernelILb0ELi256EfffEviiT2_lPKT1_lilS3_lilS0_lPT3_lili
                                        ; -- End function
	.section	.AMDGPU.csdata,"",@progbits
; Kernel info:
; codeLenInByte = 1208
; NumSgprs: 34
; NumVgprs: 10
; NumAgprs: 0
; TotalNumVgprs: 10
; ScratchSize: 0
; MemoryBound: 0
; FloatMode: 240
; IeeeMode: 1
; LDSByteSize: 1024 bytes/workgroup (compile time only)
; SGPRBlocks: 4
; VGPRBlocks: 1
; NumSGPRsForWavesPerEU: 34
; NumVGPRsForWavesPerEU: 10
; AccumOffset: 12
; Occupancy: 8
; WaveLimiterHint : 1
; COMPUTE_PGM_RSRC2:SCRATCH_EN: 0
; COMPUTE_PGM_RSRC2:USER_SGPR: 2
; COMPUTE_PGM_RSRC2:TRAP_HANDLER: 0
; COMPUTE_PGM_RSRC2:TGID_X_EN: 1
; COMPUTE_PGM_RSRC2:TGID_Y_EN: 0
; COMPUTE_PGM_RSRC2:TGID_Z_EN: 1
; COMPUTE_PGM_RSRC2:TIDIG_COMP_CNT: 0
; COMPUTE_PGM_RSRC3_GFX90A:ACCUM_OFFSET: 2
; COMPUTE_PGM_RSRC3_GFX90A:TG_SPLIT: 0
	.section	.text._ZL32rocblas_gemvt_warp_reduce_kernelILb0ELi1024EifPKffEviiT3_lPKT2_lT1_lS5_lS6_lS2_lPT4_lS6_li,"axG",@progbits,_ZL32rocblas_gemvt_warp_reduce_kernelILb0ELi1024EifPKffEviiT3_lPKT2_lT1_lS5_lS6_lS2_lPT4_lS6_li,comdat
	.globl	_ZL32rocblas_gemvt_warp_reduce_kernelILb0ELi1024EifPKffEviiT3_lPKT2_lT1_lS5_lS6_lS2_lPT4_lS6_li ; -- Begin function _ZL32rocblas_gemvt_warp_reduce_kernelILb0ELi1024EifPKffEviiT3_lPKT2_lT1_lS5_lS6_lS2_lPT4_lS6_li
	.p2align	8
	.type	_ZL32rocblas_gemvt_warp_reduce_kernelILb0ELi1024EifPKffEviiT3_lPKT2_lT1_lS5_lS6_lS2_lPT4_lS6_li,@function
_ZL32rocblas_gemvt_warp_reduce_kernelILb0ELi1024EifPKffEviiT3_lPKT2_lT1_lS5_lS6_lS2_lPT4_lS6_li: ; @_ZL32rocblas_gemvt_warp_reduce_kernelILb0ELi1024EifPKffEviiT3_lPKT2_lT1_lS5_lS6_lS2_lPT4_lS6_li
; %bb.0:
	s_load_dwordx8 s[4:11], s[0:1], 0x8
	s_load_dwordx8 s[12:19], s[0:1], 0x50
	s_waitcnt lgkmcnt(0)
	s_mul_i32 s7, s3, s7
	s_mul_hi_u32 s20, s3, s6
	s_add_i32 s7, s20, s7
	s_mul_i32 s6, s3, s6
	s_lshl_b64 s[6:7], s[6:7], 2
	s_add_u32 s4, s4, s6
	s_addc_u32 s5, s5, s7
	s_load_dword s23, s[4:5], 0x0
	s_mul_i32 s4, s3, s17
	s_mul_hi_u32 s5, s3, s16
	s_add_i32 s5, s5, s4
	s_mul_i32 s4, s3, s16
	s_lshl_b64 s[4:5], s[4:5], 2
	s_add_u32 s4, s14, s4
	s_addc_u32 s5, s15, s5
	s_load_dword s22, s[4:5], 0x0
	s_waitcnt lgkmcnt(0)
	v_cmp_eq_f32_e64 s[4:5], s23, 0
	v_cmp_eq_f32_e64 s[6:7], s22, 1.0
	s_and_b64 s[4:5], s[4:5], s[6:7]
	s_and_b64 vcc, exec, s[4:5]
	s_cbranch_vccnz .LBB32_29
; %bb.1:
	s_load_dwordx2 s[4:5], s[0:1], 0x80
	s_load_dwordx2 s[6:7], s[0:1], 0x70
	s_load_dword s24, s[0:1], 0x78
	s_waitcnt lgkmcnt(0)
	s_mul_i32 s5, s3, s5
	s_mul_hi_u32 s14, s3, s4
	s_mul_i32 s4, s3, s4
	s_add_i32 s5, s14, s5
	s_lshl_b64 s[4:5], s[4:5], 2
	s_add_u32 s14, s18, s4
	s_addc_u32 s15, s19, s5
	s_lshl_b64 s[4:5], s[6:7], 2
	s_add_u32 s20, s14, s4
	s_addc_u32 s21, s15, s5
	v_cmp_neq_f32_e64 s[4:5], s23, 0
	s_and_b64 vcc, exec, s[4:5]
	v_cmp_eq_u32_e64 s[4:5], 0, v0
	s_cbranch_vccnz .LBB32_6
; %bb.2:
	s_mov_b64 s[16:17], 0
	s_mov_b64 s[6:7], 0
                                        ; implicit-def: $vgpr1
                                        ; implicit-def: $sgpr14_sgpr15
	s_and_saveexec_b64 s[18:19], s[4:5]
	s_cbranch_execz .LBB32_7
; %bb.3:
	v_cmp_eq_f32_e64 s[4:5], s22, 0
	s_mul_i32 s14, s2, s24
	v_mov_b32_e32 v1, 0
	s_ashr_i32 s15, s14, 31
	s_and_b64 vcc, exec, s[4:5]
	s_cbranch_vccnz .LBB32_5
; %bb.4:
	s_lshl_b64 s[4:5], s[14:15], 2
	s_add_u32 s4, s20, s4
	s_addc_u32 s5, s21, s5
	s_load_dword s4, s[4:5], 0x0
	s_waitcnt lgkmcnt(0)
	v_mov_b32_e32 v1, s4
	v_mul_f32_e32 v1, s22, v1
.LBB32_5:
	s_mov_b64 s[6:7], exec
	s_or_b64 exec, exec, s[18:19]
	s_and_b64 vcc, exec, s[16:17]
	s_cbranch_vccnz .LBB32_8
	s_branch .LBB32_27
.LBB32_6:
	s_mov_b64 s[6:7], 0
                                        ; implicit-def: $vgpr1
                                        ; implicit-def: $sgpr14_sgpr15
	s_cbranch_execnz .LBB32_8
	s_branch .LBB32_27
.LBB32_7:
	s_or_b64 exec, exec, s[18:19]
	s_and_b64 vcc, exec, s[16:17]
	s_cbranch_vccz .LBB32_27
.LBB32_8:
	s_load_dword s14, s[0:1], 0x0
	s_load_dword s25, s[0:1], 0x28
	s_load_dwordx4 s[16:19], s[0:1], 0x30
	s_load_dwordx2 s[4:5], s[0:1], 0x40
	s_mul_i32 s13, s3, s13
	s_mul_hi_u32 s15, s3, s12
	s_add_i32 s13, s15, s13
	s_mul_i32 s12, s3, s12
	s_lshl_b64 s[12:13], s[12:13], 2
	s_waitcnt lgkmcnt(0)
	s_add_u32 s12, s18, s12
	s_addc_u32 s13, s19, s13
	s_lshl_b64 s[4:5], s[4:5], 2
	s_add_u32 s4, s12, s4
	s_load_dword s15, s[0:1], 0x48
	s_mul_i32 s0, s3, s17
	s_mul_hi_u32 s1, s3, s16
	s_addc_u32 s5, s13, s5
	s_add_i32 s1, s1, s0
	s_mul_i32 s0, s3, s16
	s_lshl_b64 s[0:1], s[0:1], 2
	s_add_u32 s3, s8, s0
	s_addc_u32 s8, s9, s1
	s_lshl_b64 s[0:1], s[10:11], 2
	s_add_u32 s3, s3, s0
	s_mul_i32 s0, s2, s25
	s_addc_u32 s8, s8, s1
	s_ashr_i32 s1, s0, 31
	v_cmp_gt_i32_e32 vcc, s14, v0
	s_lshl_b64 s[0:1], s[0:1], 2
	s_add_u32 s0, s0, s3
	v_cndmask_b32_e32 v1, 0, v0, vcc
	v_lshlrev_b32_e32 v2, 2, v1
	v_mov_b32_e32 v3, 0
	s_addc_u32 s1, s1, s8
	v_lshl_add_u64 v[4:5], s[0:1], 0, v[2:3]
	s_ashr_i32 s0, s14, 31
	s_lshr_b32 s0, s0, 22
	s_add_i32 s0, s14, s0
	s_and_b32 s0, s0, 0xfffffc00
	v_cmp_gt_i32_e32 vcc, s0, v0
	s_and_saveexec_b64 s[8:9], vcc
	s_cbranch_execz .LBB32_12
; %bb.9:
	s_waitcnt lgkmcnt(0)
	v_mul_lo_u32 v6, v0, s15
	s_lshl_b32 s1, s15, 10
	s_mov_b64 s[10:11], 0
	v_mov_b32_e32 v3, 0
	s_mov_b64 s[12:13], 0x1000
	v_mov_b64_e32 v[8:9], v[4:5]
	v_mov_b32_e32 v1, v0
.LBB32_10:                              ; =>This Inner Loop Header: Depth=1
	v_ashrrev_i32_e32 v7, 31, v6
	v_lshl_add_u64 v[10:11], v[6:7], 2, s[4:5]
	global_load_dword v2, v[8:9], off
	global_load_dword v7, v[10:11], off
	v_add_u32_e32 v1, 0x400, v1
	v_cmp_le_i32_e32 vcc, s0, v1
	v_lshl_add_u64 v[8:9], v[8:9], 0, s[12:13]
	v_add_u32_e32 v6, s1, v6
	s_or_b64 s[10:11], vcc, s[10:11]
	s_waitcnt vmcnt(0)
	v_fmac_f32_e32 v3, v2, v7
	s_andn2_b64 exec, exec, s[10:11]
	s_cbranch_execnz .LBB32_10
; %bb.11:
	s_or_b64 exec, exec, s[10:11]
.LBB32_12:
	s_or_b64 exec, exec, s[8:9]
	v_or_b32_e32 v1, s0, v0
	v_cmp_gt_i32_e32 vcc, s14, v1
	s_and_saveexec_b64 s[8:9], vcc
	s_cbranch_execz .LBB32_14
; %bb.13:
	s_ashr_i32 s1, s0, 31
	v_lshl_add_u64 v[4:5], s[0:1], 2, v[4:5]
	global_load_dword v2, v[4:5], off
	s_waitcnt lgkmcnt(0)
	v_mul_lo_u32 v4, v1, s15
	v_ashrrev_i32_e32 v5, 31, v4
	v_lshl_add_u64 v[4:5], v[4:5], 2, s[4:5]
	global_load_dword v1, v[4:5], off
	s_waitcnt vmcnt(0)
	v_fmac_f32_e32 v3, v2, v1
.LBB32_14:
	s_or_b64 exec, exec, s[8:9]
	v_and_b32_e32 v2, 63, v0
	v_cmp_gt_u32_e32 vcc, 64, v0
	v_lshlrev_b32_e32 v1, 2, v2
	s_and_saveexec_b64 s[0:1], vcc
	s_cbranch_execz .LBB32_16
; %bb.15:
	v_mov_b32_e32 v4, 0
	ds_write_b32 v1, v4
.LBB32_16:
	s_or_b64 exec, exec, s[0:1]
	v_mbcnt_lo_u32_b32 v4, -1, 0
	v_mbcnt_hi_u32_b32 v6, -1, v4
	v_and_b32_e32 v7, 63, v6
	v_cmp_gt_u32_e64 s[0:1], 32, v7
	s_waitcnt lgkmcnt(0)
	s_barrier
	v_cndmask_b32_e64 v4, 0, 1, s[0:1]
	v_lshlrev_b32_e32 v4, 5, v4
	v_add_lshl_u32 v4, v4, v6, 2
	ds_bpermute_b32 v4, v4, v3
	v_cmp_gt_u32_e64 s[0:1], 48, v7
	s_waitcnt lgkmcnt(0)
	v_add_f32_e32 v3, v3, v4
	v_cndmask_b32_e64 v5, 0, 1, s[0:1]
	v_lshlrev_b32_e32 v5, 4, v5
	v_add_lshl_u32 v4, v5, v6, 2
	ds_bpermute_b32 v4, v4, v3
	v_cmp_gt_u32_e64 s[0:1], 56, v7
	s_waitcnt lgkmcnt(0)
	v_add_f32_e32 v4, v3, v4
	v_cndmask_b32_e64 v5, 0, 1, s[0:1]
	v_lshlrev_b32_e32 v5, 3, v5
	v_add_lshl_u32 v3, v5, v6, 2
	ds_bpermute_b32 v5, v3, v4
	v_cmp_gt_u32_e64 s[0:1], 60, v7
	s_waitcnt lgkmcnt(0)
	v_add_f32_e32 v5, v4, v5
	v_cndmask_b32_e64 v8, 0, 1, s[0:1]
	v_lshlrev_b32_e32 v8, 2, v8
	v_add_lshl_u32 v4, v8, v6, 2
	ds_bpermute_b32 v8, v4, v5
	v_cmp_gt_u32_e64 s[0:1], 62, v7
	s_waitcnt lgkmcnt(0)
	v_add_f32_e32 v8, v5, v8
	v_cndmask_b32_e64 v9, 0, 1, s[0:1]
	v_lshlrev_b32_e32 v9, 1, v9
	v_add_lshl_u32 v5, v9, v6, 2
	ds_bpermute_b32 v9, v5, v8
	v_cmp_ne_u32_e64 s[0:1], 63, v7
	s_waitcnt lgkmcnt(0)
	v_add_f32_e32 v7, v8, v9
	v_addc_co_u32_e64 v6, s[0:1], 0, v6, s[0:1]
	v_lshlrev_b32_e32 v6, 2, v6
	ds_bpermute_b32 v8, v6, v7
	v_cmp_eq_u32_e64 s[0:1], 0, v2
	s_and_saveexec_b64 s[4:5], s[0:1]
	s_cbranch_execz .LBB32_18
; %bb.17:
	v_lshrrev_b32_e32 v2, 4, v0
	v_and_b32_e32 v2, 60, v2
	s_waitcnt lgkmcnt(0)
	v_add_f32_e32 v7, v7, v8
	ds_write_b32 v2, v7
.LBB32_18:
	s_or_b64 exec, exec, s[4:5]
	v_cmp_gt_u32_e64 s[0:1], 16, v0
	v_mov_b32_e32 v2, 0
	s_waitcnt lgkmcnt(0)
	s_barrier
	s_and_saveexec_b64 s[4:5], s[0:1]
	s_cbranch_execz .LBB32_20
; %bb.19:
	ds_read_b32 v2, v1
	s_or_b64 exec, exec, s[4:5]
	s_and_saveexec_b64 s[0:1], vcc
	s_cbranch_execz .LBB32_22
	s_branch .LBB32_21
.LBB32_20:
	s_or_b64 exec, exec, s[4:5]
	s_and_saveexec_b64 s[0:1], vcc
	s_cbranch_execz .LBB32_22
.LBB32_21:
	s_waitcnt lgkmcnt(0)
	ds_bpermute_b32 v1, v3, v2
	s_waitcnt lgkmcnt(0)
	v_add_f32_e32 v1, v2, v1
	ds_bpermute_b32 v2, v4, v1
	s_waitcnt lgkmcnt(0)
	v_add_f32_e32 v1, v1, v2
	;; [unrolled: 3-line block ×4, first 2 shown]
.LBB32_22:
	s_or_b64 exec, exec, s[0:1]
	v_cmp_eq_u32_e32 vcc, 0, v0
                                        ; implicit-def: $vgpr1
                                        ; implicit-def: $sgpr14_sgpr15
	s_and_saveexec_b64 s[0:1], vcc
	s_cbranch_execz .LBB32_26
; %bb.23:
	v_cmp_eq_f32_e64 s[4:5], s22, 0
	s_mul_i32 s14, s2, s24
	s_waitcnt lgkmcnt(0)
	v_mul_f32_e32 v1, s23, v2
	s_ashr_i32 s15, s14, 31
	s_and_b64 vcc, exec, s[4:5]
	s_cbranch_vccnz .LBB32_25
; %bb.24:
	s_lshl_b64 s[2:3], s[14:15], 2
	s_add_u32 s2, s20, s2
	s_addc_u32 s3, s21, s3
	s_load_dword s2, s[2:3], 0x0
	s_waitcnt lgkmcnt(0)
	v_mov_b32_e32 v0, s2
	v_fmac_f32_e32 v1, s22, v0
.LBB32_25:
	s_or_b64 s[6:7], s[6:7], exec
.LBB32_26:
	s_or_b64 exec, exec, s[0:1]
.LBB32_27:
	s_and_saveexec_b64 s[0:1], s[6:7]
	s_cbranch_execz .LBB32_29
; %bb.28:
	s_lshl_b64 s[0:1], s[14:15], 2
	s_add_u32 s0, s20, s0
	s_addc_u32 s1, s21, s1
	v_mov_b32_e32 v0, 0
	global_store_dword v0, v1, s[0:1]
.LBB32_29:
	s_endpgm
	.section	.rodata,"a",@progbits
	.p2align	6, 0x0
	.amdhsa_kernel _ZL32rocblas_gemvt_warp_reduce_kernelILb0ELi1024EifPKffEviiT3_lPKT2_lT1_lS5_lS6_lS2_lPT4_lS6_li
		.amdhsa_group_segment_fixed_size 256
		.amdhsa_private_segment_fixed_size 0
		.amdhsa_kernarg_size 140
		.amdhsa_user_sgpr_count 2
		.amdhsa_user_sgpr_dispatch_ptr 0
		.amdhsa_user_sgpr_queue_ptr 0
		.amdhsa_user_sgpr_kernarg_segment_ptr 1
		.amdhsa_user_sgpr_dispatch_id 0
		.amdhsa_user_sgpr_kernarg_preload_length 0
		.amdhsa_user_sgpr_kernarg_preload_offset 0
		.amdhsa_user_sgpr_private_segment_size 0
		.amdhsa_uses_dynamic_stack 0
		.amdhsa_enable_private_segment 0
		.amdhsa_system_sgpr_workgroup_id_x 1
		.amdhsa_system_sgpr_workgroup_id_y 0
		.amdhsa_system_sgpr_workgroup_id_z 1
		.amdhsa_system_sgpr_workgroup_info 0
		.amdhsa_system_vgpr_workitem_id 0
		.amdhsa_next_free_vgpr 12
		.amdhsa_next_free_sgpr 26
		.amdhsa_accum_offset 12
		.amdhsa_reserve_vcc 1
		.amdhsa_float_round_mode_32 0
		.amdhsa_float_round_mode_16_64 0
		.amdhsa_float_denorm_mode_32 3
		.amdhsa_float_denorm_mode_16_64 3
		.amdhsa_dx10_clamp 1
		.amdhsa_ieee_mode 1
		.amdhsa_fp16_overflow 0
		.amdhsa_tg_split 0
		.amdhsa_exception_fp_ieee_invalid_op 0
		.amdhsa_exception_fp_denorm_src 0
		.amdhsa_exception_fp_ieee_div_zero 0
		.amdhsa_exception_fp_ieee_overflow 0
		.amdhsa_exception_fp_ieee_underflow 0
		.amdhsa_exception_fp_ieee_inexact 0
		.amdhsa_exception_int_div_zero 0
	.end_amdhsa_kernel
	.section	.text._ZL32rocblas_gemvt_warp_reduce_kernelILb0ELi1024EifPKffEviiT3_lPKT2_lT1_lS5_lS6_lS2_lPT4_lS6_li,"axG",@progbits,_ZL32rocblas_gemvt_warp_reduce_kernelILb0ELi1024EifPKffEviiT3_lPKT2_lT1_lS5_lS6_lS2_lPT4_lS6_li,comdat
.Lfunc_end32:
	.size	_ZL32rocblas_gemvt_warp_reduce_kernelILb0ELi1024EifPKffEviiT3_lPKT2_lT1_lS5_lS6_lS2_lPT4_lS6_li, .Lfunc_end32-_ZL32rocblas_gemvt_warp_reduce_kernelILb0ELi1024EifPKffEviiT3_lPKT2_lT1_lS5_lS6_lS2_lPT4_lS6_li
                                        ; -- End function
	.section	.AMDGPU.csdata,"",@progbits
; Kernel info:
; codeLenInByte = 1348
; NumSgprs: 32
; NumVgprs: 12
; NumAgprs: 0
; TotalNumVgprs: 12
; ScratchSize: 0
; MemoryBound: 0
; FloatMode: 240
; IeeeMode: 1
; LDSByteSize: 256 bytes/workgroup (compile time only)
; SGPRBlocks: 3
; VGPRBlocks: 1
; NumSGPRsForWavesPerEU: 32
; NumVGPRsForWavesPerEU: 12
; AccumOffset: 12
; Occupancy: 8
; WaveLimiterHint : 1
; COMPUTE_PGM_RSRC2:SCRATCH_EN: 0
; COMPUTE_PGM_RSRC2:USER_SGPR: 2
; COMPUTE_PGM_RSRC2:TRAP_HANDLER: 0
; COMPUTE_PGM_RSRC2:TGID_X_EN: 1
; COMPUTE_PGM_RSRC2:TGID_Y_EN: 0
; COMPUTE_PGM_RSRC2:TGID_Z_EN: 1
; COMPUTE_PGM_RSRC2:TIDIG_COMP_CNT: 0
; COMPUTE_PGM_RSRC3_GFX90A:ACCUM_OFFSET: 2
; COMPUTE_PGM_RSRC3_GFX90A:TG_SPLIT: 0
	.section	.text._ZL32rocblas_gemvt_warp_reduce_kernelILb0ELi1024ElfPKffEviiT3_lPKT2_lT1_lS5_lS6_lS2_lPT4_lS6_li,"axG",@progbits,_ZL32rocblas_gemvt_warp_reduce_kernelILb0ELi1024ElfPKffEviiT3_lPKT2_lT1_lS5_lS6_lS2_lPT4_lS6_li,comdat
	.globl	_ZL32rocblas_gemvt_warp_reduce_kernelILb0ELi1024ElfPKffEviiT3_lPKT2_lT1_lS5_lS6_lS2_lPT4_lS6_li ; -- Begin function _ZL32rocblas_gemvt_warp_reduce_kernelILb0ELi1024ElfPKffEviiT3_lPKT2_lT1_lS5_lS6_lS2_lPT4_lS6_li
	.p2align	8
	.type	_ZL32rocblas_gemvt_warp_reduce_kernelILb0ELi1024ElfPKffEviiT3_lPKT2_lT1_lS5_lS6_lS2_lPT4_lS6_li,@function
_ZL32rocblas_gemvt_warp_reduce_kernelILb0ELi1024ElfPKffEviiT3_lPKT2_lT1_lS5_lS6_lS2_lPT4_lS6_li: ; @_ZL32rocblas_gemvt_warp_reduce_kernelILb0ELi1024ElfPKffEviiT3_lPKT2_lT1_lS5_lS6_lS2_lPT4_lS6_li
; %bb.0:
	s_load_dwordx16 s[36:51], s[0:1], 0x8
	s_load_dwordx16 s[8:23], s[0:1], 0x48
	s_waitcnt lgkmcnt(0)
	s_mul_i32 s4, s3, s39
	s_mul_hi_u32 s5, s3, s38
	s_add_i32 s5, s5, s4
	s_mul_i32 s4, s3, s38
	s_lshl_b64 s[4:5], s[4:5], 2
	s_add_u32 s4, s36, s4
	s_addc_u32 s5, s37, s5
	s_load_dword s25, s[4:5], 0x0
	s_mul_i32 s4, s3, s15
	s_mul_hi_u32 s5, s3, s14
	s_add_i32 s5, s5, s4
	s_mul_i32 s4, s3, s14
	s_lshl_b64 s[4:5], s[4:5], 2
	s_add_u32 s4, s12, s4
	s_addc_u32 s5, s13, s5
	s_load_dword s24, s[4:5], 0x0
	s_waitcnt lgkmcnt(0)
	v_cmp_eq_f32_e64 s[4:5], s25, 0
	v_cmp_eq_f32_e64 s[6:7], s24, 1.0
	s_and_b64 s[4:5], s[4:5], s[6:7]
	s_and_b64 vcc, exec, s[4:5]
	s_cbranch_vccnz .LBB33_29
; %bb.1:
	s_mul_i32 s4, s3, s23
	s_mul_hi_u32 s5, s3, s22
	s_add_i32 s5, s5, s4
	s_mul_i32 s4, s3, s22
	s_lshl_b64 s[4:5], s[4:5], 2
	s_add_u32 s6, s16, s4
	s_addc_u32 s7, s17, s5
	s_lshl_b64 s[4:5], s[18:19], 2
	s_add_u32 s18, s6, s4
	s_addc_u32 s19, s7, s5
	v_cmp_neq_f32_e64 s[4:5], s25, 0
	s_and_b64 vcc, exec, s[4:5]
	v_cmp_eq_u32_e64 s[4:5], 0, v0
	s_cbranch_vccnz .LBB33_6
; %bb.2:
	s_mov_b64 s[14:15], 0
	s_mov_b64 s[6:7], 0
                                        ; implicit-def: $vgpr1
                                        ; implicit-def: $sgpr12_sgpr13
	s_and_saveexec_b64 s[16:17], s[4:5]
	s_cbranch_execz .LBB33_7
; %bb.3:
	s_ashr_i32 s6, s2, 31
	s_mul_i32 s7, s2, s21
	s_mul_hi_u32 s12, s2, s20
	v_cmp_eq_f32_e64 s[4:5], s24, 0
	s_add_i32 s7, s12, s7
	s_mul_i32 s6, s6, s20
	v_mov_b32_e32 v1, 0
	s_add_i32 s13, s7, s6
	s_mul_i32 s12, s2, s20
	s_and_b64 vcc, exec, s[4:5]
	s_cbranch_vccnz .LBB33_5
; %bb.4:
	s_lshl_b64 s[4:5], s[12:13], 2
	s_add_u32 s4, s18, s4
	s_addc_u32 s5, s19, s5
	s_load_dword s4, s[4:5], 0x0
	s_waitcnt lgkmcnt(0)
	v_mov_b32_e32 v1, s4
	v_mul_f32_e32 v1, s24, v1
.LBB33_5:
	s_mov_b64 s[6:7], exec
	s_or_b64 exec, exec, s[16:17]
	s_and_b64 vcc, exec, s[14:15]
	s_cbranch_vccnz .LBB33_8
	s_branch .LBB33_27
.LBB33_6:
	s_mov_b64 s[6:7], 0
                                        ; implicit-def: $vgpr1
                                        ; implicit-def: $sgpr12_sgpr13
	s_cbranch_execnz .LBB33_8
	s_branch .LBB33_27
.LBB33_7:
	s_or_b64 exec, exec, s[16:17]
	s_and_b64 vcc, exec, s[14:15]
	s_cbranch_vccz .LBB33_27
.LBB33_8:
	s_mul_i32 s4, s3, s11
	s_mul_hi_u32 s5, s3, s10
	s_add_i32 s5, s5, s4
	s_mul_i32 s4, s3, s10
	s_load_dword s1, s[0:1], 0x0
	s_mul_i32 s0, s3, s47
	s_mul_hi_u32 s10, s3, s46
	s_add_i32 s11, s10, s0
	s_mul_i32 s10, s3, s46
	s_lshl_b64 s[10:11], s[10:11], 2
	s_add_u32 s0, s40, s10
	s_addc_u32 s3, s41, s11
	s_lshl_b64 s[10:11], s[42:43], 2
	s_add_u32 s0, s0, s10
	s_addc_u32 s12, s3, s11
	s_ashr_i32 s3, s2, 31
	s_mul_i32 s10, s2, s45
	s_mul_hi_u32 s11, s2, s44
	s_add_i32 s10, s11, s10
	s_mul_i32 s11, s3, s44
	s_add_i32 s11, s10, s11
	s_mul_i32 s10, s2, s44
	s_lshl_b64 s[10:11], s[10:11], 2
	s_add_u32 s10, s10, s0
	s_addc_u32 s11, s11, s12
	s_waitcnt lgkmcnt(0)
	s_ashr_i32 s0, s1, 31
	v_cmp_gt_i32_e32 vcc, s1, v0
	s_lshr_b32 s0, s0, 22
	s_add_i32 s0, s1, s0
	v_cndmask_b32_e32 v1, 0, v0, vcc
	v_lshlrev_b32_e32 v2, 2, v1
	v_mov_b32_e32 v3, 0
	s_and_b32 s0, s0, 0xfffffc00
	v_lshl_add_u64 v[4:5], s[10:11], 0, v[2:3]
	v_cmp_gt_i32_e32 vcc, s0, v0
	s_and_saveexec_b64 s[10:11], vcc
	s_cbranch_execz .LBB33_12
; %bb.9:
	v_mad_u64_u32 v[2:3], s[14:15], s8, v0, 0
	v_mov_b32_e32 v6, v3
	v_mad_u64_u32 v[6:7], s[14:15], s9, v0, v[6:7]
	s_lshl_b64 s[12:13], s[4:5], 2
	s_lshl_b64 s[14:15], s[50:51], 2
	s_add_u32 s14, s48, s14
	s_addc_u32 s15, s49, s15
	s_add_u32 s12, s14, s12
	v_mov_b32_e32 v3, v6
	s_addc_u32 s13, s15, s13
	v_lshl_add_u64 v[6:7], v[2:3], 2, s[12:13]
	s_lshl_b64 s[14:15], s[8:9], 12
	s_mov_b64 s[12:13], 0
	v_mov_b32_e32 v3, 0
	s_mov_b64 s[16:17], 0x1000
	v_mov_b64_e32 v[8:9], v[4:5]
	v_mov_b32_e32 v1, v0
.LBB33_10:                              ; =>This Inner Loop Header: Depth=1
	global_load_dword v2, v[8:9], off
	global_load_dword v10, v[6:7], off
	v_add_u32_e32 v1, 0x400, v1
	v_cmp_le_i32_e32 vcc, s0, v1
	v_lshl_add_u64 v[8:9], v[8:9], 0, s[16:17]
	v_lshl_add_u64 v[6:7], v[6:7], 0, s[14:15]
	s_or_b64 s[12:13], vcc, s[12:13]
	s_waitcnt vmcnt(0)
	v_fmac_f32_e32 v3, v2, v10
	s_andn2_b64 exec, exec, s[12:13]
	s_cbranch_execnz .LBB33_10
; %bb.11:
	s_or_b64 exec, exec, s[12:13]
.LBB33_12:
	s_or_b64 exec, exec, s[10:11]
	v_or_b32_e32 v1, s0, v0
	v_cmp_gt_i32_e32 vcc, s1, v1
	s_and_saveexec_b64 s[10:11], vcc
	s_cbranch_execz .LBB33_14
; %bb.13:
	s_lshl_b64 s[4:5], s[4:5], 2
	s_add_u32 s1, s48, s4
	s_addc_u32 s12, s49, s5
	s_lshl_b64 s[4:5], s[50:51], 2
	s_add_u32 s4, s1, s4
	s_addc_u32 s5, s12, s5
	s_ashr_i32 s1, s0, 31
	v_lshl_add_u64 v[4:5], s[0:1], 2, v[4:5]
	global_load_dword v2, v[4:5], off
	v_ashrrev_i32_e32 v4, 31, v1
	v_mul_lo_u32 v6, v1, s9
	v_mul_lo_u32 v7, v4, s8
	v_mad_u64_u32 v[4:5], s[0:1], v1, s8, 0
	v_add3_u32 v5, v5, v6, v7
	v_lshl_add_u64 v[4:5], v[4:5], 2, s[4:5]
	global_load_dword v1, v[4:5], off
	s_waitcnt vmcnt(0)
	v_fmac_f32_e32 v3, v2, v1
.LBB33_14:
	s_or_b64 exec, exec, s[10:11]
	v_and_b32_e32 v2, 63, v0
	v_cmp_gt_u32_e32 vcc, 64, v0
	v_lshlrev_b32_e32 v1, 2, v2
	s_and_saveexec_b64 s[0:1], vcc
	s_cbranch_execz .LBB33_16
; %bb.15:
	v_mov_b32_e32 v4, 0
	ds_write_b32 v1, v4
.LBB33_16:
	s_or_b64 exec, exec, s[0:1]
	v_mbcnt_lo_u32_b32 v4, -1, 0
	v_mbcnt_hi_u32_b32 v6, -1, v4
	v_and_b32_e32 v7, 63, v6
	v_cmp_gt_u32_e64 s[0:1], 32, v7
	s_waitcnt lgkmcnt(0)
	s_barrier
	v_cndmask_b32_e64 v4, 0, 1, s[0:1]
	v_lshlrev_b32_e32 v4, 5, v4
	v_add_lshl_u32 v4, v4, v6, 2
	ds_bpermute_b32 v4, v4, v3
	v_cmp_gt_u32_e64 s[0:1], 48, v7
	s_waitcnt lgkmcnt(0)
	v_add_f32_e32 v3, v3, v4
	v_cndmask_b32_e64 v5, 0, 1, s[0:1]
	v_lshlrev_b32_e32 v5, 4, v5
	v_add_lshl_u32 v4, v5, v6, 2
	ds_bpermute_b32 v4, v4, v3
	v_cmp_gt_u32_e64 s[0:1], 56, v7
	s_waitcnt lgkmcnt(0)
	v_add_f32_e32 v4, v3, v4
	;; [unrolled: 7-line block ×4, first 2 shown]
	v_cndmask_b32_e64 v9, 0, 1, s[0:1]
	v_lshlrev_b32_e32 v9, 1, v9
	v_add_lshl_u32 v5, v9, v6, 2
	ds_bpermute_b32 v9, v5, v8
	v_cmp_ne_u32_e64 s[0:1], 63, v7
	s_waitcnt lgkmcnt(0)
	v_add_f32_e32 v7, v8, v9
	v_addc_co_u32_e64 v6, s[0:1], 0, v6, s[0:1]
	v_lshlrev_b32_e32 v6, 2, v6
	ds_bpermute_b32 v8, v6, v7
	v_cmp_eq_u32_e64 s[0:1], 0, v2
	s_and_saveexec_b64 s[4:5], s[0:1]
	s_cbranch_execz .LBB33_18
; %bb.17:
	v_lshrrev_b32_e32 v2, 4, v0
	v_and_b32_e32 v2, 60, v2
	s_waitcnt lgkmcnt(0)
	v_add_f32_e32 v7, v7, v8
	ds_write_b32 v2, v7
.LBB33_18:
	s_or_b64 exec, exec, s[4:5]
	v_cmp_gt_u32_e64 s[0:1], 16, v0
	v_mov_b32_e32 v2, 0
	s_waitcnt lgkmcnt(0)
	s_barrier
	s_and_saveexec_b64 s[4:5], s[0:1]
	s_cbranch_execz .LBB33_20
; %bb.19:
	ds_read_b32 v2, v1
	s_or_b64 exec, exec, s[4:5]
	s_and_saveexec_b64 s[0:1], vcc
	s_cbranch_execz .LBB33_22
	s_branch .LBB33_21
.LBB33_20:
	s_or_b64 exec, exec, s[4:5]
	s_and_saveexec_b64 s[0:1], vcc
	s_cbranch_execz .LBB33_22
.LBB33_21:
	s_waitcnt lgkmcnt(0)
	ds_bpermute_b32 v1, v3, v2
	s_waitcnt lgkmcnt(0)
	v_add_f32_e32 v1, v2, v1
	ds_bpermute_b32 v2, v4, v1
	s_waitcnt lgkmcnt(0)
	v_add_f32_e32 v1, v1, v2
	ds_bpermute_b32 v2, v5, v1
	s_waitcnt lgkmcnt(0)
	v_add_f32_e32 v1, v1, v2
	ds_bpermute_b32 v2, v6, v1
	s_waitcnt lgkmcnt(0)
	v_add_f32_e32 v2, v1, v2
.LBB33_22:
	s_or_b64 exec, exec, s[0:1]
	v_cmp_eq_u32_e32 vcc, 0, v0
                                        ; implicit-def: $vgpr1
                                        ; implicit-def: $sgpr12_sgpr13
	s_and_saveexec_b64 s[0:1], vcc
	s_cbranch_execz .LBB33_26
; %bb.23:
	s_mul_i32 s8, s2, s21
	s_mul_hi_u32 s9, s2, s20
	v_cmp_eq_f32_e64 s[4:5], s24, 0
	s_add_i32 s8, s9, s8
	s_mul_i32 s3, s3, s20
	s_waitcnt lgkmcnt(0)
	v_mul_f32_e32 v1, s25, v2
	s_add_i32 s13, s8, s3
	s_mul_i32 s12, s2, s20
	s_and_b64 vcc, exec, s[4:5]
	s_cbranch_vccnz .LBB33_25
; %bb.24:
	s_lshl_b64 s[2:3], s[12:13], 2
	s_add_u32 s2, s18, s2
	s_addc_u32 s3, s19, s3
	s_load_dword s2, s[2:3], 0x0
	s_waitcnt lgkmcnt(0)
	v_mov_b32_e32 v0, s2
	v_fmac_f32_e32 v1, s24, v0
.LBB33_25:
	s_or_b64 s[6:7], s[6:7], exec
.LBB33_26:
	s_or_b64 exec, exec, s[0:1]
.LBB33_27:
	s_and_saveexec_b64 s[0:1], s[6:7]
	s_cbranch_execz .LBB33_29
; %bb.28:
	s_lshl_b64 s[0:1], s[12:13], 2
	s_add_u32 s0, s18, s0
	s_addc_u32 s1, s19, s1
	v_mov_b32_e32 v0, 0
	global_store_dword v0, v1, s[0:1]
.LBB33_29:
	s_endpgm
	.section	.rodata,"a",@progbits
	.p2align	6, 0x0
	.amdhsa_kernel _ZL32rocblas_gemvt_warp_reduce_kernelILb0ELi1024ElfPKffEviiT3_lPKT2_lT1_lS5_lS6_lS2_lPT4_lS6_li
		.amdhsa_group_segment_fixed_size 256
		.amdhsa_private_segment_fixed_size 0
		.amdhsa_kernarg_size 140
		.amdhsa_user_sgpr_count 2
		.amdhsa_user_sgpr_dispatch_ptr 0
		.amdhsa_user_sgpr_queue_ptr 0
		.amdhsa_user_sgpr_kernarg_segment_ptr 1
		.amdhsa_user_sgpr_dispatch_id 0
		.amdhsa_user_sgpr_kernarg_preload_length 0
		.amdhsa_user_sgpr_kernarg_preload_offset 0
		.amdhsa_user_sgpr_private_segment_size 0
		.amdhsa_uses_dynamic_stack 0
		.amdhsa_enable_private_segment 0
		.amdhsa_system_sgpr_workgroup_id_x 1
		.amdhsa_system_sgpr_workgroup_id_y 0
		.amdhsa_system_sgpr_workgroup_id_z 1
		.amdhsa_system_sgpr_workgroup_info 0
		.amdhsa_system_vgpr_workitem_id 0
		.amdhsa_next_free_vgpr 11
		.amdhsa_next_free_sgpr 52
		.amdhsa_accum_offset 12
		.amdhsa_reserve_vcc 1
		.amdhsa_float_round_mode_32 0
		.amdhsa_float_round_mode_16_64 0
		.amdhsa_float_denorm_mode_32 3
		.amdhsa_float_denorm_mode_16_64 3
		.amdhsa_dx10_clamp 1
		.amdhsa_ieee_mode 1
		.amdhsa_fp16_overflow 0
		.amdhsa_tg_split 0
		.amdhsa_exception_fp_ieee_invalid_op 0
		.amdhsa_exception_fp_denorm_src 0
		.amdhsa_exception_fp_ieee_div_zero 0
		.amdhsa_exception_fp_ieee_overflow 0
		.amdhsa_exception_fp_ieee_underflow 0
		.amdhsa_exception_fp_ieee_inexact 0
		.amdhsa_exception_int_div_zero 0
	.end_amdhsa_kernel
	.section	.text._ZL32rocblas_gemvt_warp_reduce_kernelILb0ELi1024ElfPKffEviiT3_lPKT2_lT1_lS5_lS6_lS2_lPT4_lS6_li,"axG",@progbits,_ZL32rocblas_gemvt_warp_reduce_kernelILb0ELi1024ElfPKffEviiT3_lPKT2_lT1_lS5_lS6_lS2_lPT4_lS6_li,comdat
.Lfunc_end33:
	.size	_ZL32rocblas_gemvt_warp_reduce_kernelILb0ELi1024ElfPKffEviiT3_lPKT2_lT1_lS5_lS6_lS2_lPT4_lS6_li, .Lfunc_end33-_ZL32rocblas_gemvt_warp_reduce_kernelILb0ELi1024ElfPKffEviiT3_lPKT2_lT1_lS5_lS6_lS2_lPT4_lS6_li
                                        ; -- End function
	.section	.AMDGPU.csdata,"",@progbits
; Kernel info:
; codeLenInByte = 1400
; NumSgprs: 58
; NumVgprs: 11
; NumAgprs: 0
; TotalNumVgprs: 11
; ScratchSize: 0
; MemoryBound: 0
; FloatMode: 240
; IeeeMode: 1
; LDSByteSize: 256 bytes/workgroup (compile time only)
; SGPRBlocks: 7
; VGPRBlocks: 1
; NumSGPRsForWavesPerEU: 58
; NumVGPRsForWavesPerEU: 11
; AccumOffset: 12
; Occupancy: 8
; WaveLimiterHint : 0
; COMPUTE_PGM_RSRC2:SCRATCH_EN: 0
; COMPUTE_PGM_RSRC2:USER_SGPR: 2
; COMPUTE_PGM_RSRC2:TRAP_HANDLER: 0
; COMPUTE_PGM_RSRC2:TGID_X_EN: 1
; COMPUTE_PGM_RSRC2:TGID_Y_EN: 0
; COMPUTE_PGM_RSRC2:TGID_Z_EN: 1
; COMPUTE_PGM_RSRC2:TIDIG_COMP_CNT: 0
; COMPUTE_PGM_RSRC3_GFX90A:ACCUM_OFFSET: 2
; COMPUTE_PGM_RSRC3_GFX90A:TG_SPLIT: 0
	.section	.text._ZL32rocblas_gemvt_warp_reduce_kernelILb0ELi1024EifffEviiT3_lPKT2_lT1_lS3_lS4_lS0_lPT4_lS4_li,"axG",@progbits,_ZL32rocblas_gemvt_warp_reduce_kernelILb0ELi1024EifffEviiT3_lPKT2_lT1_lS3_lS4_lS0_lPT4_lS4_li,comdat
	.globl	_ZL32rocblas_gemvt_warp_reduce_kernelILb0ELi1024EifffEviiT3_lPKT2_lT1_lS3_lS4_lS0_lPT4_lS4_li ; -- Begin function _ZL32rocblas_gemvt_warp_reduce_kernelILb0ELi1024EifffEviiT3_lPKT2_lT1_lS3_lS4_lS0_lPT4_lS4_li
	.p2align	8
	.type	_ZL32rocblas_gemvt_warp_reduce_kernelILb0ELi1024EifffEviiT3_lPKT2_lT1_lS3_lS4_lS0_lPT4_lS4_li,@function
_ZL32rocblas_gemvt_warp_reduce_kernelILb0ELi1024EifffEviiT3_lPKT2_lT1_lS3_lS4_lS0_lPT4_lS4_li: ; @_ZL32rocblas_gemvt_warp_reduce_kernelILb0ELi1024EifffEviiT3_lPKT2_lT1_lS3_lS4_lS0_lPT4_lS4_li
; %bb.0:
	s_load_dword s17, s[0:1], 0x8
	s_load_dword s16, s[0:1], 0x58
	s_waitcnt lgkmcnt(0)
	v_cmp_eq_f32_e64 s[4:5], s17, 0
	v_cmp_eq_f32_e64 s[6:7], s16, 1.0
	s_and_b64 s[4:5], s[4:5], s[6:7]
	s_and_b64 vcc, exec, s[4:5]
	s_cbranch_vccnz .LBB34_29
; %bb.1:
	s_load_dwordx2 s[8:9], s[0:1], 0x80
	s_load_dwordx4 s[4:7], s[0:1], 0x68
	s_load_dword s18, s[0:1], 0x78
	s_waitcnt lgkmcnt(0)
	s_mul_i32 s9, s3, s9
	s_mul_hi_u32 s10, s3, s8
	s_mul_i32 s8, s3, s8
	s_add_i32 s9, s10, s9
	s_lshl_b64 s[8:9], s[8:9], 2
	s_add_u32 s8, s4, s8
	s_addc_u32 s9, s5, s9
	s_lshl_b64 s[4:5], s[6:7], 2
	s_add_u32 s14, s8, s4
	s_addc_u32 s15, s9, s5
	v_cmp_neq_f32_e64 s[4:5], s17, 0
	s_and_b64 vcc, exec, s[4:5]
	v_cmp_eq_u32_e64 s[4:5], 0, v0
	s_cbranch_vccnz .LBB34_6
; %bb.2:
	s_mov_b64 s[10:11], 0
	s_mov_b64 s[6:7], 0
                                        ; implicit-def: $vgpr1
                                        ; implicit-def: $sgpr8_sgpr9
	s_and_saveexec_b64 s[12:13], s[4:5]
	s_cbranch_execz .LBB34_7
; %bb.3:
	v_cmp_eq_f32_e64 s[4:5], s16, 0
	s_mul_i32 s8, s2, s18
	v_mov_b32_e32 v1, 0
	s_ashr_i32 s9, s8, 31
	s_and_b64 vcc, exec, s[4:5]
	s_cbranch_vccnz .LBB34_5
; %bb.4:
	s_lshl_b64 s[4:5], s[8:9], 2
	s_add_u32 s4, s14, s4
	s_addc_u32 s5, s15, s5
	s_load_dword s4, s[4:5], 0x0
	v_mov_b32_e32 v1, s16
	s_waitcnt lgkmcnt(0)
	v_mul_f32_e32 v1, s4, v1
.LBB34_5:
	s_mov_b64 s[6:7], exec
	s_or_b64 exec, exec, s[12:13]
	s_and_b64 vcc, exec, s[10:11]
	s_cbranch_vccnz .LBB34_8
	s_branch .LBB34_27
.LBB34_6:
	s_mov_b64 s[6:7], 0
                                        ; implicit-def: $vgpr1
                                        ; implicit-def: $sgpr8_sgpr9
	s_cbranch_execnz .LBB34_8
	s_branch .LBB34_27
.LBB34_7:
	s_or_b64 exec, exec, s[12:13]
	s_and_b64 vcc, exec, s[10:11]
	s_cbranch_vccz .LBB34_27
.LBB34_8:
	s_load_dwordx2 s[12:13], s[0:1], 0x50
	s_load_dword s5, s[0:1], 0x0
	s_load_dwordx4 s[8:11], s[0:1], 0x18
	s_load_dword s4, s[0:1], 0x28
	s_load_dwordx4 s[20:23], s[0:1], 0x30
	s_load_dwordx2 s[24:25], s[0:1], 0x40
	s_load_dword s19, s[0:1], 0x48
	s_waitcnt lgkmcnt(0)
	s_mul_i32 s0, s3, s13
	s_mul_hi_u32 s1, s3, s12
	s_add_i32 s1, s1, s0
	s_mul_i32 s0, s3, s12
	s_lshl_b64 s[0:1], s[0:1], 2
	s_add_u32 s12, s22, s0
	s_addc_u32 s13, s23, s1
	s_lshl_b64 s[0:1], s[24:25], 2
	s_add_u32 s0, s12, s0
	s_addc_u32 s1, s13, s1
	s_mul_i32 s12, s3, s21
	s_mul_hi_u32 s13, s3, s20
	s_add_i32 s13, s13, s12
	s_mul_i32 s12, s3, s20
	s_lshl_b64 s[12:13], s[12:13], 2
	s_add_u32 s3, s8, s12
	s_addc_u32 s12, s9, s13
	s_lshl_b64 s[8:9], s[10:11], 2
	s_add_u32 s3, s3, s8
	s_mul_i32 s8, s2, s4
	s_addc_u32 s10, s12, s9
	s_ashr_i32 s9, s8, 31
	s_lshl_b64 s[8:9], s[8:9], 2
	s_add_u32 s8, s8, s3
	s_addc_u32 s9, s9, s10
	s_ashr_i32 s3, s5, 31
	v_cmp_gt_i32_e32 vcc, s5, v0
	s_lshr_b32 s3, s3, 22
	s_add_i32 s3, s5, s3
	v_cndmask_b32_e32 v1, 0, v0, vcc
	v_lshlrev_b32_e32 v2, 2, v1
	v_mov_b32_e32 v3, 0
	s_and_b32 s4, s3, 0xfffffc00
	v_lshl_add_u64 v[4:5], s[8:9], 0, v[2:3]
	v_cmp_gt_i32_e32 vcc, s4, v0
	s_and_saveexec_b64 s[8:9], vcc
	s_cbranch_execz .LBB34_12
; %bb.9:
	v_mul_lo_u32 v6, v0, s19
	s_lshl_b32 s3, s19, 10
	s_mov_b64 s[10:11], 0
	v_mov_b32_e32 v3, 0
	s_mov_b64 s[12:13], 0x1000
	v_mov_b64_e32 v[8:9], v[4:5]
	v_mov_b32_e32 v1, v0
.LBB34_10:                              ; =>This Inner Loop Header: Depth=1
	v_ashrrev_i32_e32 v7, 31, v6
	v_lshl_add_u64 v[10:11], v[6:7], 2, s[0:1]
	global_load_dword v2, v[8:9], off
	global_load_dword v7, v[10:11], off
	v_add_u32_e32 v1, 0x400, v1
	v_cmp_le_i32_e32 vcc, s4, v1
	v_lshl_add_u64 v[8:9], v[8:9], 0, s[12:13]
	v_add_u32_e32 v6, s3, v6
	s_or_b64 s[10:11], vcc, s[10:11]
	s_waitcnt vmcnt(0)
	v_fmac_f32_e32 v3, v2, v7
	s_andn2_b64 exec, exec, s[10:11]
	s_cbranch_execnz .LBB34_10
; %bb.11:
	s_or_b64 exec, exec, s[10:11]
.LBB34_12:
	s_or_b64 exec, exec, s[8:9]
	v_or_b32_e32 v1, s4, v0
	v_cmp_gt_i32_e32 vcc, s5, v1
	s_and_saveexec_b64 s[8:9], vcc
	s_cbranch_execz .LBB34_14
; %bb.13:
	s_ashr_i32 s5, s4, 31
	v_lshl_add_u64 v[4:5], s[4:5], 2, v[4:5]
	global_load_dword v2, v[4:5], off
	v_mul_lo_u32 v4, v1, s19
	v_ashrrev_i32_e32 v5, 31, v4
	v_lshl_add_u64 v[4:5], v[4:5], 2, s[0:1]
	global_load_dword v1, v[4:5], off
	s_waitcnt vmcnt(0)
	v_fmac_f32_e32 v3, v2, v1
.LBB34_14:
	s_or_b64 exec, exec, s[8:9]
	v_and_b32_e32 v2, 63, v0
	v_cmp_gt_u32_e32 vcc, 64, v0
	v_lshlrev_b32_e32 v1, 2, v2
	s_and_saveexec_b64 s[0:1], vcc
	s_cbranch_execz .LBB34_16
; %bb.15:
	v_mov_b32_e32 v4, 0
	ds_write_b32 v1, v4
.LBB34_16:
	s_or_b64 exec, exec, s[0:1]
	v_mbcnt_lo_u32_b32 v4, -1, 0
	v_mbcnt_hi_u32_b32 v6, -1, v4
	v_and_b32_e32 v7, 63, v6
	v_cmp_gt_u32_e64 s[0:1], 32, v7
	s_waitcnt lgkmcnt(0)
	s_barrier
	v_cndmask_b32_e64 v4, 0, 1, s[0:1]
	v_lshlrev_b32_e32 v4, 5, v4
	v_add_lshl_u32 v4, v4, v6, 2
	ds_bpermute_b32 v4, v4, v3
	v_cmp_gt_u32_e64 s[0:1], 48, v7
	s_waitcnt lgkmcnt(0)
	v_add_f32_e32 v3, v3, v4
	v_cndmask_b32_e64 v5, 0, 1, s[0:1]
	v_lshlrev_b32_e32 v5, 4, v5
	v_add_lshl_u32 v4, v5, v6, 2
	ds_bpermute_b32 v4, v4, v3
	v_cmp_gt_u32_e64 s[0:1], 56, v7
	s_waitcnt lgkmcnt(0)
	v_add_f32_e32 v4, v3, v4
	;; [unrolled: 7-line block ×4, first 2 shown]
	v_cndmask_b32_e64 v9, 0, 1, s[0:1]
	v_lshlrev_b32_e32 v9, 1, v9
	v_add_lshl_u32 v5, v9, v6, 2
	ds_bpermute_b32 v9, v5, v8
	v_cmp_ne_u32_e64 s[0:1], 63, v7
	s_waitcnt lgkmcnt(0)
	v_add_f32_e32 v7, v8, v9
	v_addc_co_u32_e64 v6, s[0:1], 0, v6, s[0:1]
	v_lshlrev_b32_e32 v6, 2, v6
	ds_bpermute_b32 v8, v6, v7
	v_cmp_eq_u32_e64 s[0:1], 0, v2
	s_and_saveexec_b64 s[4:5], s[0:1]
	s_cbranch_execz .LBB34_18
; %bb.17:
	v_lshrrev_b32_e32 v2, 4, v0
	v_and_b32_e32 v2, 60, v2
	s_waitcnt lgkmcnt(0)
	v_add_f32_e32 v7, v7, v8
	ds_write_b32 v2, v7
.LBB34_18:
	s_or_b64 exec, exec, s[4:5]
	v_cmp_gt_u32_e64 s[0:1], 16, v0
	v_mov_b32_e32 v2, 0
	s_waitcnt lgkmcnt(0)
	s_barrier
	s_and_saveexec_b64 s[4:5], s[0:1]
	s_cbranch_execz .LBB34_20
; %bb.19:
	ds_read_b32 v2, v1
	s_or_b64 exec, exec, s[4:5]
	s_and_saveexec_b64 s[0:1], vcc
	s_cbranch_execz .LBB34_22
	s_branch .LBB34_21
.LBB34_20:
	s_or_b64 exec, exec, s[4:5]
	s_and_saveexec_b64 s[0:1], vcc
	s_cbranch_execz .LBB34_22
.LBB34_21:
	s_waitcnt lgkmcnt(0)
	ds_bpermute_b32 v1, v3, v2
	s_waitcnt lgkmcnt(0)
	v_add_f32_e32 v1, v2, v1
	ds_bpermute_b32 v2, v4, v1
	s_waitcnt lgkmcnt(0)
	v_add_f32_e32 v1, v1, v2
	ds_bpermute_b32 v2, v5, v1
	s_waitcnt lgkmcnt(0)
	v_add_f32_e32 v1, v1, v2
	ds_bpermute_b32 v2, v6, v1
	s_waitcnt lgkmcnt(0)
	v_add_f32_e32 v2, v1, v2
.LBB34_22:
	s_or_b64 exec, exec, s[0:1]
	v_cmp_eq_u32_e32 vcc, 0, v0
                                        ; implicit-def: $vgpr1
                                        ; implicit-def: $sgpr8_sgpr9
	s_and_saveexec_b64 s[0:1], vcc
	s_cbranch_execz .LBB34_26
; %bb.23:
	v_cmp_eq_f32_e64 s[4:5], s16, 0
	s_mul_i32 s8, s2, s18
	s_waitcnt lgkmcnt(0)
	v_mul_f32_e32 v1, s17, v2
	s_ashr_i32 s9, s8, 31
	s_and_b64 vcc, exec, s[4:5]
	s_cbranch_vccnz .LBB34_25
; %bb.24:
	s_lshl_b64 s[2:3], s[8:9], 2
	s_add_u32 s2, s14, s2
	s_addc_u32 s3, s15, s3
	s_load_dword s2, s[2:3], 0x0
	v_mov_b32_e32 v0, s16
	s_waitcnt lgkmcnt(0)
	v_fmac_f32_e32 v1, s2, v0
.LBB34_25:
	s_or_b64 s[6:7], s[6:7], exec
.LBB34_26:
	s_or_b64 exec, exec, s[0:1]
.LBB34_27:
	s_and_saveexec_b64 s[0:1], s[6:7]
	s_cbranch_execz .LBB34_29
; %bb.28:
	s_lshl_b64 s[0:1], s[8:9], 2
	s_add_u32 s0, s14, s0
	s_addc_u32 s1, s15, s1
	v_mov_b32_e32 v0, 0
	global_store_dword v0, v1, s[0:1]
.LBB34_29:
	s_endpgm
	.section	.rodata,"a",@progbits
	.p2align	6, 0x0
	.amdhsa_kernel _ZL32rocblas_gemvt_warp_reduce_kernelILb0ELi1024EifffEviiT3_lPKT2_lT1_lS3_lS4_lS0_lPT4_lS4_li
		.amdhsa_group_segment_fixed_size 256
		.amdhsa_private_segment_fixed_size 0
		.amdhsa_kernarg_size 140
		.amdhsa_user_sgpr_count 2
		.amdhsa_user_sgpr_dispatch_ptr 0
		.amdhsa_user_sgpr_queue_ptr 0
		.amdhsa_user_sgpr_kernarg_segment_ptr 1
		.amdhsa_user_sgpr_dispatch_id 0
		.amdhsa_user_sgpr_kernarg_preload_length 0
		.amdhsa_user_sgpr_kernarg_preload_offset 0
		.amdhsa_user_sgpr_private_segment_size 0
		.amdhsa_uses_dynamic_stack 0
		.amdhsa_enable_private_segment 0
		.amdhsa_system_sgpr_workgroup_id_x 1
		.amdhsa_system_sgpr_workgroup_id_y 0
		.amdhsa_system_sgpr_workgroup_id_z 1
		.amdhsa_system_sgpr_workgroup_info 0
		.amdhsa_system_vgpr_workitem_id 0
		.amdhsa_next_free_vgpr 12
		.amdhsa_next_free_sgpr 26
		.amdhsa_accum_offset 12
		.amdhsa_reserve_vcc 1
		.amdhsa_float_round_mode_32 0
		.amdhsa_float_round_mode_16_64 0
		.amdhsa_float_denorm_mode_32 3
		.amdhsa_float_denorm_mode_16_64 3
		.amdhsa_dx10_clamp 1
		.amdhsa_ieee_mode 1
		.amdhsa_fp16_overflow 0
		.amdhsa_tg_split 0
		.amdhsa_exception_fp_ieee_invalid_op 0
		.amdhsa_exception_fp_denorm_src 0
		.amdhsa_exception_fp_ieee_div_zero 0
		.amdhsa_exception_fp_ieee_overflow 0
		.amdhsa_exception_fp_ieee_underflow 0
		.amdhsa_exception_fp_ieee_inexact 0
		.amdhsa_exception_int_div_zero 0
	.end_amdhsa_kernel
	.section	.text._ZL32rocblas_gemvt_warp_reduce_kernelILb0ELi1024EifffEviiT3_lPKT2_lT1_lS3_lS4_lS0_lPT4_lS4_li,"axG",@progbits,_ZL32rocblas_gemvt_warp_reduce_kernelILb0ELi1024EifffEviiT3_lPKT2_lT1_lS3_lS4_lS0_lPT4_lS4_li,comdat
.Lfunc_end34:
	.size	_ZL32rocblas_gemvt_warp_reduce_kernelILb0ELi1024EifffEviiT3_lPKT2_lT1_lS3_lS4_lS0_lPT4_lS4_li, .Lfunc_end34-_ZL32rocblas_gemvt_warp_reduce_kernelILb0ELi1024EifffEviiT3_lPKT2_lT1_lS3_lS4_lS0_lPT4_lS4_li
                                        ; -- End function
	.section	.AMDGPU.csdata,"",@progbits
; Kernel info:
; codeLenInByte = 1280
; NumSgprs: 32
; NumVgprs: 12
; NumAgprs: 0
; TotalNumVgprs: 12
; ScratchSize: 0
; MemoryBound: 0
; FloatMode: 240
; IeeeMode: 1
; LDSByteSize: 256 bytes/workgroup (compile time only)
; SGPRBlocks: 3
; VGPRBlocks: 1
; NumSGPRsForWavesPerEU: 32
; NumVGPRsForWavesPerEU: 12
; AccumOffset: 12
; Occupancy: 8
; WaveLimiterHint : 1
; COMPUTE_PGM_RSRC2:SCRATCH_EN: 0
; COMPUTE_PGM_RSRC2:USER_SGPR: 2
; COMPUTE_PGM_RSRC2:TRAP_HANDLER: 0
; COMPUTE_PGM_RSRC2:TGID_X_EN: 1
; COMPUTE_PGM_RSRC2:TGID_Y_EN: 0
; COMPUTE_PGM_RSRC2:TGID_Z_EN: 1
; COMPUTE_PGM_RSRC2:TIDIG_COMP_CNT: 0
; COMPUTE_PGM_RSRC3_GFX90A:ACCUM_OFFSET: 2
; COMPUTE_PGM_RSRC3_GFX90A:TG_SPLIT: 0
	.section	.text._ZL32rocblas_gemvt_warp_reduce_kernelILb0ELi1024ElfffEviiT3_lPKT2_lT1_lS3_lS4_lS0_lPT4_lS4_li,"axG",@progbits,_ZL32rocblas_gemvt_warp_reduce_kernelILb0ELi1024ElfffEviiT3_lPKT2_lT1_lS3_lS4_lS0_lPT4_lS4_li,comdat
	.globl	_ZL32rocblas_gemvt_warp_reduce_kernelILb0ELi1024ElfffEviiT3_lPKT2_lT1_lS3_lS4_lS0_lPT4_lS4_li ; -- Begin function _ZL32rocblas_gemvt_warp_reduce_kernelILb0ELi1024ElfffEviiT3_lPKT2_lT1_lS3_lS4_lS0_lPT4_lS4_li
	.p2align	8
	.type	_ZL32rocblas_gemvt_warp_reduce_kernelILb0ELi1024ElfffEviiT3_lPKT2_lT1_lS3_lS4_lS0_lPT4_lS4_li,@function
_ZL32rocblas_gemvt_warp_reduce_kernelILb0ELi1024ElfffEviiT3_lPKT2_lT1_lS3_lS4_lS0_lPT4_lS4_li: ; @_ZL32rocblas_gemvt_warp_reduce_kernelILb0ELi1024ElfffEviiT3_lPKT2_lT1_lS3_lS4_lS0_lPT4_lS4_li
; %bb.0:
	s_load_dword s27, s[0:1], 0x8
	s_load_dword s26, s[0:1], 0x58
	s_waitcnt lgkmcnt(0)
	v_cmp_eq_f32_e64 s[4:5], s27, 0
	v_cmp_eq_f32_e64 s[6:7], s26, 1.0
	s_and_b64 s[4:5], s[4:5], s[6:7]
	s_and_b64 vcc, exec, s[4:5]
	s_cbranch_vccnz .LBB35_29
; %bb.1:
	s_load_dwordx8 s[16:23], s[0:1], 0x68
	v_cmp_neq_f32_e64 s[4:5], s27, 0
	s_waitcnt lgkmcnt(0)
	s_mul_i32 s7, s3, s23
	s_mul_hi_u32 s8, s3, s22
	s_mul_i32 s6, s3, s22
	s_add_i32 s7, s8, s7
	s_lshl_b64 s[6:7], s[6:7], 2
	s_add_u32 s8, s16, s6
	s_addc_u32 s9, s17, s7
	s_lshl_b64 s[6:7], s[18:19], 2
	s_add_u32 s24, s8, s6
	s_addc_u32 s25, s9, s7
	s_and_b64 vcc, exec, s[4:5]
	v_cmp_eq_u32_e64 s[4:5], 0, v0
	s_cbranch_vccnz .LBB35_6
; %bb.2:
	s_mov_b64 s[8:9], 0
	s_mov_b64 s[22:23], 0
                                        ; implicit-def: $vgpr1
                                        ; implicit-def: $sgpr6_sgpr7
	s_and_saveexec_b64 s[10:11], s[4:5]
	s_cbranch_execz .LBB35_7
; %bb.3:
	s_ashr_i32 s6, s2, 31
	s_mul_i32 s7, s2, s21
	s_mul_hi_u32 s12, s2, s20
	v_cmp_eq_f32_e64 s[4:5], s26, 0
	s_add_i32 s7, s12, s7
	s_mul_i32 s6, s6, s20
	v_mov_b32_e32 v1, 0
	s_add_i32 s7, s7, s6
	s_mul_i32 s6, s2, s20
	s_and_b64 vcc, exec, s[4:5]
	s_cbranch_vccnz .LBB35_5
; %bb.4:
	s_lshl_b64 s[4:5], s[6:7], 2
	s_add_u32 s4, s24, s4
	s_addc_u32 s5, s25, s5
	s_load_dword s4, s[4:5], 0x0
	v_mov_b32_e32 v1, s26
	s_waitcnt lgkmcnt(0)
	v_mul_f32_e32 v1, s4, v1
.LBB35_5:
	s_mov_b64 s[22:23], exec
	s_or_b64 exec, exec, s[10:11]
	s_and_b64 vcc, exec, s[8:9]
	s_cbranch_vccnz .LBB35_8
	s_branch .LBB35_27
.LBB35_6:
	s_mov_b64 s[22:23], 0
                                        ; implicit-def: $vgpr1
                                        ; implicit-def: $sgpr6_sgpr7
	s_cbranch_execnz .LBB35_8
	s_branch .LBB35_27
.LBB35_7:
	s_or_b64 exec, exec, s[10:11]
	s_and_b64 vcc, exec, s[8:9]
	s_cbranch_vccz .LBB35_27
.LBB35_8:
	s_load_dwordx16 s[4:19], s[0:1], 0x18
	s_load_dword s28, s[0:1], 0x0
	v_mov_b32_e32 v3, 0
	s_waitcnt lgkmcnt(0)
	s_mul_i32 s1, s3, s19
	s_mul_hi_u32 s19, s3, s18
	s_mul_i32 s0, s3, s18
	s_mul_i32 s11, s3, s11
	s_mul_hi_u32 s18, s3, s10
	s_add_i32 s11, s18, s11
	s_mul_i32 s10, s3, s10
	s_add_i32 s1, s19, s1
	s_lshl_b64 s[10:11], s[10:11], 2
	s_add_u32 s3, s4, s10
	s_addc_u32 s10, s5, s11
	s_lshl_b64 s[4:5], s[6:7], 2
	s_add_u32 s6, s3, s4
	s_addc_u32 s7, s10, s5
	s_ashr_i32 s3, s2, 31
	s_mul_i32 s4, s2, s9
	s_mul_hi_u32 s5, s2, s8
	s_add_i32 s4, s5, s4
	s_mul_i32 s5, s3, s8
	s_add_i32 s5, s4, s5
	s_mul_i32 s4, s2, s8
	v_cmp_gt_i32_e32 vcc, s28, v0
	s_lshl_b64 s[4:5], s[4:5], 2
	s_add_u32 s4, s4, s6
	v_cndmask_b32_e32 v1, 0, v0, vcc
	v_lshlrev_b32_e32 v2, 2, v1
	s_addc_u32 s5, s5, s7
	v_lshl_add_u64 v[4:5], s[4:5], 0, v[2:3]
	s_ashr_i32 s4, s28, 31
	s_lshr_b32 s4, s4, 22
	s_add_i32 s4, s28, s4
	s_and_b32 s4, s4, 0xfffffc00
	v_cmp_gt_i32_e32 vcc, s4, v0
	s_and_saveexec_b64 s[6:7], vcc
	s_cbranch_execz .LBB35_12
; %bb.9:
	v_mad_u64_u32 v[2:3], s[10:11], s16, v0, 0
	v_mov_b32_e32 v6, v3
	v_mad_u64_u32 v[6:7], s[10:11], s17, v0, v[6:7]
	s_lshl_b64 s[8:9], s[0:1], 2
	s_lshl_b64 s[10:11], s[14:15], 2
	s_add_u32 s5, s12, s10
	s_addc_u32 s10, s13, s11
	s_add_u32 s8, s5, s8
	v_mov_b32_e32 v3, v6
	s_addc_u32 s9, s10, s9
	v_lshl_add_u64 v[6:7], v[2:3], 2, s[8:9]
	s_lshl_b64 s[10:11], s[16:17], 12
	s_mov_b64 s[8:9], 0
	v_mov_b32_e32 v3, 0
	s_mov_b64 s[18:19], 0x1000
	v_mov_b64_e32 v[8:9], v[4:5]
	v_mov_b32_e32 v1, v0
.LBB35_10:                              ; =>This Inner Loop Header: Depth=1
	global_load_dword v2, v[8:9], off
	global_load_dword v10, v[6:7], off
	v_add_u32_e32 v1, 0x400, v1
	v_cmp_le_i32_e32 vcc, s4, v1
	v_lshl_add_u64 v[8:9], v[8:9], 0, s[18:19]
	v_lshl_add_u64 v[6:7], v[6:7], 0, s[10:11]
	s_or_b64 s[8:9], vcc, s[8:9]
	s_waitcnt vmcnt(0)
	v_fmac_f32_e32 v3, v2, v10
	s_andn2_b64 exec, exec, s[8:9]
	s_cbranch_execnz .LBB35_10
; %bb.11:
	s_or_b64 exec, exec, s[8:9]
.LBB35_12:
	s_or_b64 exec, exec, s[6:7]
	v_or_b32_e32 v1, s4, v0
	v_cmp_gt_i32_e32 vcc, s28, v1
	s_and_saveexec_b64 s[6:7], vcc
	s_cbranch_execz .LBB35_14
; %bb.13:
	s_lshl_b64 s[0:1], s[0:1], 2
	s_add_u32 s5, s12, s0
	s_addc_u32 s8, s13, s1
	s_lshl_b64 s[0:1], s[14:15], 2
	s_add_u32 s0, s5, s0
	s_addc_u32 s1, s8, s1
	s_ashr_i32 s5, s4, 31
	v_lshl_add_u64 v[4:5], s[4:5], 2, v[4:5]
	global_load_dword v2, v[4:5], off
	v_ashrrev_i32_e32 v4, 31, v1
	v_mul_lo_u32 v6, v1, s17
	v_mul_lo_u32 v7, v4, s16
	v_mad_u64_u32 v[4:5], s[4:5], v1, s16, 0
	v_add3_u32 v5, v5, v6, v7
	v_lshl_add_u64 v[4:5], v[4:5], 2, s[0:1]
	global_load_dword v1, v[4:5], off
	s_waitcnt vmcnt(0)
	v_fmac_f32_e32 v3, v2, v1
.LBB35_14:
	s_or_b64 exec, exec, s[6:7]
	v_and_b32_e32 v2, 63, v0
	v_cmp_gt_u32_e32 vcc, 64, v0
	v_lshlrev_b32_e32 v1, 2, v2
	s_and_saveexec_b64 s[0:1], vcc
	s_cbranch_execz .LBB35_16
; %bb.15:
	v_mov_b32_e32 v4, 0
	ds_write_b32 v1, v4
.LBB35_16:
	s_or_b64 exec, exec, s[0:1]
	v_mbcnt_lo_u32_b32 v4, -1, 0
	v_mbcnt_hi_u32_b32 v6, -1, v4
	v_and_b32_e32 v7, 63, v6
	v_cmp_gt_u32_e64 s[0:1], 32, v7
	s_waitcnt lgkmcnt(0)
	s_barrier
	v_cndmask_b32_e64 v4, 0, 1, s[0:1]
	v_lshlrev_b32_e32 v4, 5, v4
	v_add_lshl_u32 v4, v4, v6, 2
	ds_bpermute_b32 v4, v4, v3
	v_cmp_gt_u32_e64 s[0:1], 48, v7
	s_waitcnt lgkmcnt(0)
	v_add_f32_e32 v3, v3, v4
	v_cndmask_b32_e64 v5, 0, 1, s[0:1]
	v_lshlrev_b32_e32 v5, 4, v5
	v_add_lshl_u32 v4, v5, v6, 2
	ds_bpermute_b32 v4, v4, v3
	v_cmp_gt_u32_e64 s[0:1], 56, v7
	s_waitcnt lgkmcnt(0)
	v_add_f32_e32 v4, v3, v4
	;; [unrolled: 7-line block ×4, first 2 shown]
	v_cndmask_b32_e64 v9, 0, 1, s[0:1]
	v_lshlrev_b32_e32 v9, 1, v9
	v_add_lshl_u32 v5, v9, v6, 2
	ds_bpermute_b32 v9, v5, v8
	v_cmp_ne_u32_e64 s[0:1], 63, v7
	s_waitcnt lgkmcnt(0)
	v_add_f32_e32 v7, v8, v9
	v_addc_co_u32_e64 v6, s[0:1], 0, v6, s[0:1]
	v_lshlrev_b32_e32 v6, 2, v6
	ds_bpermute_b32 v8, v6, v7
	v_cmp_eq_u32_e64 s[0:1], 0, v2
	s_and_saveexec_b64 s[4:5], s[0:1]
	s_cbranch_execz .LBB35_18
; %bb.17:
	v_lshrrev_b32_e32 v2, 4, v0
	v_and_b32_e32 v2, 60, v2
	s_waitcnt lgkmcnt(0)
	v_add_f32_e32 v7, v7, v8
	ds_write_b32 v2, v7
.LBB35_18:
	s_or_b64 exec, exec, s[4:5]
	v_cmp_gt_u32_e64 s[0:1], 16, v0
	v_mov_b32_e32 v2, 0
	s_waitcnt lgkmcnt(0)
	s_barrier
	s_and_saveexec_b64 s[4:5], s[0:1]
	s_cbranch_execz .LBB35_20
; %bb.19:
	ds_read_b32 v2, v1
	s_or_b64 exec, exec, s[4:5]
	s_and_saveexec_b64 s[0:1], vcc
	s_cbranch_execz .LBB35_22
	s_branch .LBB35_21
.LBB35_20:
	s_or_b64 exec, exec, s[4:5]
	s_and_saveexec_b64 s[0:1], vcc
	s_cbranch_execz .LBB35_22
.LBB35_21:
	s_waitcnt lgkmcnt(0)
	ds_bpermute_b32 v1, v3, v2
	s_waitcnt lgkmcnt(0)
	v_add_f32_e32 v1, v2, v1
	ds_bpermute_b32 v2, v4, v1
	s_waitcnt lgkmcnt(0)
	v_add_f32_e32 v1, v1, v2
	;; [unrolled: 3-line block ×4, first 2 shown]
.LBB35_22:
	s_or_b64 exec, exec, s[0:1]
	v_cmp_eq_u32_e32 vcc, 0, v0
                                        ; implicit-def: $vgpr1
                                        ; implicit-def: $sgpr6_sgpr7
	s_and_saveexec_b64 s[0:1], vcc
	s_cbranch_execz .LBB35_26
; %bb.23:
	s_mul_i32 s6, s2, s21
	s_mul_hi_u32 s7, s2, s20
	v_cmp_eq_f32_e64 s[4:5], s26, 0
	s_add_i32 s6, s7, s6
	s_mul_i32 s3, s3, s20
	s_waitcnt lgkmcnt(0)
	v_mul_f32_e32 v1, s27, v2
	s_add_i32 s7, s6, s3
	s_mul_i32 s6, s2, s20
	s_and_b64 vcc, exec, s[4:5]
	s_cbranch_vccnz .LBB35_25
; %bb.24:
	s_lshl_b64 s[2:3], s[6:7], 2
	s_add_u32 s2, s24, s2
	s_addc_u32 s3, s25, s3
	s_load_dword s2, s[2:3], 0x0
	v_mov_b32_e32 v0, s26
	s_waitcnt lgkmcnt(0)
	v_fmac_f32_e32 v1, s2, v0
.LBB35_25:
	s_or_b64 s[22:23], s[22:23], exec
.LBB35_26:
	s_or_b64 exec, exec, s[0:1]
.LBB35_27:
	s_and_saveexec_b64 s[0:1], s[22:23]
	s_cbranch_execz .LBB35_29
; %bb.28:
	s_lshl_b64 s[0:1], s[6:7], 2
	s_add_u32 s0, s24, s0
	s_addc_u32 s1, s25, s1
	v_mov_b32_e32 v0, 0
	global_store_dword v0, v1, s[0:1]
.LBB35_29:
	s_endpgm
	.section	.rodata,"a",@progbits
	.p2align	6, 0x0
	.amdhsa_kernel _ZL32rocblas_gemvt_warp_reduce_kernelILb0ELi1024ElfffEviiT3_lPKT2_lT1_lS3_lS4_lS0_lPT4_lS4_li
		.amdhsa_group_segment_fixed_size 256
		.amdhsa_private_segment_fixed_size 0
		.amdhsa_kernarg_size 140
		.amdhsa_user_sgpr_count 2
		.amdhsa_user_sgpr_dispatch_ptr 0
		.amdhsa_user_sgpr_queue_ptr 0
		.amdhsa_user_sgpr_kernarg_segment_ptr 1
		.amdhsa_user_sgpr_dispatch_id 0
		.amdhsa_user_sgpr_kernarg_preload_length 0
		.amdhsa_user_sgpr_kernarg_preload_offset 0
		.amdhsa_user_sgpr_private_segment_size 0
		.amdhsa_uses_dynamic_stack 0
		.amdhsa_enable_private_segment 0
		.amdhsa_system_sgpr_workgroup_id_x 1
		.amdhsa_system_sgpr_workgroup_id_y 0
		.amdhsa_system_sgpr_workgroup_id_z 1
		.amdhsa_system_sgpr_workgroup_info 0
		.amdhsa_system_vgpr_workitem_id 0
		.amdhsa_next_free_vgpr 11
		.amdhsa_next_free_sgpr 29
		.amdhsa_accum_offset 12
		.amdhsa_reserve_vcc 1
		.amdhsa_float_round_mode_32 0
		.amdhsa_float_round_mode_16_64 0
		.amdhsa_float_denorm_mode_32 3
		.amdhsa_float_denorm_mode_16_64 3
		.amdhsa_dx10_clamp 1
		.amdhsa_ieee_mode 1
		.amdhsa_fp16_overflow 0
		.amdhsa_tg_split 0
		.amdhsa_exception_fp_ieee_invalid_op 0
		.amdhsa_exception_fp_denorm_src 0
		.amdhsa_exception_fp_ieee_div_zero 0
		.amdhsa_exception_fp_ieee_overflow 0
		.amdhsa_exception_fp_ieee_underflow 0
		.amdhsa_exception_fp_ieee_inexact 0
		.amdhsa_exception_int_div_zero 0
	.end_amdhsa_kernel
	.section	.text._ZL32rocblas_gemvt_warp_reduce_kernelILb0ELi1024ElfffEviiT3_lPKT2_lT1_lS3_lS4_lS0_lPT4_lS4_li,"axG",@progbits,_ZL32rocblas_gemvt_warp_reduce_kernelILb0ELi1024ElfffEviiT3_lPKT2_lT1_lS3_lS4_lS0_lPT4_lS4_li,comdat
.Lfunc_end35:
	.size	_ZL32rocblas_gemvt_warp_reduce_kernelILb0ELi1024ElfffEviiT3_lPKT2_lT1_lS3_lS4_lS0_lPT4_lS4_li, .Lfunc_end35-_ZL32rocblas_gemvt_warp_reduce_kernelILb0ELi1024ElfffEviiT3_lPKT2_lT1_lS3_lS4_lS0_lPT4_lS4_li
                                        ; -- End function
	.section	.AMDGPU.csdata,"",@progbits
; Kernel info:
; codeLenInByte = 1344
; NumSgprs: 35
; NumVgprs: 11
; NumAgprs: 0
; TotalNumVgprs: 11
; ScratchSize: 0
; MemoryBound: 0
; FloatMode: 240
; IeeeMode: 1
; LDSByteSize: 256 bytes/workgroup (compile time only)
; SGPRBlocks: 4
; VGPRBlocks: 1
; NumSGPRsForWavesPerEU: 35
; NumVGPRsForWavesPerEU: 11
; AccumOffset: 12
; Occupancy: 8
; WaveLimiterHint : 1
; COMPUTE_PGM_RSRC2:SCRATCH_EN: 0
; COMPUTE_PGM_RSRC2:USER_SGPR: 2
; COMPUTE_PGM_RSRC2:TRAP_HANDLER: 0
; COMPUTE_PGM_RSRC2:TGID_X_EN: 1
; COMPUTE_PGM_RSRC2:TGID_Y_EN: 0
; COMPUTE_PGM_RSRC2:TGID_Z_EN: 1
; COMPUTE_PGM_RSRC2:TIDIG_COMP_CNT: 0
; COMPUTE_PGM_RSRC3_GFX90A:ACCUM_OFFSET: 2
; COMPUTE_PGM_RSRC3_GFX90A:TG_SPLIT: 0
	.section	.text._ZL22rocblas_gemvtsm_kernelILb1ELi256EfPKffEviiT2_lPKT1_lilS5_lilS2_lPT3_lil,"axG",@progbits,_ZL22rocblas_gemvtsm_kernelILb1ELi256EfPKffEviiT2_lPKT1_lilS5_lilS2_lPT3_lil,comdat
	.globl	_ZL22rocblas_gemvtsm_kernelILb1ELi256EfPKffEviiT2_lPKT1_lilS5_lilS2_lPT3_lil ; -- Begin function _ZL22rocblas_gemvtsm_kernelILb1ELi256EfPKffEviiT2_lPKT1_lilS5_lilS2_lPT3_lil
	.p2align	8
	.type	_ZL22rocblas_gemvtsm_kernelILb1ELi256EfPKffEviiT2_lPKT1_lilS5_lilS2_lPT3_lil,@function
_ZL22rocblas_gemvtsm_kernelILb1ELi256EfPKffEviiT2_lPKT1_lilS5_lilS2_lPT3_lil: ; @_ZL22rocblas_gemvtsm_kernelILb1ELi256EfPKffEviiT2_lPKT1_lilS5_lilS2_lPT3_lil
; %bb.0:
	s_load_dwordx8 s[4:11], s[0:1], 0x8
	s_load_dwordx8 s[12:19], s[0:1], 0x50
	s_waitcnt lgkmcnt(0)
	s_mul_i32 s3, s2, s7
	s_mul_hi_u32 s7, s2, s6
	s_add_i32 s7, s7, s3
	s_mul_i32 s6, s2, s6
	s_lshl_b64 s[6:7], s[6:7], 2
	s_add_u32 s4, s4, s6
	s_addc_u32 s5, s5, s7
	s_load_dword s3, s[4:5], 0x0
	s_mul_i32 s4, s2, s17
	s_mul_hi_u32 s5, s2, s16
	s_add_i32 s5, s5, s4
	s_mul_i32 s4, s2, s16
	s_lshl_b64 s[4:5], s[4:5], 2
	s_add_u32 s4, s14, s4
	s_addc_u32 s5, s15, s5
	s_load_dword s28, s[4:5], 0x0
	s_waitcnt lgkmcnt(0)
	v_cmp_eq_f32_e64 s[4:5], s3, 0
	v_cmp_eq_f32_e64 s[6:7], s28, 1.0
	s_and_b64 s[4:5], s[4:5], s[6:7]
	s_and_b64 vcc, exec, s[4:5]
	s_cbranch_vccnz .LBB36_34
; %bb.1:
	s_load_dwordx2 s[4:5], s[0:1], 0x80
	s_load_dword s14, s[0:1], 0x78
	s_load_dwordx2 s[20:21], s[0:1], 0x70
	s_load_dwordx2 s[16:17], s[0:1], 0x0
	s_waitcnt lgkmcnt(0)
	s_mul_i32 s5, s2, s5
	s_mul_hi_u32 s6, s2, s4
	s_add_i32 s23, s6, s5
	s_mul_i32 s22, s2, s4
	v_cmp_neq_f32_e64 s[4:5], s3, 0
	s_and_b64 vcc, exec, s[4:5]
	s_cbranch_vccnz .LBB36_9
; %bb.2:
	s_cmp_gt_i32 s17, 0
	s_cselect_b64 s[6:7], -1, 0
	v_cmp_neq_f32_e64 s[4:5], s28, 0
	v_cndmask_b32_e64 v1, 0, 1, s[6:7]
	s_and_b64 vcc, exec, s[4:5]
	v_cmp_ne_u32_e64 s[4:5], 1, v1
	s_cbranch_vccnz .LBB36_10
; %bb.3:
	s_and_b64 vcc, exec, s[4:5]
	s_cbranch_vccnz .LBB36_8
; %bb.4:
	v_mad_i64_i32 v[2:3], s[24:25], s14, v0, 0
	s_ashr_i32 s15, s14, 31
	s_lshl_b64 s[6:7], s[22:23], 2
	s_lshl_b64 s[24:25], s[20:21], 2
	s_add_u32 s24, s18, s24
	s_addc_u32 s25, s19, s25
	s_add_u32 s6, s24, s6
	s_addc_u32 s7, s25, s7
	v_lshl_add_u64 v[2:3], v[2:3], 2, s[6:7]
	s_lshl_b64 s[6:7], s[14:15], 10
	s_mov_b32 s15, 0
	v_mov_b32_e32 v1, 0
	s_branch .LBB36_6
.LBB36_5:                               ;   in Loop: Header=BB36_6 Depth=1
	s_or_b64 exec, exec, s[24:25]
	s_addk_i32 s15, 0x100
	s_cmp_ge_i32 s15, s17
	v_lshl_add_u64 v[2:3], v[2:3], 0, s[6:7]
	s_cbranch_scc1 .LBB36_8
.LBB36_6:                               ; =>This Inner Loop Header: Depth=1
	v_add_u32_e32 v4, s15, v0
	v_cmp_gt_i32_e32 vcc, s17, v4
	s_and_saveexec_b64 s[24:25], vcc
	s_cbranch_execz .LBB36_5
; %bb.7:                                ;   in Loop: Header=BB36_6 Depth=1
	global_store_dword v[2:3], v1, off
	s_branch .LBB36_5
.LBB36_8:
	s_cbranch_execz .LBB36_11
	s_branch .LBB36_16
.LBB36_9:
	s_branch .LBB36_17
.LBB36_10:
.LBB36_11:
	s_and_b64 vcc, exec, s[4:5]
	s_cbranch_vccnz .LBB36_16
; %bb.12:
	v_mad_i64_i32 v[2:3], s[6:7], s14, v0, 0
	s_ashr_i32 s15, s14, 31
	s_lshl_b64 s[4:5], s[22:23], 2
	s_lshl_b64 s[6:7], s[20:21], 2
	s_add_u32 s6, s18, s6
	s_addc_u32 s7, s19, s7
	s_add_u32 s4, s6, s4
	s_addc_u32 s5, s7, s5
	v_lshl_add_u64 v[2:3], v[2:3], 2, s[4:5]
	s_lshl_b64 s[4:5], s[14:15], 10
	s_mov_b32 s15, 0
	s_branch .LBB36_14
.LBB36_13:                              ;   in Loop: Header=BB36_14 Depth=1
	s_or_b64 exec, exec, s[6:7]
	s_addk_i32 s15, 0x100
	s_cmp_ge_i32 s15, s17
	v_lshl_add_u64 v[2:3], v[2:3], 0, s[4:5]
	s_cbranch_scc1 .LBB36_16
.LBB36_14:                              ; =>This Inner Loop Header: Depth=1
	v_add_u32_e32 v1, s15, v0
	v_cmp_gt_i32_e32 vcc, s17, v1
	s_and_saveexec_b64 s[6:7], vcc
	s_cbranch_execz .LBB36_13
; %bb.15:                               ;   in Loop: Header=BB36_14 Depth=1
	global_load_dword v1, v[2:3], off
	s_waitcnt vmcnt(0)
	v_mul_f32_e32 v1, s28, v1
	global_store_dword v[2:3], v1, off
	s_branch .LBB36_13
.LBB36_16:
	s_cbranch_execnz .LBB36_34
.LBB36_17:
	s_load_dwordx4 s[4:7], s[0:1], 0x30
	s_load_dwordx2 s[26:27], s[0:1], 0x40
	v_cmp_gt_i32_e32 vcc, s16, v0
	s_and_saveexec_b64 s[24:25], vcc
	s_cbranch_execz .LBB36_19
; %bb.18:
	s_mul_i32 s13, s2, s13
	s_mul_hi_u32 s15, s2, s12
	s_add_i32 s13, s15, s13
	s_mul_i32 s12, s2, s12
	s_load_dword s15, s[0:1], 0x48
	s_lshl_b64 s[12:13], s[12:13], 2
	s_waitcnt lgkmcnt(0)
	s_add_u32 s12, s6, s12
	s_addc_u32 s13, s7, s13
	s_lshl_b64 s[6:7], s[26:27], 2
	s_add_u32 s6, s12, s6
	s_addc_u32 s7, s13, s7
	v_mad_i64_i32 v[2:3], s[12:13], s15, v0, 0
	v_lshl_add_u64 v[2:3], v[2:3], 2, s[6:7]
	global_load_dword v1, v[2:3], off
	v_lshlrev_b32_e32 v2, 2, v0
	s_waitcnt vmcnt(0)
	v_mul_f32_e32 v1, s3, v1
	ds_write_b32 v2, v1
.LBB36_19:
	s_or_b64 exec, exec, s[24:25]
	s_cmp_lt_i32 s17, 1
	s_waitcnt lgkmcnt(0)
	s_barrier
	s_cbranch_scc1 .LBB36_34
; %bb.20:
	s_load_dword s0, s[0:1], 0x28
	s_lshl_b64 s[6:7], s[22:23], 2
	s_add_u32 s3, s18, s6
	s_addc_u32 s1, s19, s7
	s_lshl_b64 s[6:7], s[20:21], 2
	s_add_u32 s12, s3, s6
	s_addc_u32 s13, s1, s7
	s_waitcnt lgkmcnt(0)
	s_ashr_i32 s1, s0, 31
	s_ashr_i32 s15, s14, 31
	s_cmp_gt_i32 s16, 0
	s_cselect_b64 s[6:7], -1, 0
	s_and_b32 s20, s16, 7
	s_cmp_gt_u32 s16, 7
	s_cselect_b64 s[22:23], -1, 0
	s_and_b32 s16, s16, 0x7ffffff8
	s_cmp_lg_u32 s20, 0
	s_mul_i32 s3, s5, s2
	s_mul_hi_u32 s5, s4, s2
	s_cselect_b64 s[24:25], -1, 0
	s_add_i32 s3, s5, s3
	s_mul_i32 s2, s4, s2
	v_mad_i64_i32 v[2:3], s[4:5], s0, v0, 0
	s_lshl_b64 s[2:3], s[2:3], 2
	s_lshl_b64 s[4:5], s[10:11], 2
	s_add_u32 s4, s8, s4
	s_addc_u32 s5, s9, s5
	s_add_u32 s2, s4, s2
	s_addc_u32 s3, s5, s3
	s_lshl_b64 s[8:9], s[0:1], 10
	v_cmp_neq_f32_e64 s[0:1], s28, 0
	v_cndmask_b32_e64 v6, 0, 1, s[22:23]
	v_lshl_add_u64 v[2:3], v[2:3], 2, s[2:3]
	v_cndmask_b32_e64 v1, 0, 1, s[0:1]
	v_cmp_ne_u32_e64 s[0:1], 1, v1
	v_cndmask_b32_e64 v1, 0, 1, s[6:7]
	v_cmp_ne_u32_e64 s[2:3], 1, v6
	v_cndmask_b32_e64 v6, 0, 1, s[24:25]
	s_mov_b32 s19, 0
	v_lshl_add_u64 v[4:5], v[2:3], 0, 28
	v_cmp_ne_u32_e64 s[4:5], 1, v1
	v_cmp_ne_u32_e64 s[6:7], 1, v6
	s_mov_b32 s21, 0
	s_branch .LBB36_23
.LBB36_21:                              ;   in Loop: Header=BB36_23 Depth=1
	global_store_dword v[6:7], v1, off
.LBB36_22:                              ;   in Loop: Header=BB36_23 Depth=1
	s_or_b64 exec, exec, s[10:11]
	s_addk_i32 s21, 0x100
	v_lshl_add_u64 v[4:5], v[4:5], 0, s[8:9]
	s_cmp_ge_i32 s21, s17
	v_lshl_add_u64 v[2:3], v[2:3], 0, s[8:9]
	s_cbranch_scc1 .LBB36_34
.LBB36_23:                              ; =>This Loop Header: Depth=1
                                        ;     Child Loop BB36_29 Depth 2
                                        ;     Child Loop BB36_33 Depth 2
	v_add_u32_e32 v1, s21, v0
	v_cmp_gt_i32_e32 vcc, s17, v1
	s_and_saveexec_b64 s[10:11], vcc
	s_cbranch_execz .LBB36_22
; %bb.24:                               ;   in Loop: Header=BB36_23 Depth=1
	v_mad_u64_u32 v[6:7], s[22:23], v1, s14, 0
	v_mov_b32_e32 v8, v7
	v_mad_u64_u32 v[8:9], s[22:23], v1, s15, v[8:9]
	v_mov_b32_e32 v7, v8
	s_and_b64 vcc, exec, s[0:1]
	v_lshl_add_u64 v[6:7], v[6:7], 2, s[12:13]
	s_cbranch_vccnz .LBB36_26
; %bb.25:                               ;   in Loop: Header=BB36_23 Depth=1
	global_load_dword v1, v[6:7], off
	s_waitcnt vmcnt(0)
	v_mul_f32_e32 v1, s28, v1
	s_and_b64 vcc, exec, s[4:5]
	s_cbranch_vccz .LBB36_27
	s_branch .LBB36_21
.LBB36_26:                              ;   in Loop: Header=BB36_23 Depth=1
	v_mov_b32_e32 v1, 0
	s_and_b64 vcc, exec, s[4:5]
	s_cbranch_vccnz .LBB36_21
.LBB36_27:                              ;   in Loop: Header=BB36_23 Depth=1
	s_mov_b32 s18, 0
	s_and_b64 vcc, exec, s[2:3]
	s_cbranch_vccnz .LBB36_31
; %bb.28:                               ;   in Loop: Header=BB36_23 Depth=1
	s_mov_b32 s22, 0
	v_mov_b64_e32 v[8:9], v[4:5]
.LBB36_29:                              ;   Parent Loop BB36_23 Depth=1
                                        ; =>  This Inner Loop Header: Depth=2
	global_load_dwordx4 v[10:13], v[8:9], off offset:-28
	global_load_dwordx4 v[14:17], v[8:9], off offset:-12
	v_mov_b32_e32 v22, s18
	ds_read_b128 v[18:21], v22
	ds_read_b128 v[22:25], v22 offset:16
	s_add_i32 s22, s22, 8
	s_add_i32 s18, s18, 32
	v_lshl_add_u64 v[8:9], v[8:9], 0, 32
	s_cmp_eq_u32 s16, s22
	s_waitcnt vmcnt(1) lgkmcnt(1)
	v_fmac_f32_e32 v1, v18, v10
	v_fmac_f32_e32 v1, v19, v11
	;; [unrolled: 1-line block ×4, first 2 shown]
	s_waitcnt vmcnt(0) lgkmcnt(0)
	v_fmac_f32_e32 v1, v22, v14
	v_fmac_f32_e32 v1, v23, v15
	;; [unrolled: 1-line block ×4, first 2 shown]
	s_cbranch_scc0 .LBB36_29
; %bb.30:                               ;   in Loop: Header=BB36_23 Depth=1
	s_mov_b32 s18, s16
.LBB36_31:                              ;   in Loop: Header=BB36_23 Depth=1
	s_and_b64 vcc, exec, s[6:7]
	s_cbranch_vccnz .LBB36_21
; %bb.32:                               ;   in Loop: Header=BB36_23 Depth=1
	s_lshl_b32 s22, s18, 2
	v_lshl_add_u64 v[8:9], s[18:19], 2, v[2:3]
	s_mov_b32 s18, s20
.LBB36_33:                              ;   Parent Loop BB36_23 Depth=1
                                        ; =>  This Inner Loop Header: Depth=2
	global_load_dword v10, v[8:9], off
	v_mov_b32_e32 v11, s22
	ds_read_b32 v11, v11
	s_add_i32 s22, s22, 4
	s_add_i32 s18, s18, -1
	v_lshl_add_u64 v[8:9], v[8:9], 0, 4
	s_cmp_lg_u32 s18, 0
	s_waitcnt vmcnt(0) lgkmcnt(0)
	v_fmac_f32_e32 v1, v11, v10
	s_cbranch_scc1 .LBB36_33
	s_branch .LBB36_21
.LBB36_34:
	s_endpgm
	.section	.rodata,"a",@progbits
	.p2align	6, 0x0
	.amdhsa_kernel _ZL22rocblas_gemvtsm_kernelILb1ELi256EfPKffEviiT2_lPKT1_lilS5_lilS2_lPT3_lil
		.amdhsa_group_segment_fixed_size 256
		.amdhsa_private_segment_fixed_size 0
		.amdhsa_kernarg_size 136
		.amdhsa_user_sgpr_count 2
		.amdhsa_user_sgpr_dispatch_ptr 0
		.amdhsa_user_sgpr_queue_ptr 0
		.amdhsa_user_sgpr_kernarg_segment_ptr 1
		.amdhsa_user_sgpr_dispatch_id 0
		.amdhsa_user_sgpr_kernarg_preload_length 0
		.amdhsa_user_sgpr_kernarg_preload_offset 0
		.amdhsa_user_sgpr_private_segment_size 0
		.amdhsa_uses_dynamic_stack 0
		.amdhsa_enable_private_segment 0
		.amdhsa_system_sgpr_workgroup_id_x 1
		.amdhsa_system_sgpr_workgroup_id_y 0
		.amdhsa_system_sgpr_workgroup_id_z 0
		.amdhsa_system_sgpr_workgroup_info 0
		.amdhsa_system_vgpr_workitem_id 0
		.amdhsa_next_free_vgpr 26
		.amdhsa_next_free_sgpr 29
		.amdhsa_accum_offset 28
		.amdhsa_reserve_vcc 1
		.amdhsa_float_round_mode_32 0
		.amdhsa_float_round_mode_16_64 0
		.amdhsa_float_denorm_mode_32 3
		.amdhsa_float_denorm_mode_16_64 3
		.amdhsa_dx10_clamp 1
		.amdhsa_ieee_mode 1
		.amdhsa_fp16_overflow 0
		.amdhsa_tg_split 0
		.amdhsa_exception_fp_ieee_invalid_op 0
		.amdhsa_exception_fp_denorm_src 0
		.amdhsa_exception_fp_ieee_div_zero 0
		.amdhsa_exception_fp_ieee_overflow 0
		.amdhsa_exception_fp_ieee_underflow 0
		.amdhsa_exception_fp_ieee_inexact 0
		.amdhsa_exception_int_div_zero 0
	.end_amdhsa_kernel
	.section	.text._ZL22rocblas_gemvtsm_kernelILb1ELi256EfPKffEviiT2_lPKT1_lilS5_lilS2_lPT3_lil,"axG",@progbits,_ZL22rocblas_gemvtsm_kernelILb1ELi256EfPKffEviiT2_lPKT1_lilS5_lilS2_lPT3_lil,comdat
.Lfunc_end36:
	.size	_ZL22rocblas_gemvtsm_kernelILb1ELi256EfPKffEviiT2_lPKT1_lilS5_lilS2_lPT3_lil, .Lfunc_end36-_ZL22rocblas_gemvtsm_kernelILb1ELi256EfPKffEviiT2_lPKT1_lilS5_lilS2_lPT3_lil
                                        ; -- End function
	.section	.AMDGPU.csdata,"",@progbits
; Kernel info:
; codeLenInByte = 1220
; NumSgprs: 35
; NumVgprs: 26
; NumAgprs: 0
; TotalNumVgprs: 26
; ScratchSize: 0
; MemoryBound: 0
; FloatMode: 240
; IeeeMode: 1
; LDSByteSize: 256 bytes/workgroup (compile time only)
; SGPRBlocks: 4
; VGPRBlocks: 3
; NumSGPRsForWavesPerEU: 35
; NumVGPRsForWavesPerEU: 26
; AccumOffset: 28
; Occupancy: 8
; WaveLimiterHint : 1
; COMPUTE_PGM_RSRC2:SCRATCH_EN: 0
; COMPUTE_PGM_RSRC2:USER_SGPR: 2
; COMPUTE_PGM_RSRC2:TRAP_HANDLER: 0
; COMPUTE_PGM_RSRC2:TGID_X_EN: 1
; COMPUTE_PGM_RSRC2:TGID_Y_EN: 0
; COMPUTE_PGM_RSRC2:TGID_Z_EN: 0
; COMPUTE_PGM_RSRC2:TIDIG_COMP_CNT: 0
; COMPUTE_PGM_RSRC3_GFX90A:ACCUM_OFFSET: 6
; COMPUTE_PGM_RSRC3_GFX90A:TG_SPLIT: 0
	.section	.text._ZL22rocblas_gemvtsm_kernelILb1ELi256EfffEviiT2_lPKT1_lilS3_lilS0_lPT3_lil,"axG",@progbits,_ZL22rocblas_gemvtsm_kernelILb1ELi256EfffEviiT2_lPKT1_lilS3_lilS0_lPT3_lil,comdat
	.globl	_ZL22rocblas_gemvtsm_kernelILb1ELi256EfffEviiT2_lPKT1_lilS3_lilS0_lPT3_lil ; -- Begin function _ZL22rocblas_gemvtsm_kernelILb1ELi256EfffEviiT2_lPKT1_lilS3_lilS0_lPT3_lil
	.p2align	8
	.type	_ZL22rocblas_gemvtsm_kernelILb1ELi256EfffEviiT2_lPKT1_lilS3_lilS0_lPT3_lil,@function
_ZL22rocblas_gemvtsm_kernelILb1ELi256EfffEviiT2_lPKT1_lilS3_lilS0_lPT3_lil: ; @_ZL22rocblas_gemvtsm_kernelILb1ELi256EfffEviiT2_lPKT1_lilS3_lilS0_lPT3_lil
; %bb.0:
	s_load_dwordx4 s[8:11], s[0:1], 0x0
	s_load_dword s24, s[0:1], 0x58
	s_waitcnt lgkmcnt(0)
	v_cmp_eq_f32_e64 s[4:5], s10, 0
	v_cmp_eq_f32_e64 s[6:7], s24, 1.0
	s_and_b64 s[4:5], s[4:5], s[6:7]
	s_and_b64 vcc, exec, s[4:5]
	s_cbranch_vccnz .LBB37_34
; %bb.1:
	s_load_dwordx2 s[4:5], s[0:1], 0x80
	s_load_dwordx4 s[12:15], s[0:1], 0x68
	s_load_dword s16, s[0:1], 0x78
	s_waitcnt lgkmcnt(0)
	s_mul_i32 s3, s2, s5
	s_mul_hi_u32 s5, s2, s4
	s_mul_i32 s18, s2, s4
	s_add_i32 s19, s5, s3
	v_cmp_neq_f32_e64 s[4:5], s10, 0
	s_and_b64 vcc, exec, s[4:5]
	s_cbranch_vccnz .LBB37_9
; %bb.2:
	s_cmp_gt_i32 s9, 0
	s_cselect_b64 s[6:7], -1, 0
	v_cmp_neq_f32_e64 s[4:5], s24, 0
	v_cndmask_b32_e64 v1, 0, 1, s[6:7]
	s_and_b64 vcc, exec, s[4:5]
	v_cmp_ne_u32_e64 s[4:5], 1, v1
	s_cbranch_vccnz .LBB37_10
; %bb.3:
	s_and_b64 vcc, exec, s[4:5]
	s_cbranch_vccnz .LBB37_8
; %bb.4:
	v_mad_i64_i32 v[2:3], s[20:21], s16, v0, 0
	s_ashr_i32 s17, s16, 31
	s_lshl_b64 s[6:7], s[18:19], 2
	s_lshl_b64 s[20:21], s[14:15], 2
	s_add_u32 s3, s12, s20
	s_addc_u32 s11, s13, s21
	s_add_u32 s6, s3, s6
	s_addc_u32 s7, s11, s7
	v_lshl_add_u64 v[2:3], v[2:3], 2, s[6:7]
	s_lshl_b64 s[6:7], s[16:17], 10
	s_mov_b32 s3, 0
	v_mov_b32_e32 v1, 0
	s_branch .LBB37_6
.LBB37_5:                               ;   in Loop: Header=BB37_6 Depth=1
	s_or_b64 exec, exec, s[20:21]
	s_addk_i32 s3, 0x100
	s_cmp_ge_i32 s3, s9
	v_lshl_add_u64 v[2:3], v[2:3], 0, s[6:7]
	s_cbranch_scc1 .LBB37_8
.LBB37_6:                               ; =>This Inner Loop Header: Depth=1
	v_add_u32_e32 v4, s3, v0
	v_cmp_gt_i32_e32 vcc, s9, v4
	s_and_saveexec_b64 s[20:21], vcc
	s_cbranch_execz .LBB37_5
; %bb.7:                                ;   in Loop: Header=BB37_6 Depth=1
	global_store_dword v[2:3], v1, off
	s_branch .LBB37_5
.LBB37_8:
	s_cbranch_execz .LBB37_11
	s_branch .LBB37_16
.LBB37_9:
	s_branch .LBB37_17
.LBB37_10:
.LBB37_11:
	s_and_b64 vcc, exec, s[4:5]
	s_cbranch_vccnz .LBB37_16
; %bb.12:
	v_mad_i64_i32 v[2:3], s[6:7], s16, v0, 0
	s_ashr_i32 s17, s16, 31
	s_lshl_b64 s[4:5], s[18:19], 2
	s_lshl_b64 s[6:7], s[14:15], 2
	s_add_u32 s3, s12, s6
	s_addc_u32 s6, s13, s7
	s_add_u32 s4, s3, s4
	s_addc_u32 s5, s6, s5
	v_lshl_add_u64 v[2:3], v[2:3], 2, s[4:5]
	s_lshl_b64 s[4:5], s[16:17], 10
	s_mov_b32 s3, 0
	s_branch .LBB37_14
.LBB37_13:                              ;   in Loop: Header=BB37_14 Depth=1
	s_or_b64 exec, exec, s[6:7]
	s_addk_i32 s3, 0x100
	s_cmp_ge_i32 s3, s9
	v_lshl_add_u64 v[2:3], v[2:3], 0, s[4:5]
	s_cbranch_scc1 .LBB37_16
.LBB37_14:                              ; =>This Inner Loop Header: Depth=1
	v_add_u32_e32 v1, s3, v0
	v_cmp_gt_i32_e32 vcc, s9, v1
	s_and_saveexec_b64 s[6:7], vcc
	s_cbranch_execz .LBB37_13
; %bb.15:                               ;   in Loop: Header=BB37_14 Depth=1
	global_load_dword v1, v[2:3], off
	s_waitcnt vmcnt(0)
	v_mul_f32_e32 v1, s24, v1
	global_store_dword v[2:3], v1, off
	s_branch .LBB37_13
.LBB37_16:
	s_cbranch_execnz .LBB37_34
.LBB37_17:
	s_load_dwordx4 s[4:7], s[0:1], 0x30
	s_load_dwordx2 s[22:23], s[0:1], 0x40
	v_cmp_gt_i32_e32 vcc, s8, v0
	s_and_saveexec_b64 s[20:21], vcc
	s_cbranch_execz .LBB37_19
; %bb.18:
	s_load_dwordx2 s[26:27], s[0:1], 0x50
	s_load_dword s3, s[0:1], 0x48
	s_waitcnt lgkmcnt(0)
	s_mul_i32 s11, s2, s27
	s_mul_hi_u32 s17, s2, s26
	s_mul_i32 s26, s2, s26
	s_add_i32 s27, s17, s11
	s_lshl_b64 s[26:27], s[26:27], 2
	s_add_u32 s11, s6, s26
	s_addc_u32 s17, s7, s27
	s_lshl_b64 s[6:7], s[22:23], 2
	s_add_u32 s6, s11, s6
	s_addc_u32 s7, s17, s7
	v_mad_i64_i32 v[2:3], s[22:23], s3, v0, 0
	v_lshl_add_u64 v[2:3], v[2:3], 2, s[6:7]
	global_load_dword v1, v[2:3], off
	v_lshlrev_b32_e32 v2, 2, v0
	s_waitcnt vmcnt(0)
	v_mul_f32_e32 v1, s10, v1
	ds_write_b32 v2, v1
.LBB37_19:
	s_or_b64 exec, exec, s[20:21]
	s_cmp_lt_i32 s9, 1
	s_waitcnt lgkmcnt(0)
	s_barrier
	s_cbranch_scc1 .LBB37_34
; %bb.20:
	s_lshl_b64 s[6:7], s[18:19], 2
	s_add_u32 s3, s12, s6
	s_load_dwordx4 s[28:31], s[0:1], 0x18
	s_load_dword s6, s[0:1], 0x28
	s_addc_u32 s7, s13, s7
	s_lshl_b64 s[0:1], s[14:15], 2
	s_add_u32 s10, s3, s0
	s_addc_u32 s11, s7, s1
	s_waitcnt lgkmcnt(0)
	s_ashr_i32 s7, s6, 31
	s_ashr_i32 s17, s16, 31
	s_cmp_gt_i32 s8, 0
	s_cselect_b64 s[18:19], -1, 0
	s_and_b32 s20, s8, 7
	s_cmp_gt_u32 s8, 7
	s_cselect_b64 s[22:23], -1, 0
	s_and_b32 s8, s8, 0x7ffffff8
	s_cmp_lg_u32 s20, 0
	s_mul_i32 s0, s5, s2
	s_mul_hi_u32 s1, s4, s2
	s_cselect_b64 s[26:27], -1, 0
	s_add_i32 s1, s1, s0
	s_mul_i32 s0, s4, s2
	v_mad_i64_i32 v[2:3], s[2:3], s6, v0, 0
	s_lshl_b64 s[0:1], s[0:1], 2
	s_lshl_b64 s[2:3], s[30:31], 2
	s_add_u32 s2, s28, s2
	s_addc_u32 s3, s29, s3
	s_add_u32 s0, s2, s0
	s_addc_u32 s1, s3, s1
	v_lshl_add_u64 v[2:3], v[2:3], 2, s[0:1]
	v_cmp_neq_f32_e64 s[0:1], s24, 0
	s_mov_b32 s13, 0
	v_lshl_add_u64 v[4:5], v[2:3], 0, 28
	v_cndmask_b32_e64 v1, 0, 1, s[0:1]
	v_cmp_ne_u32_e64 s[0:1], 1, v1
	v_cndmask_b32_e64 v1, 0, 1, s[18:19]
	v_cmp_ne_u32_e64 s[2:3], 1, v1
	;; [unrolled: 2-line block ×3, first 2 shown]
	v_cndmask_b32_e64 v1, 0, 1, s[26:27]
	s_lshl_b64 s[14:15], s[6:7], 10
	v_cmp_ne_u32_e64 s[6:7], 1, v1
	s_mov_b32 s21, 0
	s_branch .LBB37_23
.LBB37_21:                              ;   in Loop: Header=BB37_23 Depth=1
	global_store_dword v[6:7], v1, off
.LBB37_22:                              ;   in Loop: Header=BB37_23 Depth=1
	s_or_b64 exec, exec, s[18:19]
	s_addk_i32 s21, 0x100
	v_lshl_add_u64 v[4:5], v[4:5], 0, s[14:15]
	s_cmp_ge_i32 s21, s9
	v_lshl_add_u64 v[2:3], v[2:3], 0, s[14:15]
	s_cbranch_scc1 .LBB37_34
.LBB37_23:                              ; =>This Loop Header: Depth=1
                                        ;     Child Loop BB37_29 Depth 2
                                        ;     Child Loop BB37_33 Depth 2
	v_add_u32_e32 v1, s21, v0
	v_cmp_gt_i32_e32 vcc, s9, v1
	s_and_saveexec_b64 s[18:19], vcc
	s_cbranch_execz .LBB37_22
; %bb.24:                               ;   in Loop: Header=BB37_23 Depth=1
	v_mad_u64_u32 v[6:7], s[22:23], v1, s16, 0
	v_mov_b32_e32 v8, v7
	v_mad_u64_u32 v[8:9], s[22:23], v1, s17, v[8:9]
	v_mov_b32_e32 v7, v8
	s_and_b64 vcc, exec, s[0:1]
	v_lshl_add_u64 v[6:7], v[6:7], 2, s[10:11]
	s_cbranch_vccnz .LBB37_26
; %bb.25:                               ;   in Loop: Header=BB37_23 Depth=1
	global_load_dword v1, v[6:7], off
	s_waitcnt vmcnt(0)
	v_mul_f32_e32 v1, s24, v1
	s_and_b64 vcc, exec, s[2:3]
	s_cbranch_vccz .LBB37_27
	s_branch .LBB37_21
.LBB37_26:                              ;   in Loop: Header=BB37_23 Depth=1
	v_mov_b32_e32 v1, 0
	s_and_b64 vcc, exec, s[2:3]
	s_cbranch_vccnz .LBB37_21
.LBB37_27:                              ;   in Loop: Header=BB37_23 Depth=1
	s_mov_b32 s12, 0
	s_and_b64 vcc, exec, s[4:5]
	s_cbranch_vccnz .LBB37_31
; %bb.28:                               ;   in Loop: Header=BB37_23 Depth=1
	s_mov_b32 s22, 0
	v_mov_b64_e32 v[8:9], v[4:5]
.LBB37_29:                              ;   Parent Loop BB37_23 Depth=1
                                        ; =>  This Inner Loop Header: Depth=2
	global_load_dwordx4 v[10:13], v[8:9], off offset:-28
	global_load_dwordx4 v[14:17], v[8:9], off offset:-12
	v_mov_b32_e32 v22, s12
	ds_read_b128 v[18:21], v22
	ds_read_b128 v[22:25], v22 offset:16
	s_add_i32 s22, s22, 8
	s_add_i32 s12, s12, 32
	v_lshl_add_u64 v[8:9], v[8:9], 0, 32
	s_cmp_eq_u32 s8, s22
	s_waitcnt vmcnt(1) lgkmcnt(1)
	v_fmac_f32_e32 v1, v18, v10
	v_fmac_f32_e32 v1, v19, v11
	;; [unrolled: 1-line block ×4, first 2 shown]
	s_waitcnt vmcnt(0) lgkmcnt(0)
	v_fmac_f32_e32 v1, v22, v14
	v_fmac_f32_e32 v1, v23, v15
	;; [unrolled: 1-line block ×4, first 2 shown]
	s_cbranch_scc0 .LBB37_29
; %bb.30:                               ;   in Loop: Header=BB37_23 Depth=1
	s_mov_b32 s12, s8
.LBB37_31:                              ;   in Loop: Header=BB37_23 Depth=1
	s_and_b64 vcc, exec, s[6:7]
	s_cbranch_vccnz .LBB37_21
; %bb.32:                               ;   in Loop: Header=BB37_23 Depth=1
	s_lshl_b32 s22, s12, 2
	v_lshl_add_u64 v[8:9], s[12:13], 2, v[2:3]
	s_mov_b32 s12, s20
.LBB37_33:                              ;   Parent Loop BB37_23 Depth=1
                                        ; =>  This Inner Loop Header: Depth=2
	global_load_dword v10, v[8:9], off
	v_mov_b32_e32 v11, s22
	ds_read_b32 v11, v11
	s_add_i32 s22, s22, 4
	s_add_i32 s12, s12, -1
	v_lshl_add_u64 v[8:9], v[8:9], 0, 4
	s_cmp_lg_u32 s12, 0
	s_waitcnt vmcnt(0) lgkmcnt(0)
	v_fmac_f32_e32 v1, v11, v10
	s_cbranch_scc1 .LBB37_33
	s_branch .LBB37_21
.LBB37_34:
	s_endpgm
	.section	.rodata,"a",@progbits
	.p2align	6, 0x0
	.amdhsa_kernel _ZL22rocblas_gemvtsm_kernelILb1ELi256EfffEviiT2_lPKT1_lilS3_lilS0_lPT3_lil
		.amdhsa_group_segment_fixed_size 256
		.amdhsa_private_segment_fixed_size 0
		.amdhsa_kernarg_size 136
		.amdhsa_user_sgpr_count 2
		.amdhsa_user_sgpr_dispatch_ptr 0
		.amdhsa_user_sgpr_queue_ptr 0
		.amdhsa_user_sgpr_kernarg_segment_ptr 1
		.amdhsa_user_sgpr_dispatch_id 0
		.amdhsa_user_sgpr_kernarg_preload_length 0
		.amdhsa_user_sgpr_kernarg_preload_offset 0
		.amdhsa_user_sgpr_private_segment_size 0
		.amdhsa_uses_dynamic_stack 0
		.amdhsa_enable_private_segment 0
		.amdhsa_system_sgpr_workgroup_id_x 1
		.amdhsa_system_sgpr_workgroup_id_y 0
		.amdhsa_system_sgpr_workgroup_id_z 0
		.amdhsa_system_sgpr_workgroup_info 0
		.amdhsa_system_vgpr_workitem_id 0
		.amdhsa_next_free_vgpr 26
		.amdhsa_next_free_sgpr 32
		.amdhsa_accum_offset 28
		.amdhsa_reserve_vcc 1
		.amdhsa_float_round_mode_32 0
		.amdhsa_float_round_mode_16_64 0
		.amdhsa_float_denorm_mode_32 3
		.amdhsa_float_denorm_mode_16_64 3
		.amdhsa_dx10_clamp 1
		.amdhsa_ieee_mode 1
		.amdhsa_fp16_overflow 0
		.amdhsa_tg_split 0
		.amdhsa_exception_fp_ieee_invalid_op 0
		.amdhsa_exception_fp_denorm_src 0
		.amdhsa_exception_fp_ieee_div_zero 0
		.amdhsa_exception_fp_ieee_overflow 0
		.amdhsa_exception_fp_ieee_underflow 0
		.amdhsa_exception_fp_ieee_inexact 0
		.amdhsa_exception_int_div_zero 0
	.end_amdhsa_kernel
	.section	.text._ZL22rocblas_gemvtsm_kernelILb1ELi256EfffEviiT2_lPKT1_lilS3_lilS0_lPT3_lil,"axG",@progbits,_ZL22rocblas_gemvtsm_kernelILb1ELi256EfffEviiT2_lPKT1_lilS3_lilS0_lPT3_lil,comdat
.Lfunc_end37:
	.size	_ZL22rocblas_gemvtsm_kernelILb1ELi256EfffEviiT2_lPKT1_lilS3_lilS0_lPT3_lil, .Lfunc_end37-_ZL22rocblas_gemvtsm_kernelILb1ELi256EfffEviiT2_lPKT1_lilS3_lilS0_lPT3_lil
                                        ; -- End function
	.section	.AMDGPU.csdata,"",@progbits
; Kernel info:
; codeLenInByte = 1152
; NumSgprs: 38
; NumVgprs: 26
; NumAgprs: 0
; TotalNumVgprs: 26
; ScratchSize: 0
; MemoryBound: 0
; FloatMode: 240
; IeeeMode: 1
; LDSByteSize: 256 bytes/workgroup (compile time only)
; SGPRBlocks: 4
; VGPRBlocks: 3
; NumSGPRsForWavesPerEU: 38
; NumVGPRsForWavesPerEU: 26
; AccumOffset: 28
; Occupancy: 8
; WaveLimiterHint : 1
; COMPUTE_PGM_RSRC2:SCRATCH_EN: 0
; COMPUTE_PGM_RSRC2:USER_SGPR: 2
; COMPUTE_PGM_RSRC2:TRAP_HANDLER: 0
; COMPUTE_PGM_RSRC2:TGID_X_EN: 1
; COMPUTE_PGM_RSRC2:TGID_Y_EN: 0
; COMPUTE_PGM_RSRC2:TGID_Z_EN: 0
; COMPUTE_PGM_RSRC2:TIDIG_COMP_CNT: 0
; COMPUTE_PGM_RSRC3_GFX90A:ACCUM_OFFSET: 6
; COMPUTE_PGM_RSRC3_GFX90A:TG_SPLIT: 0
	.section	.text._ZL23rocblas_gemvt_sn_kernelILb1ELi256ELi4EifPKffEviiT4_lPKT3_lilS5_lilPT5_i,"axG",@progbits,_ZL23rocblas_gemvt_sn_kernelILb1ELi256ELi4EifPKffEviiT4_lPKT3_lilS5_lilPT5_i,comdat
	.globl	_ZL23rocblas_gemvt_sn_kernelILb1ELi256ELi4EifPKffEviiT4_lPKT3_lilS5_lilPT5_i ; -- Begin function _ZL23rocblas_gemvt_sn_kernelILb1ELi256ELi4EifPKffEviiT4_lPKT3_lilS5_lilPT5_i
	.p2align	8
	.type	_ZL23rocblas_gemvt_sn_kernelILb1ELi256ELi4EifPKffEviiT4_lPKT3_lilS5_lilPT5_i,@function
_ZL23rocblas_gemvt_sn_kernelILb1ELi256ELi4EifPKffEviiT4_lPKT3_lilS5_lilPT5_i: ; @_ZL23rocblas_gemvt_sn_kernelILb1ELi256ELi4EifPKffEviiT4_lPKT3_lilS5_lilPT5_i
; %bb.0:
	s_load_dwordx8 s[20:27], s[0:1], 0x8
	s_load_dwordx2 s[28:29], s[0:1], 0x0
	s_mov_b32 s6, s3
	s_mov_b32 s31, 0
	s_waitcnt lgkmcnt(0)
	s_mul_i32 s3, s3, s23
	s_mul_hi_u32 s4, s6, s22
	s_add_i32 s5, s4, s3
	s_mul_i32 s4, s6, s22
	s_lshl_b64 s[4:5], s[4:5], 2
	s_add_u32 s4, s20, s4
	s_addc_u32 s5, s21, s5
	s_load_dword s33, s[4:5], 0x0
	s_load_dwordx4 s[8:11], s[0:1], 0x50
	s_load_dword s30, s[0:1], 0x68
	s_ashr_i32 s7, s29, 31
	s_mul_hi_u32 s3, s29, s6
	s_mul_i32 s4, s7, s6
	s_add_i32 s13, s3, s4
	s_mul_i32 s12, s29, s6
	s_waitcnt lgkmcnt(0)
	s_mul_i32 s3, s13, s30
	s_mul_hi_u32 s4, s12, s30
	s_add_i32 s5, s4, s3
	s_mul_i32 s4, s12, s30
	s_lshl_b64 s[4:5], s[4:5], 2
	s_add_u32 s55, s10, s4
	s_addc_u32 s56, s11, s5
	v_cmp_neq_f32_e64 s[4:5], s33, 0
	s_and_b64 vcc, exec, s[4:5]
	v_cmp_eq_u32_e64 s[4:5], 0, v0
	s_cbranch_vccnz .LBB38_10
; %bb.1:
	s_cmp_gt_i32 s29, 0
	s_cselect_b64 s[14:15], -1, 0
	s_and_b64 s[14:15], s[4:5], s[14:15]
	s_and_saveexec_b64 s[4:5], s[14:15]
	s_cbranch_execz .LBB38_9
; %bb.2:
	s_cmp_gt_u32 s29, 1
	s_cselect_b64 s[14:15], -1, 0
	s_cmp_eq_u32 s30, 1
	s_cselect_b64 s[18:19], -1, 0
	s_mov_b32 s3, 0
	s_and_b64 s[14:15], s[14:15], s[18:19]
	s_mov_b64 s[16:17], -1
	s_andn2_b64 vcc, exec, s[14:15]
	s_mov_b32 s14, s3
	s_cbranch_vccnz .LBB38_6
; %bb.3:
	s_lshl_b64 s[14:15], s[2:3], 2
	s_add_u32 s16, s55, s14
	s_addc_u32 s17, s56, s15
	s_and_b32 s14, s29, 0x7ffffffe
	v_mov_b32_e32 v2, 0
	v_mov_b32_e32 v3, v2
	s_mov_b32 s15, s14
.LBB38_4:                               ; =>This Inner Loop Header: Depth=1
	global_store_dwordx2 v2, v[2:3], s[16:17]
	s_add_u32 s16, s16, 8
	s_addc_u32 s17, s17, 0
	s_add_i32 s15, s15, -2
	s_cmp_lg_u32 s15, 0
	s_cbranch_scc1 .LBB38_4
; %bb.5:
	s_cmp_lg_u32 s14, s29
	s_cselect_b64 s[16:17], -1, 0
.LBB38_6:
	s_and_b64 vcc, exec, s[16:17]
	s_cbranch_vccz .LBB38_9
; %bb.7:
	s_mov_b32 s15, 0
	s_sub_i32 s16, s29, s14
	s_lshl_b64 s[12:13], s[12:13], 2
	s_lshl_b64 s[14:15], s[14:15], 2
	s_add_u32 s12, s12, s14
	s_addc_u32 s13, s13, s15
	s_mul_i32 s13, s13, s30
	s_mul_hi_u32 s14, s12, s30
	s_add_i32 s14, s14, s13
	s_mul_i32 s15, s12, s30
	s_lshl_b64 s[12:13], s[2:3], 2
	s_add_u32 s3, s15, s12
	s_addc_u32 s12, s14, s13
	s_add_u32 s10, s10, s3
	s_addc_u32 s11, s11, s12
	s_lshl_b64 s[12:13], s[30:31], 2
	v_mov_b32_e32 v1, 0
.LBB38_8:                               ; =>This Inner Loop Header: Depth=1
	s_add_i32 s16, s16, -1
	global_store_dword v1, v1, s[10:11]
	s_add_u32 s10, s10, s12
	s_addc_u32 s11, s11, s13
	s_cmp_eq_u32 s16, 0
	s_cbranch_scc0 .LBB38_8
.LBB38_9:
	s_or_b64 exec, exec, s[4:5]
	s_cbranch_execz .LBB38_11
	s_branch .LBB38_84
.LBB38_10:
.LBB38_11:
	s_load_dword s22, s[0:1], 0x28
	s_load_dwordx4 s[12:15], s[0:1], 0x30
	s_load_dwordx2 s[4:5], s[0:1], 0x40
	s_load_dword s31, s[0:1], 0x48
	s_mul_i32 s0, s6, s9
	s_mul_hi_u32 s1, s6, s8
	s_add_i32 s1, s1, s0
	s_mul_i32 s0, s6, s8
	s_lshl_b64 s[0:1], s[0:1], 2
	s_waitcnt lgkmcnt(0)
	s_add_u32 s3, s14, s0
	s_addc_u32 s8, s15, s1
	s_lshl_b64 s[0:1], s[4:5], 2
	s_add_u32 s34, s3, s0
	s_addc_u32 s35, s8, s1
	s_mul_i32 s0, s6, s13
	s_mul_hi_u32 s1, s6, s12
	s_add_i32 s1, s1, s0
	s_mul_i32 s0, s6, s12
	s_lshl_b64 s[36:37], s[0:1], 2
	s_add_u32 s0, s24, s36
	s_addc_u32 s1, s25, s37
	s_lshl_b64 s[26:27], s[26:27], 2
	s_add_u32 s0, s0, s26
	s_addc_u32 s1, s1, s27
	s_lshl_b32 s3, s2, 10
	v_lshl_or_b32 v10, v0, 2, s3
	v_ashrrev_i32_e32 v11, 31, v10
	v_lshl_add_u64 v[6:7], v[10:11], 2, s[0:1]
	s_lshr_b32 s0, s7, 30
	s_add_i32 s0, s29, s0
	s_and_b32 s3, s0, -4
	s_ashr_i32 s0, s28, 31
	s_lshr_b32 s0, s0, 30
	s_add_i32 s0, s28, s0
	s_and_b32 s0, s0, -4
	s_sub_i32 s54, s28, s0
	s_cmp_lt_i32 s3, 1
	v_add_u32_e32 v29, 4, v10
	v_add_u32_e32 v30, s54, v10
	v_and_b32_e32 v1, 63, v0
	v_cmp_gt_u32_e64 s[0:1], 64, v0
	v_mbcnt_lo_u32_b32 v28, -1, 0
	v_cmp_gt_u32_e64 s[4:5], 4, v0
	v_lshrrev_b32_e32 v9, 4, v0
	v_mul_lo_u32 v8, v10, s31
	s_cbranch_scc1 .LBB38_59
; %bb.12:
	v_mbcnt_hi_u32_b32 v2, -1, v28
	v_and_b32_e32 v3, 63, v2
	v_cmp_gt_u32_e32 vcc, 32, v3
	v_mul_lo_u32 v12, v10, s31
	s_cmp_gt_i32 s54, 0
	v_cndmask_b32_e64 v4, 0, 1, vcc
	v_lshlrev_b32_e32 v4, 5, v4
	v_cmp_gt_u32_e32 vcc, 48, v3
	v_add_lshl_u32 v31, v4, v2, 2
	s_cselect_b64 s[40:41], -1, 0
	v_cndmask_b32_e64 v4, 0, 1, vcc
	v_lshlrev_b32_e32 v4, 4, v4
	v_cmp_gt_u32_e32 vcc, 56, v3
	v_add_lshl_u32 v32, v4, v2, 2
	s_lshl_b32 s57, s22, 2
	v_cndmask_b32_e64 v4, 0, 1, vcc
	v_lshlrev_b32_e32 v4, 3, v4
	v_cmp_gt_u32_e32 vcc, 60, v3
	v_add_lshl_u32 v33, v4, v2, 2
	s_lshl_b32 s38, s22, 1
	v_cndmask_b32_e64 v4, 0, 1, vcc
	v_lshlrev_b32_e32 v4, 2, v4
	v_cmp_gt_u32_e32 vcc, 62, v3
	v_add_lshl_u32 v34, v4, v2, 2
	s_add_u32 s14, s36, s26
	v_cndmask_b32_e64 v4, 0, 1, vcc
	v_lshlrev_b32_e32 v4, 1, v4
	v_cmp_ne_u32_e32 vcc, 63, v3
	v_add_lshl_u32 v35, v4, v2, 2
	s_addc_u32 s15, s37, s27
	v_addc_co_u32_e32 v2, vcc, 0, v2, vcc
	v_lshlrev_b32_e32 v36, 2, v2
	v_add_u32_e32 v2, s31, v12
	v_ashrrev_i32_e32 v3, 31, v2
	v_lshl_add_u64 v[16:17], v[2:3], 2, s[34:35]
	v_add_u32_e32 v2, s31, v2
	v_ashrrev_i32_e32 v3, 31, v2
	s_mov_b32 s39, 0
	v_lshl_add_u64 v[18:19], v[2:3], 2, s[34:35]
	v_add_u32_e32 v2, s31, v2
	s_add_u32 s14, s24, s14
	v_ashrrev_i32_e32 v13, 31, v12
	v_ashrrev_i32_e32 v3, 31, v2
	s_mov_b32 s23, s39
	s_addc_u32 s15, s25, s15
	v_cmp_ge_i32_e64 s[6:7], s28, v29
	v_cmp_ge_i32_e64 s[8:9], s28, v30
	v_cmp_eq_u32_e64 s[10:11], 0, v1
	v_lshlrev_b32_e32 v37, 2, v1
	v_and_b32_e32 v38, 12, v9
	v_cmp_eq_u32_e64 s[12:13], 0, v0
	v_lshl_add_u64 v[14:15], v[12:13], 2, s[34:35]
	v_lshl_add_u64 v[20:21], v[2:3], 2, s[34:35]
	s_mul_i32 s58, s22, 3
	s_mov_b32 s59, s39
	v_lshl_add_u64 v[22:23], v[10:11], 2, s[14:15]
	v_mov_b32_e32 v13, 0
	s_mov_b32 s42, s39
	s_mov_b64 s[44:45], s[38:39]
	s_mov_b64 s[46:47], s[22:23]
	s_mov_b32 s23, 0
                                        ; implicit-def: $vgpr2_vgpr3_vgpr4_vgpr5
	s_branch .LBB38_14
.LBB38_13:                              ;   in Loop: Header=BB38_14 Depth=1
	s_or_b64 exec, exec, s[14:15]
	s_add_i32 s23, s23, 4
	s_add_u32 s46, s46, s57
	s_addc_u32 s47, s47, 0
	s_add_u32 s44, s44, s57
	s_addc_u32 s45, s45, 0
	;; [unrolled: 2-line block ×3, first 2 shown]
	s_add_i32 s42, s42, s57
	s_cmp_ge_i32 s23, s3
	s_cbranch_scc1 .LBB38_60
.LBB38_14:                              ; =>This Loop Header: Depth=1
                                        ;     Child Loop BB38_45 Depth 2
                                        ;     Child Loop BB38_48 Depth 2
                                        ; implicit-def: $vgpr25
                                        ; implicit-def: $vgpr39
                                        ; implicit-def: $vgpr40
	s_and_saveexec_b64 s[14:15], s[6:7]
	s_xor_b64 s[14:15], exec, s[14:15]
	s_cbranch_execnz .LBB38_41
; %bb.15:                               ;   in Loop: Header=BB38_14 Depth=1
	s_andn2_saveexec_b64 s[48:49], s[14:15]
	s_cbranch_execnz .LBB38_42
.LBB38_16:                              ;   in Loop: Header=BB38_14 Depth=1
	s_or_b64 exec, exec, s[48:49]
	s_and_saveexec_b64 s[14:15], s[0:1]
	s_cbranch_execz .LBB38_18
.LBB38_17:                              ;   in Loop: Header=BB38_14 Depth=1
	ds_write_b32 v37, v13
.LBB38_18:                              ;   in Loop: Header=BB38_14 Depth=1
	s_or_b64 exec, exec, s[14:15]
	ds_bpermute_b32 v26, v31, v40
	s_waitcnt lgkmcnt(0)
	s_barrier
	v_add_f32_e32 v26, v40, v26
	ds_bpermute_b32 v27, v32, v26
	s_waitcnt lgkmcnt(0)
	v_add_f32_e32 v26, v26, v27
	ds_bpermute_b32 v27, v33, v26
	s_waitcnt lgkmcnt(0)
	;; [unrolled: 3-line block ×4, first 2 shown]
	v_add_f32_e32 v26, v26, v27
	ds_bpermute_b32 v27, v36, v26
	s_and_saveexec_b64 s[14:15], s[10:11]
	s_cbranch_execz .LBB38_20
; %bb.19:                               ;   in Loop: Header=BB38_14 Depth=1
	s_waitcnt lgkmcnt(0)
	v_add_f32_e32 v26, v26, v27
	ds_write_b32 v38, v26
.LBB38_20:                              ;   in Loop: Header=BB38_14 Depth=1
	s_or_b64 exec, exec, s[14:15]
	v_mov_b32_e32 v26, 0
	s_waitcnt lgkmcnt(0)
	s_barrier
	s_and_saveexec_b64 s[14:15], s[4:5]
	s_cbranch_execnz .LBB38_50
; %bb.21:                               ;   in Loop: Header=BB38_14 Depth=1
	s_or_b64 exec, exec, s[14:15]
	s_and_saveexec_b64 s[14:15], s[0:1]
	s_cbranch_execnz .LBB38_51
.LBB38_22:                              ;   in Loop: Header=BB38_14 Depth=1
	s_or_b64 exec, exec, s[14:15]
	s_and_saveexec_b64 s[14:15], s[0:1]
	s_cbranch_execz .LBB38_24
.LBB38_23:                              ;   in Loop: Header=BB38_14 Depth=1
	ds_write_b32 v37, v13
.LBB38_24:                              ;   in Loop: Header=BB38_14 Depth=1
	s_or_b64 exec, exec, s[14:15]
	ds_bpermute_b32 v27, v31, v39
	s_waitcnt lgkmcnt(0)
	s_barrier
	v_add_f32_e32 v27, v39, v27
	ds_bpermute_b32 v39, v32, v27
	s_waitcnt lgkmcnt(0)
	v_add_f32_e32 v27, v27, v39
	ds_bpermute_b32 v39, v33, v27
	s_waitcnt lgkmcnt(0)
	;; [unrolled: 3-line block ×4, first 2 shown]
	v_add_f32_e32 v27, v27, v39
	ds_bpermute_b32 v39, v36, v27
	s_and_saveexec_b64 s[14:15], s[10:11]
	s_cbranch_execz .LBB38_26
; %bb.25:                               ;   in Loop: Header=BB38_14 Depth=1
	s_waitcnt lgkmcnt(0)
	v_add_f32_e32 v27, v27, v39
	ds_write_b32 v38, v27
.LBB38_26:                              ;   in Loop: Header=BB38_14 Depth=1
	s_or_b64 exec, exec, s[14:15]
	v_mov_b32_e32 v27, 0
	s_waitcnt lgkmcnt(0)
	s_barrier
	s_and_saveexec_b64 s[14:15], s[4:5]
	s_cbranch_execnz .LBB38_52
; %bb.27:                               ;   in Loop: Header=BB38_14 Depth=1
	s_or_b64 exec, exec, s[14:15]
	s_and_saveexec_b64 s[14:15], s[0:1]
	s_cbranch_execnz .LBB38_53
.LBB38_28:                              ;   in Loop: Header=BB38_14 Depth=1
	s_or_b64 exec, exec, s[14:15]
	s_and_saveexec_b64 s[14:15], s[0:1]
	s_cbranch_execz .LBB38_30
.LBB38_29:                              ;   in Loop: Header=BB38_14 Depth=1
	ds_write_b32 v37, v13
.LBB38_30:                              ;   in Loop: Header=BB38_14 Depth=1
	s_or_b64 exec, exec, s[14:15]
	ds_bpermute_b32 v39, v31, v24
	s_waitcnt lgkmcnt(0)
	s_barrier
	v_add_f32_e32 v24, v24, v39
	ds_bpermute_b32 v39, v32, v24
	s_waitcnt lgkmcnt(0)
	v_add_f32_e32 v24, v24, v39
	ds_bpermute_b32 v39, v33, v24
	s_waitcnt lgkmcnt(0)
	;; [unrolled: 3-line block ×4, first 2 shown]
	v_add_f32_e32 v24, v24, v39
	ds_bpermute_b32 v39, v36, v24
	s_and_saveexec_b64 s[14:15], s[10:11]
	s_cbranch_execz .LBB38_32
; %bb.31:                               ;   in Loop: Header=BB38_14 Depth=1
	s_waitcnt lgkmcnt(0)
	v_add_f32_e32 v24, v24, v39
	ds_write_b32 v38, v24
.LBB38_32:                              ;   in Loop: Header=BB38_14 Depth=1
	s_or_b64 exec, exec, s[14:15]
	v_mov_b32_e32 v24, 0
	s_waitcnt lgkmcnt(0)
	s_barrier
	s_and_saveexec_b64 s[14:15], s[4:5]
	s_cbranch_execnz .LBB38_54
; %bb.33:                               ;   in Loop: Header=BB38_14 Depth=1
	s_or_b64 exec, exec, s[14:15]
	s_and_saveexec_b64 s[14:15], s[0:1]
	s_cbranch_execnz .LBB38_55
.LBB38_34:                              ;   in Loop: Header=BB38_14 Depth=1
	s_or_b64 exec, exec, s[14:15]
	s_and_saveexec_b64 s[14:15], s[0:1]
	s_cbranch_execz .LBB38_36
.LBB38_35:                              ;   in Loop: Header=BB38_14 Depth=1
	ds_write_b32 v37, v13
.LBB38_36:                              ;   in Loop: Header=BB38_14 Depth=1
	s_or_b64 exec, exec, s[14:15]
	ds_bpermute_b32 v39, v31, v25
	s_waitcnt lgkmcnt(0)
	s_barrier
	v_add_f32_e32 v25, v25, v39
	ds_bpermute_b32 v39, v32, v25
	s_waitcnt lgkmcnt(0)
	v_add_f32_e32 v25, v25, v39
	ds_bpermute_b32 v39, v33, v25
	s_waitcnt lgkmcnt(0)
	;; [unrolled: 3-line block ×4, first 2 shown]
	v_add_f32_e32 v25, v25, v39
	ds_bpermute_b32 v39, v36, v25
	s_and_saveexec_b64 s[14:15], s[10:11]
	s_cbranch_execz .LBB38_38
; %bb.37:                               ;   in Loop: Header=BB38_14 Depth=1
	s_waitcnt lgkmcnt(0)
	v_add_f32_e32 v25, v25, v39
	ds_write_b32 v38, v25
.LBB38_38:                              ;   in Loop: Header=BB38_14 Depth=1
	s_or_b64 exec, exec, s[14:15]
	v_mov_b32_e32 v25, 0
	s_waitcnt lgkmcnt(0)
	s_barrier
	s_and_saveexec_b64 s[14:15], s[4:5]
	s_cbranch_execnz .LBB38_56
; %bb.39:                               ;   in Loop: Header=BB38_14 Depth=1
	s_or_b64 exec, exec, s[14:15]
	s_and_saveexec_b64 s[14:15], s[0:1]
	s_cbranch_execnz .LBB38_57
.LBB38_40:                              ;   in Loop: Header=BB38_14 Depth=1
	s_or_b64 exec, exec, s[14:15]
	s_and_saveexec_b64 s[14:15], s[12:13]
	s_cbranch_execz .LBB38_13
	s_branch .LBB38_58
.LBB38_41:                              ;   in Loop: Header=BB38_14 Depth=1
	s_mul_i32 s16, s23, s22
	s_ashr_i32 s17, s16, 31
	s_waitcnt lgkmcnt(0)
	v_lshl_add_u64 v[24:25], s[16:17], 2, v[6:7]
	s_add_i32 s16, s16, s22
	s_ashr_i32 s17, s16, 31
	v_lshl_add_u64 v[40:41], s[16:17], 2, v[6:7]
	s_add_i32 s16, s16, s22
	s_ashr_i32 s17, s16, 31
	global_load_dword v2, v[14:15], off
	global_load_dword v3, v[16:17], off
	;; [unrolled: 1-line block ×4, first 2 shown]
	v_lshl_add_u64 v[44:45], s[16:17], 2, v[6:7]
	global_load_dwordx4 v[24:27], v[24:25], off
	s_add_i32 s16, s16, s22
	global_load_dwordx4 v[40:43], v[40:41], off
	s_ashr_i32 s17, s16, 31
	v_lshl_add_u64 v[48:49], s[16:17], 2, v[6:7]
	global_load_dwordx4 v[44:47], v[44:45], off
	s_waitcnt vmcnt(2)
	v_pk_mul_f32 v[24:25], v[2:3], v[24:25]
	global_load_dwordx4 v[48:51], v[48:49], off
	v_add_f32_e32 v39, 0, v24
	v_pk_mul_f32 v[26:27], v[4:5], v[26:27]
	v_add_f32_e32 v25, v39, v25
	s_waitcnt vmcnt(2)
	v_pk_mul_f32 v[40:41], v[2:3], v[40:41]
	v_add_f32_e32 v25, v25, v26
	s_waitcnt vmcnt(1)
	v_mul_f32_e32 v24, v2, v44
	v_add_f32_e32 v39, 0, v40
	v_add_f32_e32 v40, v25, v27
	v_mul_f32_e32 v44, v3, v45
	v_pk_mul_f32 v[42:43], v[4:5], v[42:43]
	v_mul_f32_e32 v46, v4, v46
	v_mul_f32_e32 v52, v5, v47
	v_add_f32_e32 v39, v39, v41
	v_add_f32_e32 v26, v39, v42
	;; [unrolled: 1-line block ×3, first 2 shown]
	s_waitcnt vmcnt(0)
	v_pk_mul_f32 v[48:49], v[2:3], v[48:49]
	s_nop 0
	v_mov_b32_e32 v25, v48
	v_pk_mul_f32 v[50:51], v[4:5], v[50:51]
	v_mov_b32_e32 v45, v49
	v_pk_add_f32 v[24:25], v[24:25], 0 op_sel_hi:[1,0]
	v_mov_b32_e32 v47, v50
	v_pk_add_f32 v[24:25], v[24:25], v[44:45]
	v_mov_b32_e32 v53, v51
	v_pk_add_f32 v[24:25], v[24:25], v[46:47]
	s_nop 0
	v_pk_add_f32 v[24:25], v[24:25], v[52:53]
	s_andn2_saveexec_b64 s[48:49], s[14:15]
	s_cbranch_execz .LBB38_16
.LBB38_42:                              ;   in Loop: Header=BB38_14 Depth=1
	s_waitcnt lgkmcnt(0)
	v_mov_b32_e32 v25, 0
	v_mov_b32_e32 v24, 0
	;; [unrolled: 1-line block ×4, first 2 shown]
	s_and_saveexec_b64 s[50:51], s[8:9]
	s_cbranch_execz .LBB38_49
; %bb.43:                               ;   in Loop: Header=BB38_14 Depth=1
	v_cndmask_b32_e64 v24, 0, 1, s[40:41]
	v_cmp_ne_u32_e64 s[14:15], 1, v24
	s_andn2_b64 vcc, exec, s[40:41]
	s_cbranch_vccnz .LBB38_46
; %bb.44:                               ;   in Loop: Header=BB38_14 Depth=1
	s_mov_b64 s[52:53], 0
	v_mov_b32_e32 v24, v12
.LBB38_45:                              ;   Parent Loop BB38_14 Depth=1
                                        ; =>  This Inner Loop Header: Depth=2
	v_ashrrev_i32_e32 v25, 31, v24
	v_lshl_add_u64 v[26:27], v[24:25], 2, s[34:35]
	global_load_dword v25, v[26:27], off
	s_cmp_eq_u32 s52, 3
	s_cselect_b64 vcc, -1, 0
	s_cmp_eq_u32 s52, 2
	s_cselect_b64 s[16:17], -1, 0
	s_cmp_eq_u32 s52, 1
	s_cselect_b64 s[18:19], -1, 0
	;; [unrolled: 2-line block ×3, first 2 shown]
	s_add_u32 s52, s52, 1
	s_addc_u32 s53, s53, 0
	v_add_u32_e32 v24, s31, v24
	s_cmp_eq_u32 s54, s52
	s_waitcnt vmcnt(0)
	v_cndmask_b32_e32 v5, v5, v25, vcc
	v_cndmask_b32_e64 v4, v4, v25, s[16:17]
	v_cndmask_b32_e64 v3, v3, v25, s[18:19]
	;; [unrolled: 1-line block ×3, first 2 shown]
	s_cbranch_scc0 .LBB38_45
.LBB38_46:                              ;   in Loop: Header=BB38_14 Depth=1
	s_and_b64 vcc, exec, s[14:15]
	v_mov_b32_e32 v25, 0
	v_mov_b32_e32 v24, 0
	;; [unrolled: 1-line block ×4, first 2 shown]
	s_cbranch_vccnz .LBB38_49
; %bb.47:                               ;   in Loop: Header=BB38_14 Depth=1
	s_ashr_i32 s43, s42, 31
	v_mov_b32_e32 v40, 0
	v_lshl_add_u64 v[26:27], s[42:43], 2, v[22:23]
	s_mov_b64 s[14:15], 0
	v_mov_b32_e32 v39, 0
	v_mov_b32_e32 v24, 0
	v_mov_b32_e32 v25, v40
.LBB38_48:                              ;   Parent Loop BB38_14 Depth=1
                                        ; =>  This Inner Loop Header: Depth=2
	s_cmp_eq_u32 s14, 1
	s_cselect_b64 vcc, -1, 0
	s_cmp_eq_u32 s14, 2
	v_cndmask_b32_e32 v42, v2, v3, vcc
	s_cselect_b64 vcc, -1, 0
	s_cmp_eq_u32 s14, 3
	v_cndmask_b32_e32 v48, v42, v4, vcc
	s_cselect_b64 vcc, -1, 0
	s_add_i32 s16, s46, s14
	s_add_i32 s18, s44, s14
	s_add_i32 s20, s58, s14
	s_ashr_i32 s17, s16, 31
	s_ashr_i32 s19, s18, 31
	;; [unrolled: 1-line block ×3, first 2 shown]
	v_lshl_add_u64 v[42:43], s[16:17], 2, v[6:7]
	v_lshl_add_u64 v[44:45], s[18:19], 2, v[6:7]
	global_load_dword v41, v[26:27], off
	v_lshl_add_u64 v[46:47], s[20:21], 2, v[6:7]
	global_load_dword v42, v[42:43], off
	s_nop 0
	global_load_dword v43, v[44:45], off
	s_nop 0
	global_load_dword v44, v[46:47], off
	s_add_u32 s14, s14, 1
	v_cndmask_b32_e32 v45, v48, v5, vcc
	s_addc_u32 s15, s15, 0
	v_lshl_add_u64 v[26:27], v[26:27], 0, 4
	s_cmp_lg_u32 s54, s14
	s_waitcnt vmcnt(3)
	v_fmac_f32_e32 v40, v45, v41
	s_waitcnt vmcnt(2)
	v_fmac_f32_e32 v39, v45, v42
	;; [unrolled: 2-line block ×4, first 2 shown]
	s_cbranch_scc1 .LBB38_48
.LBB38_49:                              ;   in Loop: Header=BB38_14 Depth=1
	s_or_b64 exec, exec, s[50:51]
	s_or_b64 exec, exec, s[48:49]
	s_and_saveexec_b64 s[14:15], s[0:1]
	s_cbranch_execnz .LBB38_17
	s_branch .LBB38_18
.LBB38_50:                              ;   in Loop: Header=BB38_14 Depth=1
	ds_read_b32 v26, v37
	s_or_b64 exec, exec, s[14:15]
	s_and_saveexec_b64 s[14:15], s[0:1]
	s_cbranch_execz .LBB38_22
.LBB38_51:                              ;   in Loop: Header=BB38_14 Depth=1
	s_waitcnt lgkmcnt(0)
	ds_bpermute_b32 v27, v35, v26
	s_waitcnt lgkmcnt(0)
	v_add_f32_e32 v26, v26, v27
	ds_bpermute_b32 v27, v36, v26
	s_waitcnt lgkmcnt(0)
	v_add_f32_e32 v26, v26, v27
	s_or_b64 exec, exec, s[14:15]
	s_and_saveexec_b64 s[14:15], s[0:1]
	s_cbranch_execnz .LBB38_23
	s_branch .LBB38_24
.LBB38_52:                              ;   in Loop: Header=BB38_14 Depth=1
	ds_read_b32 v27, v37
	s_or_b64 exec, exec, s[14:15]
	s_and_saveexec_b64 s[14:15], s[0:1]
	s_cbranch_execz .LBB38_28
.LBB38_53:                              ;   in Loop: Header=BB38_14 Depth=1
	s_waitcnt lgkmcnt(0)
	ds_bpermute_b32 v39, v35, v27
	s_waitcnt lgkmcnt(0)
	v_add_f32_e32 v27, v27, v39
	ds_bpermute_b32 v39, v36, v27
	s_waitcnt lgkmcnt(0)
	v_add_f32_e32 v27, v27, v39
	s_or_b64 exec, exec, s[14:15]
	s_and_saveexec_b64 s[14:15], s[0:1]
	s_cbranch_execnz .LBB38_29
	s_branch .LBB38_30
.LBB38_54:                              ;   in Loop: Header=BB38_14 Depth=1
	ds_read_b32 v24, v37
	s_or_b64 exec, exec, s[14:15]
	s_and_saveexec_b64 s[14:15], s[0:1]
	s_cbranch_execz .LBB38_34
.LBB38_55:                              ;   in Loop: Header=BB38_14 Depth=1
	s_waitcnt lgkmcnt(0)
	ds_bpermute_b32 v39, v35, v24
	s_waitcnt lgkmcnt(0)
	v_add_f32_e32 v24, v24, v39
	ds_bpermute_b32 v39, v36, v24
	s_waitcnt lgkmcnt(0)
	v_add_f32_e32 v24, v24, v39
	s_or_b64 exec, exec, s[14:15]
	s_and_saveexec_b64 s[14:15], s[0:1]
	s_cbranch_execnz .LBB38_35
	s_branch .LBB38_36
.LBB38_56:                              ;   in Loop: Header=BB38_14 Depth=1
	ds_read_b32 v25, v37
	s_or_b64 exec, exec, s[14:15]
	s_and_saveexec_b64 s[14:15], s[0:1]
	s_cbranch_execz .LBB38_40
.LBB38_57:                              ;   in Loop: Header=BB38_14 Depth=1
	s_waitcnt lgkmcnt(0)
	ds_bpermute_b32 v39, v35, v25
	s_waitcnt lgkmcnt(0)
	v_add_f32_e32 v25, v25, v39
	ds_bpermute_b32 v39, v36, v25
	s_waitcnt lgkmcnt(0)
	v_add_f32_e32 v25, v25, v39
	s_or_b64 exec, exec, s[14:15]
	s_and_saveexec_b64 s[14:15], s[12:13]
	s_cbranch_execz .LBB38_13
.LBB38_58:                              ;   in Loop: Header=BB38_14 Depth=1
	s_mul_i32 s16, s23, s30
	s_add_i32 s38, s16, s2
	s_lshl_b64 s[16:17], s[38:39], 2
	s_add_u32 s16, s55, s16
	v_mul_f32_e32 v26, s33, v26
	s_addc_u32 s17, s56, s17
	s_add_i32 s38, s38, s30
	global_store_dword v13, v26, s[16:17]
	s_lshl_b64 s[16:17], s[38:39], 2
	s_add_u32 s16, s55, s16
	v_mul_f32_e32 v26, s33, v27
	s_addc_u32 s17, s56, s17
	s_add_i32 s38, s38, s30
	global_store_dword v13, v26, s[16:17]
	;; [unrolled: 6-line block ×3, first 2 shown]
	s_lshl_b64 s[16:17], s[38:39], 2
	s_add_u32 s16, s55, s16
	s_waitcnt lgkmcnt(0)
	v_mul_f32_e32 v24, s33, v25
	s_addc_u32 s17, s56, s17
	global_store_dword v13, v24, s[16:17]
	s_branch .LBB38_13
.LBB38_59:
	s_mov_b32 s23, 0
                                        ; implicit-def: $vgpr2_vgpr3_vgpr4_vgpr5
.LBB38_60:
	s_cmp_ge_i32 s23, s29
	s_cbranch_scc1 .LBB38_84
; %bb.61:
	v_mbcnt_hi_u32_b32 v12, -1, v28
	v_and_b32_e32 v13, 63, v12
	v_cmp_gt_u32_e32 vcc, 32, v13
	s_mov_b32 s3, 0
	s_cmp_gt_i32 s54, 0
	v_cndmask_b32_e64 v14, 0, 1, vcc
	v_lshlrev_b32_e32 v14, 5, v14
	v_cmp_gt_u32_e32 vcc, 48, v13
	v_add_lshl_u32 v23, v14, v12, 2
	s_cselect_b64 s[38:39], -1, 0
	v_cndmask_b32_e64 v14, 0, 1, vcc
	v_lshlrev_b32_e32 v14, 4, v14
	v_cmp_gt_u32_e32 vcc, 56, v13
	v_add_lshl_u32 v24, v14, v12, 2
	s_lshl_b64 s[14:15], s[2:3], 2
	v_cndmask_b32_e64 v14, 0, 1, vcc
	v_lshlrev_b32_e32 v14, 3, v14
	v_cmp_gt_u32_e32 vcc, 60, v13
	s_waitcnt lgkmcnt(0)
	v_add_lshl_u32 v25, v14, v12, 2
	s_add_u32 s2, s55, s14
	v_cndmask_b32_e64 v14, 0, 1, vcc
	v_cmp_ge_i32_e64 s[0:1], s28, v29
	v_cmp_ge_i32_e64 s[4:5], s28, v30
	v_lshlrev_b32_e32 v14, 2, v14
	v_cmp_gt_u32_e32 vcc, 62, v13
	s_addc_u32 s28, s56, s15
	v_add_u32_e32 v16, s31, v8
	v_add_lshl_u32 v26, v14, v12, 2
	v_cndmask_b32_e64 v14, 0, 1, vcc
	v_add_u32_e32 v18, s31, v16
	s_add_u32 s14, s36, s26
	v_lshlrev_b32_e32 v14, 1, v14
	v_ashrrev_i32_e32 v17, 31, v16
	v_ashrrev_i32_e32 v19, 31, v18
	s_addc_u32 s15, s37, s27
	v_add_lshl_u32 v27, v14, v12, 2
	v_cmp_ne_u32_e32 vcc, 63, v13
	v_lshl_add_u64 v[14:15], v[16:17], 2, s[34:35]
	v_lshl_add_u64 v[16:17], v[18:19], 2, s[34:35]
	v_add_u32_e32 v18, s31, v18
	s_add_u32 s14, s24, s14
	v_lshlrev_b32_e32 v22, 2, v1
	v_addc_co_u32_e32 v12, vcc, 0, v12, vcc
	v_cmp_eq_u32_e64 s[8:9], 0, v1
	v_and_b32_e32 v1, 12, v9
	v_ashrrev_i32_e32 v9, 31, v8
	v_ashrrev_i32_e32 v19, 31, v18
	s_addc_u32 s15, s25, s15
	v_cmp_gt_u32_e64 s[6:7], 64, v0
	v_lshlrev_b32_e32 v28, 2, v12
	v_cmp_gt_u32_e64 s[10:11], 4, v0
	v_cmp_eq_u32_e64 s[12:13], 0, v0
	v_lshl_add_u64 v[12:13], v[8:9], 2, s[34:35]
	v_lshl_add_u64 v[18:19], v[18:19], 2, s[34:35]
	v_lshl_add_u64 v[10:11], v[10:11], 2, s[14:15]
	s_mul_i32 s24, s23, s22
	v_mov_b32_e32 v9, 0
	s_branch .LBB38_63
.LBB38_62:                              ;   in Loop: Header=BB38_63 Depth=1
	s_or_b64 exec, exec, s[14:15]
	s_add_i32 s23, s23, 1
	s_add_i32 s24, s24, s22
	s_cmp_ge_i32 s23, s29
	s_cbranch_scc1 .LBB38_84
.LBB38_63:                              ; =>This Loop Header: Depth=1
                                        ;     Child Loop BB38_76 Depth 2
                                        ;     Child Loop BB38_79 Depth 2
	s_waitcnt lgkmcnt(0)
	v_mov_b32_e32 v0, s3
	s_and_saveexec_b64 s[14:15], s[0:1]
	s_xor_b64 s[14:15], exec, s[14:15]
	s_cbranch_execnz .LBB38_72
; %bb.64:                               ;   in Loop: Header=BB38_63 Depth=1
	s_andn2_saveexec_b64 s[26:27], s[14:15]
	s_cbranch_execnz .LBB38_73
.LBB38_65:                              ;   in Loop: Header=BB38_63 Depth=1
	s_or_b64 exec, exec, s[26:27]
	s_and_saveexec_b64 s[14:15], s[6:7]
	s_cbranch_execz .LBB38_67
.LBB38_66:                              ;   in Loop: Header=BB38_63 Depth=1
	ds_write_b32 v22, v9
.LBB38_67:                              ;   in Loop: Header=BB38_63 Depth=1
	s_or_b64 exec, exec, s[14:15]
	ds_bpermute_b32 v20, v23, v0
	s_waitcnt lgkmcnt(0)
	s_barrier
	v_add_f32_e32 v0, v0, v20
	ds_bpermute_b32 v20, v24, v0
	s_waitcnt lgkmcnt(0)
	v_add_f32_e32 v0, v0, v20
	ds_bpermute_b32 v20, v25, v0
	s_waitcnt lgkmcnt(0)
	;; [unrolled: 3-line block ×4, first 2 shown]
	v_add_f32_e32 v0, v0, v20
	ds_bpermute_b32 v20, v28, v0
	s_and_saveexec_b64 s[14:15], s[8:9]
	s_cbranch_execz .LBB38_69
; %bb.68:                               ;   in Loop: Header=BB38_63 Depth=1
	s_waitcnt lgkmcnt(0)
	v_add_f32_e32 v0, v0, v20
	ds_write_b32 v1, v0
.LBB38_69:                              ;   in Loop: Header=BB38_63 Depth=1
	s_or_b64 exec, exec, s[14:15]
	v_mov_b32_e32 v0, 0
	s_waitcnt lgkmcnt(0)
	s_barrier
	s_and_saveexec_b64 s[14:15], s[10:11]
	s_cbranch_execnz .LBB38_81
; %bb.70:                               ;   in Loop: Header=BB38_63 Depth=1
	s_or_b64 exec, exec, s[14:15]
	s_and_saveexec_b64 s[14:15], s[6:7]
	s_cbranch_execnz .LBB38_82
.LBB38_71:                              ;   in Loop: Header=BB38_63 Depth=1
	s_or_b64 exec, exec, s[14:15]
	s_and_saveexec_b64 s[14:15], s[12:13]
	s_cbranch_execz .LBB38_62
	s_branch .LBB38_83
.LBB38_72:                              ;   in Loop: Header=BB38_63 Depth=1
	s_mul_i32 s16, s23, s22
	s_ashr_i32 s17, s16, 31
	v_lshl_add_u64 v[20:21], s[16:17], 2, v[6:7]
	global_load_dwordx4 v[30:33], v[20:21], off
	global_load_dword v2, v[12:13], off
	global_load_dword v3, v[14:15], off
	;; [unrolled: 1-line block ×4, first 2 shown]
	s_waitcnt vmcnt(2)
	v_pk_mul_f32 v[20:21], v[2:3], v[30:31]
	s_nop 0
	v_add_f32_e32 v0, 0, v20
	v_add_f32_e32 v0, v0, v21
	s_waitcnt vmcnt(0)
	v_pk_mul_f32 v[20:21], v[4:5], v[32:33]
	s_nop 0
	v_add_f32_e32 v0, v0, v20
	v_add_f32_e32 v0, v0, v21
	s_andn2_saveexec_b64 s[26:27], s[14:15]
	s_cbranch_execz .LBB38_65
.LBB38_73:                              ;   in Loop: Header=BB38_63 Depth=1
	s_and_saveexec_b64 s[36:37], s[4:5]
	s_cbranch_execz .LBB38_80
; %bb.74:                               ;   in Loop: Header=BB38_63 Depth=1
	v_cndmask_b32_e64 v20, 0, 1, s[38:39]
	v_cmp_ne_u32_e64 s[14:15], 1, v20
	s_andn2_b64 vcc, exec, s[38:39]
	s_cbranch_vccnz .LBB38_77
; %bb.75:                               ;   in Loop: Header=BB38_63 Depth=1
	s_mov_b64 s[40:41], 0
	v_mov_b32_e32 v20, v8
.LBB38_76:                              ;   Parent Loop BB38_63 Depth=1
                                        ; =>  This Inner Loop Header: Depth=2
	v_ashrrev_i32_e32 v21, 31, v20
	v_lshl_add_u64 v[30:31], v[20:21], 2, s[34:35]
	global_load_dword v21, v[30:31], off
	s_cmp_eq_u32 s40, 3
	s_cselect_b64 vcc, -1, 0
	s_cmp_eq_u32 s40, 2
	s_cselect_b64 s[16:17], -1, 0
	s_cmp_eq_u32 s40, 1
	s_cselect_b64 s[18:19], -1, 0
	;; [unrolled: 2-line block ×3, first 2 shown]
	s_add_u32 s40, s40, 1
	s_addc_u32 s41, s41, 0
	v_add_u32_e32 v20, s31, v20
	s_cmp_eq_u32 s54, s40
	s_waitcnt vmcnt(0)
	v_cndmask_b32_e32 v5, v5, v21, vcc
	v_cndmask_b32_e64 v4, v4, v21, s[16:17]
	v_cndmask_b32_e64 v3, v3, v21, s[18:19]
	;; [unrolled: 1-line block ×3, first 2 shown]
	s_cbranch_scc0 .LBB38_76
.LBB38_77:                              ;   in Loop: Header=BB38_63 Depth=1
	s_and_b64 vcc, exec, s[14:15]
	s_cbranch_vccnz .LBB38_80
; %bb.78:                               ;   in Loop: Header=BB38_63 Depth=1
	s_ashr_i32 s25, s24, 31
	v_lshl_add_u64 v[20:21], s[24:25], 2, v[10:11]
	s_mov_b64 s[14:15], 0
.LBB38_79:                              ;   Parent Loop BB38_63 Depth=1
                                        ; =>  This Inner Loop Header: Depth=2
	global_load_dword v29, v[20:21], off
	s_cmp_eq_u32 s14, 1
	s_cselect_b64 vcc, -1, 0
	s_cmp_eq_u32 s14, 2
	v_cndmask_b32_e32 v30, v2, v3, vcc
	s_cselect_b64 vcc, -1, 0
	s_cmp_eq_u32 s14, 3
	v_cndmask_b32_e32 v30, v30, v4, vcc
	s_cselect_b64 vcc, -1, 0
	s_add_u32 s14, s14, 1
	v_cndmask_b32_e32 v30, v30, v5, vcc
	s_addc_u32 s15, s15, 0
	v_lshl_add_u64 v[20:21], v[20:21], 0, 4
	s_cmp_lg_u32 s54, s14
	s_waitcnt vmcnt(0)
	v_fmac_f32_e32 v0, v30, v29
	s_cbranch_scc1 .LBB38_79
.LBB38_80:                              ;   in Loop: Header=BB38_63 Depth=1
	s_or_b64 exec, exec, s[36:37]
	s_or_b64 exec, exec, s[26:27]
	s_and_saveexec_b64 s[14:15], s[6:7]
	s_cbranch_execnz .LBB38_66
	s_branch .LBB38_67
.LBB38_81:                              ;   in Loop: Header=BB38_63 Depth=1
	ds_read_b32 v0, v22
	s_or_b64 exec, exec, s[14:15]
	s_and_saveexec_b64 s[14:15], s[6:7]
	s_cbranch_execz .LBB38_71
.LBB38_82:                              ;   in Loop: Header=BB38_63 Depth=1
	s_waitcnt lgkmcnt(0)
	ds_bpermute_b32 v20, v27, v0
	s_waitcnt lgkmcnt(0)
	v_add_f32_e32 v0, v0, v20
	ds_bpermute_b32 v20, v28, v0
	s_waitcnt lgkmcnt(0)
	v_add_f32_e32 v0, v0, v20
	s_or_b64 exec, exec, s[14:15]
	s_and_saveexec_b64 s[14:15], s[12:13]
	s_cbranch_execz .LBB38_62
.LBB38_83:                              ;   in Loop: Header=BB38_63 Depth=1
	s_mul_hi_u32 s17, s23, s30
	s_mul_i32 s16, s23, s30
	s_lshl_b64 s[16:17], s[16:17], 2
	s_add_u32 s16, s2, s16
	s_waitcnt lgkmcnt(0)
	v_mul_f32_e32 v0, s33, v0
	s_addc_u32 s17, s28, s17
	global_store_dword v9, v0, s[16:17]
	s_branch .LBB38_62
.LBB38_84:
	s_endpgm
	.section	.rodata,"a",@progbits
	.p2align	6, 0x0
	.amdhsa_kernel _ZL23rocblas_gemvt_sn_kernelILb1ELi256ELi4EifPKffEviiT4_lPKT3_lilS5_lilPT5_i
		.amdhsa_group_segment_fixed_size 256
		.amdhsa_private_segment_fixed_size 0
		.amdhsa_kernarg_size 360
		.amdhsa_user_sgpr_count 2
		.amdhsa_user_sgpr_dispatch_ptr 0
		.amdhsa_user_sgpr_queue_ptr 0
		.amdhsa_user_sgpr_kernarg_segment_ptr 1
		.amdhsa_user_sgpr_dispatch_id 0
		.amdhsa_user_sgpr_kernarg_preload_length 0
		.amdhsa_user_sgpr_kernarg_preload_offset 0
		.amdhsa_user_sgpr_private_segment_size 0
		.amdhsa_uses_dynamic_stack 0
		.amdhsa_enable_private_segment 0
		.amdhsa_system_sgpr_workgroup_id_x 1
		.amdhsa_system_sgpr_workgroup_id_y 0
		.amdhsa_system_sgpr_workgroup_id_z 1
		.amdhsa_system_sgpr_workgroup_info 0
		.amdhsa_system_vgpr_workitem_id 0
		.amdhsa_next_free_vgpr 54
		.amdhsa_next_free_sgpr 60
		.amdhsa_accum_offset 56
		.amdhsa_reserve_vcc 1
		.amdhsa_float_round_mode_32 0
		.amdhsa_float_round_mode_16_64 0
		.amdhsa_float_denorm_mode_32 3
		.amdhsa_float_denorm_mode_16_64 3
		.amdhsa_dx10_clamp 1
		.amdhsa_ieee_mode 1
		.amdhsa_fp16_overflow 0
		.amdhsa_tg_split 0
		.amdhsa_exception_fp_ieee_invalid_op 0
		.amdhsa_exception_fp_denorm_src 0
		.amdhsa_exception_fp_ieee_div_zero 0
		.amdhsa_exception_fp_ieee_overflow 0
		.amdhsa_exception_fp_ieee_underflow 0
		.amdhsa_exception_fp_ieee_inexact 0
		.amdhsa_exception_int_div_zero 0
	.end_amdhsa_kernel
	.section	.text._ZL23rocblas_gemvt_sn_kernelILb1ELi256ELi4EifPKffEviiT4_lPKT3_lilS5_lilPT5_i,"axG",@progbits,_ZL23rocblas_gemvt_sn_kernelILb1ELi256ELi4EifPKffEviiT4_lPKT3_lilS5_lilPT5_i,comdat
.Lfunc_end38:
	.size	_ZL23rocblas_gemvt_sn_kernelILb1ELi256ELi4EifPKffEviiT4_lPKT3_lilS5_lilPT5_i, .Lfunc_end38-_ZL23rocblas_gemvt_sn_kernelILb1ELi256ELi4EifPKffEviiT4_lPKT3_lilS5_lilPT5_i
                                        ; -- End function
	.section	.AMDGPU.csdata,"",@progbits
; Kernel info:
; codeLenInByte = 3944
; NumSgprs: 66
; NumVgprs: 54
; NumAgprs: 0
; TotalNumVgprs: 54
; ScratchSize: 0
; MemoryBound: 0
; FloatMode: 240
; IeeeMode: 1
; LDSByteSize: 256 bytes/workgroup (compile time only)
; SGPRBlocks: 8
; VGPRBlocks: 6
; NumSGPRsForWavesPerEU: 66
; NumVGPRsForWavesPerEU: 54
; AccumOffset: 56
; Occupancy: 8
; WaveLimiterHint : 1
; COMPUTE_PGM_RSRC2:SCRATCH_EN: 0
; COMPUTE_PGM_RSRC2:USER_SGPR: 2
; COMPUTE_PGM_RSRC2:TRAP_HANDLER: 0
; COMPUTE_PGM_RSRC2:TGID_X_EN: 1
; COMPUTE_PGM_RSRC2:TGID_Y_EN: 0
; COMPUTE_PGM_RSRC2:TGID_Z_EN: 1
; COMPUTE_PGM_RSRC2:TIDIG_COMP_CNT: 0
; COMPUTE_PGM_RSRC3_GFX90A:ACCUM_OFFSET: 13
; COMPUTE_PGM_RSRC3_GFX90A:TG_SPLIT: 0
	.section	.text._ZL23rocblas_gemvt_sn_kernelILb1ELi256ELi4ElfPKffEviiT4_lPKT3_lilS5_lilPT5_i,"axG",@progbits,_ZL23rocblas_gemvt_sn_kernelILb1ELi256ELi4ElfPKffEviiT4_lPKT3_lilS5_lilPT5_i,comdat
	.globl	_ZL23rocblas_gemvt_sn_kernelILb1ELi256ELi4ElfPKffEviiT4_lPKT3_lilS5_lilPT5_i ; -- Begin function _ZL23rocblas_gemvt_sn_kernelILb1ELi256ELi4ElfPKffEviiT4_lPKT3_lilS5_lilPT5_i
	.p2align	8
	.type	_ZL23rocblas_gemvt_sn_kernelILb1ELi256ELi4ElfPKffEviiT4_lPKT3_lilS5_lilPT5_i,@function
_ZL23rocblas_gemvt_sn_kernelILb1ELi256ELi4ElfPKffEviiT4_lPKT3_lilS5_lilPT5_i: ; @_ZL23rocblas_gemvt_sn_kernelILb1ELi256ELi4ElfPKffEviiT4_lPKT3_lilS5_lilPT5_i
; %bb.0:
	s_load_dwordx8 s[20:27], s[0:1], 0x8
	s_load_dwordx2 s[28:29], s[0:1], 0x0
	s_mov_b32 s6, s3
	s_mov_b32 s31, 0
	s_waitcnt lgkmcnt(0)
	s_mul_i32 s3, s3, s23
	s_mul_hi_u32 s4, s6, s22
	s_add_i32 s5, s4, s3
	s_mul_i32 s4, s6, s22
	s_lshl_b64 s[4:5], s[4:5], 2
	s_add_u32 s4, s20, s4
	s_addc_u32 s5, s21, s5
	s_load_dword s33, s[4:5], 0x0
	s_load_dwordx4 s[8:11], s[0:1], 0x50
	s_load_dword s30, s[0:1], 0x68
	s_ashr_i32 s7, s29, 31
	s_mul_hi_u32 s3, s29, s6
	s_mul_i32 s4, s7, s6
	s_add_i32 s13, s3, s4
	s_mul_i32 s12, s29, s6
	s_waitcnt lgkmcnt(0)
	s_mul_i32 s3, s13, s30
	s_mul_hi_u32 s4, s12, s30
	s_add_i32 s5, s4, s3
	s_mul_i32 s4, s12, s30
	s_lshl_b64 s[4:5], s[4:5], 2
	s_add_u32 s64, s10, s4
	s_addc_u32 s65, s11, s5
	v_cmp_neq_f32_e64 s[4:5], s33, 0
	s_and_b64 vcc, exec, s[4:5]
	v_cmp_eq_u32_e64 s[4:5], 0, v0
	s_cbranch_vccnz .LBB39_10
; %bb.1:
	s_cmp_gt_i32 s29, 0
	s_cselect_b64 s[14:15], -1, 0
	s_and_b64 s[14:15], s[4:5], s[14:15]
	s_and_saveexec_b64 s[4:5], s[14:15]
	s_cbranch_execz .LBB39_9
; %bb.2:
	s_cmp_gt_u32 s29, 1
	s_cselect_b64 s[14:15], -1, 0
	s_cmp_eq_u32 s30, 1
	s_cselect_b64 s[18:19], -1, 0
	s_mov_b32 s3, 0
	s_and_b64 s[14:15], s[14:15], s[18:19]
	s_mov_b64 s[16:17], -1
	s_andn2_b64 vcc, exec, s[14:15]
	s_mov_b32 s14, s3
	s_cbranch_vccnz .LBB39_6
; %bb.3:
	s_lshl_b64 s[14:15], s[2:3], 2
	s_add_u32 s16, s64, s14
	s_addc_u32 s17, s65, s15
	s_and_b32 s14, s29, 0x7ffffffe
	v_mov_b32_e32 v2, 0
	v_mov_b32_e32 v3, v2
	s_mov_b32 s15, s14
.LBB39_4:                               ; =>This Inner Loop Header: Depth=1
	global_store_dwordx2 v2, v[2:3], s[16:17]
	s_add_u32 s16, s16, 8
	s_addc_u32 s17, s17, 0
	s_add_i32 s15, s15, -2
	s_cmp_lg_u32 s15, 0
	s_cbranch_scc1 .LBB39_4
; %bb.5:
	s_cmp_lg_u32 s14, s29
	s_cselect_b64 s[16:17], -1, 0
.LBB39_6:
	s_and_b64 vcc, exec, s[16:17]
	s_cbranch_vccz .LBB39_9
; %bb.7:
	s_mov_b32 s15, 0
	s_sub_i32 s16, s29, s14
	s_lshl_b64 s[12:13], s[12:13], 2
	s_lshl_b64 s[14:15], s[14:15], 2
	s_add_u32 s12, s12, s14
	s_addc_u32 s13, s13, s15
	s_mul_i32 s13, s13, s30
	s_mul_hi_u32 s14, s12, s30
	s_add_i32 s14, s14, s13
	s_mul_i32 s15, s12, s30
	s_lshl_b64 s[12:13], s[2:3], 2
	s_add_u32 s3, s15, s12
	s_addc_u32 s12, s14, s13
	s_add_u32 s10, s10, s3
	s_addc_u32 s11, s11, s12
	s_lshl_b64 s[12:13], s[30:31], 2
	v_mov_b32_e32 v1, 0
.LBB39_8:                               ; =>This Inner Loop Header: Depth=1
	s_add_i32 s16, s16, -1
	global_store_dword v1, v1, s[10:11]
	s_add_u32 s10, s10, s12
	s_addc_u32 s11, s11, s13
	s_cmp_eq_u32 s16, 0
	s_cbranch_scc0 .LBB39_8
.LBB39_9:
	s_or_b64 exec, exec, s[4:5]
	s_cbranch_execz .LBB39_11
	s_branch .LBB39_84
.LBB39_10:
.LBB39_11:
	s_load_dword s34, s[0:1], 0x28
	s_load_dword s36, s[0:1], 0x48
	s_load_dwordx2 s[4:5], s[0:1], 0x40
	s_load_dwordx4 s[20:23], s[0:1], 0x30
	s_mul_i32 s0, s6, s9
	s_mul_hi_u32 s1, s6, s8
	s_add_i32 s1, s1, s0
	s_mul_i32 s0, s6, s8
	s_waitcnt lgkmcnt(0)
	s_ashr_i32 s35, s34, 31
	s_ashr_i32 s37, s36, 31
	s_lshl_b64 s[38:39], s[0:1], 2
	s_add_u32 s0, s22, s38
	s_addc_u32 s1, s23, s39
	s_lshl_b64 s[42:43], s[4:5], 2
	s_add_u32 s44, s0, s42
	s_addc_u32 s45, s1, s43
	s_mul_i32 s0, s6, s21
	s_mul_hi_u32 s1, s6, s20
	s_add_i32 s1, s1, s0
	s_mul_i32 s0, s6, s20
	s_lshl_b64 s[40:41], s[0:1], 2
	s_add_u32 s0, s24, s40
	s_addc_u32 s1, s25, s41
	s_lshl_b64 s[26:27], s[26:27], 2
	s_add_u32 s0, s0, s26
	s_addc_u32 s1, s1, s27
	s_lshl_b32 s3, s2, 10
	v_lshl_or_b32 v8, v0, 2, s3
	v_ashrrev_i32_e32 v9, 31, v8
	v_lshl_add_u64 v[6:7], v[8:9], 2, s[0:1]
	s_lshr_b32 s0, s7, 30
	s_add_i32 s0, s29, s0
	s_and_b32 s66, s0, -4
	s_ashr_i32 s0, s28, 31
	s_lshr_b32 s0, s0, 30
	s_add_i32 s0, s28, s0
	s_and_b32 s0, s0, -4
	s_sub_i32 s31, s28, s0
	s_cmp_lt_i32 s66, 1
	v_add_u32_e32 v31, 4, v8
	v_add_u32_e32 v32, s31, v8
	v_and_b32_e32 v28, 63, v0
	v_cmp_gt_u32_e64 s[0:1], 64, v0
	v_mbcnt_lo_u32_b32 v30, -1, 0
	v_cmp_gt_u32_e64 s[4:5], 4, v0
	v_lshrrev_b32_e32 v29, 4, v0
	v_or_b32_e32 v27, 1, v8
	v_or_b32_e32 v26, 2, v8
	;; [unrolled: 1-line block ×3, first 2 shown]
	s_cbranch_scc1 .LBB39_59
; %bb.12:
	v_mbcnt_hi_u32_b32 v2, -1, v30
	v_and_b32_e32 v3, 63, v2
	v_cmp_gt_u32_e32 vcc, 32, v3
	s_mov_b32 s3, 0
	s_cmp_gt_i32 s31, 0
	v_cndmask_b32_e64 v4, 0, 1, vcc
	v_lshlrev_b32_e32 v4, 5, v4
	v_cmp_gt_u32_e32 vcc, 48, v3
	v_add_lshl_u32 v33, v4, v2, 2
	s_cselect_b64 s[46:47], -1, 0
	v_cndmask_b32_e64 v4, 0, 1, vcc
	v_lshlrev_b32_e32 v4, 4, v4
	v_cmp_gt_u32_e32 vcc, 56, v3
	v_add_lshl_u32 v34, v4, v2, 2
	s_lshl_b64 s[14:15], s[2:3], 2
	v_cndmask_b32_e64 v4, 0, 1, vcc
	v_lshlrev_b32_e32 v4, 3, v4
	v_cmp_gt_u32_e32 vcc, 60, v3
	v_add_lshl_u32 v35, v4, v2, 2
	s_add_u32 s67, s64, s14
	v_cndmask_b32_e64 v4, 0, 1, vcc
	v_lshlrev_b32_e32 v4, 2, v4
	v_cmp_gt_u32_e32 vcc, 62, v3
	v_add_lshl_u32 v36, v4, v2, 2
	s_addc_u32 s68, s65, s15
	v_cndmask_b32_e64 v4, 0, 1, vcc
	v_lshlrev_b32_e32 v4, 1, v4
	v_add_lshl_u32 v37, v4, v2, 2
	v_cmp_ne_u32_e32 vcc, 63, v3
	v_mad_i64_i32 v[4:5], s[14:15], s36, v27, 0
	s_nop 0
	v_addc_co_u32_e32 v2, vcc, 0, v2, vcc
	v_lshl_add_u64 v[12:13], v[4:5], 2, s[44:45]
	v_mad_i64_i32 v[4:5], s[14:15], s36, v26, 0
	v_lshlrev_b32_e32 v38, 2, v2
	v_mad_i64_i32 v[2:3], s[14:15], s36, v8, 0
	v_lshl_add_u64 v[14:15], v[4:5], 2, s[44:45]
	v_mad_i64_i32 v[4:5], s[14:15], s36, v1, 0
	s_add_u32 s14, s22, s42
	s_addc_u32 s15, s23, s43
	s_add_u32 s14, s14, s38
	v_lshlrev_b64 v[2:3], 2, v[2:3]
	s_addc_u32 s15, s15, s39
	v_cmp_ge_i32_e64 s[6:7], s28, v31
	v_cmp_ge_i32_e64 s[8:9], s28, v32
	v_cmp_eq_u32_e64 s[10:11], 0, v28
	v_lshlrev_b32_e32 v39, 2, v28
	v_and_b32_e32 v40, 12, v29
	v_cmp_eq_u32_e64 s[12:13], 0, v0
	v_lshl_add_u64 v[10:11], s[44:45], 0, v[2:3]
	v_lshl_add_u64 v[16:17], v[4:5], 2, s[44:45]
	;; [unrolled: 1-line block ×3, first 2 shown]
	s_lshl_b64 s[48:49], s[36:37], 2
	s_lshl_b64 s[50:51], s[34:35], 4
	;; [unrolled: 1-line block ×4, first 2 shown]
	s_mul_hi_i32 s57, s34, 12
	s_mul_i32 s56, s34, 12
	v_mov_b32_e32 v41, 0
	v_mov_b64_e32 v[20:21], v[6:7]
                                        ; implicit-def: $vgpr2_vgpr3_vgpr4_vgpr5
	s_branch .LBB39_14
.LBB39_13:                              ;   in Loop: Header=BB39_14 Depth=1
	s_or_b64 exec, exec, s[14:15]
	s_add_i32 s3, s3, 4
	s_cmp_ge_i32 s3, s66
	v_lshl_add_u64 v[20:21], v[20:21], 0, s[50:51]
	s_cbranch_scc1 .LBB39_60
.LBB39_14:                              ; =>This Loop Header: Depth=1
                                        ;     Child Loop BB39_45 Depth 2
                                        ;     Child Loop BB39_48 Depth 2
                                        ; implicit-def: $vgpr23
                                        ; implicit-def: $vgpr42
                                        ; implicit-def: $vgpr43
	s_and_saveexec_b64 s[14:15], s[6:7]
	s_xor_b64 s[14:15], exec, s[14:15]
	s_cbranch_execnz .LBB39_41
; %bb.15:                               ;   in Loop: Header=BB39_14 Depth=1
	s_andn2_saveexec_b64 s[58:59], s[14:15]
	s_cbranch_execnz .LBB39_42
.LBB39_16:                              ;   in Loop: Header=BB39_14 Depth=1
	s_or_b64 exec, exec, s[58:59]
	s_and_saveexec_b64 s[14:15], s[0:1]
	s_cbranch_execz .LBB39_18
.LBB39_17:                              ;   in Loop: Header=BB39_14 Depth=1
	ds_write_b32 v39, v41
.LBB39_18:                              ;   in Loop: Header=BB39_14 Depth=1
	s_or_b64 exec, exec, s[14:15]
	ds_bpermute_b32 v24, v33, v43
	s_waitcnt lgkmcnt(0)
	s_barrier
	v_add_f32_e32 v24, v43, v24
	ds_bpermute_b32 v25, v34, v24
	s_waitcnt lgkmcnt(0)
	v_add_f32_e32 v24, v24, v25
	ds_bpermute_b32 v25, v35, v24
	s_waitcnt lgkmcnt(0)
	;; [unrolled: 3-line block ×4, first 2 shown]
	v_add_f32_e32 v24, v24, v25
	ds_bpermute_b32 v25, v38, v24
	s_and_saveexec_b64 s[14:15], s[10:11]
	s_cbranch_execz .LBB39_20
; %bb.19:                               ;   in Loop: Header=BB39_14 Depth=1
	s_waitcnt lgkmcnt(0)
	v_add_f32_e32 v24, v24, v25
	ds_write_b32 v40, v24
.LBB39_20:                              ;   in Loop: Header=BB39_14 Depth=1
	s_or_b64 exec, exec, s[14:15]
	v_mov_b32_e32 v24, 0
	s_waitcnt lgkmcnt(0)
	s_barrier
	s_and_saveexec_b64 s[14:15], s[4:5]
	s_cbranch_execnz .LBB39_50
; %bb.21:                               ;   in Loop: Header=BB39_14 Depth=1
	s_or_b64 exec, exec, s[14:15]
	s_and_saveexec_b64 s[14:15], s[0:1]
	s_cbranch_execnz .LBB39_51
.LBB39_22:                              ;   in Loop: Header=BB39_14 Depth=1
	s_or_b64 exec, exec, s[14:15]
	s_and_saveexec_b64 s[14:15], s[0:1]
	s_cbranch_execz .LBB39_24
.LBB39_23:                              ;   in Loop: Header=BB39_14 Depth=1
	ds_write_b32 v39, v41
.LBB39_24:                              ;   in Loop: Header=BB39_14 Depth=1
	s_or_b64 exec, exec, s[14:15]
	ds_bpermute_b32 v25, v33, v42
	s_waitcnt lgkmcnt(0)
	s_barrier
	v_add_f32_e32 v25, v42, v25
	ds_bpermute_b32 v42, v34, v25
	s_waitcnt lgkmcnt(0)
	v_add_f32_e32 v25, v25, v42
	ds_bpermute_b32 v42, v35, v25
	s_waitcnt lgkmcnt(0)
	;; [unrolled: 3-line block ×4, first 2 shown]
	v_add_f32_e32 v25, v25, v42
	ds_bpermute_b32 v42, v38, v25
	s_and_saveexec_b64 s[14:15], s[10:11]
	s_cbranch_execz .LBB39_26
; %bb.25:                               ;   in Loop: Header=BB39_14 Depth=1
	s_waitcnt lgkmcnt(0)
	v_add_f32_e32 v25, v25, v42
	ds_write_b32 v40, v25
.LBB39_26:                              ;   in Loop: Header=BB39_14 Depth=1
	s_or_b64 exec, exec, s[14:15]
	v_mov_b32_e32 v25, 0
	s_waitcnt lgkmcnt(0)
	s_barrier
	s_and_saveexec_b64 s[14:15], s[4:5]
	s_cbranch_execnz .LBB39_52
; %bb.27:                               ;   in Loop: Header=BB39_14 Depth=1
	s_or_b64 exec, exec, s[14:15]
	s_and_saveexec_b64 s[14:15], s[0:1]
	s_cbranch_execnz .LBB39_53
.LBB39_28:                              ;   in Loop: Header=BB39_14 Depth=1
	s_or_b64 exec, exec, s[14:15]
	s_and_saveexec_b64 s[14:15], s[0:1]
	s_cbranch_execz .LBB39_30
.LBB39_29:                              ;   in Loop: Header=BB39_14 Depth=1
	ds_write_b32 v39, v41
.LBB39_30:                              ;   in Loop: Header=BB39_14 Depth=1
	s_or_b64 exec, exec, s[14:15]
	ds_bpermute_b32 v42, v33, v22
	s_waitcnt lgkmcnt(0)
	s_barrier
	v_add_f32_e32 v22, v22, v42
	ds_bpermute_b32 v42, v34, v22
	s_waitcnt lgkmcnt(0)
	v_add_f32_e32 v22, v22, v42
	ds_bpermute_b32 v42, v35, v22
	s_waitcnt lgkmcnt(0)
	;; [unrolled: 3-line block ×4, first 2 shown]
	v_add_f32_e32 v22, v22, v42
	ds_bpermute_b32 v42, v38, v22
	s_and_saveexec_b64 s[14:15], s[10:11]
	s_cbranch_execz .LBB39_32
; %bb.31:                               ;   in Loop: Header=BB39_14 Depth=1
	s_waitcnt lgkmcnt(0)
	v_add_f32_e32 v22, v22, v42
	ds_write_b32 v40, v22
.LBB39_32:                              ;   in Loop: Header=BB39_14 Depth=1
	s_or_b64 exec, exec, s[14:15]
	v_mov_b32_e32 v22, 0
	s_waitcnt lgkmcnt(0)
	s_barrier
	s_and_saveexec_b64 s[14:15], s[4:5]
	s_cbranch_execnz .LBB39_54
; %bb.33:                               ;   in Loop: Header=BB39_14 Depth=1
	s_or_b64 exec, exec, s[14:15]
	s_and_saveexec_b64 s[14:15], s[0:1]
	s_cbranch_execnz .LBB39_55
.LBB39_34:                              ;   in Loop: Header=BB39_14 Depth=1
	s_or_b64 exec, exec, s[14:15]
	s_and_saveexec_b64 s[14:15], s[0:1]
	s_cbranch_execz .LBB39_36
.LBB39_35:                              ;   in Loop: Header=BB39_14 Depth=1
	ds_write_b32 v39, v41
.LBB39_36:                              ;   in Loop: Header=BB39_14 Depth=1
	s_or_b64 exec, exec, s[14:15]
	ds_bpermute_b32 v42, v33, v23
	s_waitcnt lgkmcnt(0)
	s_barrier
	v_add_f32_e32 v23, v23, v42
	ds_bpermute_b32 v42, v34, v23
	s_waitcnt lgkmcnt(0)
	v_add_f32_e32 v23, v23, v42
	ds_bpermute_b32 v42, v35, v23
	s_waitcnt lgkmcnt(0)
	;; [unrolled: 3-line block ×4, first 2 shown]
	v_add_f32_e32 v23, v23, v42
	ds_bpermute_b32 v42, v38, v23
	s_and_saveexec_b64 s[14:15], s[10:11]
	s_cbranch_execz .LBB39_38
; %bb.37:                               ;   in Loop: Header=BB39_14 Depth=1
	s_waitcnt lgkmcnt(0)
	v_add_f32_e32 v23, v23, v42
	ds_write_b32 v40, v23
.LBB39_38:                              ;   in Loop: Header=BB39_14 Depth=1
	s_or_b64 exec, exec, s[14:15]
	v_mov_b32_e32 v23, 0
	s_waitcnt lgkmcnt(0)
	s_barrier
	s_and_saveexec_b64 s[14:15], s[4:5]
	s_cbranch_execnz .LBB39_56
; %bb.39:                               ;   in Loop: Header=BB39_14 Depth=1
	s_or_b64 exec, exec, s[14:15]
	s_and_saveexec_b64 s[14:15], s[0:1]
	s_cbranch_execnz .LBB39_57
.LBB39_40:                              ;   in Loop: Header=BB39_14 Depth=1
	s_or_b64 exec, exec, s[14:15]
	s_and_saveexec_b64 s[14:15], s[12:13]
	s_cbranch_execz .LBB39_13
	s_branch .LBB39_58
.LBB39_41:                              ;   in Loop: Header=BB39_14 Depth=1
	s_mul_i32 s16, s3, s35
	s_mul_hi_u32 s17, s3, s34
	s_add_i32 s17, s17, s16
	s_mul_i32 s16, s3, s34
	v_lshl_add_u64 v[42:43], s[16:17], 2, v[6:7]
	s_or_b32 s16, s3, 1
	s_mul_i32 s17, s16, s35
	s_mul_hi_u32 s18, s16, s34
	s_add_i32 s17, s18, s17
	s_mul_i32 s16, s16, s34
	v_lshl_add_u64 v[46:47], s[16:17], 2, v[6:7]
	s_or_b32 s16, s3, 2
	s_mul_i32 s17, s16, s35
	s_mul_hi_u32 s18, s16, s34
	s_add_i32 s17, s18, s17
	s_mul_i32 s16, s16, s34
	s_waitcnt lgkmcnt(0)
	v_lshl_add_u64 v[22:23], s[16:17], 2, v[6:7]
	s_or_b32 s16, s3, 3
	s_mul_i32 s17, s16, s35
	s_mul_hi_u32 s18, s16, s34
	s_add_i32 s17, s18, s17
	s_mul_i32 s16, s16, s34
	v_lshl_add_u64 v[50:51], s[16:17], 2, v[6:7]
	global_load_dword v2, v[10:11], off
	global_load_dword v3, v[12:13], off
	;; [unrolled: 1-line block ×4, first 2 shown]
	s_nop 0
	global_load_dwordx4 v[22:25], v[22:23], off
	s_nop 0
	global_load_dwordx4 v[42:45], v[42:43], off
	s_waitcnt vmcnt(1)
	v_mul_f32_e32 v22, v2, v22
	global_load_dwordx4 v[46:49], v[46:47], off
	s_waitcnt vmcnt(1)
	v_pk_mul_f32 v[42:43], v[2:3], v[42:43]
	global_load_dwordx4 v[50:53], v[50:51], off
	v_add_f32_e32 v42, 0, v42
	v_mul_f32_e32 v54, v3, v23
	v_pk_mul_f32 v[44:45], v[4:5], v[44:45]
	v_add_f32_e32 v42, v42, v43
	v_mul_f32_e32 v24, v4, v24
	v_mul_f32_e32 v56, v5, v25
	v_add_f32_e32 v42, v42, v44
	s_waitcnt vmcnt(1)
	v_pk_mul_f32 v[46:47], v[2:3], v[46:47]
	s_nop 0
	v_add_f32_e32 v43, 0, v46
	s_waitcnt vmcnt(0)
	v_pk_mul_f32 v[50:51], v[2:3], v[50:51]
	v_pk_mul_f32 v[52:53], v[4:5], v[52:53]
	v_mov_b32_e32 v23, v50
	v_mov_b32_e32 v55, v51
	v_pk_add_f32 v[22:23], v[22:23], 0 op_sel_hi:[1,0]
	v_pk_mul_f32 v[48:49], v[4:5], v[48:49]
	v_mov_b32_e32 v25, v52
	v_add_f32_e32 v46, v43, v47
	v_pk_add_f32 v[22:23], v[22:23], v[54:55]
	v_add_f32_e32 v43, v42, v45
	v_add_f32_e32 v42, v46, v48
	v_pk_add_f32 v[22:23], v[22:23], v[24:25]
	v_mov_b32_e32 v57, v53
	v_add_f32_e32 v42, v42, v49
	v_pk_add_f32 v[22:23], v[22:23], v[56:57]
	s_andn2_saveexec_b64 s[58:59], s[14:15]
	s_cbranch_execz .LBB39_16
.LBB39_42:                              ;   in Loop: Header=BB39_14 Depth=1
	s_waitcnt lgkmcnt(0)
	v_mov_b32_e32 v23, 0
	v_mov_b32_e32 v22, 0
	;; [unrolled: 1-line block ×4, first 2 shown]
	s_and_saveexec_b64 s[60:61], s[8:9]
	s_cbranch_execz .LBB39_49
; %bb.43:                               ;   in Loop: Header=BB39_14 Depth=1
	v_cndmask_b32_e64 v22, 0, 1, s[46:47]
	v_cmp_ne_u32_e64 s[14:15], 1, v22
	s_andn2_b64 vcc, exec, s[46:47]
	s_cbranch_vccnz .LBB39_46
; %bb.44:                               ;   in Loop: Header=BB39_14 Depth=1
	s_mov_b64 s[62:63], 0
	v_mov_b64_e32 v[22:23], v[18:19]
.LBB39_45:                              ;   Parent Loop BB39_14 Depth=1
                                        ; =>  This Inner Loop Header: Depth=2
	global_load_dword v24, v[22:23], off
	s_cmp_eq_u32 s62, 3
	s_cselect_b64 vcc, -1, 0
	s_cmp_eq_u32 s62, 2
	s_cselect_b64 s[16:17], -1, 0
	s_cmp_eq_u32 s62, 1
	s_cselect_b64 s[18:19], -1, 0
	;; [unrolled: 2-line block ×3, first 2 shown]
	s_add_u32 s62, s62, 1
	s_addc_u32 s63, s63, 0
	v_lshl_add_u64 v[22:23], v[22:23], 0, s[48:49]
	s_cmp_eq_u32 s31, s62
	s_waitcnt vmcnt(0)
	v_cndmask_b32_e32 v5, v5, v24, vcc
	v_cndmask_b32_e64 v4, v4, v24, s[16:17]
	v_cndmask_b32_e64 v3, v3, v24, s[18:19]
	;; [unrolled: 1-line block ×3, first 2 shown]
	s_cbranch_scc0 .LBB39_45
.LBB39_46:                              ;   in Loop: Header=BB39_14 Depth=1
	s_and_b64 vcc, exec, s[14:15]
	v_mov_b32_e32 v23, 0
	v_mov_b32_e32 v22, 0
	;; [unrolled: 1-line block ×4, first 2 shown]
	s_cbranch_vccnz .LBB39_49
; %bb.47:                               ;   in Loop: Header=BB39_14 Depth=1
	v_mov_b32_e32 v43, 0
	s_mov_b64 s[14:15], 0
	v_mov_b64_e32 v[24:25], v[20:21]
	v_mov_b32_e32 v42, 0
	v_mov_b32_e32 v22, 0
	;; [unrolled: 1-line block ×3, first 2 shown]
.LBB39_48:                              ;   Parent Loop BB39_14 Depth=1
                                        ; =>  This Inner Loop Header: Depth=2
	v_lshl_add_u64 v[44:45], v[24:25], 0, s[52:53]
	v_lshl_add_u64 v[46:47], v[24:25], 0, s[54:55]
	global_load_dword v50, v[24:25], off
	v_lshl_add_u64 v[48:49], v[24:25], 0, s[56:57]
	global_load_dword v44, v[44:45], off
	s_nop 0
	global_load_dword v45, v[46:47], off
	s_nop 0
	global_load_dword v46, v[48:49], off
	s_cmp_eq_u32 s14, 1
	s_cselect_b64 vcc, -1, 0
	s_cmp_eq_u32 s14, 2
	v_cndmask_b32_e32 v47, v2, v3, vcc
	s_cselect_b64 vcc, -1, 0
	s_cmp_eq_u32 s14, 3
	v_cndmask_b32_e32 v47, v47, v4, vcc
	s_cselect_b64 vcc, -1, 0
	s_add_u32 s14, s14, 1
	v_cndmask_b32_e32 v47, v47, v5, vcc
	s_addc_u32 s15, s15, 0
	v_lshl_add_u64 v[24:25], v[24:25], 0, 4
	s_cmp_lg_u32 s31, s14
	s_waitcnt vmcnt(2)
	v_fmac_f32_e32 v42, v47, v44
	v_fmac_f32_e32 v43, v47, v50
	s_waitcnt vmcnt(1)
	v_fmac_f32_e32 v22, v47, v45
	s_waitcnt vmcnt(0)
	v_fmac_f32_e32 v23, v47, v46
	s_cbranch_scc1 .LBB39_48
.LBB39_49:                              ;   in Loop: Header=BB39_14 Depth=1
	s_or_b64 exec, exec, s[60:61]
	s_or_b64 exec, exec, s[58:59]
	s_and_saveexec_b64 s[14:15], s[0:1]
	s_cbranch_execnz .LBB39_17
	s_branch .LBB39_18
.LBB39_50:                              ;   in Loop: Header=BB39_14 Depth=1
	ds_read_b32 v24, v39
	s_or_b64 exec, exec, s[14:15]
	s_and_saveexec_b64 s[14:15], s[0:1]
	s_cbranch_execz .LBB39_22
.LBB39_51:                              ;   in Loop: Header=BB39_14 Depth=1
	s_waitcnt lgkmcnt(0)
	ds_bpermute_b32 v25, v37, v24
	s_waitcnt lgkmcnt(0)
	v_add_f32_e32 v24, v24, v25
	ds_bpermute_b32 v25, v38, v24
	s_waitcnt lgkmcnt(0)
	v_add_f32_e32 v24, v24, v25
	s_or_b64 exec, exec, s[14:15]
	s_and_saveexec_b64 s[14:15], s[0:1]
	s_cbranch_execnz .LBB39_23
	s_branch .LBB39_24
.LBB39_52:                              ;   in Loop: Header=BB39_14 Depth=1
	ds_read_b32 v25, v39
	s_or_b64 exec, exec, s[14:15]
	s_and_saveexec_b64 s[14:15], s[0:1]
	s_cbranch_execz .LBB39_28
.LBB39_53:                              ;   in Loop: Header=BB39_14 Depth=1
	s_waitcnt lgkmcnt(0)
	ds_bpermute_b32 v42, v37, v25
	s_waitcnt lgkmcnt(0)
	v_add_f32_e32 v25, v25, v42
	ds_bpermute_b32 v42, v38, v25
	s_waitcnt lgkmcnt(0)
	v_add_f32_e32 v25, v25, v42
	s_or_b64 exec, exec, s[14:15]
	s_and_saveexec_b64 s[14:15], s[0:1]
	s_cbranch_execnz .LBB39_29
	s_branch .LBB39_30
.LBB39_54:                              ;   in Loop: Header=BB39_14 Depth=1
	ds_read_b32 v22, v39
	s_or_b64 exec, exec, s[14:15]
	s_and_saveexec_b64 s[14:15], s[0:1]
	s_cbranch_execz .LBB39_34
.LBB39_55:                              ;   in Loop: Header=BB39_14 Depth=1
	s_waitcnt lgkmcnt(0)
	ds_bpermute_b32 v42, v37, v22
	s_waitcnt lgkmcnt(0)
	v_add_f32_e32 v22, v22, v42
	ds_bpermute_b32 v42, v38, v22
	s_waitcnt lgkmcnt(0)
	v_add_f32_e32 v22, v22, v42
	s_or_b64 exec, exec, s[14:15]
	s_and_saveexec_b64 s[14:15], s[0:1]
	s_cbranch_execnz .LBB39_35
	s_branch .LBB39_36
.LBB39_56:                              ;   in Loop: Header=BB39_14 Depth=1
	ds_read_b32 v23, v39
	s_or_b64 exec, exec, s[14:15]
	s_and_saveexec_b64 s[14:15], s[0:1]
	s_cbranch_execz .LBB39_40
.LBB39_57:                              ;   in Loop: Header=BB39_14 Depth=1
	s_waitcnt lgkmcnt(0)
	ds_bpermute_b32 v42, v37, v23
	s_waitcnt lgkmcnt(0)
	v_add_f32_e32 v23, v23, v42
	ds_bpermute_b32 v42, v38, v23
	s_waitcnt lgkmcnt(0)
	v_add_f32_e32 v23, v23, v42
	s_or_b64 exec, exec, s[14:15]
	s_and_saveexec_b64 s[14:15], s[12:13]
	s_cbranch_execz .LBB39_13
.LBB39_58:                              ;   in Loop: Header=BB39_14 Depth=1
	s_mul_hi_u32 s17, s3, s30
	s_mul_i32 s16, s3, s30
	s_lshl_b64 s[16:17], s[16:17], 2
	s_add_u32 s16, s67, s16
	v_mul_f32_e32 v24, s33, v24
	s_addc_u32 s17, s68, s17
	global_store_dword v41, v24, s[16:17]
	s_or_b32 s16, s3, 1
	s_mul_hi_u32 s17, s16, s30
	s_mul_i32 s16, s16, s30
	s_lshl_b64 s[16:17], s[16:17], 2
	s_add_u32 s16, s67, s16
	v_mul_f32_e32 v24, s33, v25
	s_addc_u32 s17, s68, s17
	global_store_dword v41, v24, s[16:17]
	s_or_b32 s16, s3, 2
	;; [unrolled: 8-line block ×3, first 2 shown]
	s_mul_hi_u32 s17, s16, s30
	s_mul_i32 s16, s16, s30
	s_lshl_b64 s[16:17], s[16:17], 2
	s_add_u32 s16, s67, s16
	s_waitcnt lgkmcnt(0)
	v_mul_f32_e32 v22, s33, v23
	s_addc_u32 s17, s68, s17
	global_store_dword v41, v22, s[16:17]
	s_branch .LBB39_13
.LBB39_59:
	s_mov_b32 s3, 0
                                        ; implicit-def: $vgpr2_vgpr3_vgpr4_vgpr5
.LBB39_60:
	s_cmp_ge_i32 s3, s29
	s_cbranch_scc1 .LBB39_84
; %bb.61:
	v_mbcnt_hi_u32_b32 v10, -1, v30
	v_and_b32_e32 v11, 63, v10
	v_cmp_gt_u32_e32 vcc, 32, v11
	s_mov_b32 s47, 0
	s_cmp_gt_i32 s31, 0
	v_cndmask_b32_e64 v12, 0, 1, vcc
	v_lshlrev_b32_e32 v12, 5, v12
	v_cmp_gt_u32_e32 vcc, 48, v11
	s_waitcnt lgkmcnt(0)
	v_add_lshl_u32 v23, v12, v10, 2
	s_mov_b32 s46, s2
	v_cndmask_b32_e64 v12, 0, 1, vcc
	v_lshlrev_b32_e32 v12, 4, v12
	v_cmp_gt_u32_e32 vcc, 56, v11
	v_add_lshl_u32 v24, v12, v10, 2
	s_cselect_b64 s[48:49], -1, 0
	v_cndmask_b32_e64 v12, 0, 1, vcc
	v_lshlrev_b32_e32 v12, 3, v12
	v_cmp_gt_u32_e32 vcc, 60, v11
	v_add_lshl_u32 v25, v12, v10, 2
	s_lshl_b64 s[14:15], s[46:47], 2
	v_cndmask_b32_e64 v12, 0, 1, vcc
	v_lshlrev_b32_e32 v12, 2, v12
	v_cmp_gt_u32_e32 vcc, 62, v11
	v_add_lshl_u32 v30, v12, v10, 2
	v_cmp_ge_i32_e64 s[0:1], s28, v31
	v_cndmask_b32_e64 v12, 0, 1, vcc
	v_lshlrev_b32_e32 v12, 1, v12
	v_cmp_ne_u32_e32 vcc, 63, v11
	v_add_lshl_u32 v31, v12, v10, 2
	s_add_u32 s2, s64, s14
	v_addc_co_u32_e32 v10, vcc, 0, v10, vcc
	v_cmp_ge_i32_e64 s[4:5], s28, v32
	v_cmp_gt_u32_e64 s[6:7], 64, v0
	v_lshlrev_b32_e32 v32, 2, v10
	v_cmp_gt_u32_e64 s[10:11], 4, v0
	v_cmp_eq_u32_e64 s[12:13], 0, v0
	s_addc_u32 s28, s65, s15
	v_mad_i64_i32 v[10:11], s[14:15], s36, v8, 0
	v_mad_i64_i32 v[12:13], s[14:15], s36, v27, 0
	;; [unrolled: 1-line block ×4, first 2 shown]
	s_add_u32 s14, s22, s42
	s_addc_u32 s15, s23, s43
	s_add_u32 s14, s14, s38
	v_lshlrev_b64 v[18:19], 2, v[10:11]
	s_addc_u32 s15, s15, s39
	v_lshl_add_u64 v[10:11], s[44:45], 0, v[18:19]
	v_lshl_add_u64 v[18:19], s[14:15], 0, v[18:19]
	s_mul_i32 s14, s35, s3
	s_mul_hi_u32 s15, s34, s3
	s_add_i32 s15, s15, s14
	s_mul_i32 s14, s34, s3
	s_lshl_b64 s[22:23], s[36:37], 2
	s_lshl_b64 s[14:15], s[14:15], 2
	s_add_u32 s14, s40, s14
	s_addc_u32 s15, s41, s15
	s_add_u32 s14, s14, s26
	s_addc_u32 s15, s15, s27
	;; [unrolled: 2-line block ×3, first 2 shown]
	v_lshlrev_b32_e32 v22, 2, v28
	v_cmp_eq_u32_e64 s[8:9], 0, v28
	v_and_b32_e32 v28, 12, v29
	v_lshl_add_u64 v[12:13], v[12:13], 2, s[44:45]
	v_lshl_add_u64 v[14:15], v[14:15], 2, s[44:45]
	;; [unrolled: 1-line block ×4, first 2 shown]
	s_lshl_b64 s[24:25], s[34:35], 2
	v_mov_b32_e32 v1, 0
	s_branch .LBB39_63
.LBB39_62:                              ;   in Loop: Header=BB39_63 Depth=1
	s_or_b64 exec, exec, s[14:15]
	s_add_i32 s3, s3, 1
	s_cmp_ge_i32 s3, s29
	v_lshl_add_u64 v[8:9], v[8:9], 0, s[24:25]
	s_cbranch_scc1 .LBB39_84
.LBB39_63:                              ; =>This Loop Header: Depth=1
                                        ;     Child Loop BB39_76 Depth 2
                                        ;     Child Loop BB39_79 Depth 2
	s_waitcnt lgkmcnt(0)
	v_mov_b32_e32 v0, s47
	s_and_saveexec_b64 s[14:15], s[0:1]
	s_xor_b64 s[14:15], exec, s[14:15]
	s_cbranch_execnz .LBB39_72
; %bb.64:                               ;   in Loop: Header=BB39_63 Depth=1
	s_andn2_saveexec_b64 s[26:27], s[14:15]
	s_cbranch_execnz .LBB39_73
.LBB39_65:                              ;   in Loop: Header=BB39_63 Depth=1
	s_or_b64 exec, exec, s[26:27]
	s_and_saveexec_b64 s[14:15], s[6:7]
	s_cbranch_execz .LBB39_67
.LBB39_66:                              ;   in Loop: Header=BB39_63 Depth=1
	ds_write_b32 v22, v1
.LBB39_67:                              ;   in Loop: Header=BB39_63 Depth=1
	s_or_b64 exec, exec, s[14:15]
	ds_bpermute_b32 v20, v23, v0
	s_waitcnt lgkmcnt(0)
	s_barrier
	v_add_f32_e32 v0, v0, v20
	ds_bpermute_b32 v20, v24, v0
	s_waitcnt lgkmcnt(0)
	v_add_f32_e32 v0, v0, v20
	ds_bpermute_b32 v20, v25, v0
	s_waitcnt lgkmcnt(0)
	;; [unrolled: 3-line block ×4, first 2 shown]
	v_add_f32_e32 v0, v0, v20
	ds_bpermute_b32 v20, v32, v0
	s_and_saveexec_b64 s[14:15], s[8:9]
	s_cbranch_execz .LBB39_69
; %bb.68:                               ;   in Loop: Header=BB39_63 Depth=1
	s_waitcnt lgkmcnt(0)
	v_add_f32_e32 v0, v0, v20
	ds_write_b32 v28, v0
.LBB39_69:                              ;   in Loop: Header=BB39_63 Depth=1
	s_or_b64 exec, exec, s[14:15]
	v_mov_b32_e32 v0, 0
	s_waitcnt lgkmcnt(0)
	s_barrier
	s_and_saveexec_b64 s[14:15], s[10:11]
	s_cbranch_execnz .LBB39_81
; %bb.70:                               ;   in Loop: Header=BB39_63 Depth=1
	s_or_b64 exec, exec, s[14:15]
	s_and_saveexec_b64 s[14:15], s[6:7]
	s_cbranch_execnz .LBB39_82
.LBB39_71:                              ;   in Loop: Header=BB39_63 Depth=1
	s_or_b64 exec, exec, s[14:15]
	s_and_saveexec_b64 s[14:15], s[12:13]
	s_cbranch_execz .LBB39_62
	s_branch .LBB39_83
.LBB39_72:                              ;   in Loop: Header=BB39_63 Depth=1
	s_mul_i32 s16, s3, s35
	s_mul_hi_u32 s17, s3, s34
	s_add_i32 s17, s17, s16
	s_mul_i32 s16, s3, s34
	v_lshl_add_u64 v[20:21], s[16:17], 2, v[6:7]
	global_load_dwordx4 v[34:37], v[20:21], off
	global_load_dword v2, v[10:11], off
	global_load_dword v3, v[12:13], off
	;; [unrolled: 1-line block ×4, first 2 shown]
	s_waitcnt vmcnt(3)
	v_fma_f32 v0, v2, v34, 0
	s_waitcnt vmcnt(2)
	v_fmac_f32_e32 v0, v3, v35
	s_waitcnt vmcnt(1)
	v_fmac_f32_e32 v0, v4, v36
	;; [unrolled: 2-line block ×3, first 2 shown]
	s_andn2_saveexec_b64 s[26:27], s[14:15]
	s_cbranch_execz .LBB39_65
.LBB39_73:                              ;   in Loop: Header=BB39_63 Depth=1
	s_and_saveexec_b64 s[36:37], s[4:5]
	s_cbranch_execz .LBB39_80
; %bb.74:                               ;   in Loop: Header=BB39_63 Depth=1
	v_cndmask_b32_e64 v20, 0, 1, s[48:49]
	v_cmp_ne_u32_e64 s[14:15], 1, v20
	s_andn2_b64 vcc, exec, s[48:49]
	s_cbranch_vccnz .LBB39_77
; %bb.75:                               ;   in Loop: Header=BB39_63 Depth=1
	s_mov_b64 s[38:39], 0
	v_mov_b64_e32 v[20:21], v[18:19]
.LBB39_76:                              ;   Parent Loop BB39_63 Depth=1
                                        ; =>  This Inner Loop Header: Depth=2
	global_load_dword v26, v[20:21], off
	s_cmp_eq_u32 s38, 3
	s_cselect_b64 vcc, -1, 0
	s_cmp_eq_u32 s38, 2
	s_cselect_b64 s[16:17], -1, 0
	s_cmp_eq_u32 s38, 1
	s_cselect_b64 s[18:19], -1, 0
	;; [unrolled: 2-line block ×3, first 2 shown]
	s_add_u32 s38, s38, 1
	s_addc_u32 s39, s39, 0
	v_lshl_add_u64 v[20:21], v[20:21], 0, s[22:23]
	s_cmp_eq_u32 s31, s38
	s_waitcnt vmcnt(0)
	v_cndmask_b32_e32 v5, v5, v26, vcc
	v_cndmask_b32_e64 v4, v4, v26, s[16:17]
	v_cndmask_b32_e64 v3, v3, v26, s[18:19]
	;; [unrolled: 1-line block ×3, first 2 shown]
	s_cbranch_scc0 .LBB39_76
.LBB39_77:                              ;   in Loop: Header=BB39_63 Depth=1
	s_and_b64 vcc, exec, s[14:15]
	s_cbranch_vccnz .LBB39_80
; %bb.78:                               ;   in Loop: Header=BB39_63 Depth=1
	s_mov_b64 s[14:15], 0
	v_mov_b64_e32 v[20:21], v[8:9]
.LBB39_79:                              ;   Parent Loop BB39_63 Depth=1
                                        ; =>  This Inner Loop Header: Depth=2
	global_load_dword v26, v[20:21], off
	s_cmp_eq_u32 s14, 1
	s_cselect_b64 vcc, -1, 0
	s_cmp_eq_u32 s14, 2
	v_cndmask_b32_e32 v27, v2, v3, vcc
	s_cselect_b64 vcc, -1, 0
	s_cmp_eq_u32 s14, 3
	v_cndmask_b32_e32 v27, v27, v4, vcc
	s_cselect_b64 vcc, -1, 0
	s_add_u32 s14, s14, 1
	v_cndmask_b32_e32 v27, v27, v5, vcc
	s_addc_u32 s15, s15, 0
	v_lshl_add_u64 v[20:21], v[20:21], 0, 4
	s_cmp_lg_u32 s31, s14
	s_waitcnt vmcnt(0)
	v_fmac_f32_e32 v0, v27, v26
	s_cbranch_scc1 .LBB39_79
.LBB39_80:                              ;   in Loop: Header=BB39_63 Depth=1
	s_or_b64 exec, exec, s[36:37]
	s_or_b64 exec, exec, s[26:27]
	s_and_saveexec_b64 s[14:15], s[6:7]
	s_cbranch_execnz .LBB39_66
	s_branch .LBB39_67
.LBB39_81:                              ;   in Loop: Header=BB39_63 Depth=1
	ds_read_b32 v0, v22
	s_or_b64 exec, exec, s[14:15]
	s_and_saveexec_b64 s[14:15], s[6:7]
	s_cbranch_execz .LBB39_71
.LBB39_82:                              ;   in Loop: Header=BB39_63 Depth=1
	s_waitcnt lgkmcnt(0)
	ds_bpermute_b32 v20, v31, v0
	s_waitcnt lgkmcnt(0)
	v_add_f32_e32 v0, v0, v20
	ds_bpermute_b32 v20, v32, v0
	s_waitcnt lgkmcnt(0)
	v_add_f32_e32 v0, v0, v20
	s_or_b64 exec, exec, s[14:15]
	s_and_saveexec_b64 s[14:15], s[12:13]
	s_cbranch_execz .LBB39_62
.LBB39_83:                              ;   in Loop: Header=BB39_63 Depth=1
	s_mul_hi_u32 s17, s3, s30
	s_mul_i32 s16, s3, s30
	s_lshl_b64 s[16:17], s[16:17], 2
	s_add_u32 s16, s2, s16
	s_waitcnt lgkmcnt(0)
	v_mul_f32_e32 v0, s33, v0
	s_addc_u32 s17, s28, s17
	global_store_dword v1, v0, s[16:17]
	s_branch .LBB39_62
.LBB39_84:
	s_endpgm
	.section	.rodata,"a",@progbits
	.p2align	6, 0x0
	.amdhsa_kernel _ZL23rocblas_gemvt_sn_kernelILb1ELi256ELi4ElfPKffEviiT4_lPKT3_lilS5_lilPT5_i
		.amdhsa_group_segment_fixed_size 256
		.amdhsa_private_segment_fixed_size 0
		.amdhsa_kernarg_size 360
		.amdhsa_user_sgpr_count 2
		.amdhsa_user_sgpr_dispatch_ptr 0
		.amdhsa_user_sgpr_queue_ptr 0
		.amdhsa_user_sgpr_kernarg_segment_ptr 1
		.amdhsa_user_sgpr_dispatch_id 0
		.amdhsa_user_sgpr_kernarg_preload_length 0
		.amdhsa_user_sgpr_kernarg_preload_offset 0
		.amdhsa_user_sgpr_private_segment_size 0
		.amdhsa_uses_dynamic_stack 0
		.amdhsa_enable_private_segment 0
		.amdhsa_system_sgpr_workgroup_id_x 1
		.amdhsa_system_sgpr_workgroup_id_y 0
		.amdhsa_system_sgpr_workgroup_id_z 1
		.amdhsa_system_sgpr_workgroup_info 0
		.amdhsa_system_vgpr_workitem_id 0
		.amdhsa_next_free_vgpr 58
		.amdhsa_next_free_sgpr 69
		.amdhsa_accum_offset 60
		.amdhsa_reserve_vcc 1
		.amdhsa_float_round_mode_32 0
		.amdhsa_float_round_mode_16_64 0
		.amdhsa_float_denorm_mode_32 3
		.amdhsa_float_denorm_mode_16_64 3
		.amdhsa_dx10_clamp 1
		.amdhsa_ieee_mode 1
		.amdhsa_fp16_overflow 0
		.amdhsa_tg_split 0
		.amdhsa_exception_fp_ieee_invalid_op 0
		.amdhsa_exception_fp_denorm_src 0
		.amdhsa_exception_fp_ieee_div_zero 0
		.amdhsa_exception_fp_ieee_overflow 0
		.amdhsa_exception_fp_ieee_underflow 0
		.amdhsa_exception_fp_ieee_inexact 0
		.amdhsa_exception_int_div_zero 0
	.end_amdhsa_kernel
	.section	.text._ZL23rocblas_gemvt_sn_kernelILb1ELi256ELi4ElfPKffEviiT4_lPKT3_lilS5_lilPT5_i,"axG",@progbits,_ZL23rocblas_gemvt_sn_kernelILb1ELi256ELi4ElfPKffEviiT4_lPKT3_lilS5_lilPT5_i,comdat
.Lfunc_end39:
	.size	_ZL23rocblas_gemvt_sn_kernelILb1ELi256ELi4ElfPKffEviiT4_lPKT3_lilS5_lilPT5_i, .Lfunc_end39-_ZL23rocblas_gemvt_sn_kernelILb1ELi256ELi4ElfPKffEviiT4_lPKT3_lilS5_lilPT5_i
                                        ; -- End function
	.section	.AMDGPU.csdata,"",@progbits
; Kernel info:
; codeLenInByte = 4032
; NumSgprs: 75
; NumVgprs: 58
; NumAgprs: 0
; TotalNumVgprs: 58
; ScratchSize: 0
; MemoryBound: 0
; FloatMode: 240
; IeeeMode: 1
; LDSByteSize: 256 bytes/workgroup (compile time only)
; SGPRBlocks: 9
; VGPRBlocks: 7
; NumSGPRsForWavesPerEU: 75
; NumVGPRsForWavesPerEU: 58
; AccumOffset: 60
; Occupancy: 8
; WaveLimiterHint : 1
; COMPUTE_PGM_RSRC2:SCRATCH_EN: 0
; COMPUTE_PGM_RSRC2:USER_SGPR: 2
; COMPUTE_PGM_RSRC2:TRAP_HANDLER: 0
; COMPUTE_PGM_RSRC2:TGID_X_EN: 1
; COMPUTE_PGM_RSRC2:TGID_Y_EN: 0
; COMPUTE_PGM_RSRC2:TGID_Z_EN: 1
; COMPUTE_PGM_RSRC2:TIDIG_COMP_CNT: 0
; COMPUTE_PGM_RSRC3_GFX90A:ACCUM_OFFSET: 14
; COMPUTE_PGM_RSRC3_GFX90A:TG_SPLIT: 0
	.section	.text._ZL23rocblas_gemvt_sn_kernelILb1ELi256ELi4EifffEviiT4_lPKT3_lilS3_lilPT5_i,"axG",@progbits,_ZL23rocblas_gemvt_sn_kernelILb1ELi256ELi4EifffEviiT4_lPKT3_lilS3_lilPT5_i,comdat
	.globl	_ZL23rocblas_gemvt_sn_kernelILb1ELi256ELi4EifffEviiT4_lPKT3_lilS3_lilPT5_i ; -- Begin function _ZL23rocblas_gemvt_sn_kernelILb1ELi256ELi4EifffEviiT4_lPKT3_lilS3_lilPT5_i
	.p2align	8
	.type	_ZL23rocblas_gemvt_sn_kernelILb1ELi256ELi4EifffEviiT4_lPKT3_lilS3_lilPT5_i,@function
_ZL23rocblas_gemvt_sn_kernelILb1ELi256ELi4EifffEviiT4_lPKT3_lilS3_lilPT5_i: ; @_ZL23rocblas_gemvt_sn_kernelILb1ELi256ELi4EifffEviiT4_lPKT3_lilS3_lilPT5_i
; %bb.0:
	s_load_dwordx4 s[24:27], s[0:1], 0x0
	s_load_dwordx4 s[8:11], s[0:1], 0x50
	s_load_dword s22, s[0:1], 0x68
	s_mov_b32 s6, s3
	s_mov_b32 s23, 0
	s_waitcnt lgkmcnt(0)
	s_ashr_i32 s7, s25, 31
	s_mul_hi_u32 s3, s25, s3
	s_mul_i32 s4, s7, s6
	s_add_i32 s13, s3, s4
	s_mul_i32 s12, s25, s6
	s_mul_i32 s3, s13, s22
	s_mul_hi_u32 s4, s12, s22
	s_add_i32 s5, s4, s3
	s_mul_i32 s4, s12, s22
	s_lshl_b64 s[4:5], s[4:5], 2
	s_add_u32 s56, s10, s4
	s_addc_u32 s57, s11, s5
	v_cmp_neq_f32_e64 s[4:5], s26, 0
	s_and_b64 vcc, exec, s[4:5]
	v_cmp_eq_u32_e64 s[4:5], 0, v0
	s_cbranch_vccnz .LBB40_10
; %bb.1:
	s_cmp_gt_i32 s25, 0
	s_cselect_b64 s[14:15], -1, 0
	s_and_b64 s[14:15], s[4:5], s[14:15]
	s_and_saveexec_b64 s[4:5], s[14:15]
	s_cbranch_execz .LBB40_9
; %bb.2:
	s_cmp_gt_u32 s25, 1
	s_cselect_b64 s[14:15], -1, 0
	s_cmp_eq_u32 s22, 1
	s_cselect_b64 s[18:19], -1, 0
	s_mov_b32 s3, 0
	s_and_b64 s[14:15], s[14:15], s[18:19]
	s_mov_b64 s[16:17], -1
	s_andn2_b64 vcc, exec, s[14:15]
	s_mov_b32 s14, s3
	s_cbranch_vccnz .LBB40_6
; %bb.3:
	s_lshl_b64 s[14:15], s[2:3], 2
	s_add_u32 s16, s56, s14
	s_addc_u32 s17, s57, s15
	s_and_b32 s14, s25, 0x7ffffffe
	v_mov_b32_e32 v2, 0
	v_mov_b32_e32 v3, v2
	s_mov_b32 s15, s14
.LBB40_4:                               ; =>This Inner Loop Header: Depth=1
	global_store_dwordx2 v2, v[2:3], s[16:17]
	s_add_u32 s16, s16, 8
	s_addc_u32 s17, s17, 0
	s_add_i32 s15, s15, -2
	s_cmp_lg_u32 s15, 0
	s_cbranch_scc1 .LBB40_4
; %bb.5:
	s_cmp_lg_u32 s14, s25
	s_cselect_b64 s[16:17], -1, 0
.LBB40_6:
	s_and_b64 vcc, exec, s[16:17]
	s_cbranch_vccz .LBB40_9
; %bb.7:
	s_mov_b32 s15, 0
	s_sub_i32 s16, s25, s14
	s_lshl_b64 s[12:13], s[12:13], 2
	s_lshl_b64 s[14:15], s[14:15], 2
	s_add_u32 s12, s12, s14
	s_addc_u32 s13, s13, s15
	s_mul_i32 s13, s13, s22
	s_mul_hi_u32 s14, s12, s22
	s_add_i32 s14, s14, s13
	s_mul_i32 s15, s12, s22
	s_lshl_b64 s[12:13], s[2:3], 2
	s_add_u32 s3, s15, s12
	s_addc_u32 s12, s14, s13
	s_add_u32 s10, s10, s3
	s_addc_u32 s11, s11, s12
	s_lshl_b64 s[12:13], s[22:23], 2
	v_mov_b32_e32 v1, 0
.LBB40_8:                               ; =>This Inner Loop Header: Depth=1
	s_add_i32 s16, s16, -1
	global_store_dword v1, v1, s[10:11]
	s_add_u32 s10, s10, s12
	s_addc_u32 s11, s11, s13
	s_cmp_eq_u32 s16, 0
	s_cbranch_scc0 .LBB40_8
.LBB40_9:
	s_or_b64 exec, exec, s[4:5]
	s_cbranch_execz .LBB40_11
	s_branch .LBB40_84
.LBB40_10:
.LBB40_11:
	s_load_dwordx4 s[28:31], s[0:1], 0x18
	s_load_dword s34, s[0:1], 0x28
	s_load_dwordx4 s[12:15], s[0:1], 0x30
	s_load_dwordx2 s[4:5], s[0:1], 0x40
	s_load_dword s23, s[0:1], 0x48
	s_mul_i32 s0, s6, s9
	s_mul_hi_u32 s1, s6, s8
	s_add_i32 s1, s1, s0
	s_mul_i32 s0, s6, s8
	s_lshl_b64 s[0:1], s[0:1], 2
	s_waitcnt lgkmcnt(0)
	s_add_u32 s3, s14, s0
	s_addc_u32 s8, s15, s1
	s_lshl_b64 s[0:1], s[4:5], 2
	s_add_u32 s36, s3, s0
	s_addc_u32 s37, s8, s1
	s_mul_i32 s0, s6, s13
	s_mul_hi_u32 s1, s6, s12
	s_add_i32 s1, s1, s0
	s_mul_i32 s0, s6, s12
	s_lshl_b64 s[38:39], s[0:1], 2
	s_add_u32 s0, s28, s38
	s_addc_u32 s1, s29, s39
	s_lshl_b64 s[30:31], s[30:31], 2
	s_add_u32 s0, s0, s30
	s_addc_u32 s1, s1, s31
	s_lshl_b32 s3, s2, 10
	v_lshl_or_b32 v10, v0, 2, s3
	v_ashrrev_i32_e32 v11, 31, v10
	v_lshl_add_u64 v[6:7], v[10:11], 2, s[0:1]
	s_lshr_b32 s0, s7, 30
	s_add_i32 s0, s25, s0
	s_and_b32 s3, s0, -4
	s_ashr_i32 s0, s24, 31
	s_lshr_b32 s0, s0, 30
	s_add_i32 s0, s24, s0
	s_and_b32 s0, s0, -4
	s_sub_i32 s27, s24, s0
	s_cmp_lt_i32 s3, 1
	v_add_u32_e32 v29, 4, v10
	v_add_u32_e32 v30, s27, v10
	v_and_b32_e32 v1, 63, v0
	v_cmp_gt_u32_e64 s[0:1], 64, v0
	v_mbcnt_lo_u32_b32 v28, -1, 0
	v_cmp_gt_u32_e64 s[4:5], 4, v0
	v_lshrrev_b32_e32 v9, 4, v0
	v_mul_lo_u32 v8, v10, s23
	s_cbranch_scc1 .LBB40_59
; %bb.12:
	v_mbcnt_hi_u32_b32 v2, -1, v28
	v_and_b32_e32 v3, 63, v2
	v_cmp_gt_u32_e32 vcc, 32, v3
	v_mul_lo_u32 v12, v10, s23
	s_cmp_gt_i32 s27, 0
	v_cndmask_b32_e64 v4, 0, 1, vcc
	v_lshlrev_b32_e32 v4, 5, v4
	v_cmp_gt_u32_e32 vcc, 48, v3
	v_add_lshl_u32 v31, v4, v2, 2
	s_cselect_b64 s[42:43], -1, 0
	v_cndmask_b32_e64 v4, 0, 1, vcc
	v_lshlrev_b32_e32 v4, 4, v4
	v_cmp_gt_u32_e32 vcc, 56, v3
	v_add_lshl_u32 v32, v4, v2, 2
	s_lshl_b32 s58, s34, 2
	v_cndmask_b32_e64 v4, 0, 1, vcc
	v_lshlrev_b32_e32 v4, 3, v4
	v_cmp_gt_u32_e32 vcc, 60, v3
	v_add_lshl_u32 v33, v4, v2, 2
	s_lshl_b32 s40, s34, 1
	v_cndmask_b32_e64 v4, 0, 1, vcc
	v_lshlrev_b32_e32 v4, 2, v4
	v_cmp_gt_u32_e32 vcc, 62, v3
	v_add_lshl_u32 v34, v4, v2, 2
	s_add_u32 s14, s38, s30
	v_cndmask_b32_e64 v4, 0, 1, vcc
	v_lshlrev_b32_e32 v4, 1, v4
	v_cmp_ne_u32_e32 vcc, 63, v3
	v_add_lshl_u32 v35, v4, v2, 2
	s_addc_u32 s15, s39, s31
	v_addc_co_u32_e32 v2, vcc, 0, v2, vcc
	v_lshlrev_b32_e32 v36, 2, v2
	v_add_u32_e32 v2, s23, v12
	v_ashrrev_i32_e32 v3, 31, v2
	v_lshl_add_u64 v[16:17], v[2:3], 2, s[36:37]
	v_add_u32_e32 v2, s23, v2
	v_ashrrev_i32_e32 v3, 31, v2
	s_mov_b32 s41, 0
	v_lshl_add_u64 v[18:19], v[2:3], 2, s[36:37]
	v_add_u32_e32 v2, s23, v2
	s_add_u32 s14, s28, s14
	v_ashrrev_i32_e32 v13, 31, v12
	v_ashrrev_i32_e32 v3, 31, v2
	s_mov_b32 s35, s41
	s_addc_u32 s15, s29, s15
	v_cmp_ge_i32_e64 s[6:7], s24, v29
	v_cmp_ge_i32_e64 s[8:9], s24, v30
	v_cmp_eq_u32_e64 s[10:11], 0, v1
	v_lshlrev_b32_e32 v37, 2, v1
	v_and_b32_e32 v38, 12, v9
	v_cmp_eq_u32_e64 s[12:13], 0, v0
	v_lshl_add_u64 v[14:15], v[12:13], 2, s[36:37]
	v_lshl_add_u64 v[20:21], v[2:3], 2, s[36:37]
	s_mul_i32 s59, s34, 3
	s_mov_b32 s60, s41
	v_lshl_add_u64 v[22:23], v[10:11], 2, s[14:15]
	v_mov_b32_e32 v13, 0
	s_mov_b32 s44, s41
	s_mov_b64 s[46:47], s[40:41]
	s_mov_b64 s[48:49], s[34:35]
	s_mov_b32 s33, 0
                                        ; implicit-def: $vgpr2_vgpr3_vgpr4_vgpr5
	s_branch .LBB40_14
.LBB40_13:                              ;   in Loop: Header=BB40_14 Depth=1
	s_or_b64 exec, exec, s[14:15]
	s_add_i32 s33, s33, 4
	s_add_u32 s48, s48, s58
	s_addc_u32 s49, s49, 0
	s_add_u32 s46, s46, s58
	s_addc_u32 s47, s47, 0
	;; [unrolled: 2-line block ×3, first 2 shown]
	s_add_i32 s44, s44, s58
	s_cmp_ge_i32 s33, s3
	s_cbranch_scc1 .LBB40_60
.LBB40_14:                              ; =>This Loop Header: Depth=1
                                        ;     Child Loop BB40_45 Depth 2
                                        ;     Child Loop BB40_48 Depth 2
                                        ; implicit-def: $vgpr25
                                        ; implicit-def: $vgpr39
                                        ; implicit-def: $vgpr40
	s_and_saveexec_b64 s[14:15], s[6:7]
	s_xor_b64 s[14:15], exec, s[14:15]
	s_cbranch_execnz .LBB40_41
; %bb.15:                               ;   in Loop: Header=BB40_14 Depth=1
	s_andn2_saveexec_b64 s[50:51], s[14:15]
	s_cbranch_execnz .LBB40_42
.LBB40_16:                              ;   in Loop: Header=BB40_14 Depth=1
	s_or_b64 exec, exec, s[50:51]
	s_and_saveexec_b64 s[14:15], s[0:1]
	s_cbranch_execz .LBB40_18
.LBB40_17:                              ;   in Loop: Header=BB40_14 Depth=1
	ds_write_b32 v37, v13
.LBB40_18:                              ;   in Loop: Header=BB40_14 Depth=1
	s_or_b64 exec, exec, s[14:15]
	ds_bpermute_b32 v26, v31, v40
	s_waitcnt lgkmcnt(0)
	s_barrier
	v_add_f32_e32 v26, v40, v26
	ds_bpermute_b32 v27, v32, v26
	s_waitcnt lgkmcnt(0)
	v_add_f32_e32 v26, v26, v27
	ds_bpermute_b32 v27, v33, v26
	s_waitcnt lgkmcnt(0)
	;; [unrolled: 3-line block ×4, first 2 shown]
	v_add_f32_e32 v26, v26, v27
	ds_bpermute_b32 v27, v36, v26
	s_and_saveexec_b64 s[14:15], s[10:11]
	s_cbranch_execz .LBB40_20
; %bb.19:                               ;   in Loop: Header=BB40_14 Depth=1
	s_waitcnt lgkmcnt(0)
	v_add_f32_e32 v26, v26, v27
	ds_write_b32 v38, v26
.LBB40_20:                              ;   in Loop: Header=BB40_14 Depth=1
	s_or_b64 exec, exec, s[14:15]
	v_mov_b32_e32 v26, 0
	s_waitcnt lgkmcnt(0)
	s_barrier
	s_and_saveexec_b64 s[14:15], s[4:5]
	s_cbranch_execnz .LBB40_50
; %bb.21:                               ;   in Loop: Header=BB40_14 Depth=1
	s_or_b64 exec, exec, s[14:15]
	s_and_saveexec_b64 s[14:15], s[0:1]
	s_cbranch_execnz .LBB40_51
.LBB40_22:                              ;   in Loop: Header=BB40_14 Depth=1
	s_or_b64 exec, exec, s[14:15]
	s_and_saveexec_b64 s[14:15], s[0:1]
	s_cbranch_execz .LBB40_24
.LBB40_23:                              ;   in Loop: Header=BB40_14 Depth=1
	ds_write_b32 v37, v13
.LBB40_24:                              ;   in Loop: Header=BB40_14 Depth=1
	s_or_b64 exec, exec, s[14:15]
	ds_bpermute_b32 v27, v31, v39
	s_waitcnt lgkmcnt(0)
	s_barrier
	v_add_f32_e32 v27, v39, v27
	ds_bpermute_b32 v39, v32, v27
	s_waitcnt lgkmcnt(0)
	v_add_f32_e32 v27, v27, v39
	ds_bpermute_b32 v39, v33, v27
	s_waitcnt lgkmcnt(0)
	;; [unrolled: 3-line block ×4, first 2 shown]
	v_add_f32_e32 v27, v27, v39
	ds_bpermute_b32 v39, v36, v27
	s_and_saveexec_b64 s[14:15], s[10:11]
	s_cbranch_execz .LBB40_26
; %bb.25:                               ;   in Loop: Header=BB40_14 Depth=1
	s_waitcnt lgkmcnt(0)
	v_add_f32_e32 v27, v27, v39
	ds_write_b32 v38, v27
.LBB40_26:                              ;   in Loop: Header=BB40_14 Depth=1
	s_or_b64 exec, exec, s[14:15]
	v_mov_b32_e32 v27, 0
	s_waitcnt lgkmcnt(0)
	s_barrier
	s_and_saveexec_b64 s[14:15], s[4:5]
	s_cbranch_execnz .LBB40_52
; %bb.27:                               ;   in Loop: Header=BB40_14 Depth=1
	s_or_b64 exec, exec, s[14:15]
	s_and_saveexec_b64 s[14:15], s[0:1]
	s_cbranch_execnz .LBB40_53
.LBB40_28:                              ;   in Loop: Header=BB40_14 Depth=1
	s_or_b64 exec, exec, s[14:15]
	s_and_saveexec_b64 s[14:15], s[0:1]
	s_cbranch_execz .LBB40_30
.LBB40_29:                              ;   in Loop: Header=BB40_14 Depth=1
	ds_write_b32 v37, v13
.LBB40_30:                              ;   in Loop: Header=BB40_14 Depth=1
	s_or_b64 exec, exec, s[14:15]
	ds_bpermute_b32 v39, v31, v24
	s_waitcnt lgkmcnt(0)
	s_barrier
	v_add_f32_e32 v24, v24, v39
	ds_bpermute_b32 v39, v32, v24
	s_waitcnt lgkmcnt(0)
	v_add_f32_e32 v24, v24, v39
	ds_bpermute_b32 v39, v33, v24
	s_waitcnt lgkmcnt(0)
	;; [unrolled: 3-line block ×4, first 2 shown]
	v_add_f32_e32 v24, v24, v39
	ds_bpermute_b32 v39, v36, v24
	s_and_saveexec_b64 s[14:15], s[10:11]
	s_cbranch_execz .LBB40_32
; %bb.31:                               ;   in Loop: Header=BB40_14 Depth=1
	s_waitcnt lgkmcnt(0)
	v_add_f32_e32 v24, v24, v39
	ds_write_b32 v38, v24
.LBB40_32:                              ;   in Loop: Header=BB40_14 Depth=1
	s_or_b64 exec, exec, s[14:15]
	v_mov_b32_e32 v24, 0
	s_waitcnt lgkmcnt(0)
	s_barrier
	s_and_saveexec_b64 s[14:15], s[4:5]
	s_cbranch_execnz .LBB40_54
; %bb.33:                               ;   in Loop: Header=BB40_14 Depth=1
	s_or_b64 exec, exec, s[14:15]
	s_and_saveexec_b64 s[14:15], s[0:1]
	s_cbranch_execnz .LBB40_55
.LBB40_34:                              ;   in Loop: Header=BB40_14 Depth=1
	s_or_b64 exec, exec, s[14:15]
	s_and_saveexec_b64 s[14:15], s[0:1]
	s_cbranch_execz .LBB40_36
.LBB40_35:                              ;   in Loop: Header=BB40_14 Depth=1
	ds_write_b32 v37, v13
.LBB40_36:                              ;   in Loop: Header=BB40_14 Depth=1
	s_or_b64 exec, exec, s[14:15]
	ds_bpermute_b32 v39, v31, v25
	s_waitcnt lgkmcnt(0)
	s_barrier
	v_add_f32_e32 v25, v25, v39
	ds_bpermute_b32 v39, v32, v25
	s_waitcnt lgkmcnt(0)
	v_add_f32_e32 v25, v25, v39
	ds_bpermute_b32 v39, v33, v25
	s_waitcnt lgkmcnt(0)
	;; [unrolled: 3-line block ×4, first 2 shown]
	v_add_f32_e32 v25, v25, v39
	ds_bpermute_b32 v39, v36, v25
	s_and_saveexec_b64 s[14:15], s[10:11]
	s_cbranch_execz .LBB40_38
; %bb.37:                               ;   in Loop: Header=BB40_14 Depth=1
	s_waitcnt lgkmcnt(0)
	v_add_f32_e32 v25, v25, v39
	ds_write_b32 v38, v25
.LBB40_38:                              ;   in Loop: Header=BB40_14 Depth=1
	s_or_b64 exec, exec, s[14:15]
	v_mov_b32_e32 v25, 0
	s_waitcnt lgkmcnt(0)
	s_barrier
	s_and_saveexec_b64 s[14:15], s[4:5]
	s_cbranch_execnz .LBB40_56
; %bb.39:                               ;   in Loop: Header=BB40_14 Depth=1
	s_or_b64 exec, exec, s[14:15]
	s_and_saveexec_b64 s[14:15], s[0:1]
	s_cbranch_execnz .LBB40_57
.LBB40_40:                              ;   in Loop: Header=BB40_14 Depth=1
	s_or_b64 exec, exec, s[14:15]
	s_and_saveexec_b64 s[14:15], s[12:13]
	s_cbranch_execz .LBB40_13
	s_branch .LBB40_58
.LBB40_41:                              ;   in Loop: Header=BB40_14 Depth=1
	s_mul_i32 s16, s33, s34
	s_ashr_i32 s17, s16, 31
	s_waitcnt lgkmcnt(0)
	v_lshl_add_u64 v[24:25], s[16:17], 2, v[6:7]
	s_add_i32 s16, s16, s34
	s_ashr_i32 s17, s16, 31
	v_lshl_add_u64 v[40:41], s[16:17], 2, v[6:7]
	s_add_i32 s16, s16, s34
	s_ashr_i32 s17, s16, 31
	global_load_dword v2, v[14:15], off
	global_load_dword v3, v[16:17], off
	;; [unrolled: 1-line block ×4, first 2 shown]
	v_lshl_add_u64 v[44:45], s[16:17], 2, v[6:7]
	global_load_dwordx4 v[24:27], v[24:25], off
	s_add_i32 s16, s16, s34
	global_load_dwordx4 v[40:43], v[40:41], off
	s_ashr_i32 s17, s16, 31
	v_lshl_add_u64 v[48:49], s[16:17], 2, v[6:7]
	global_load_dwordx4 v[44:47], v[44:45], off
	s_waitcnt vmcnt(2)
	v_pk_mul_f32 v[24:25], v[2:3], v[24:25]
	global_load_dwordx4 v[48:51], v[48:49], off
	v_add_f32_e32 v39, 0, v24
	v_pk_mul_f32 v[26:27], v[4:5], v[26:27]
	v_add_f32_e32 v25, v39, v25
	s_waitcnt vmcnt(2)
	v_pk_mul_f32 v[40:41], v[2:3], v[40:41]
	v_add_f32_e32 v25, v25, v26
	s_waitcnt vmcnt(1)
	v_mul_f32_e32 v24, v2, v44
	v_add_f32_e32 v39, 0, v40
	v_add_f32_e32 v40, v25, v27
	v_mul_f32_e32 v44, v3, v45
	v_pk_mul_f32 v[42:43], v[4:5], v[42:43]
	v_mul_f32_e32 v46, v4, v46
	v_mul_f32_e32 v52, v5, v47
	v_add_f32_e32 v39, v39, v41
	v_add_f32_e32 v26, v39, v42
	;; [unrolled: 1-line block ×3, first 2 shown]
	s_waitcnt vmcnt(0)
	v_pk_mul_f32 v[48:49], v[2:3], v[48:49]
	s_nop 0
	v_mov_b32_e32 v25, v48
	v_pk_mul_f32 v[50:51], v[4:5], v[50:51]
	v_mov_b32_e32 v45, v49
	v_pk_add_f32 v[24:25], v[24:25], 0 op_sel_hi:[1,0]
	v_mov_b32_e32 v47, v50
	v_pk_add_f32 v[24:25], v[24:25], v[44:45]
	v_mov_b32_e32 v53, v51
	v_pk_add_f32 v[24:25], v[24:25], v[46:47]
	s_nop 0
	v_pk_add_f32 v[24:25], v[24:25], v[52:53]
	s_andn2_saveexec_b64 s[50:51], s[14:15]
	s_cbranch_execz .LBB40_16
.LBB40_42:                              ;   in Loop: Header=BB40_14 Depth=1
	s_waitcnt lgkmcnt(0)
	v_mov_b32_e32 v25, 0
	v_mov_b32_e32 v24, 0
	;; [unrolled: 1-line block ×4, first 2 shown]
	s_and_saveexec_b64 s[52:53], s[8:9]
	s_cbranch_execz .LBB40_49
; %bb.43:                               ;   in Loop: Header=BB40_14 Depth=1
	v_cndmask_b32_e64 v24, 0, 1, s[42:43]
	v_cmp_ne_u32_e64 s[14:15], 1, v24
	s_andn2_b64 vcc, exec, s[42:43]
	s_cbranch_vccnz .LBB40_46
; %bb.44:                               ;   in Loop: Header=BB40_14 Depth=1
	s_mov_b64 s[54:55], 0
	v_mov_b32_e32 v24, v12
.LBB40_45:                              ;   Parent Loop BB40_14 Depth=1
                                        ; =>  This Inner Loop Header: Depth=2
	v_ashrrev_i32_e32 v25, 31, v24
	v_lshl_add_u64 v[26:27], v[24:25], 2, s[36:37]
	global_load_dword v25, v[26:27], off
	s_cmp_eq_u32 s54, 3
	s_cselect_b64 vcc, -1, 0
	s_cmp_eq_u32 s54, 2
	s_cselect_b64 s[16:17], -1, 0
	s_cmp_eq_u32 s54, 1
	s_cselect_b64 s[18:19], -1, 0
	;; [unrolled: 2-line block ×3, first 2 shown]
	s_add_u32 s54, s54, 1
	s_addc_u32 s55, s55, 0
	v_add_u32_e32 v24, s23, v24
	s_cmp_eq_u32 s27, s54
	s_waitcnt vmcnt(0)
	v_cndmask_b32_e32 v5, v5, v25, vcc
	v_cndmask_b32_e64 v4, v4, v25, s[16:17]
	v_cndmask_b32_e64 v3, v3, v25, s[18:19]
	;; [unrolled: 1-line block ×3, first 2 shown]
	s_cbranch_scc0 .LBB40_45
.LBB40_46:                              ;   in Loop: Header=BB40_14 Depth=1
	s_and_b64 vcc, exec, s[14:15]
	v_mov_b32_e32 v25, 0
	v_mov_b32_e32 v24, 0
	;; [unrolled: 1-line block ×4, first 2 shown]
	s_cbranch_vccnz .LBB40_49
; %bb.47:                               ;   in Loop: Header=BB40_14 Depth=1
	s_ashr_i32 s45, s44, 31
	v_mov_b32_e32 v40, 0
	v_lshl_add_u64 v[26:27], s[44:45], 2, v[22:23]
	s_mov_b64 s[14:15], 0
	v_mov_b32_e32 v39, 0
	v_mov_b32_e32 v24, 0
	;; [unrolled: 1-line block ×3, first 2 shown]
.LBB40_48:                              ;   Parent Loop BB40_14 Depth=1
                                        ; =>  This Inner Loop Header: Depth=2
	s_cmp_eq_u32 s14, 1
	s_cselect_b64 vcc, -1, 0
	s_cmp_eq_u32 s14, 2
	v_cndmask_b32_e32 v42, v2, v3, vcc
	s_cselect_b64 vcc, -1, 0
	s_cmp_eq_u32 s14, 3
	v_cndmask_b32_e32 v48, v42, v4, vcc
	s_cselect_b64 vcc, -1, 0
	s_add_i32 s16, s48, s14
	s_add_i32 s18, s46, s14
	;; [unrolled: 1-line block ×3, first 2 shown]
	s_ashr_i32 s17, s16, 31
	s_ashr_i32 s19, s18, 31
	;; [unrolled: 1-line block ×3, first 2 shown]
	v_lshl_add_u64 v[42:43], s[16:17], 2, v[6:7]
	v_lshl_add_u64 v[44:45], s[18:19], 2, v[6:7]
	global_load_dword v41, v[26:27], off
	v_lshl_add_u64 v[46:47], s[20:21], 2, v[6:7]
	global_load_dword v42, v[42:43], off
	s_nop 0
	global_load_dword v43, v[44:45], off
	s_nop 0
	global_load_dword v44, v[46:47], off
	s_add_u32 s14, s14, 1
	v_cndmask_b32_e32 v45, v48, v5, vcc
	s_addc_u32 s15, s15, 0
	v_lshl_add_u64 v[26:27], v[26:27], 0, 4
	s_cmp_lg_u32 s27, s14
	s_waitcnt vmcnt(3)
	v_fmac_f32_e32 v40, v45, v41
	s_waitcnt vmcnt(2)
	v_fmac_f32_e32 v39, v45, v42
	;; [unrolled: 2-line block ×4, first 2 shown]
	s_cbranch_scc1 .LBB40_48
.LBB40_49:                              ;   in Loop: Header=BB40_14 Depth=1
	s_or_b64 exec, exec, s[52:53]
	s_or_b64 exec, exec, s[50:51]
	s_and_saveexec_b64 s[14:15], s[0:1]
	s_cbranch_execnz .LBB40_17
	s_branch .LBB40_18
.LBB40_50:                              ;   in Loop: Header=BB40_14 Depth=1
	ds_read_b32 v26, v37
	s_or_b64 exec, exec, s[14:15]
	s_and_saveexec_b64 s[14:15], s[0:1]
	s_cbranch_execz .LBB40_22
.LBB40_51:                              ;   in Loop: Header=BB40_14 Depth=1
	s_waitcnt lgkmcnt(0)
	ds_bpermute_b32 v27, v35, v26
	s_waitcnt lgkmcnt(0)
	v_add_f32_e32 v26, v26, v27
	ds_bpermute_b32 v27, v36, v26
	s_waitcnt lgkmcnt(0)
	v_add_f32_e32 v26, v26, v27
	s_or_b64 exec, exec, s[14:15]
	s_and_saveexec_b64 s[14:15], s[0:1]
	s_cbranch_execnz .LBB40_23
	s_branch .LBB40_24
.LBB40_52:                              ;   in Loop: Header=BB40_14 Depth=1
	ds_read_b32 v27, v37
	s_or_b64 exec, exec, s[14:15]
	s_and_saveexec_b64 s[14:15], s[0:1]
	s_cbranch_execz .LBB40_28
.LBB40_53:                              ;   in Loop: Header=BB40_14 Depth=1
	s_waitcnt lgkmcnt(0)
	ds_bpermute_b32 v39, v35, v27
	s_waitcnt lgkmcnt(0)
	v_add_f32_e32 v27, v27, v39
	ds_bpermute_b32 v39, v36, v27
	s_waitcnt lgkmcnt(0)
	v_add_f32_e32 v27, v27, v39
	s_or_b64 exec, exec, s[14:15]
	s_and_saveexec_b64 s[14:15], s[0:1]
	s_cbranch_execnz .LBB40_29
	s_branch .LBB40_30
.LBB40_54:                              ;   in Loop: Header=BB40_14 Depth=1
	ds_read_b32 v24, v37
	s_or_b64 exec, exec, s[14:15]
	s_and_saveexec_b64 s[14:15], s[0:1]
	s_cbranch_execz .LBB40_34
.LBB40_55:                              ;   in Loop: Header=BB40_14 Depth=1
	s_waitcnt lgkmcnt(0)
	ds_bpermute_b32 v39, v35, v24
	s_waitcnt lgkmcnt(0)
	v_add_f32_e32 v24, v24, v39
	ds_bpermute_b32 v39, v36, v24
	s_waitcnt lgkmcnt(0)
	v_add_f32_e32 v24, v24, v39
	s_or_b64 exec, exec, s[14:15]
	s_and_saveexec_b64 s[14:15], s[0:1]
	s_cbranch_execnz .LBB40_35
	s_branch .LBB40_36
.LBB40_56:                              ;   in Loop: Header=BB40_14 Depth=1
	ds_read_b32 v25, v37
	s_or_b64 exec, exec, s[14:15]
	s_and_saveexec_b64 s[14:15], s[0:1]
	s_cbranch_execz .LBB40_40
.LBB40_57:                              ;   in Loop: Header=BB40_14 Depth=1
	s_waitcnt lgkmcnt(0)
	ds_bpermute_b32 v39, v35, v25
	s_waitcnt lgkmcnt(0)
	v_add_f32_e32 v25, v25, v39
	ds_bpermute_b32 v39, v36, v25
	s_waitcnt lgkmcnt(0)
	v_add_f32_e32 v25, v25, v39
	s_or_b64 exec, exec, s[14:15]
	s_and_saveexec_b64 s[14:15], s[12:13]
	s_cbranch_execz .LBB40_13
.LBB40_58:                              ;   in Loop: Header=BB40_14 Depth=1
	s_mul_i32 s16, s33, s22
	s_add_i32 s40, s16, s2
	s_lshl_b64 s[16:17], s[40:41], 2
	s_add_u32 s16, s56, s16
	v_mul_f32_e32 v26, s26, v26
	s_addc_u32 s17, s57, s17
	s_add_i32 s40, s40, s22
	global_store_dword v13, v26, s[16:17]
	s_lshl_b64 s[16:17], s[40:41], 2
	s_add_u32 s16, s56, s16
	v_mul_f32_e32 v26, s26, v27
	s_addc_u32 s17, s57, s17
	s_add_i32 s40, s40, s22
	global_store_dword v13, v26, s[16:17]
	;; [unrolled: 6-line block ×3, first 2 shown]
	s_lshl_b64 s[16:17], s[40:41], 2
	s_add_u32 s16, s56, s16
	s_waitcnt lgkmcnt(0)
	v_mul_f32_e32 v24, s26, v25
	s_addc_u32 s17, s57, s17
	global_store_dword v13, v24, s[16:17]
	s_branch .LBB40_13
.LBB40_59:
	s_mov_b32 s33, 0
                                        ; implicit-def: $vgpr2_vgpr3_vgpr4_vgpr5
.LBB40_60:
	s_cmp_ge_i32 s33, s25
	s_cbranch_scc1 .LBB40_84
; %bb.61:
	v_mbcnt_hi_u32_b32 v12, -1, v28
	v_and_b32_e32 v13, 63, v12
	v_cmp_gt_u32_e32 vcc, 32, v13
	s_mov_b32 s3, 0
	s_cmp_gt_i32 s27, 0
	v_cndmask_b32_e64 v14, 0, 1, vcc
	v_lshlrev_b32_e32 v14, 5, v14
	v_cmp_gt_u32_e32 vcc, 48, v13
	v_add_lshl_u32 v23, v14, v12, 2
	s_cselect_b64 s[40:41], -1, 0
	v_cndmask_b32_e64 v14, 0, 1, vcc
	v_lshlrev_b32_e32 v14, 4, v14
	v_cmp_gt_u32_e32 vcc, 56, v13
	v_add_lshl_u32 v24, v14, v12, 2
	s_lshl_b64 s[14:15], s[2:3], 2
	v_cndmask_b32_e64 v14, 0, 1, vcc
	v_lshlrev_b32_e32 v14, 3, v14
	v_cmp_gt_u32_e32 vcc, 60, v13
	s_waitcnt lgkmcnt(0)
	v_add_lshl_u32 v25, v14, v12, 2
	s_add_u32 s2, s56, s14
	v_cndmask_b32_e64 v14, 0, 1, vcc
	v_cmp_ge_i32_e64 s[0:1], s24, v29
	v_cmp_ge_i32_e64 s[4:5], s24, v30
	v_lshlrev_b32_e32 v14, 2, v14
	v_cmp_gt_u32_e32 vcc, 62, v13
	s_addc_u32 s24, s57, s15
	v_add_u32_e32 v16, s23, v8
	v_add_lshl_u32 v26, v14, v12, 2
	v_cndmask_b32_e64 v14, 0, 1, vcc
	v_add_u32_e32 v18, s23, v16
	s_add_u32 s14, s38, s30
	v_lshlrev_b32_e32 v14, 1, v14
	v_ashrrev_i32_e32 v17, 31, v16
	v_ashrrev_i32_e32 v19, 31, v18
	s_addc_u32 s15, s39, s31
	v_add_lshl_u32 v27, v14, v12, 2
	v_cmp_ne_u32_e32 vcc, 63, v13
	v_lshl_add_u64 v[14:15], v[16:17], 2, s[36:37]
	v_lshl_add_u64 v[16:17], v[18:19], 2, s[36:37]
	v_add_u32_e32 v18, s23, v18
	s_add_u32 s14, s28, s14
	v_lshlrev_b32_e32 v22, 2, v1
	v_addc_co_u32_e32 v12, vcc, 0, v12, vcc
	v_cmp_eq_u32_e64 s[8:9], 0, v1
	v_and_b32_e32 v1, 12, v9
	v_ashrrev_i32_e32 v9, 31, v8
	v_ashrrev_i32_e32 v19, 31, v18
	s_addc_u32 s15, s29, s15
	v_cmp_gt_u32_e64 s[6:7], 64, v0
	v_lshlrev_b32_e32 v28, 2, v12
	v_cmp_gt_u32_e64 s[10:11], 4, v0
	v_cmp_eq_u32_e64 s[12:13], 0, v0
	v_lshl_add_u64 v[12:13], v[8:9], 2, s[36:37]
	v_lshl_add_u64 v[18:19], v[18:19], 2, s[36:37]
	v_lshl_add_u64 v[10:11], v[10:11], 2, s[14:15]
	s_mul_i32 s28, s33, s34
	v_mov_b32_e32 v9, 0
	s_branch .LBB40_63
.LBB40_62:                              ;   in Loop: Header=BB40_63 Depth=1
	s_or_b64 exec, exec, s[14:15]
	s_add_i32 s33, s33, 1
	s_add_i32 s28, s28, s34
	s_cmp_ge_i32 s33, s25
	s_cbranch_scc1 .LBB40_84
.LBB40_63:                              ; =>This Loop Header: Depth=1
                                        ;     Child Loop BB40_76 Depth 2
                                        ;     Child Loop BB40_79 Depth 2
	s_waitcnt lgkmcnt(0)
	v_mov_b32_e32 v0, s3
	s_and_saveexec_b64 s[14:15], s[0:1]
	s_xor_b64 s[14:15], exec, s[14:15]
	s_cbranch_execnz .LBB40_72
; %bb.64:                               ;   in Loop: Header=BB40_63 Depth=1
	s_andn2_saveexec_b64 s[30:31], s[14:15]
	s_cbranch_execnz .LBB40_73
.LBB40_65:                              ;   in Loop: Header=BB40_63 Depth=1
	s_or_b64 exec, exec, s[30:31]
	s_and_saveexec_b64 s[14:15], s[6:7]
	s_cbranch_execz .LBB40_67
.LBB40_66:                              ;   in Loop: Header=BB40_63 Depth=1
	ds_write_b32 v22, v9
.LBB40_67:                              ;   in Loop: Header=BB40_63 Depth=1
	s_or_b64 exec, exec, s[14:15]
	ds_bpermute_b32 v20, v23, v0
	s_waitcnt lgkmcnt(0)
	s_barrier
	v_add_f32_e32 v0, v0, v20
	ds_bpermute_b32 v20, v24, v0
	s_waitcnt lgkmcnt(0)
	v_add_f32_e32 v0, v0, v20
	ds_bpermute_b32 v20, v25, v0
	s_waitcnt lgkmcnt(0)
	;; [unrolled: 3-line block ×4, first 2 shown]
	v_add_f32_e32 v0, v0, v20
	ds_bpermute_b32 v20, v28, v0
	s_and_saveexec_b64 s[14:15], s[8:9]
	s_cbranch_execz .LBB40_69
; %bb.68:                               ;   in Loop: Header=BB40_63 Depth=1
	s_waitcnt lgkmcnt(0)
	v_add_f32_e32 v0, v0, v20
	ds_write_b32 v1, v0
.LBB40_69:                              ;   in Loop: Header=BB40_63 Depth=1
	s_or_b64 exec, exec, s[14:15]
	v_mov_b32_e32 v0, 0
	s_waitcnt lgkmcnt(0)
	s_barrier
	s_and_saveexec_b64 s[14:15], s[10:11]
	s_cbranch_execnz .LBB40_81
; %bb.70:                               ;   in Loop: Header=BB40_63 Depth=1
	s_or_b64 exec, exec, s[14:15]
	s_and_saveexec_b64 s[14:15], s[6:7]
	s_cbranch_execnz .LBB40_82
.LBB40_71:                              ;   in Loop: Header=BB40_63 Depth=1
	s_or_b64 exec, exec, s[14:15]
	s_and_saveexec_b64 s[14:15], s[12:13]
	s_cbranch_execz .LBB40_62
	s_branch .LBB40_83
.LBB40_72:                              ;   in Loop: Header=BB40_63 Depth=1
	s_mul_i32 s16, s33, s34
	s_ashr_i32 s17, s16, 31
	v_lshl_add_u64 v[20:21], s[16:17], 2, v[6:7]
	global_load_dwordx4 v[30:33], v[20:21], off
	global_load_dword v2, v[12:13], off
	global_load_dword v3, v[14:15], off
	;; [unrolled: 1-line block ×4, first 2 shown]
	s_waitcnt vmcnt(2)
	v_pk_mul_f32 v[20:21], v[2:3], v[30:31]
	s_nop 0
	v_add_f32_e32 v0, 0, v20
	v_add_f32_e32 v0, v0, v21
	s_waitcnt vmcnt(0)
	v_pk_mul_f32 v[20:21], v[4:5], v[32:33]
	s_nop 0
	v_add_f32_e32 v0, v0, v20
	v_add_f32_e32 v0, v0, v21
	s_andn2_saveexec_b64 s[30:31], s[14:15]
	s_cbranch_execz .LBB40_65
.LBB40_73:                              ;   in Loop: Header=BB40_63 Depth=1
	s_and_saveexec_b64 s[38:39], s[4:5]
	s_cbranch_execz .LBB40_80
; %bb.74:                               ;   in Loop: Header=BB40_63 Depth=1
	v_cndmask_b32_e64 v20, 0, 1, s[40:41]
	v_cmp_ne_u32_e64 s[14:15], 1, v20
	s_andn2_b64 vcc, exec, s[40:41]
	s_cbranch_vccnz .LBB40_77
; %bb.75:                               ;   in Loop: Header=BB40_63 Depth=1
	s_mov_b64 s[42:43], 0
	v_mov_b32_e32 v20, v8
.LBB40_76:                              ;   Parent Loop BB40_63 Depth=1
                                        ; =>  This Inner Loop Header: Depth=2
	v_ashrrev_i32_e32 v21, 31, v20
	v_lshl_add_u64 v[30:31], v[20:21], 2, s[36:37]
	global_load_dword v21, v[30:31], off
	s_cmp_eq_u32 s42, 3
	s_cselect_b64 vcc, -1, 0
	s_cmp_eq_u32 s42, 2
	s_cselect_b64 s[16:17], -1, 0
	s_cmp_eq_u32 s42, 1
	s_cselect_b64 s[18:19], -1, 0
	;; [unrolled: 2-line block ×3, first 2 shown]
	s_add_u32 s42, s42, 1
	s_addc_u32 s43, s43, 0
	v_add_u32_e32 v20, s23, v20
	s_cmp_eq_u32 s27, s42
	s_waitcnt vmcnt(0)
	v_cndmask_b32_e32 v5, v5, v21, vcc
	v_cndmask_b32_e64 v4, v4, v21, s[16:17]
	v_cndmask_b32_e64 v3, v3, v21, s[18:19]
	;; [unrolled: 1-line block ×3, first 2 shown]
	s_cbranch_scc0 .LBB40_76
.LBB40_77:                              ;   in Loop: Header=BB40_63 Depth=1
	s_and_b64 vcc, exec, s[14:15]
	s_cbranch_vccnz .LBB40_80
; %bb.78:                               ;   in Loop: Header=BB40_63 Depth=1
	s_ashr_i32 s29, s28, 31
	v_lshl_add_u64 v[20:21], s[28:29], 2, v[10:11]
	s_mov_b64 s[14:15], 0
.LBB40_79:                              ;   Parent Loop BB40_63 Depth=1
                                        ; =>  This Inner Loop Header: Depth=2
	global_load_dword v29, v[20:21], off
	s_cmp_eq_u32 s14, 1
	s_cselect_b64 vcc, -1, 0
	s_cmp_eq_u32 s14, 2
	v_cndmask_b32_e32 v30, v2, v3, vcc
	s_cselect_b64 vcc, -1, 0
	s_cmp_eq_u32 s14, 3
	v_cndmask_b32_e32 v30, v30, v4, vcc
	s_cselect_b64 vcc, -1, 0
	s_add_u32 s14, s14, 1
	v_cndmask_b32_e32 v30, v30, v5, vcc
	s_addc_u32 s15, s15, 0
	v_lshl_add_u64 v[20:21], v[20:21], 0, 4
	s_cmp_lg_u32 s27, s14
	s_waitcnt vmcnt(0)
	v_fmac_f32_e32 v0, v30, v29
	s_cbranch_scc1 .LBB40_79
.LBB40_80:                              ;   in Loop: Header=BB40_63 Depth=1
	s_or_b64 exec, exec, s[38:39]
	s_or_b64 exec, exec, s[30:31]
	s_and_saveexec_b64 s[14:15], s[6:7]
	s_cbranch_execnz .LBB40_66
	s_branch .LBB40_67
.LBB40_81:                              ;   in Loop: Header=BB40_63 Depth=1
	ds_read_b32 v0, v22
	s_or_b64 exec, exec, s[14:15]
	s_and_saveexec_b64 s[14:15], s[6:7]
	s_cbranch_execz .LBB40_71
.LBB40_82:                              ;   in Loop: Header=BB40_63 Depth=1
	s_waitcnt lgkmcnt(0)
	ds_bpermute_b32 v20, v27, v0
	s_waitcnt lgkmcnt(0)
	v_add_f32_e32 v0, v0, v20
	ds_bpermute_b32 v20, v28, v0
	s_waitcnt lgkmcnt(0)
	v_add_f32_e32 v0, v0, v20
	s_or_b64 exec, exec, s[14:15]
	s_and_saveexec_b64 s[14:15], s[12:13]
	s_cbranch_execz .LBB40_62
.LBB40_83:                              ;   in Loop: Header=BB40_63 Depth=1
	s_mul_hi_u32 s17, s33, s22
	s_mul_i32 s16, s33, s22
	s_lshl_b64 s[16:17], s[16:17], 2
	s_add_u32 s16, s2, s16
	s_waitcnt lgkmcnt(0)
	v_mul_f32_e32 v0, s26, v0
	s_addc_u32 s17, s24, s17
	global_store_dword v9, v0, s[16:17]
	s_branch .LBB40_62
.LBB40_84:
	s_endpgm
	.section	.rodata,"a",@progbits
	.p2align	6, 0x0
	.amdhsa_kernel _ZL23rocblas_gemvt_sn_kernelILb1ELi256ELi4EifffEviiT4_lPKT3_lilS3_lilPT5_i
		.amdhsa_group_segment_fixed_size 256
		.amdhsa_private_segment_fixed_size 0
		.amdhsa_kernarg_size 360
		.amdhsa_user_sgpr_count 2
		.amdhsa_user_sgpr_dispatch_ptr 0
		.amdhsa_user_sgpr_queue_ptr 0
		.amdhsa_user_sgpr_kernarg_segment_ptr 1
		.amdhsa_user_sgpr_dispatch_id 0
		.amdhsa_user_sgpr_kernarg_preload_length 0
		.amdhsa_user_sgpr_kernarg_preload_offset 0
		.amdhsa_user_sgpr_private_segment_size 0
		.amdhsa_uses_dynamic_stack 0
		.amdhsa_enable_private_segment 0
		.amdhsa_system_sgpr_workgroup_id_x 1
		.amdhsa_system_sgpr_workgroup_id_y 0
		.amdhsa_system_sgpr_workgroup_id_z 1
		.amdhsa_system_sgpr_workgroup_info 0
		.amdhsa_system_vgpr_workitem_id 0
		.amdhsa_next_free_vgpr 54
		.amdhsa_next_free_sgpr 61
		.amdhsa_accum_offset 56
		.amdhsa_reserve_vcc 1
		.amdhsa_float_round_mode_32 0
		.amdhsa_float_round_mode_16_64 0
		.amdhsa_float_denorm_mode_32 3
		.amdhsa_float_denorm_mode_16_64 3
		.amdhsa_dx10_clamp 1
		.amdhsa_ieee_mode 1
		.amdhsa_fp16_overflow 0
		.amdhsa_tg_split 0
		.amdhsa_exception_fp_ieee_invalid_op 0
		.amdhsa_exception_fp_denorm_src 0
		.amdhsa_exception_fp_ieee_div_zero 0
		.amdhsa_exception_fp_ieee_overflow 0
		.amdhsa_exception_fp_ieee_underflow 0
		.amdhsa_exception_fp_ieee_inexact 0
		.amdhsa_exception_int_div_zero 0
	.end_amdhsa_kernel
	.section	.text._ZL23rocblas_gemvt_sn_kernelILb1ELi256ELi4EifffEviiT4_lPKT3_lilS3_lilPT5_i,"axG",@progbits,_ZL23rocblas_gemvt_sn_kernelILb1ELi256ELi4EifffEviiT4_lPKT3_lilS3_lilPT5_i,comdat
.Lfunc_end40:
	.size	_ZL23rocblas_gemvt_sn_kernelILb1ELi256ELi4EifffEviiT4_lPKT3_lilS3_lilPT5_i, .Lfunc_end40-_ZL23rocblas_gemvt_sn_kernelILb1ELi256ELi4EifffEviiT4_lPKT3_lilS3_lilPT5_i
                                        ; -- End function
	.section	.AMDGPU.csdata,"",@progbits
; Kernel info:
; codeLenInByte = 3904
; NumSgprs: 67
; NumVgprs: 54
; NumAgprs: 0
; TotalNumVgprs: 54
; ScratchSize: 0
; MemoryBound: 0
; FloatMode: 240
; IeeeMode: 1
; LDSByteSize: 256 bytes/workgroup (compile time only)
; SGPRBlocks: 8
; VGPRBlocks: 6
; NumSGPRsForWavesPerEU: 67
; NumVGPRsForWavesPerEU: 54
; AccumOffset: 56
; Occupancy: 8
; WaveLimiterHint : 1
; COMPUTE_PGM_RSRC2:SCRATCH_EN: 0
; COMPUTE_PGM_RSRC2:USER_SGPR: 2
; COMPUTE_PGM_RSRC2:TRAP_HANDLER: 0
; COMPUTE_PGM_RSRC2:TGID_X_EN: 1
; COMPUTE_PGM_RSRC2:TGID_Y_EN: 0
; COMPUTE_PGM_RSRC2:TGID_Z_EN: 1
; COMPUTE_PGM_RSRC2:TIDIG_COMP_CNT: 0
; COMPUTE_PGM_RSRC3_GFX90A:ACCUM_OFFSET: 13
; COMPUTE_PGM_RSRC3_GFX90A:TG_SPLIT: 0
	.section	.text._ZL23rocblas_gemvt_sn_kernelILb1ELi256ELi4ElfffEviiT4_lPKT3_lilS3_lilPT5_i,"axG",@progbits,_ZL23rocblas_gemvt_sn_kernelILb1ELi256ELi4ElfffEviiT4_lPKT3_lilS3_lilPT5_i,comdat
	.globl	_ZL23rocblas_gemvt_sn_kernelILb1ELi256ELi4ElfffEviiT4_lPKT3_lilS3_lilPT5_i ; -- Begin function _ZL23rocblas_gemvt_sn_kernelILb1ELi256ELi4ElfffEviiT4_lPKT3_lilS3_lilPT5_i
	.p2align	8
	.type	_ZL23rocblas_gemvt_sn_kernelILb1ELi256ELi4ElfffEviiT4_lPKT3_lilS3_lilPT5_i,@function
_ZL23rocblas_gemvt_sn_kernelILb1ELi256ELi4ElfffEviiT4_lPKT3_lilS3_lilPT5_i: ; @_ZL23rocblas_gemvt_sn_kernelILb1ELi256ELi4ElfffEviiT4_lPKT3_lilS3_lilPT5_i
; %bb.0:
	s_load_dwordx4 s[24:27], s[0:1], 0x0
	s_load_dwordx4 s[8:11], s[0:1], 0x50
	s_load_dword s34, s[0:1], 0x68
	s_mov_b32 s6, s3
	s_mov_b32 s35, 0
	s_waitcnt lgkmcnt(0)
	s_ashr_i32 s7, s25, 31
	s_mul_hi_u32 s3, s25, s3
	s_mul_i32 s4, s7, s6
	s_add_i32 s13, s3, s4
	s_mul_i32 s12, s25, s6
	s_mul_i32 s3, s13, s34
	s_mul_hi_u32 s4, s12, s34
	s_add_i32 s5, s4, s3
	s_mul_i32 s4, s12, s34
	s_lshl_b64 s[4:5], s[4:5], 2
	s_add_u32 s33, s10, s4
	s_addc_u32 s66, s11, s5
	v_cmp_neq_f32_e64 s[4:5], s26, 0
	s_and_b64 vcc, exec, s[4:5]
	v_cmp_eq_u32_e64 s[4:5], 0, v0
	s_cbranch_vccnz .LBB41_10
; %bb.1:
	s_cmp_gt_i32 s25, 0
	s_cselect_b64 s[14:15], -1, 0
	s_and_b64 s[14:15], s[4:5], s[14:15]
	s_and_saveexec_b64 s[4:5], s[14:15]
	s_cbranch_execz .LBB41_9
; %bb.2:
	s_cmp_gt_u32 s25, 1
	s_cselect_b64 s[14:15], -1, 0
	s_cmp_eq_u32 s34, 1
	s_cselect_b64 s[18:19], -1, 0
	s_mov_b32 s3, 0
	s_and_b64 s[14:15], s[14:15], s[18:19]
	s_mov_b64 s[16:17], -1
	s_andn2_b64 vcc, exec, s[14:15]
	s_mov_b32 s14, s3
	s_cbranch_vccnz .LBB41_6
; %bb.3:
	s_lshl_b64 s[14:15], s[2:3], 2
	s_add_u32 s16, s33, s14
	s_addc_u32 s17, s66, s15
	s_and_b32 s14, s25, 0x7ffffffe
	v_mov_b32_e32 v2, 0
	v_mov_b32_e32 v3, v2
	s_mov_b32 s15, s14
.LBB41_4:                               ; =>This Inner Loop Header: Depth=1
	global_store_dwordx2 v2, v[2:3], s[16:17]
	s_add_u32 s16, s16, 8
	s_addc_u32 s17, s17, 0
	s_add_i32 s15, s15, -2
	s_cmp_lg_u32 s15, 0
	s_cbranch_scc1 .LBB41_4
; %bb.5:
	s_cmp_lg_u32 s14, s25
	s_cselect_b64 s[16:17], -1, 0
.LBB41_6:
	s_and_b64 vcc, exec, s[16:17]
	s_cbranch_vccz .LBB41_9
; %bb.7:
	s_mov_b32 s15, 0
	s_sub_i32 s16, s25, s14
	s_lshl_b64 s[12:13], s[12:13], 2
	s_lshl_b64 s[14:15], s[14:15], 2
	s_add_u32 s12, s12, s14
	s_addc_u32 s13, s13, s15
	s_mul_i32 s13, s13, s34
	s_mul_hi_u32 s14, s12, s34
	s_add_i32 s14, s14, s13
	s_mul_i32 s15, s12, s34
	s_lshl_b64 s[12:13], s[2:3], 2
	s_add_u32 s3, s15, s12
	s_addc_u32 s12, s14, s13
	s_add_u32 s10, s10, s3
	s_addc_u32 s11, s11, s12
	s_lshl_b64 s[12:13], s[34:35], 2
	v_mov_b32_e32 v1, 0
.LBB41_8:                               ; =>This Inner Loop Header: Depth=1
	s_add_i32 s16, s16, -1
	global_store_dword v1, v1, s[10:11]
	s_add_u32 s10, s10, s12
	s_addc_u32 s11, s11, s13
	s_cmp_eq_u32 s16, 0
	s_cbranch_scc0 .LBB41_8
.LBB41_9:
	s_or_b64 exec, exec, s[4:5]
	s_cbranch_execz .LBB41_11
	s_branch .LBB41_84
.LBB41_10:
.LBB41_11:
	s_load_dword s36, s[0:1], 0x28
	s_load_dword s38, s[0:1], 0x48
	s_load_dwordx4 s[28:31], s[0:1], 0x18
	s_load_dwordx4 s[20:23], s[0:1], 0x30
	s_load_dwordx2 s[4:5], s[0:1], 0x40
	s_mul_i32 s0, s6, s9
	s_mul_hi_u32 s1, s6, s8
	s_add_i32 s1, s1, s0
	s_mul_i32 s0, s6, s8
	s_waitcnt lgkmcnt(0)
	s_ashr_i32 s37, s36, 31
	s_ashr_i32 s39, s38, 31
	s_lshl_b64 s[40:41], s[0:1], 2
	s_add_u32 s0, s22, s40
	s_addc_u32 s1, s23, s41
	s_lshl_b64 s[44:45], s[4:5], 2
	s_add_u32 s46, s0, s44
	s_addc_u32 s47, s1, s45
	s_mul_i32 s0, s6, s21
	s_mul_hi_u32 s1, s6, s20
	s_add_i32 s1, s1, s0
	s_mul_i32 s0, s6, s20
	s_lshl_b64 s[42:43], s[0:1], 2
	s_add_u32 s0, s28, s42
	s_addc_u32 s1, s29, s43
	s_lshl_b64 s[30:31], s[30:31], 2
	s_add_u32 s0, s0, s30
	s_addc_u32 s1, s1, s31
	s_lshl_b32 s3, s2, 10
	v_lshl_or_b32 v8, v0, 2, s3
	v_ashrrev_i32_e32 v9, 31, v8
	v_lshl_add_u64 v[6:7], v[8:9], 2, s[0:1]
	s_lshr_b32 s0, s7, 30
	s_add_i32 s0, s25, s0
	s_and_b32 s35, s0, -4
	s_ashr_i32 s0, s24, 31
	s_lshr_b32 s0, s0, 30
	s_add_i32 s0, s24, s0
	s_and_b32 s0, s0, -4
	s_sub_i32 s27, s24, s0
	s_cmp_lt_i32 s35, 1
	v_add_u32_e32 v31, 4, v8
	v_add_u32_e32 v32, s27, v8
	v_and_b32_e32 v28, 63, v0
	v_cmp_gt_u32_e64 s[0:1], 64, v0
	v_mbcnt_lo_u32_b32 v30, -1, 0
	v_cmp_gt_u32_e64 s[4:5], 4, v0
	v_lshrrev_b32_e32 v29, 4, v0
	v_or_b32_e32 v27, 1, v8
	v_or_b32_e32 v26, 2, v8
	;; [unrolled: 1-line block ×3, first 2 shown]
	s_cbranch_scc1 .LBB41_59
; %bb.12:
	v_mbcnt_hi_u32_b32 v2, -1, v30
	v_and_b32_e32 v3, 63, v2
	v_cmp_gt_u32_e32 vcc, 32, v3
	s_mov_b32 s3, 0
	s_cmp_gt_i32 s27, 0
	v_cndmask_b32_e64 v4, 0, 1, vcc
	v_lshlrev_b32_e32 v4, 5, v4
	v_cmp_gt_u32_e32 vcc, 48, v3
	v_add_lshl_u32 v33, v4, v2, 2
	s_cselect_b64 s[48:49], -1, 0
	v_cndmask_b32_e64 v4, 0, 1, vcc
	v_lshlrev_b32_e32 v4, 4, v4
	v_cmp_gt_u32_e32 vcc, 56, v3
	v_add_lshl_u32 v34, v4, v2, 2
	s_lshl_b64 s[14:15], s[2:3], 2
	v_cndmask_b32_e64 v4, 0, 1, vcc
	v_lshlrev_b32_e32 v4, 3, v4
	v_cmp_gt_u32_e32 vcc, 60, v3
	v_add_lshl_u32 v35, v4, v2, 2
	s_add_u32 s67, s33, s14
	v_cndmask_b32_e64 v4, 0, 1, vcc
	v_lshlrev_b32_e32 v4, 2, v4
	v_cmp_gt_u32_e32 vcc, 62, v3
	v_add_lshl_u32 v36, v4, v2, 2
	s_addc_u32 s68, s66, s15
	v_cndmask_b32_e64 v4, 0, 1, vcc
	v_lshlrev_b32_e32 v4, 1, v4
	v_add_lshl_u32 v37, v4, v2, 2
	v_cmp_ne_u32_e32 vcc, 63, v3
	v_mad_i64_i32 v[4:5], s[14:15], s38, v27, 0
	s_nop 0
	v_addc_co_u32_e32 v2, vcc, 0, v2, vcc
	v_lshl_add_u64 v[12:13], v[4:5], 2, s[46:47]
	v_mad_i64_i32 v[4:5], s[14:15], s38, v26, 0
	v_lshlrev_b32_e32 v38, 2, v2
	v_mad_i64_i32 v[2:3], s[14:15], s38, v8, 0
	v_lshl_add_u64 v[14:15], v[4:5], 2, s[46:47]
	v_mad_i64_i32 v[4:5], s[14:15], s38, v1, 0
	s_add_u32 s14, s22, s44
	s_addc_u32 s15, s23, s45
	s_add_u32 s14, s14, s40
	v_lshlrev_b64 v[2:3], 2, v[2:3]
	s_addc_u32 s15, s15, s41
	v_cmp_ge_i32_e64 s[6:7], s24, v31
	v_cmp_ge_i32_e64 s[8:9], s24, v32
	v_cmp_eq_u32_e64 s[10:11], 0, v28
	v_lshlrev_b32_e32 v39, 2, v28
	v_and_b32_e32 v40, 12, v29
	v_cmp_eq_u32_e64 s[12:13], 0, v0
	v_lshl_add_u64 v[10:11], s[46:47], 0, v[2:3]
	v_lshl_add_u64 v[16:17], v[4:5], 2, s[46:47]
	;; [unrolled: 1-line block ×3, first 2 shown]
	s_lshl_b64 s[50:51], s[38:39], 2
	s_lshl_b64 s[52:53], s[36:37], 4
	;; [unrolled: 1-line block ×4, first 2 shown]
	s_mul_hi_i32 s59, s36, 12
	s_mul_i32 s58, s36, 12
	v_mov_b32_e32 v41, 0
	v_mov_b64_e32 v[20:21], v[6:7]
                                        ; implicit-def: $vgpr2_vgpr3_vgpr4_vgpr5
	s_branch .LBB41_14
.LBB41_13:                              ;   in Loop: Header=BB41_14 Depth=1
	s_or_b64 exec, exec, s[14:15]
	s_add_i32 s3, s3, 4
	s_cmp_ge_i32 s3, s35
	v_lshl_add_u64 v[20:21], v[20:21], 0, s[52:53]
	s_cbranch_scc1 .LBB41_60
.LBB41_14:                              ; =>This Loop Header: Depth=1
                                        ;     Child Loop BB41_45 Depth 2
                                        ;     Child Loop BB41_48 Depth 2
                                        ; implicit-def: $vgpr23
                                        ; implicit-def: $vgpr42
                                        ; implicit-def: $vgpr43
	s_and_saveexec_b64 s[14:15], s[6:7]
	s_xor_b64 s[14:15], exec, s[14:15]
	s_cbranch_execnz .LBB41_41
; %bb.15:                               ;   in Loop: Header=BB41_14 Depth=1
	s_andn2_saveexec_b64 s[60:61], s[14:15]
	s_cbranch_execnz .LBB41_42
.LBB41_16:                              ;   in Loop: Header=BB41_14 Depth=1
	s_or_b64 exec, exec, s[60:61]
	s_and_saveexec_b64 s[14:15], s[0:1]
	s_cbranch_execz .LBB41_18
.LBB41_17:                              ;   in Loop: Header=BB41_14 Depth=1
	ds_write_b32 v39, v41
.LBB41_18:                              ;   in Loop: Header=BB41_14 Depth=1
	s_or_b64 exec, exec, s[14:15]
	ds_bpermute_b32 v24, v33, v43
	s_waitcnt lgkmcnt(0)
	s_barrier
	v_add_f32_e32 v24, v43, v24
	ds_bpermute_b32 v25, v34, v24
	s_waitcnt lgkmcnt(0)
	v_add_f32_e32 v24, v24, v25
	ds_bpermute_b32 v25, v35, v24
	s_waitcnt lgkmcnt(0)
	;; [unrolled: 3-line block ×4, first 2 shown]
	v_add_f32_e32 v24, v24, v25
	ds_bpermute_b32 v25, v38, v24
	s_and_saveexec_b64 s[14:15], s[10:11]
	s_cbranch_execz .LBB41_20
; %bb.19:                               ;   in Loop: Header=BB41_14 Depth=1
	s_waitcnt lgkmcnt(0)
	v_add_f32_e32 v24, v24, v25
	ds_write_b32 v40, v24
.LBB41_20:                              ;   in Loop: Header=BB41_14 Depth=1
	s_or_b64 exec, exec, s[14:15]
	v_mov_b32_e32 v24, 0
	s_waitcnt lgkmcnt(0)
	s_barrier
	s_and_saveexec_b64 s[14:15], s[4:5]
	s_cbranch_execnz .LBB41_50
; %bb.21:                               ;   in Loop: Header=BB41_14 Depth=1
	s_or_b64 exec, exec, s[14:15]
	s_and_saveexec_b64 s[14:15], s[0:1]
	s_cbranch_execnz .LBB41_51
.LBB41_22:                              ;   in Loop: Header=BB41_14 Depth=1
	s_or_b64 exec, exec, s[14:15]
	s_and_saveexec_b64 s[14:15], s[0:1]
	s_cbranch_execz .LBB41_24
.LBB41_23:                              ;   in Loop: Header=BB41_14 Depth=1
	ds_write_b32 v39, v41
.LBB41_24:                              ;   in Loop: Header=BB41_14 Depth=1
	s_or_b64 exec, exec, s[14:15]
	ds_bpermute_b32 v25, v33, v42
	s_waitcnt lgkmcnt(0)
	s_barrier
	v_add_f32_e32 v25, v42, v25
	ds_bpermute_b32 v42, v34, v25
	s_waitcnt lgkmcnt(0)
	v_add_f32_e32 v25, v25, v42
	ds_bpermute_b32 v42, v35, v25
	s_waitcnt lgkmcnt(0)
	;; [unrolled: 3-line block ×4, first 2 shown]
	v_add_f32_e32 v25, v25, v42
	ds_bpermute_b32 v42, v38, v25
	s_and_saveexec_b64 s[14:15], s[10:11]
	s_cbranch_execz .LBB41_26
; %bb.25:                               ;   in Loop: Header=BB41_14 Depth=1
	s_waitcnt lgkmcnt(0)
	v_add_f32_e32 v25, v25, v42
	ds_write_b32 v40, v25
.LBB41_26:                              ;   in Loop: Header=BB41_14 Depth=1
	s_or_b64 exec, exec, s[14:15]
	v_mov_b32_e32 v25, 0
	s_waitcnt lgkmcnt(0)
	s_barrier
	s_and_saveexec_b64 s[14:15], s[4:5]
	s_cbranch_execnz .LBB41_52
; %bb.27:                               ;   in Loop: Header=BB41_14 Depth=1
	s_or_b64 exec, exec, s[14:15]
	s_and_saveexec_b64 s[14:15], s[0:1]
	s_cbranch_execnz .LBB41_53
.LBB41_28:                              ;   in Loop: Header=BB41_14 Depth=1
	s_or_b64 exec, exec, s[14:15]
	s_and_saveexec_b64 s[14:15], s[0:1]
	s_cbranch_execz .LBB41_30
.LBB41_29:                              ;   in Loop: Header=BB41_14 Depth=1
	ds_write_b32 v39, v41
.LBB41_30:                              ;   in Loop: Header=BB41_14 Depth=1
	s_or_b64 exec, exec, s[14:15]
	ds_bpermute_b32 v42, v33, v22
	s_waitcnt lgkmcnt(0)
	s_barrier
	v_add_f32_e32 v22, v22, v42
	ds_bpermute_b32 v42, v34, v22
	s_waitcnt lgkmcnt(0)
	v_add_f32_e32 v22, v22, v42
	ds_bpermute_b32 v42, v35, v22
	s_waitcnt lgkmcnt(0)
	;; [unrolled: 3-line block ×4, first 2 shown]
	v_add_f32_e32 v22, v22, v42
	ds_bpermute_b32 v42, v38, v22
	s_and_saveexec_b64 s[14:15], s[10:11]
	s_cbranch_execz .LBB41_32
; %bb.31:                               ;   in Loop: Header=BB41_14 Depth=1
	s_waitcnt lgkmcnt(0)
	v_add_f32_e32 v22, v22, v42
	ds_write_b32 v40, v22
.LBB41_32:                              ;   in Loop: Header=BB41_14 Depth=1
	s_or_b64 exec, exec, s[14:15]
	v_mov_b32_e32 v22, 0
	s_waitcnt lgkmcnt(0)
	s_barrier
	s_and_saveexec_b64 s[14:15], s[4:5]
	s_cbranch_execnz .LBB41_54
; %bb.33:                               ;   in Loop: Header=BB41_14 Depth=1
	s_or_b64 exec, exec, s[14:15]
	s_and_saveexec_b64 s[14:15], s[0:1]
	s_cbranch_execnz .LBB41_55
.LBB41_34:                              ;   in Loop: Header=BB41_14 Depth=1
	s_or_b64 exec, exec, s[14:15]
	s_and_saveexec_b64 s[14:15], s[0:1]
	s_cbranch_execz .LBB41_36
.LBB41_35:                              ;   in Loop: Header=BB41_14 Depth=1
	ds_write_b32 v39, v41
.LBB41_36:                              ;   in Loop: Header=BB41_14 Depth=1
	s_or_b64 exec, exec, s[14:15]
	ds_bpermute_b32 v42, v33, v23
	s_waitcnt lgkmcnt(0)
	s_barrier
	v_add_f32_e32 v23, v23, v42
	ds_bpermute_b32 v42, v34, v23
	s_waitcnt lgkmcnt(0)
	v_add_f32_e32 v23, v23, v42
	ds_bpermute_b32 v42, v35, v23
	s_waitcnt lgkmcnt(0)
	;; [unrolled: 3-line block ×4, first 2 shown]
	v_add_f32_e32 v23, v23, v42
	ds_bpermute_b32 v42, v38, v23
	s_and_saveexec_b64 s[14:15], s[10:11]
	s_cbranch_execz .LBB41_38
; %bb.37:                               ;   in Loop: Header=BB41_14 Depth=1
	s_waitcnt lgkmcnt(0)
	v_add_f32_e32 v23, v23, v42
	ds_write_b32 v40, v23
.LBB41_38:                              ;   in Loop: Header=BB41_14 Depth=1
	s_or_b64 exec, exec, s[14:15]
	v_mov_b32_e32 v23, 0
	s_waitcnt lgkmcnt(0)
	s_barrier
	s_and_saveexec_b64 s[14:15], s[4:5]
	s_cbranch_execnz .LBB41_56
; %bb.39:                               ;   in Loop: Header=BB41_14 Depth=1
	s_or_b64 exec, exec, s[14:15]
	s_and_saveexec_b64 s[14:15], s[0:1]
	s_cbranch_execnz .LBB41_57
.LBB41_40:                              ;   in Loop: Header=BB41_14 Depth=1
	s_or_b64 exec, exec, s[14:15]
	s_and_saveexec_b64 s[14:15], s[12:13]
	s_cbranch_execz .LBB41_13
	s_branch .LBB41_58
.LBB41_41:                              ;   in Loop: Header=BB41_14 Depth=1
	s_mul_i32 s16, s3, s37
	s_mul_hi_u32 s17, s3, s36
	s_add_i32 s17, s17, s16
	s_mul_i32 s16, s3, s36
	v_lshl_add_u64 v[42:43], s[16:17], 2, v[6:7]
	s_or_b32 s16, s3, 1
	s_mul_i32 s17, s16, s37
	s_mul_hi_u32 s18, s16, s36
	s_add_i32 s17, s18, s17
	s_mul_i32 s16, s16, s36
	v_lshl_add_u64 v[46:47], s[16:17], 2, v[6:7]
	s_or_b32 s16, s3, 2
	s_mul_i32 s17, s16, s37
	s_mul_hi_u32 s18, s16, s36
	s_add_i32 s17, s18, s17
	s_mul_i32 s16, s16, s36
	s_waitcnt lgkmcnt(0)
	v_lshl_add_u64 v[22:23], s[16:17], 2, v[6:7]
	s_or_b32 s16, s3, 3
	s_mul_i32 s17, s16, s37
	s_mul_hi_u32 s18, s16, s36
	s_add_i32 s17, s18, s17
	s_mul_i32 s16, s16, s36
	v_lshl_add_u64 v[50:51], s[16:17], 2, v[6:7]
	global_load_dword v2, v[10:11], off
	global_load_dword v3, v[12:13], off
	;; [unrolled: 1-line block ×4, first 2 shown]
	s_nop 0
	global_load_dwordx4 v[22:25], v[22:23], off
	s_nop 0
	global_load_dwordx4 v[42:45], v[42:43], off
	s_waitcnt vmcnt(1)
	v_mul_f32_e32 v22, v2, v22
	global_load_dwordx4 v[46:49], v[46:47], off
	s_waitcnt vmcnt(1)
	v_pk_mul_f32 v[42:43], v[2:3], v[42:43]
	global_load_dwordx4 v[50:53], v[50:51], off
	v_add_f32_e32 v42, 0, v42
	v_mul_f32_e32 v54, v3, v23
	v_pk_mul_f32 v[44:45], v[4:5], v[44:45]
	v_add_f32_e32 v42, v42, v43
	v_mul_f32_e32 v24, v4, v24
	v_mul_f32_e32 v56, v5, v25
	v_add_f32_e32 v42, v42, v44
	s_waitcnt vmcnt(1)
	v_pk_mul_f32 v[46:47], v[2:3], v[46:47]
	s_nop 0
	v_add_f32_e32 v43, 0, v46
	s_waitcnt vmcnt(0)
	v_pk_mul_f32 v[50:51], v[2:3], v[50:51]
	v_pk_mul_f32 v[52:53], v[4:5], v[52:53]
	v_mov_b32_e32 v23, v50
	v_mov_b32_e32 v55, v51
	v_pk_add_f32 v[22:23], v[22:23], 0 op_sel_hi:[1,0]
	v_pk_mul_f32 v[48:49], v[4:5], v[48:49]
	v_mov_b32_e32 v25, v52
	v_add_f32_e32 v46, v43, v47
	v_pk_add_f32 v[22:23], v[22:23], v[54:55]
	v_add_f32_e32 v43, v42, v45
	v_add_f32_e32 v42, v46, v48
	v_pk_add_f32 v[22:23], v[22:23], v[24:25]
	v_mov_b32_e32 v57, v53
	v_add_f32_e32 v42, v42, v49
	v_pk_add_f32 v[22:23], v[22:23], v[56:57]
	s_andn2_saveexec_b64 s[60:61], s[14:15]
	s_cbranch_execz .LBB41_16
.LBB41_42:                              ;   in Loop: Header=BB41_14 Depth=1
	s_waitcnt lgkmcnt(0)
	v_mov_b32_e32 v23, 0
	v_mov_b32_e32 v22, 0
	;; [unrolled: 1-line block ×4, first 2 shown]
	s_and_saveexec_b64 s[62:63], s[8:9]
	s_cbranch_execz .LBB41_49
; %bb.43:                               ;   in Loop: Header=BB41_14 Depth=1
	v_cndmask_b32_e64 v22, 0, 1, s[48:49]
	v_cmp_ne_u32_e64 s[14:15], 1, v22
	s_andn2_b64 vcc, exec, s[48:49]
	s_cbranch_vccnz .LBB41_46
; %bb.44:                               ;   in Loop: Header=BB41_14 Depth=1
	s_mov_b64 s[64:65], 0
	v_mov_b64_e32 v[22:23], v[18:19]
.LBB41_45:                              ;   Parent Loop BB41_14 Depth=1
                                        ; =>  This Inner Loop Header: Depth=2
	global_load_dword v24, v[22:23], off
	s_cmp_eq_u32 s64, 3
	s_cselect_b64 vcc, -1, 0
	s_cmp_eq_u32 s64, 2
	s_cselect_b64 s[16:17], -1, 0
	s_cmp_eq_u32 s64, 1
	s_cselect_b64 s[18:19], -1, 0
	;; [unrolled: 2-line block ×3, first 2 shown]
	s_add_u32 s64, s64, 1
	s_addc_u32 s65, s65, 0
	v_lshl_add_u64 v[22:23], v[22:23], 0, s[50:51]
	s_cmp_eq_u32 s27, s64
	s_waitcnt vmcnt(0)
	v_cndmask_b32_e32 v5, v5, v24, vcc
	v_cndmask_b32_e64 v4, v4, v24, s[16:17]
	v_cndmask_b32_e64 v3, v3, v24, s[18:19]
	v_cndmask_b32_e64 v2, v2, v24, s[20:21]
	s_cbranch_scc0 .LBB41_45
.LBB41_46:                              ;   in Loop: Header=BB41_14 Depth=1
	s_and_b64 vcc, exec, s[14:15]
	v_mov_b32_e32 v23, 0
	v_mov_b32_e32 v22, 0
	;; [unrolled: 1-line block ×4, first 2 shown]
	s_cbranch_vccnz .LBB41_49
; %bb.47:                               ;   in Loop: Header=BB41_14 Depth=1
	v_mov_b32_e32 v43, 0
	s_mov_b64 s[14:15], 0
	v_mov_b64_e32 v[24:25], v[20:21]
	v_mov_b32_e32 v42, 0
	v_mov_b32_e32 v22, 0
	v_mov_b32_e32 v23, v43
.LBB41_48:                              ;   Parent Loop BB41_14 Depth=1
                                        ; =>  This Inner Loop Header: Depth=2
	v_lshl_add_u64 v[44:45], v[24:25], 0, s[54:55]
	v_lshl_add_u64 v[46:47], v[24:25], 0, s[56:57]
	global_load_dword v50, v[24:25], off
	v_lshl_add_u64 v[48:49], v[24:25], 0, s[58:59]
	global_load_dword v44, v[44:45], off
	s_nop 0
	global_load_dword v45, v[46:47], off
	s_nop 0
	global_load_dword v46, v[48:49], off
	s_cmp_eq_u32 s14, 1
	s_cselect_b64 vcc, -1, 0
	s_cmp_eq_u32 s14, 2
	v_cndmask_b32_e32 v47, v2, v3, vcc
	s_cselect_b64 vcc, -1, 0
	s_cmp_eq_u32 s14, 3
	v_cndmask_b32_e32 v47, v47, v4, vcc
	s_cselect_b64 vcc, -1, 0
	s_add_u32 s14, s14, 1
	v_cndmask_b32_e32 v47, v47, v5, vcc
	s_addc_u32 s15, s15, 0
	v_lshl_add_u64 v[24:25], v[24:25], 0, 4
	s_cmp_lg_u32 s27, s14
	s_waitcnt vmcnt(2)
	v_fmac_f32_e32 v42, v47, v44
	v_fmac_f32_e32 v43, v47, v50
	s_waitcnt vmcnt(1)
	v_fmac_f32_e32 v22, v47, v45
	s_waitcnt vmcnt(0)
	v_fmac_f32_e32 v23, v47, v46
	s_cbranch_scc1 .LBB41_48
.LBB41_49:                              ;   in Loop: Header=BB41_14 Depth=1
	s_or_b64 exec, exec, s[62:63]
	s_or_b64 exec, exec, s[60:61]
	s_and_saveexec_b64 s[14:15], s[0:1]
	s_cbranch_execnz .LBB41_17
	s_branch .LBB41_18
.LBB41_50:                              ;   in Loop: Header=BB41_14 Depth=1
	ds_read_b32 v24, v39
	s_or_b64 exec, exec, s[14:15]
	s_and_saveexec_b64 s[14:15], s[0:1]
	s_cbranch_execz .LBB41_22
.LBB41_51:                              ;   in Loop: Header=BB41_14 Depth=1
	s_waitcnt lgkmcnt(0)
	ds_bpermute_b32 v25, v37, v24
	s_waitcnt lgkmcnt(0)
	v_add_f32_e32 v24, v24, v25
	ds_bpermute_b32 v25, v38, v24
	s_waitcnt lgkmcnt(0)
	v_add_f32_e32 v24, v24, v25
	s_or_b64 exec, exec, s[14:15]
	s_and_saveexec_b64 s[14:15], s[0:1]
	s_cbranch_execnz .LBB41_23
	s_branch .LBB41_24
.LBB41_52:                              ;   in Loop: Header=BB41_14 Depth=1
	ds_read_b32 v25, v39
	s_or_b64 exec, exec, s[14:15]
	s_and_saveexec_b64 s[14:15], s[0:1]
	s_cbranch_execz .LBB41_28
.LBB41_53:                              ;   in Loop: Header=BB41_14 Depth=1
	s_waitcnt lgkmcnt(0)
	ds_bpermute_b32 v42, v37, v25
	s_waitcnt lgkmcnt(0)
	v_add_f32_e32 v25, v25, v42
	ds_bpermute_b32 v42, v38, v25
	s_waitcnt lgkmcnt(0)
	v_add_f32_e32 v25, v25, v42
	s_or_b64 exec, exec, s[14:15]
	s_and_saveexec_b64 s[14:15], s[0:1]
	s_cbranch_execnz .LBB41_29
	s_branch .LBB41_30
.LBB41_54:                              ;   in Loop: Header=BB41_14 Depth=1
	ds_read_b32 v22, v39
	s_or_b64 exec, exec, s[14:15]
	s_and_saveexec_b64 s[14:15], s[0:1]
	s_cbranch_execz .LBB41_34
.LBB41_55:                              ;   in Loop: Header=BB41_14 Depth=1
	s_waitcnt lgkmcnt(0)
	ds_bpermute_b32 v42, v37, v22
	s_waitcnt lgkmcnt(0)
	v_add_f32_e32 v22, v22, v42
	ds_bpermute_b32 v42, v38, v22
	s_waitcnt lgkmcnt(0)
	v_add_f32_e32 v22, v22, v42
	s_or_b64 exec, exec, s[14:15]
	s_and_saveexec_b64 s[14:15], s[0:1]
	s_cbranch_execnz .LBB41_35
	s_branch .LBB41_36
.LBB41_56:                              ;   in Loop: Header=BB41_14 Depth=1
	ds_read_b32 v23, v39
	s_or_b64 exec, exec, s[14:15]
	s_and_saveexec_b64 s[14:15], s[0:1]
	s_cbranch_execz .LBB41_40
.LBB41_57:                              ;   in Loop: Header=BB41_14 Depth=1
	s_waitcnt lgkmcnt(0)
	ds_bpermute_b32 v42, v37, v23
	s_waitcnt lgkmcnt(0)
	v_add_f32_e32 v23, v23, v42
	ds_bpermute_b32 v42, v38, v23
	s_waitcnt lgkmcnt(0)
	v_add_f32_e32 v23, v23, v42
	s_or_b64 exec, exec, s[14:15]
	s_and_saveexec_b64 s[14:15], s[12:13]
	s_cbranch_execz .LBB41_13
.LBB41_58:                              ;   in Loop: Header=BB41_14 Depth=1
	s_mul_hi_u32 s17, s3, s34
	s_mul_i32 s16, s3, s34
	s_lshl_b64 s[16:17], s[16:17], 2
	s_add_u32 s16, s67, s16
	v_mul_f32_e32 v24, s26, v24
	s_addc_u32 s17, s68, s17
	global_store_dword v41, v24, s[16:17]
	s_or_b32 s16, s3, 1
	s_mul_hi_u32 s17, s16, s34
	s_mul_i32 s16, s16, s34
	s_lshl_b64 s[16:17], s[16:17], 2
	s_add_u32 s16, s67, s16
	v_mul_f32_e32 v24, s26, v25
	s_addc_u32 s17, s68, s17
	global_store_dword v41, v24, s[16:17]
	s_or_b32 s16, s3, 2
	s_mul_hi_u32 s17, s16, s34
	s_mul_i32 s16, s16, s34
	s_lshl_b64 s[16:17], s[16:17], 2
	s_add_u32 s16, s67, s16
	v_mul_f32_e32 v22, s26, v22
	s_addc_u32 s17, s68, s17
	global_store_dword v41, v22, s[16:17]
	s_or_b32 s16, s3, 3
	s_mul_hi_u32 s17, s16, s34
	s_mul_i32 s16, s16, s34
	s_lshl_b64 s[16:17], s[16:17], 2
	s_add_u32 s16, s67, s16
	s_waitcnt lgkmcnt(0)
	v_mul_f32_e32 v22, s26, v23
	s_addc_u32 s17, s68, s17
	global_store_dword v41, v22, s[16:17]
	s_branch .LBB41_13
.LBB41_59:
	s_mov_b32 s3, 0
                                        ; implicit-def: $vgpr2_vgpr3_vgpr4_vgpr5
.LBB41_60:
	s_cmp_ge_i32 s3, s25
	s_cbranch_scc1 .LBB41_84
; %bb.61:
	v_mbcnt_hi_u32_b32 v10, -1, v30
	v_and_b32_e32 v11, 63, v10
	v_cmp_gt_u32_e32 vcc, 32, v11
	s_mov_b32 s49, 0
	s_cmp_gt_i32 s27, 0
	v_cndmask_b32_e64 v12, 0, 1, vcc
	v_lshlrev_b32_e32 v12, 5, v12
	v_cmp_gt_u32_e32 vcc, 48, v11
	s_waitcnt lgkmcnt(0)
	v_add_lshl_u32 v23, v12, v10, 2
	s_mov_b32 s48, s2
	v_cndmask_b32_e64 v12, 0, 1, vcc
	v_lshlrev_b32_e32 v12, 4, v12
	v_cmp_gt_u32_e32 vcc, 56, v11
	v_add_lshl_u32 v24, v12, v10, 2
	s_cselect_b64 s[50:51], -1, 0
	v_cndmask_b32_e64 v12, 0, 1, vcc
	v_lshlrev_b32_e32 v12, 3, v12
	v_cmp_gt_u32_e32 vcc, 60, v11
	v_add_lshl_u32 v25, v12, v10, 2
	s_lshl_b64 s[14:15], s[48:49], 2
	v_cndmask_b32_e64 v12, 0, 1, vcc
	v_lshlrev_b32_e32 v12, 2, v12
	v_cmp_gt_u32_e32 vcc, 62, v11
	v_add_lshl_u32 v30, v12, v10, 2
	v_cmp_ge_i32_e64 s[0:1], s24, v31
	v_cndmask_b32_e64 v12, 0, 1, vcc
	v_lshlrev_b32_e32 v12, 1, v12
	v_cmp_ne_u32_e32 vcc, 63, v11
	v_add_lshl_u32 v31, v12, v10, 2
	s_add_u32 s2, s33, s14
	v_addc_co_u32_e32 v10, vcc, 0, v10, vcc
	v_cmp_ge_i32_e64 s[4:5], s24, v32
	v_cmp_gt_u32_e64 s[6:7], 64, v0
	v_lshlrev_b32_e32 v32, 2, v10
	v_cmp_gt_u32_e64 s[10:11], 4, v0
	v_cmp_eq_u32_e64 s[12:13], 0, v0
	s_addc_u32 s24, s66, s15
	v_mad_i64_i32 v[10:11], s[14:15], s38, v8, 0
	v_mad_i64_i32 v[12:13], s[14:15], s38, v27, 0
	;; [unrolled: 1-line block ×4, first 2 shown]
	s_add_u32 s14, s22, s44
	s_addc_u32 s15, s23, s45
	s_add_u32 s14, s14, s40
	v_lshlrev_b64 v[18:19], 2, v[10:11]
	s_addc_u32 s15, s15, s41
	v_lshl_add_u64 v[10:11], s[46:47], 0, v[18:19]
	v_lshl_add_u64 v[18:19], s[14:15], 0, v[18:19]
	s_mul_i32 s14, s37, s3
	s_mul_hi_u32 s15, s36, s3
	s_add_i32 s15, s15, s14
	s_mul_i32 s14, s36, s3
	s_lshl_b64 s[22:23], s[38:39], 2
	s_lshl_b64 s[14:15], s[14:15], 2
	s_add_u32 s14, s42, s14
	s_addc_u32 s15, s43, s15
	s_add_u32 s14, s14, s30
	s_addc_u32 s15, s15, s31
	;; [unrolled: 2-line block ×3, first 2 shown]
	v_lshlrev_b32_e32 v22, 2, v28
	v_cmp_eq_u32_e64 s[8:9], 0, v28
	v_and_b32_e32 v28, 12, v29
	v_lshl_add_u64 v[12:13], v[12:13], 2, s[46:47]
	v_lshl_add_u64 v[14:15], v[14:15], 2, s[46:47]
	v_lshl_add_u64 v[16:17], v[0:1], 2, s[46:47]
	v_lshl_add_u64 v[8:9], v[8:9], 2, s[14:15]
	s_lshl_b64 s[28:29], s[36:37], 2
	v_mov_b32_e32 v1, 0
	s_branch .LBB41_63
.LBB41_62:                              ;   in Loop: Header=BB41_63 Depth=1
	s_or_b64 exec, exec, s[14:15]
	s_add_i32 s3, s3, 1
	s_cmp_ge_i32 s3, s25
	v_lshl_add_u64 v[8:9], v[8:9], 0, s[28:29]
	s_cbranch_scc1 .LBB41_84
.LBB41_63:                              ; =>This Loop Header: Depth=1
                                        ;     Child Loop BB41_76 Depth 2
                                        ;     Child Loop BB41_79 Depth 2
	s_waitcnt lgkmcnt(0)
	v_mov_b32_e32 v0, s49
	s_and_saveexec_b64 s[14:15], s[0:1]
	s_xor_b64 s[14:15], exec, s[14:15]
	s_cbranch_execnz .LBB41_72
; %bb.64:                               ;   in Loop: Header=BB41_63 Depth=1
	s_andn2_saveexec_b64 s[30:31], s[14:15]
	s_cbranch_execnz .LBB41_73
.LBB41_65:                              ;   in Loop: Header=BB41_63 Depth=1
	s_or_b64 exec, exec, s[30:31]
	s_and_saveexec_b64 s[14:15], s[6:7]
	s_cbranch_execz .LBB41_67
.LBB41_66:                              ;   in Loop: Header=BB41_63 Depth=1
	ds_write_b32 v22, v1
.LBB41_67:                              ;   in Loop: Header=BB41_63 Depth=1
	s_or_b64 exec, exec, s[14:15]
	ds_bpermute_b32 v20, v23, v0
	s_waitcnt lgkmcnt(0)
	s_barrier
	v_add_f32_e32 v0, v0, v20
	ds_bpermute_b32 v20, v24, v0
	s_waitcnt lgkmcnt(0)
	v_add_f32_e32 v0, v0, v20
	ds_bpermute_b32 v20, v25, v0
	s_waitcnt lgkmcnt(0)
	;; [unrolled: 3-line block ×4, first 2 shown]
	v_add_f32_e32 v0, v0, v20
	ds_bpermute_b32 v20, v32, v0
	s_and_saveexec_b64 s[14:15], s[8:9]
	s_cbranch_execz .LBB41_69
; %bb.68:                               ;   in Loop: Header=BB41_63 Depth=1
	s_waitcnt lgkmcnt(0)
	v_add_f32_e32 v0, v0, v20
	ds_write_b32 v28, v0
.LBB41_69:                              ;   in Loop: Header=BB41_63 Depth=1
	s_or_b64 exec, exec, s[14:15]
	v_mov_b32_e32 v0, 0
	s_waitcnt lgkmcnt(0)
	s_barrier
	s_and_saveexec_b64 s[14:15], s[10:11]
	s_cbranch_execnz .LBB41_81
; %bb.70:                               ;   in Loop: Header=BB41_63 Depth=1
	s_or_b64 exec, exec, s[14:15]
	s_and_saveexec_b64 s[14:15], s[6:7]
	s_cbranch_execnz .LBB41_82
.LBB41_71:                              ;   in Loop: Header=BB41_63 Depth=1
	s_or_b64 exec, exec, s[14:15]
	s_and_saveexec_b64 s[14:15], s[12:13]
	s_cbranch_execz .LBB41_62
	s_branch .LBB41_83
.LBB41_72:                              ;   in Loop: Header=BB41_63 Depth=1
	s_mul_i32 s16, s3, s37
	s_mul_hi_u32 s17, s3, s36
	s_add_i32 s17, s17, s16
	s_mul_i32 s16, s3, s36
	v_lshl_add_u64 v[20:21], s[16:17], 2, v[6:7]
	global_load_dwordx4 v[34:37], v[20:21], off
	global_load_dword v2, v[10:11], off
	global_load_dword v3, v[12:13], off
	;; [unrolled: 1-line block ×4, first 2 shown]
	s_waitcnt vmcnt(3)
	v_fma_f32 v0, v2, v34, 0
	s_waitcnt vmcnt(2)
	v_fmac_f32_e32 v0, v3, v35
	s_waitcnt vmcnt(1)
	v_fmac_f32_e32 v0, v4, v36
	;; [unrolled: 2-line block ×3, first 2 shown]
	s_andn2_saveexec_b64 s[30:31], s[14:15]
	s_cbranch_execz .LBB41_65
.LBB41_73:                              ;   in Loop: Header=BB41_63 Depth=1
	s_and_saveexec_b64 s[38:39], s[4:5]
	s_cbranch_execz .LBB41_80
; %bb.74:                               ;   in Loop: Header=BB41_63 Depth=1
	v_cndmask_b32_e64 v20, 0, 1, s[50:51]
	v_cmp_ne_u32_e64 s[14:15], 1, v20
	s_andn2_b64 vcc, exec, s[50:51]
	s_cbranch_vccnz .LBB41_77
; %bb.75:                               ;   in Loop: Header=BB41_63 Depth=1
	s_mov_b64 s[40:41], 0
	v_mov_b64_e32 v[20:21], v[18:19]
.LBB41_76:                              ;   Parent Loop BB41_63 Depth=1
                                        ; =>  This Inner Loop Header: Depth=2
	global_load_dword v26, v[20:21], off
	s_cmp_eq_u32 s40, 3
	s_cselect_b64 vcc, -1, 0
	s_cmp_eq_u32 s40, 2
	s_cselect_b64 s[16:17], -1, 0
	s_cmp_eq_u32 s40, 1
	s_cselect_b64 s[18:19], -1, 0
	;; [unrolled: 2-line block ×3, first 2 shown]
	s_add_u32 s40, s40, 1
	s_addc_u32 s41, s41, 0
	v_lshl_add_u64 v[20:21], v[20:21], 0, s[22:23]
	s_cmp_eq_u32 s27, s40
	s_waitcnt vmcnt(0)
	v_cndmask_b32_e32 v5, v5, v26, vcc
	v_cndmask_b32_e64 v4, v4, v26, s[16:17]
	v_cndmask_b32_e64 v3, v3, v26, s[18:19]
	;; [unrolled: 1-line block ×3, first 2 shown]
	s_cbranch_scc0 .LBB41_76
.LBB41_77:                              ;   in Loop: Header=BB41_63 Depth=1
	s_and_b64 vcc, exec, s[14:15]
	s_cbranch_vccnz .LBB41_80
; %bb.78:                               ;   in Loop: Header=BB41_63 Depth=1
	s_mov_b64 s[14:15], 0
	v_mov_b64_e32 v[20:21], v[8:9]
.LBB41_79:                              ;   Parent Loop BB41_63 Depth=1
                                        ; =>  This Inner Loop Header: Depth=2
	global_load_dword v26, v[20:21], off
	s_cmp_eq_u32 s14, 1
	s_cselect_b64 vcc, -1, 0
	s_cmp_eq_u32 s14, 2
	v_cndmask_b32_e32 v27, v2, v3, vcc
	s_cselect_b64 vcc, -1, 0
	s_cmp_eq_u32 s14, 3
	v_cndmask_b32_e32 v27, v27, v4, vcc
	s_cselect_b64 vcc, -1, 0
	s_add_u32 s14, s14, 1
	v_cndmask_b32_e32 v27, v27, v5, vcc
	s_addc_u32 s15, s15, 0
	v_lshl_add_u64 v[20:21], v[20:21], 0, 4
	s_cmp_lg_u32 s27, s14
	s_waitcnt vmcnt(0)
	v_fmac_f32_e32 v0, v27, v26
	s_cbranch_scc1 .LBB41_79
.LBB41_80:                              ;   in Loop: Header=BB41_63 Depth=1
	s_or_b64 exec, exec, s[38:39]
	s_or_b64 exec, exec, s[30:31]
	s_and_saveexec_b64 s[14:15], s[6:7]
	s_cbranch_execnz .LBB41_66
	s_branch .LBB41_67
.LBB41_81:                              ;   in Loop: Header=BB41_63 Depth=1
	ds_read_b32 v0, v22
	s_or_b64 exec, exec, s[14:15]
	s_and_saveexec_b64 s[14:15], s[6:7]
	s_cbranch_execz .LBB41_71
.LBB41_82:                              ;   in Loop: Header=BB41_63 Depth=1
	s_waitcnt lgkmcnt(0)
	ds_bpermute_b32 v20, v31, v0
	s_waitcnt lgkmcnt(0)
	v_add_f32_e32 v0, v0, v20
	ds_bpermute_b32 v20, v32, v0
	s_waitcnt lgkmcnt(0)
	v_add_f32_e32 v0, v0, v20
	s_or_b64 exec, exec, s[14:15]
	s_and_saveexec_b64 s[14:15], s[12:13]
	s_cbranch_execz .LBB41_62
.LBB41_83:                              ;   in Loop: Header=BB41_63 Depth=1
	s_mul_hi_u32 s17, s3, s34
	s_mul_i32 s16, s3, s34
	s_lshl_b64 s[16:17], s[16:17], 2
	s_add_u32 s16, s2, s16
	s_waitcnt lgkmcnt(0)
	v_mul_f32_e32 v0, s26, v0
	s_addc_u32 s17, s24, s17
	global_store_dword v1, v0, s[16:17]
	s_branch .LBB41_62
.LBB41_84:
	s_endpgm
	.section	.rodata,"a",@progbits
	.p2align	6, 0x0
	.amdhsa_kernel _ZL23rocblas_gemvt_sn_kernelILb1ELi256ELi4ElfffEviiT4_lPKT3_lilS3_lilPT5_i
		.amdhsa_group_segment_fixed_size 256
		.amdhsa_private_segment_fixed_size 0
		.amdhsa_kernarg_size 360
		.amdhsa_user_sgpr_count 2
		.amdhsa_user_sgpr_dispatch_ptr 0
		.amdhsa_user_sgpr_queue_ptr 0
		.amdhsa_user_sgpr_kernarg_segment_ptr 1
		.amdhsa_user_sgpr_dispatch_id 0
		.amdhsa_user_sgpr_kernarg_preload_length 0
		.amdhsa_user_sgpr_kernarg_preload_offset 0
		.amdhsa_user_sgpr_private_segment_size 0
		.amdhsa_uses_dynamic_stack 0
		.amdhsa_enable_private_segment 0
		.amdhsa_system_sgpr_workgroup_id_x 1
		.amdhsa_system_sgpr_workgroup_id_y 0
		.amdhsa_system_sgpr_workgroup_id_z 1
		.amdhsa_system_sgpr_workgroup_info 0
		.amdhsa_system_vgpr_workitem_id 0
		.amdhsa_next_free_vgpr 58
		.amdhsa_next_free_sgpr 69
		.amdhsa_accum_offset 60
		.amdhsa_reserve_vcc 1
		.amdhsa_float_round_mode_32 0
		.amdhsa_float_round_mode_16_64 0
		.amdhsa_float_denorm_mode_32 3
		.amdhsa_float_denorm_mode_16_64 3
		.amdhsa_dx10_clamp 1
		.amdhsa_ieee_mode 1
		.amdhsa_fp16_overflow 0
		.amdhsa_tg_split 0
		.amdhsa_exception_fp_ieee_invalid_op 0
		.amdhsa_exception_fp_denorm_src 0
		.amdhsa_exception_fp_ieee_div_zero 0
		.amdhsa_exception_fp_ieee_overflow 0
		.amdhsa_exception_fp_ieee_underflow 0
		.amdhsa_exception_fp_ieee_inexact 0
		.amdhsa_exception_int_div_zero 0
	.end_amdhsa_kernel
	.section	.text._ZL23rocblas_gemvt_sn_kernelILb1ELi256ELi4ElfffEviiT4_lPKT3_lilS3_lilPT5_i,"axG",@progbits,_ZL23rocblas_gemvt_sn_kernelILb1ELi256ELi4ElfffEviiT4_lPKT3_lilS3_lilPT5_i,comdat
.Lfunc_end41:
	.size	_ZL23rocblas_gemvt_sn_kernelILb1ELi256ELi4ElfffEviiT4_lPKT3_lilS3_lilPT5_i, .Lfunc_end41-_ZL23rocblas_gemvt_sn_kernelILb1ELi256ELi4ElfffEviiT4_lPKT3_lilS3_lilPT5_i
                                        ; -- End function
	.section	.AMDGPU.csdata,"",@progbits
; Kernel info:
; codeLenInByte = 3992
; NumSgprs: 75
; NumVgprs: 58
; NumAgprs: 0
; TotalNumVgprs: 58
; ScratchSize: 0
; MemoryBound: 0
; FloatMode: 240
; IeeeMode: 1
; LDSByteSize: 256 bytes/workgroup (compile time only)
; SGPRBlocks: 9
; VGPRBlocks: 7
; NumSGPRsForWavesPerEU: 75
; NumVGPRsForWavesPerEU: 58
; AccumOffset: 60
; Occupancy: 8
; WaveLimiterHint : 1
; COMPUTE_PGM_RSRC2:SCRATCH_EN: 0
; COMPUTE_PGM_RSRC2:USER_SGPR: 2
; COMPUTE_PGM_RSRC2:TRAP_HANDLER: 0
; COMPUTE_PGM_RSRC2:TGID_X_EN: 1
; COMPUTE_PGM_RSRC2:TGID_Y_EN: 0
; COMPUTE_PGM_RSRC2:TGID_Z_EN: 1
; COMPUTE_PGM_RSRC2:TIDIG_COMP_CNT: 0
; COMPUTE_PGM_RSRC3_GFX90A:ACCUM_OFFSET: 14
; COMPUTE_PGM_RSRC3_GFX90A:TG_SPLIT: 0
	.section	.text._ZL36rocblas_gemvt_double_buffered_kernelILb1ELi128ELi8ELi8EfPKffEviiT4_lPKT3_lilS5_lilPT5_lili,"axG",@progbits,_ZL36rocblas_gemvt_double_buffered_kernelILb1ELi128ELi8ELi8EfPKffEviiT4_lPKT3_lilS5_lilPT5_lili,comdat
	.globl	_ZL36rocblas_gemvt_double_buffered_kernelILb1ELi128ELi8ELi8EfPKffEviiT4_lPKT3_lilS5_lilPT5_lili ; -- Begin function _ZL36rocblas_gemvt_double_buffered_kernelILb1ELi128ELi8ELi8EfPKffEviiT4_lPKT3_lilS5_lilPT5_lili
	.p2align	8
	.type	_ZL36rocblas_gemvt_double_buffered_kernelILb1ELi128ELi8ELi8EfPKffEviiT4_lPKT3_lilS5_lilPT5_lili,@function
_ZL36rocblas_gemvt_double_buffered_kernelILb1ELi128ELi8ELi8EfPKffEviiT4_lPKT3_lilS5_lilPT5_lili: ; @_ZL36rocblas_gemvt_double_buffered_kernelILb1ELi128ELi8ELi8EfPKffEviiT4_lPKT3_lilS5_lilPT5_lili
; %bb.0:
	s_load_dwordx8 s[8:15], s[0:1], 0x8
	s_waitcnt lgkmcnt(0)
	s_mul_i32 s5, s4, s11
	s_mul_hi_u32 s6, s4, s10
	s_add_i32 s7, s6, s5
	s_mul_i32 s6, s4, s10
	s_lshl_b64 s[6:7], s[6:7], 2
	s_add_u32 s6, s8, s6
	s_addc_u32 s7, s9, s7
	s_load_dword s5, s[6:7], 0x0
	s_waitcnt lgkmcnt(0)
	v_cmp_eq_f32_e64 s[6:7], s5, 0
	s_and_b64 vcc, exec, s[6:7]
	s_cbranch_vccnz .LBB42_10
; %bb.1:
	s_load_dword s6, s[0:1], 0x84
	s_load_dword s7, s[0:1], 0x0
	s_waitcnt lgkmcnt(0)
	v_cvt_f32_u32_e32 v1, s6
	s_ashr_i32 s8, s7, 31
	s_lshr_b32 s8, s8, 25
	s_sub_i32 s9, 0, s6
	v_rcp_iflag_f32_e32 v1, v1
	s_add_i32 s7, s7, s8
	s_ashr_i32 s7, s7, 7
	v_mul_f32_e32 v1, 0x4f7ffffe, v1
	v_cvt_u32_f32_e32 v1, v1
	s_nop 0
	v_readfirstlane_b32 s8, v1
	s_mul_i32 s9, s9, s8
	s_mul_hi_u32 s9, s8, s9
	s_add_i32 s8, s8, s9
	s_mul_hi_u32 s8, s7, s8
	s_mul_i32 s9, s8, s6
	s_sub_i32 s9, s7, s9
	s_add_i32 s10, s8, 1
	s_sub_i32 s11, s9, s6
	s_cmp_ge_u32 s9, s6
	s_cselect_b32 s8, s10, s8
	s_cselect_b32 s9, s11, s9
	s_add_i32 s10, s8, 1
	s_cmp_ge_u32 s9, s6
	s_cselect_b32 s25, s10, s8
	s_mul_i32 s6, s25, s6
	s_sub_i32 s24, s7, s6
	s_cmp_lt_u32 s3, s24
	s_cselect_b64 s[6:7], -1, 0
	s_cmp_lg_u64 s[6:7], 0
	s_addc_u32 s22, s25, 0
	s_cmp_eq_u32 s22, 0
	s_cbranch_scc1 .LBB42_10
; %bb.2:
	s_load_dwordx4 s[8:11], s[0:1], 0x50
	s_load_dwordx2 s[16:17], s[0:1], 0x60
	v_and_b32_e32 v26, 0x3ff, v0
	v_bfe_u32 v27, v0, 10, 10
	s_lshl_b32 s6, s2, 7
	v_lshl_add_u32 v4, v27, 7, v26
	v_and_b32_e32 v0, 63, v26
	s_ashr_i32 s7, s6, 31
	v_lshrrev_b32_e32 v28, 3, v4
	s_mov_b32 s23, 0
	v_and_b32_e32 v29, 0x7ff8, v28
	s_cmp_lt_i32 s22, 1
	v_mov_b32_e32 v37, 0
	v_lshlrev_b32_e32 v2, 2, v0
	v_mov_b32_e32 v39, 0
	v_mov_b32_e32 v41, 0
	v_mov_b32_e32 v40, 0
	v_mov_b32_e32 v43, 0
	v_mov_b32_e32 v42, 0
	v_mov_b32_e32 v44, 0
	v_mov_b32_e32 v1, 0
	s_cbranch_scc1 .LBB42_8
; %bb.3:
	s_load_dword s20, s[0:1], 0x28
	s_load_dwordx4 s[28:31], s[0:1], 0x30
	s_load_dwordx2 s[26:27], s[0:1], 0x40
	s_load_dword s18, s[0:1], 0x48
	v_mov_b32_e32 v1, 0
	s_waitcnt lgkmcnt(0)
	s_ashr_i32 s21, s20, 31
	s_mul_i32 s2, s4, s29
	s_mul_hi_u32 s29, s4, s28
	s_add_i32 s29, s29, s2
	s_mul_i32 s28, s4, s28
	s_ashr_i32 s19, s18, 31
	s_lshl_b64 s[28:29], s[28:29], 2
	v_mad_i64_i32 v[6:7], s[34:35], s20, v29, v[0:1]
	s_add_u32 s2, s12, s28
	s_addc_u32 s33, s13, s29
	s_lshl_b64 s[34:35], s[14:15], 2
	s_add_u32 s14, s2, s34
	s_mul_i32 s2, s4, s9
	s_mul_hi_u32 s9, s4, s8
	s_addc_u32 s15, s33, s35
	s_add_i32 s9, s9, s2
	s_mul_i32 s8, s4, s8
	s_lshl_b64 s[8:9], s[8:9], 2
	s_mul_i32 s25, s25, s3
	v_cvt_f64_i32_e32 v[10:11], s3
	v_cvt_f64_u32_e32 v[12:13], s24
	s_add_u32 s2, s30, s8
	v_cvt_f64_u32_e32 v[8:9], s25
	v_min_f64 v[10:11], v[10:11], v[12:13]
	s_addc_u32 s30, s31, s9
	s_lshl_b64 s[8:9], s[26:27], 2
	v_add_f64 v[8:9], v[10:11], v[8:9]
	s_add_u32 s8, s2, s8
	v_cvt_i32_f64_e32 v3, v[8:9]
	s_mul_hi_i32 s3, s20, s6
	s_mul_i32 s2, s20, s6
	s_addc_u32 s9, s30, s9
	s_lshl_b64 s[2:3], s[2:3], 2
	v_lshlrev_b32_e32 v8, 7, v3
	s_add_u32 s2, s14, s2
	v_ashrrev_i32_e32 v9, 31, v8
	s_addc_u32 s3, s15, s3
	v_lshlrev_b64 v[20:21], 2, v[8:9]
	v_lshl_add_u64 v[8:9], s[2:3], 0, v[20:21]
	v_lshl_add_u64 v[6:7], v[6:7], 2, v[8:9]
	s_lshl_b64 s[2:3], s[20:21], 2
	v_lshl_add_u64 v[8:9], v[6:7], 0, s[2:3]
	global_load_dword v30, v[6:7], off
	global_load_dword v31, v[8:9], off
	v_lshl_add_u64 v[6:7], v[8:9], 0, s[2:3]
	global_load_dword v32, v[6:7], off
	v_lshl_add_u64 v[6:7], v[6:7], 0, s[2:3]
	;; [unrolled: 2-line block ×6, first 2 shown]
	global_load_dword v38, v[6:7], off
	v_lshrrev_b32_e32 v4, 1, v4
	v_and_b32_e32 v4, 0x1ffe0, v4
	v_mov_b32_e32 v5, v1
	v_lshl_add_u64 v[6:7], s[12:13], 0, v[20:21]
	v_lshl_add_u64 v[22:23], s[6:7], 2, v[4:5]
	;; [unrolled: 1-line block ×5, first 2 shown]
	v_mad_u64_u32 v[6:7], s[12:13], v4, s20, v[18:19]
	v_mul_lo_u32 v4, v4, s21
	v_mul_lo_u32 v5, v5, s20
	v_add3_u32 v7, v5, v7, v4
	s_mov_b64 s[12:13], 0x200
	v_lshl_add_u64 v[4:5], v[6:7], 0, s[12:13]
	v_lshl_add_u64 v[6:7], v[22:23], 0, 8
	v_mad_u64_u32 v[8:9], s[26:27], v6, s20, v[18:19]
	v_mul_lo_u32 v6, v6, s21
	v_mul_lo_u32 v7, v7, s20
	v_add3_u32 v9, v7, v9, v6
	v_lshl_add_u64 v[6:7], v[8:9], 0, s[12:13]
	v_lshl_add_u64 v[8:9], v[22:23], 0, 12
	v_mad_u64_u32 v[10:11], s[26:27], v8, s20, v[18:19]
	v_mul_lo_u32 v8, v8, s21
	v_mul_lo_u32 v9, v9, s20
	v_add3_u32 v11, v9, v11, v8
	;; [unrolled: 6-line block ×5, first 2 shown]
	v_lshl_add_u64 v[14:15], v[16:17], 0, s[12:13]
	v_lshl_add_u64 v[16:17], v[22:23], 0, 28
	v_mad_u64_u32 v[24:25], s[26:27], v16, s20, v[18:19]
	v_mul_lo_u32 v16, v16, s21
	v_mul_lo_u32 v17, v17, s20
	v_mad_u64_u32 v[18:19], s[26:27], v22, s20, v[18:19]
	v_mul_lo_u32 v22, v22, s21
	v_mul_lo_u32 v23, v23, s20
	v_add3_u32 v25, v17, v25, v16
	v_add3_u32 v19, v23, v19, v22
	v_or_b32_e32 v22, v20, v2
	v_lshl_add_u64 v[16:17], v[24:25], 0, s[12:13]
	v_mul_lo_u32 v24, v21, s18
	v_mul_lo_u32 v23, v22, s19
	v_mad_u64_u32 v[20:21], s[20:21], v22, s18, 0
	v_or_b32_e32 v22, 0x100, v22
	s_lshl_b64 s[14:15], s[18:19], 9
	v_add3_u32 v21, v21, v23, v24
	v_mul_lo_u32 v25, v22, s19
	v_mad_u64_u32 v[22:23], s[18:19], v22, s18, 0
	s_add_i32 s24, s22, -1
	v_mov_b32_e32 v3, v1
	v_add3_u32 v23, v23, v25, v24
	s_mov_b64 s[18:19], 0x100
	v_mov_b32_e32 v44, v1
	v_mov_b32_e32 v42, v1
	;; [unrolled: 1-line block ×7, first 2 shown]
	s_waitcnt vmcnt(7)
	v_mov_b32_e32 v45, v30
	s_waitcnt vmcnt(6)
	v_mov_b32_e32 v46, v31
	;; [unrolled: 2-line block ×8, first 2 shown]
.LBB42_4:                               ; =>This Inner Loop Header: Depth=1
	v_lshl_add_u64 v[24:25], v[18:19], 0, v[2:3]
	v_lshl_add_u64 v[54:55], v[24:25], 0, s[18:19]
	v_lshl_add_u64 v[56:57], v[54:55], 0, s[2:3]
	v_lshl_add_u64 v[58:59], v[56:57], 0, s[2:3]
	v_lshl_add_u64 v[60:61], v[58:59], 0, s[2:3]
	v_lshl_add_u64 v[62:63], v[60:61], 0, s[2:3]
	global_load_dword v53, v[24:25], off offset:256
	global_load_dword v54, v[56:57], off
	global_load_dword v55, v[58:59], off
                                        ; kill: killed $vgpr56_vgpr57
                                        ; kill: killed $vgpr58_vgpr59
	s_nop 0
	global_load_dword v56, v[60:61], off
	global_load_dword v57, v[62:63], off
	v_lshl_add_u64 v[60:61], v[62:63], 0, s[2:3]
	global_load_dword v58, v[60:61], off
	v_lshl_add_u64 v[60:61], v[60:61], 0, s[2:3]
	;; [unrolled: 2-line block ×3, first 2 shown]
	v_lshl_add_u64 v[62:63], s[8:9], 0, v[20:21]
	global_load_dword v60, v[60:61], off
	s_cmp_lg_u32 s24, s23
	global_load_dword v61, v[62:63], off
	s_cbranch_scc0 .LBB42_6
; %bb.5:                                ;   in Loop: Header=BB42_4 Depth=1
	global_load_dword v45, v[24:25], off offset:512
	v_lshl_add_u64 v[24:25], v[4:5], 0, v[2:3]
	global_load_dword v46, v[24:25], off
	v_lshl_add_u64 v[24:25], v[6:7], 0, v[2:3]
	global_load_dword v47, v[24:25], off
	;; [unrolled: 2-line block ×7, first 2 shown]
.LBB42_6:                               ;   in Loop: Header=BB42_4 Depth=1
	v_lshl_add_u64 v[24:25], s[8:9], 0, v[22:23]
	global_load_dword v24, v[24:25], off
	s_add_i32 s23, s23, 1
	s_add_u32 s8, s8, s14
	s_waitcnt vmcnt(1)
	v_fmac_f32_e32 v1, v30, v61
	v_fmac_f32_e32 v44, v31, v61
	;; [unrolled: 1-line block ×8, first 2 shown]
	s_addc_u32 s9, s9, s15
	v_lshl_add_u64 v[4:5], v[4:5], 0, s[12:13]
	v_lshl_add_u64 v[6:7], v[6:7], 0, s[12:13]
	;; [unrolled: 1-line block ×7, first 2 shown]
	s_cmp_ge_i32 s23, s22
	v_lshl_add_u64 v[18:19], v[18:19], 0, s[12:13]
	s_waitcnt vmcnt(0)
	v_fmac_f32_e32 v1, v53, v24
	v_fmac_f32_e32 v44, v54, v24
	;; [unrolled: 1-line block ×8, first 2 shown]
	s_cbranch_scc1 .LBB42_8
; %bb.7:                                ;   in Loop: Header=BB42_4 Depth=1
	v_mov_b32_e32 v30, v45
	v_mov_b32_e32 v31, v46
	;; [unrolled: 1-line block ×8, first 2 shown]
	s_branch .LBB42_4
.LBB42_8:
	v_lshl_or_b32 v3, v29, 8, v2
	ds_write2st64_b32 v3, v1, v44 offset1:1
	ds_write2st64_b32 v3, v42, v43 offset0:2 offset1:3
	ds_write2st64_b32 v3, v40, v41 offset0:4 offset1:5
	ds_write_b32 v3, v39 offset:1536
	v_lshlrev_b32_e32 v1, 8, v28
	s_movk_i32 s2, 0x700
	v_or3_b32 v1, v1, v2, s2
	v_cmp_eq_u32_e32 vcc, 0, v27
	ds_write_b32 v1, v37
	s_waitcnt lgkmcnt(0)
	s_barrier
	s_and_saveexec_b64 s[2:3], vcc
	s_cbranch_execz .LBB42_10
; %bb.9:
	v_lshlrev_b32_e32 v1, 6, v26
	v_add_u32_e32 v3, 1, v26
	v_add_u32_e32 v4, 2, v26
	;; [unrolled: 1-line block ×7, first 2 shown]
	v_or_b32_e32 v0, v0, v1
	v_and_or_b32 v3, v3, 63, v1
	v_and_or_b32 v4, v4, 63, v1
	;; [unrolled: 1-line block ×7, first 2 shown]
	v_lshlrev_b32_e32 v2, 2, v0
	v_lshlrev_b32_e32 v3, 2, v3
	;; [unrolled: 1-line block ×8, first 2 shown]
	s_load_dwordx2 s[8:9], s[0:1], 0x70
	s_load_dword s2, s[0:1], 0x68
	ds_read_b32 v2, v2
	ds_read_b32 v3, v3
	;; [unrolled: 1-line block ×8, first 2 shown]
	s_waitcnt lgkmcnt(0)
	v_add_f32_e32 v2, 0, v2
	v_add_f32_e32 v2, v2, v3
	;; [unrolled: 1-line block ×8, first 2 shown]
	v_add_u32_e32 v3, 8, v26
	v_add_u32_e32 v4, 9, v26
	;; [unrolled: 1-line block ×8, first 2 shown]
	v_and_or_b32 v3, v3, 63, v1
	v_and_or_b32 v4, v4, 63, v1
	;; [unrolled: 1-line block ×8, first 2 shown]
	v_lshlrev_b32_e32 v3, 2, v3
	v_lshlrev_b32_e32 v4, 2, v4
	;; [unrolled: 1-line block ×8, first 2 shown]
	ds_read_b32 v3, v3
	ds_read_b32 v4, v4
	;; [unrolled: 1-line block ×8, first 2 shown]
	s_waitcnt lgkmcnt(7)
	v_add_f32_e32 v2, v2, v3
	s_waitcnt lgkmcnt(6)
	v_add_f32_e32 v2, v2, v4
	;; [unrolled: 2-line block ×8, first 2 shown]
	v_add_u32_e32 v3, 16, v26
	v_add_u32_e32 v4, 17, v26
	;; [unrolled: 1-line block ×8, first 2 shown]
	v_and_or_b32 v3, v3, 63, v1
	v_and_or_b32 v4, v4, 63, v1
	;; [unrolled: 1-line block ×8, first 2 shown]
	v_lshlrev_b32_e32 v3, 2, v3
	v_lshlrev_b32_e32 v4, 2, v4
	;; [unrolled: 1-line block ×8, first 2 shown]
	ds_read_b32 v3, v3
	ds_read_b32 v4, v4
	;; [unrolled: 1-line block ×8, first 2 shown]
	s_waitcnt lgkmcnt(7)
	v_add_f32_e32 v2, v2, v3
	s_waitcnt lgkmcnt(6)
	v_add_f32_e32 v2, v2, v4
	s_waitcnt lgkmcnt(5)
	v_add_f32_e32 v2, v2, v5
	s_waitcnt lgkmcnt(4)
	v_add_f32_e32 v2, v2, v6
	s_waitcnt lgkmcnt(3)
	v_add_f32_e32 v2, v2, v7
	s_waitcnt lgkmcnt(2)
	v_add_f32_e32 v2, v2, v8
	s_waitcnt lgkmcnt(1)
	v_add_f32_e32 v2, v2, v9
	s_waitcnt lgkmcnt(0)
	v_add_f32_e32 v2, v2, v10
	v_add_u32_e32 v3, 24, v26
	v_add_u32_e32 v4, 25, v26
	;; [unrolled: 1-line block ×8, first 2 shown]
	v_and_or_b32 v3, v3, 63, v1
	v_and_or_b32 v4, v4, 63, v1
	;; [unrolled: 1-line block ×8, first 2 shown]
	v_lshlrev_b32_e32 v3, 2, v3
	v_lshlrev_b32_e32 v4, 2, v4
	;; [unrolled: 1-line block ×8, first 2 shown]
	ds_read_b32 v3, v3
	ds_read_b32 v4, v4
	ds_read_b32 v5, v5
	ds_read_b32 v6, v6
	ds_read_b32 v7, v7
	ds_read_b32 v8, v8
	ds_read_b32 v9, v9
	ds_read_b32 v10, v10
	s_waitcnt lgkmcnt(7)
	v_add_f32_e32 v2, v2, v3
	s_waitcnt lgkmcnt(6)
	v_add_f32_e32 v2, v2, v4
	;; [unrolled: 2-line block ×7, first 2 shown]
	v_add_u32_e32 v3, 33, v26
	v_add_u32_e32 v4, 34, v26
	;; [unrolled: 1-line block ×7, first 2 shown]
	v_xor_b32_e32 v0, 32, v0
	v_and_or_b32 v3, v3, 63, v1
	v_and_or_b32 v4, v4, 63, v1
	;; [unrolled: 1-line block ×7, first 2 shown]
	v_lshlrev_b32_e32 v0, 2, v0
	v_lshlrev_b32_e32 v3, 2, v3
	;; [unrolled: 1-line block ×8, first 2 shown]
	s_waitcnt lgkmcnt(0)
	v_add_f32_e32 v2, v2, v10
	ds_read_b32 v0, v0
	ds_read_b32 v3, v3
	;; [unrolled: 1-line block ×8, first 2 shown]
	s_waitcnt lgkmcnt(7)
	v_add_f32_e32 v0, v2, v0
	s_waitcnt lgkmcnt(6)
	v_add_f32_e32 v0, v0, v3
	;; [unrolled: 2-line block ×8, first 2 shown]
	v_add_u32_e32 v2, 40, v26
	v_add_u32_e32 v3, 41, v26
	;; [unrolled: 1-line block ×8, first 2 shown]
	v_and_or_b32 v2, v2, 63, v1
	v_and_or_b32 v3, v3, 63, v1
	;; [unrolled: 1-line block ×8, first 2 shown]
	v_lshlrev_b32_e32 v2, 2, v2
	v_lshlrev_b32_e32 v3, 2, v3
	;; [unrolled: 1-line block ×8, first 2 shown]
	ds_read_b32 v2, v2
	ds_read_b32 v3, v3
	;; [unrolled: 1-line block ×8, first 2 shown]
	s_waitcnt lgkmcnt(7)
	v_add_f32_e32 v0, v0, v2
	s_waitcnt lgkmcnt(6)
	v_add_f32_e32 v0, v0, v3
	;; [unrolled: 2-line block ×8, first 2 shown]
	v_add_u32_e32 v2, 48, v26
	v_add_u32_e32 v3, 49, v26
	;; [unrolled: 1-line block ×8, first 2 shown]
	v_and_or_b32 v2, v2, 63, v1
	v_and_or_b32 v3, v3, 63, v1
	;; [unrolled: 1-line block ×8, first 2 shown]
	v_lshlrev_b32_e32 v2, 2, v2
	v_lshlrev_b32_e32 v3, 2, v3
	;; [unrolled: 1-line block ×8, first 2 shown]
	ds_read_b32 v2, v2
	ds_read_b32 v3, v3
	;; [unrolled: 1-line block ×8, first 2 shown]
	s_waitcnt lgkmcnt(7)
	v_add_f32_e32 v0, v0, v2
	s_waitcnt lgkmcnt(6)
	v_add_f32_e32 v0, v0, v3
	;; [unrolled: 2-line block ×8, first 2 shown]
	v_add_u32_e32 v2, 56, v26
	v_add_u32_e32 v3, 57, v26
	;; [unrolled: 1-line block ×7, first 2 shown]
	v_add_u32_e32 v9, -1, v26
	s_mul_i32 s1, s4, s9
	s_mul_hi_u32 s3, s4, s8
	v_and_or_b32 v2, v2, 63, v1
	v_and_or_b32 v3, v3, 63, v1
	;; [unrolled: 1-line block ×8, first 2 shown]
	s_mul_i32 s0, s4, s8
	s_add_i32 s1, s3, s1
	v_lshlrev_b32_e32 v2, 2, v2
	v_lshlrev_b32_e32 v3, 2, v3
	;; [unrolled: 1-line block ×8, first 2 shown]
	s_lshl_b64 s[0:1], s[0:1], 2
	ds_read_b32 v2, v2
	ds_read_b32 v3, v3
	;; [unrolled: 1-line block ×8, first 2 shown]
	s_waitcnt lgkmcnt(7)
	v_add_f32_e32 v0, v0, v2
	s_add_u32 s3, s10, s0
	s_waitcnt lgkmcnt(6)
	v_add_f32_e32 v0, v0, v3
	s_addc_u32 s4, s11, s1
	s_lshl_b64 s[0:1], s[16:17], 2
	s_waitcnt lgkmcnt(5)
	v_add_f32_e32 v0, v0, v4
	s_add_u32 s3, s3, s0
	s_waitcnt lgkmcnt(4)
	v_add_f32_e32 v0, v0, v5
	s_addc_u32 s4, s4, s1
	s_mul_hi_i32 s1, s2, s6
	s_mul_i32 s0, s2, s6
	s_waitcnt lgkmcnt(3)
	v_add_f32_e32 v0, v0, v6
	s_lshl_b64 s[0:1], s[0:1], 2
	s_waitcnt lgkmcnt(2)
	v_add_f32_e32 v0, v0, v7
	s_add_u32 s0, s3, s0
	s_waitcnt lgkmcnt(1)
	v_add_f32_e32 v0, v0, v8
	s_addc_u32 s1, s4, s1
	s_waitcnt lgkmcnt(0)
	v_add_f32_e32 v2, v0, v1
	v_mad_i64_i32 v[0:1], s[2:3], s2, v26, 0
	v_lshl_add_u64 v[0:1], v[0:1], 2, s[0:1]
	v_mul_f32_e32 v2, s5, v2
	global_atomic_add_f32 v[0:1], v2, off
.LBB42_10:
	s_endpgm
	.section	.rodata,"a",@progbits
	.p2align	6, 0x0
	.amdhsa_kernel _ZL36rocblas_gemvt_double_buffered_kernelILb1ELi128ELi8ELi8EfPKffEviiT4_lPKT3_lilS5_lilPT5_lili
		.amdhsa_group_segment_fixed_size 32768
		.amdhsa_private_segment_fixed_size 0
		.amdhsa_kernarg_size 384
		.amdhsa_user_sgpr_count 2
		.amdhsa_user_sgpr_dispatch_ptr 0
		.amdhsa_user_sgpr_queue_ptr 0
		.amdhsa_user_sgpr_kernarg_segment_ptr 1
		.amdhsa_user_sgpr_dispatch_id 0
		.amdhsa_user_sgpr_kernarg_preload_length 0
		.amdhsa_user_sgpr_kernarg_preload_offset 0
		.amdhsa_user_sgpr_private_segment_size 0
		.amdhsa_uses_dynamic_stack 0
		.amdhsa_enable_private_segment 0
		.amdhsa_system_sgpr_workgroup_id_x 1
		.amdhsa_system_sgpr_workgroup_id_y 1
		.amdhsa_system_sgpr_workgroup_id_z 1
		.amdhsa_system_sgpr_workgroup_info 0
		.amdhsa_system_vgpr_workitem_id 1
		.amdhsa_next_free_vgpr 64
		.amdhsa_next_free_sgpr 36
		.amdhsa_accum_offset 64
		.amdhsa_reserve_vcc 1
		.amdhsa_float_round_mode_32 0
		.amdhsa_float_round_mode_16_64 0
		.amdhsa_float_denorm_mode_32 3
		.amdhsa_float_denorm_mode_16_64 3
		.amdhsa_dx10_clamp 1
		.amdhsa_ieee_mode 1
		.amdhsa_fp16_overflow 0
		.amdhsa_tg_split 0
		.amdhsa_exception_fp_ieee_invalid_op 0
		.amdhsa_exception_fp_denorm_src 0
		.amdhsa_exception_fp_ieee_div_zero 0
		.amdhsa_exception_fp_ieee_overflow 0
		.amdhsa_exception_fp_ieee_underflow 0
		.amdhsa_exception_fp_ieee_inexact 0
		.amdhsa_exception_int_div_zero 0
	.end_amdhsa_kernel
	.section	.text._ZL36rocblas_gemvt_double_buffered_kernelILb1ELi128ELi8ELi8EfPKffEviiT4_lPKT3_lilS5_lilPT5_lili,"axG",@progbits,_ZL36rocblas_gemvt_double_buffered_kernelILb1ELi128ELi8ELi8EfPKffEviiT4_lPKT3_lilS5_lilPT5_lili,comdat
.Lfunc_end42:
	.size	_ZL36rocblas_gemvt_double_buffered_kernelILb1ELi128ELi8ELi8EfPKffEviiT4_lPKT3_lilS5_lilPT5_lili, .Lfunc_end42-_ZL36rocblas_gemvt_double_buffered_kernelILb1ELi128ELi8ELi8EfPKffEviiT4_lPKT3_lilS5_lilPT5_lili
                                        ; -- End function
	.section	.AMDGPU.csdata,"",@progbits
; Kernel info:
; codeLenInByte = 3980
; NumSgprs: 42
; NumVgprs: 64
; NumAgprs: 0
; TotalNumVgprs: 64
; ScratchSize: 0
; MemoryBound: 0
; FloatMode: 240
; IeeeMode: 1
; LDSByteSize: 32768 bytes/workgroup (compile time only)
; SGPRBlocks: 5
; VGPRBlocks: 7
; NumSGPRsForWavesPerEU: 42
; NumVGPRsForWavesPerEU: 64
; AccumOffset: 64
; Occupancy: 8
; WaveLimiterHint : 0
; COMPUTE_PGM_RSRC2:SCRATCH_EN: 0
; COMPUTE_PGM_RSRC2:USER_SGPR: 2
; COMPUTE_PGM_RSRC2:TRAP_HANDLER: 0
; COMPUTE_PGM_RSRC2:TGID_X_EN: 1
; COMPUTE_PGM_RSRC2:TGID_Y_EN: 1
; COMPUTE_PGM_RSRC2:TGID_Z_EN: 1
; COMPUTE_PGM_RSRC2:TIDIG_COMP_CNT: 1
; COMPUTE_PGM_RSRC3_GFX90A:ACCUM_OFFSET: 15
; COMPUTE_PGM_RSRC3_GFX90A:TG_SPLIT: 0
	.section	.text._ZL36rocblas_gemvt_double_buffered_kernelILb1ELi128ELi8ELi8EfffEviiT4_lPKT3_lilS3_lilPT5_lili,"axG",@progbits,_ZL36rocblas_gemvt_double_buffered_kernelILb1ELi128ELi8ELi8EfffEviiT4_lPKT3_lilS3_lilPT5_lili,comdat
	.globl	_ZL36rocblas_gemvt_double_buffered_kernelILb1ELi128ELi8ELi8EfffEviiT4_lPKT3_lilS3_lilPT5_lili ; -- Begin function _ZL36rocblas_gemvt_double_buffered_kernelILb1ELi128ELi8ELi8EfffEviiT4_lPKT3_lilS3_lilPT5_lili
	.p2align	8
	.type	_ZL36rocblas_gemvt_double_buffered_kernelILb1ELi128ELi8ELi8EfffEviiT4_lPKT3_lilS3_lilPT5_lili,@function
_ZL36rocblas_gemvt_double_buffered_kernelILb1ELi128ELi8ELi8EfffEviiT4_lPKT3_lilS3_lilPT5_lili: ; @_ZL36rocblas_gemvt_double_buffered_kernelILb1ELi128ELi8ELi8EfffEviiT4_lPKT3_lilS3_lilPT5_lili
; %bb.0:
	s_load_dword s5, s[0:1], 0x8
	s_waitcnt lgkmcnt(0)
	v_cmp_eq_f32_e64 s[6:7], s5, 0
	s_and_b64 vcc, exec, s[6:7]
	s_cbranch_vccnz .LBB43_10
; %bb.1:
	s_load_dword s6, s[0:1], 0x84
	s_load_dword s7, s[0:1], 0x0
	s_waitcnt lgkmcnt(0)
	v_cvt_f32_u32_e32 v1, s6
	s_ashr_i32 s8, s7, 31
	s_lshr_b32 s8, s8, 25
	s_sub_i32 s9, 0, s6
	v_rcp_iflag_f32_e32 v1, v1
	s_add_i32 s7, s7, s8
	s_ashr_i32 s7, s7, 7
	v_mul_f32_e32 v1, 0x4f7ffffe, v1
	v_cvt_u32_f32_e32 v1, v1
	s_nop 0
	v_readfirstlane_b32 s8, v1
	s_mul_i32 s9, s9, s8
	s_mul_hi_u32 s9, s8, s9
	s_add_i32 s8, s8, s9
	s_mul_hi_u32 s8, s7, s8
	s_mul_i32 s9, s8, s6
	s_sub_i32 s9, s7, s9
	s_add_i32 s10, s8, 1
	s_sub_i32 s11, s9, s6
	s_cmp_ge_u32 s9, s6
	s_cselect_b32 s8, s10, s8
	s_cselect_b32 s9, s11, s9
	s_add_i32 s10, s8, 1
	s_cmp_ge_u32 s9, s6
	s_cselect_b32 s25, s10, s8
	s_mul_i32 s6, s25, s6
	s_sub_i32 s24, s7, s6
	s_cmp_lt_u32 s3, s24
	s_cselect_b64 s[6:7], -1, 0
	s_cmp_lg_u64 s[6:7], 0
	s_addc_u32 s22, s25, 0
	s_cmp_eq_u32 s22, 0
	s_cbranch_scc1 .LBB43_10
; %bb.2:
	s_load_dwordx4 s[8:11], s[0:1], 0x50
	s_load_dwordx2 s[6:7], s[0:1], 0x60
	v_and_b32_e32 v26, 0x3ff, v0
	v_bfe_u32 v27, v0, 10, 10
	s_lshl_b32 s16, s2, 7
	v_lshl_add_u32 v4, v27, 7, v26
	v_and_b32_e32 v0, 63, v26
	s_ashr_i32 s17, s16, 31
	v_lshrrev_b32_e32 v28, 3, v4
	s_mov_b32 s23, 0
	v_and_b32_e32 v29, 0x7ff8, v28
	s_cmp_lt_i32 s22, 1
	v_mov_b32_e32 v37, 0
	v_lshlrev_b32_e32 v2, 2, v0
	v_mov_b32_e32 v39, 0
	v_mov_b32_e32 v41, 0
	;; [unrolled: 1-line block ×7, first 2 shown]
	s_cbranch_scc1 .LBB43_8
; %bb.3:
	s_load_dword s20, s[0:1], 0x28
	s_load_dwordx4 s[12:15], s[0:1], 0x18
	s_load_dwordx4 s[28:31], s[0:1], 0x30
	s_load_dwordx2 s[26:27], s[0:1], 0x40
	s_load_dword s18, s[0:1], 0x48
	s_waitcnt lgkmcnt(0)
	s_ashr_i32 s21, s20, 31
	v_mov_b32_e32 v1, 0
	s_mul_i32 s2, s4, s29
	s_mul_hi_u32 s29, s4, s28
	s_add_i32 s29, s29, s2
	s_mul_i32 s28, s4, s28
	s_ashr_i32 s19, s18, 31
	s_lshl_b64 s[28:29], s[28:29], 2
	v_mad_i64_i32 v[6:7], s[34:35], s20, v29, v[0:1]
	s_add_u32 s2, s12, s28
	s_addc_u32 s33, s13, s29
	s_lshl_b64 s[34:35], s[14:15], 2
	s_add_u32 s14, s2, s34
	s_mul_i32 s2, s4, s9
	s_mul_hi_u32 s9, s4, s8
	s_addc_u32 s15, s33, s35
	s_add_i32 s9, s9, s2
	s_mul_i32 s8, s4, s8
	s_lshl_b64 s[8:9], s[8:9], 2
	s_mul_i32 s25, s25, s3
	v_cvt_f64_i32_e32 v[10:11], s3
	v_cvt_f64_u32_e32 v[12:13], s24
	s_add_u32 s2, s30, s8
	v_cvt_f64_u32_e32 v[8:9], s25
	v_min_f64 v[10:11], v[10:11], v[12:13]
	s_addc_u32 s30, s31, s9
	s_lshl_b64 s[8:9], s[26:27], 2
	v_add_f64 v[8:9], v[10:11], v[8:9]
	s_add_u32 s8, s2, s8
	v_cvt_i32_f64_e32 v3, v[8:9]
	s_mul_hi_i32 s3, s20, s16
	s_mul_i32 s2, s20, s16
	s_addc_u32 s9, s30, s9
	s_lshl_b64 s[2:3], s[2:3], 2
	v_lshlrev_b32_e32 v8, 7, v3
	s_add_u32 s2, s14, s2
	v_ashrrev_i32_e32 v9, 31, v8
	s_addc_u32 s3, s15, s3
	v_lshlrev_b64 v[20:21], 2, v[8:9]
	v_lshl_add_u64 v[8:9], s[2:3], 0, v[20:21]
	v_lshl_add_u64 v[6:7], v[6:7], 2, v[8:9]
	s_lshl_b64 s[2:3], s[20:21], 2
	v_lshl_add_u64 v[8:9], v[6:7], 0, s[2:3]
	global_load_dword v30, v[6:7], off
	global_load_dword v31, v[8:9], off
	v_lshl_add_u64 v[6:7], v[8:9], 0, s[2:3]
	global_load_dword v32, v[6:7], off
	v_lshl_add_u64 v[6:7], v[6:7], 0, s[2:3]
	;; [unrolled: 2-line block ×6, first 2 shown]
	global_load_dword v38, v[6:7], off
	v_lshrrev_b32_e32 v4, 1, v4
	v_and_b32_e32 v4, 0x1ffe0, v4
	v_mov_b32_e32 v5, v1
	v_lshl_add_u64 v[6:7], s[12:13], 0, v[20:21]
	v_lshl_add_u64 v[22:23], s[16:17], 2, v[4:5]
	;; [unrolled: 1-line block ×5, first 2 shown]
	v_mad_u64_u32 v[6:7], s[12:13], v4, s20, v[18:19]
	v_mul_lo_u32 v4, v4, s21
	v_mul_lo_u32 v5, v5, s20
	v_add3_u32 v7, v5, v7, v4
	s_mov_b64 s[12:13], 0x200
	v_lshl_add_u64 v[4:5], v[6:7], 0, s[12:13]
	v_lshl_add_u64 v[6:7], v[22:23], 0, 8
	v_mad_u64_u32 v[8:9], s[26:27], v6, s20, v[18:19]
	v_mul_lo_u32 v6, v6, s21
	v_mul_lo_u32 v7, v7, s20
	v_add3_u32 v9, v7, v9, v6
	v_lshl_add_u64 v[6:7], v[8:9], 0, s[12:13]
	v_lshl_add_u64 v[8:9], v[22:23], 0, 12
	v_mad_u64_u32 v[10:11], s[26:27], v8, s20, v[18:19]
	v_mul_lo_u32 v8, v8, s21
	v_mul_lo_u32 v9, v9, s20
	v_add3_u32 v11, v9, v11, v8
	;; [unrolled: 6-line block ×5, first 2 shown]
	v_lshl_add_u64 v[14:15], v[16:17], 0, s[12:13]
	v_lshl_add_u64 v[16:17], v[22:23], 0, 28
	v_mad_u64_u32 v[24:25], s[26:27], v16, s20, v[18:19]
	v_mul_lo_u32 v16, v16, s21
	v_mul_lo_u32 v17, v17, s20
	v_mad_u64_u32 v[18:19], s[26:27], v22, s20, v[18:19]
	v_mul_lo_u32 v22, v22, s21
	v_mul_lo_u32 v23, v23, s20
	v_add3_u32 v25, v17, v25, v16
	v_add3_u32 v19, v23, v19, v22
	v_or_b32_e32 v22, v20, v2
	v_lshl_add_u64 v[16:17], v[24:25], 0, s[12:13]
	v_mul_lo_u32 v24, v21, s18
	v_mul_lo_u32 v23, v22, s19
	v_mad_u64_u32 v[20:21], s[20:21], v22, s18, 0
	v_or_b32_e32 v22, 0x100, v22
	s_lshl_b64 s[14:15], s[18:19], 9
	v_add3_u32 v21, v21, v23, v24
	v_mul_lo_u32 v25, v22, s19
	v_mad_u64_u32 v[22:23], s[18:19], v22, s18, 0
	s_add_i32 s24, s22, -1
	v_mov_b32_e32 v3, v1
	v_add3_u32 v23, v23, v25, v24
	s_mov_b64 s[18:19], 0x100
	v_mov_b32_e32 v44, v1
	v_mov_b32_e32 v42, v1
	;; [unrolled: 1-line block ×7, first 2 shown]
	s_waitcnt vmcnt(7)
	v_mov_b32_e32 v45, v30
	s_waitcnt vmcnt(6)
	v_mov_b32_e32 v46, v31
	;; [unrolled: 2-line block ×8, first 2 shown]
.LBB43_4:                               ; =>This Inner Loop Header: Depth=1
	v_lshl_add_u64 v[24:25], v[18:19], 0, v[2:3]
	v_lshl_add_u64 v[54:55], v[24:25], 0, s[18:19]
	;; [unrolled: 1-line block ×6, first 2 shown]
	global_load_dword v53, v[24:25], off offset:256
	global_load_dword v54, v[56:57], off
	global_load_dword v55, v[58:59], off
                                        ; kill: killed $vgpr58_vgpr59
                                        ; kill: killed $vgpr56_vgpr57
	s_nop 0
	global_load_dword v56, v[60:61], off
	global_load_dword v57, v[62:63], off
	v_lshl_add_u64 v[60:61], v[62:63], 0, s[2:3]
	global_load_dword v58, v[60:61], off
	v_lshl_add_u64 v[60:61], v[60:61], 0, s[2:3]
	;; [unrolled: 2-line block ×3, first 2 shown]
	v_lshl_add_u64 v[62:63], s[8:9], 0, v[20:21]
	global_load_dword v60, v[60:61], off
	s_cmp_lg_u32 s24, s23
	global_load_dword v61, v[62:63], off
	s_cbranch_scc0 .LBB43_6
; %bb.5:                                ;   in Loop: Header=BB43_4 Depth=1
	global_load_dword v45, v[24:25], off offset:512
	v_lshl_add_u64 v[24:25], v[4:5], 0, v[2:3]
	global_load_dword v46, v[24:25], off
	v_lshl_add_u64 v[24:25], v[6:7], 0, v[2:3]
	global_load_dword v47, v[24:25], off
	;; [unrolled: 2-line block ×7, first 2 shown]
.LBB43_6:                               ;   in Loop: Header=BB43_4 Depth=1
	v_lshl_add_u64 v[24:25], s[8:9], 0, v[22:23]
	global_load_dword v24, v[24:25], off
	s_add_i32 s23, s23, 1
	s_add_u32 s8, s8, s14
	s_waitcnt vmcnt(1)
	v_fmac_f32_e32 v1, v30, v61
	v_fmac_f32_e32 v44, v31, v61
	;; [unrolled: 1-line block ×8, first 2 shown]
	s_addc_u32 s9, s9, s15
	v_lshl_add_u64 v[4:5], v[4:5], 0, s[12:13]
	v_lshl_add_u64 v[6:7], v[6:7], 0, s[12:13]
	;; [unrolled: 1-line block ×7, first 2 shown]
	s_cmp_ge_i32 s23, s22
	v_lshl_add_u64 v[18:19], v[18:19], 0, s[12:13]
	s_waitcnt vmcnt(0)
	v_fmac_f32_e32 v1, v53, v24
	v_fmac_f32_e32 v44, v54, v24
	;; [unrolled: 1-line block ×8, first 2 shown]
	s_cbranch_scc1 .LBB43_8
; %bb.7:                                ;   in Loop: Header=BB43_4 Depth=1
	v_mov_b32_e32 v30, v45
	v_mov_b32_e32 v31, v46
	;; [unrolled: 1-line block ×8, first 2 shown]
	s_branch .LBB43_4
.LBB43_8:
	v_lshl_or_b32 v3, v29, 8, v2
	ds_write2st64_b32 v3, v1, v44 offset1:1
	ds_write2st64_b32 v3, v42, v43 offset0:2 offset1:3
	ds_write2st64_b32 v3, v40, v41 offset0:4 offset1:5
	ds_write_b32 v3, v39 offset:1536
	v_lshlrev_b32_e32 v1, 8, v28
	s_movk_i32 s2, 0x700
	v_or3_b32 v1, v1, v2, s2
	v_cmp_eq_u32_e32 vcc, 0, v27
	ds_write_b32 v1, v37
	s_waitcnt lgkmcnt(0)
	s_barrier
	s_and_saveexec_b64 s[2:3], vcc
	s_cbranch_execz .LBB43_10
; %bb.9:
	v_lshlrev_b32_e32 v1, 6, v26
	v_add_u32_e32 v3, 1, v26
	v_add_u32_e32 v4, 2, v26
	;; [unrolled: 1-line block ×7, first 2 shown]
	v_or_b32_e32 v0, v0, v1
	v_and_or_b32 v3, v3, 63, v1
	v_and_or_b32 v4, v4, 63, v1
	;; [unrolled: 1-line block ×7, first 2 shown]
	v_lshlrev_b32_e32 v2, 2, v0
	v_lshlrev_b32_e32 v3, 2, v3
	;; [unrolled: 1-line block ×8, first 2 shown]
	s_load_dwordx2 s[8:9], s[0:1], 0x70
	s_load_dword s2, s[0:1], 0x68
	ds_read_b32 v2, v2
	ds_read_b32 v3, v3
	ds_read_b32 v4, v4
	ds_read_b32 v5, v5
	ds_read_b32 v6, v6
	ds_read_b32 v7, v7
	ds_read_b32 v8, v8
	ds_read_b32 v9, v9
	s_waitcnt lgkmcnt(0)
	v_add_f32_e32 v2, 0, v2
	v_add_f32_e32 v2, v2, v3
	;; [unrolled: 1-line block ×8, first 2 shown]
	v_add_u32_e32 v3, 8, v26
	v_add_u32_e32 v4, 9, v26
	;; [unrolled: 1-line block ×8, first 2 shown]
	v_and_or_b32 v3, v3, 63, v1
	v_and_or_b32 v4, v4, 63, v1
	;; [unrolled: 1-line block ×8, first 2 shown]
	v_lshlrev_b32_e32 v3, 2, v3
	v_lshlrev_b32_e32 v4, 2, v4
	;; [unrolled: 1-line block ×8, first 2 shown]
	ds_read_b32 v3, v3
	ds_read_b32 v4, v4
	;; [unrolled: 1-line block ×8, first 2 shown]
	s_waitcnt lgkmcnt(7)
	v_add_f32_e32 v2, v2, v3
	s_waitcnt lgkmcnt(6)
	v_add_f32_e32 v2, v2, v4
	;; [unrolled: 2-line block ×8, first 2 shown]
	v_add_u32_e32 v3, 16, v26
	v_add_u32_e32 v4, 17, v26
	;; [unrolled: 1-line block ×8, first 2 shown]
	v_and_or_b32 v3, v3, 63, v1
	v_and_or_b32 v4, v4, 63, v1
	;; [unrolled: 1-line block ×8, first 2 shown]
	v_lshlrev_b32_e32 v3, 2, v3
	v_lshlrev_b32_e32 v4, 2, v4
	;; [unrolled: 1-line block ×8, first 2 shown]
	ds_read_b32 v3, v3
	ds_read_b32 v4, v4
	;; [unrolled: 1-line block ×8, first 2 shown]
	s_waitcnt lgkmcnt(7)
	v_add_f32_e32 v2, v2, v3
	s_waitcnt lgkmcnt(6)
	v_add_f32_e32 v2, v2, v4
	;; [unrolled: 2-line block ×8, first 2 shown]
	v_add_u32_e32 v3, 24, v26
	v_add_u32_e32 v4, 25, v26
	;; [unrolled: 1-line block ×8, first 2 shown]
	v_and_or_b32 v3, v3, 63, v1
	v_and_or_b32 v4, v4, 63, v1
	;; [unrolled: 1-line block ×8, first 2 shown]
	v_lshlrev_b32_e32 v3, 2, v3
	v_lshlrev_b32_e32 v4, 2, v4
	;; [unrolled: 1-line block ×8, first 2 shown]
	ds_read_b32 v3, v3
	ds_read_b32 v4, v4
	;; [unrolled: 1-line block ×8, first 2 shown]
	s_waitcnt lgkmcnt(7)
	v_add_f32_e32 v2, v2, v3
	s_waitcnt lgkmcnt(6)
	v_add_f32_e32 v2, v2, v4
	;; [unrolled: 2-line block ×7, first 2 shown]
	v_add_u32_e32 v3, 33, v26
	v_add_u32_e32 v4, 34, v26
	;; [unrolled: 1-line block ×7, first 2 shown]
	v_xor_b32_e32 v0, 32, v0
	v_and_or_b32 v3, v3, 63, v1
	v_and_or_b32 v4, v4, 63, v1
	;; [unrolled: 1-line block ×7, first 2 shown]
	v_lshlrev_b32_e32 v0, 2, v0
	v_lshlrev_b32_e32 v3, 2, v3
	;; [unrolled: 1-line block ×8, first 2 shown]
	s_waitcnt lgkmcnt(0)
	v_add_f32_e32 v2, v2, v10
	ds_read_b32 v0, v0
	ds_read_b32 v3, v3
	;; [unrolled: 1-line block ×8, first 2 shown]
	s_waitcnt lgkmcnt(7)
	v_add_f32_e32 v0, v2, v0
	s_waitcnt lgkmcnt(6)
	v_add_f32_e32 v0, v0, v3
	;; [unrolled: 2-line block ×8, first 2 shown]
	v_add_u32_e32 v2, 40, v26
	v_add_u32_e32 v3, 41, v26
	;; [unrolled: 1-line block ×8, first 2 shown]
	v_and_or_b32 v2, v2, 63, v1
	v_and_or_b32 v3, v3, 63, v1
	;; [unrolled: 1-line block ×8, first 2 shown]
	v_lshlrev_b32_e32 v2, 2, v2
	v_lshlrev_b32_e32 v3, 2, v3
	;; [unrolled: 1-line block ×8, first 2 shown]
	ds_read_b32 v2, v2
	ds_read_b32 v3, v3
	;; [unrolled: 1-line block ×8, first 2 shown]
	s_waitcnt lgkmcnt(7)
	v_add_f32_e32 v0, v0, v2
	s_waitcnt lgkmcnt(6)
	v_add_f32_e32 v0, v0, v3
	;; [unrolled: 2-line block ×8, first 2 shown]
	v_add_u32_e32 v2, 48, v26
	v_add_u32_e32 v3, 49, v26
	;; [unrolled: 1-line block ×8, first 2 shown]
	v_and_or_b32 v2, v2, 63, v1
	v_and_or_b32 v3, v3, 63, v1
	v_and_or_b32 v4, v4, 63, v1
	v_and_or_b32 v5, v5, 63, v1
	v_and_or_b32 v6, v6, 63, v1
	v_and_or_b32 v7, v7, 63, v1
	v_and_or_b32 v8, v8, 63, v1
	v_and_or_b32 v9, v9, 63, v1
	v_lshlrev_b32_e32 v2, 2, v2
	v_lshlrev_b32_e32 v3, 2, v3
	v_lshlrev_b32_e32 v4, 2, v4
	v_lshlrev_b32_e32 v5, 2, v5
	v_lshlrev_b32_e32 v6, 2, v6
	v_lshlrev_b32_e32 v7, 2, v7
	v_lshlrev_b32_e32 v8, 2, v8
	v_lshlrev_b32_e32 v9, 2, v9
	ds_read_b32 v2, v2
	ds_read_b32 v3, v3
	;; [unrolled: 1-line block ×8, first 2 shown]
	s_waitcnt lgkmcnt(7)
	v_add_f32_e32 v0, v0, v2
	s_waitcnt lgkmcnt(6)
	v_add_f32_e32 v0, v0, v3
	;; [unrolled: 2-line block ×8, first 2 shown]
	v_add_u32_e32 v2, 56, v26
	v_add_u32_e32 v3, 57, v26
	;; [unrolled: 1-line block ×7, first 2 shown]
	v_add_u32_e32 v9, -1, v26
	s_mul_i32 s1, s4, s9
	s_mul_hi_u32 s3, s4, s8
	v_and_or_b32 v2, v2, 63, v1
	v_and_or_b32 v3, v3, 63, v1
	;; [unrolled: 1-line block ×8, first 2 shown]
	s_mul_i32 s0, s4, s8
	s_add_i32 s1, s3, s1
	v_lshlrev_b32_e32 v2, 2, v2
	v_lshlrev_b32_e32 v3, 2, v3
	;; [unrolled: 1-line block ×8, first 2 shown]
	s_lshl_b64 s[0:1], s[0:1], 2
	ds_read_b32 v2, v2
	ds_read_b32 v3, v3
	;; [unrolled: 1-line block ×8, first 2 shown]
	s_waitcnt lgkmcnt(7)
	v_add_f32_e32 v0, v0, v2
	s_add_u32 s3, s10, s0
	s_waitcnt lgkmcnt(6)
	v_add_f32_e32 v0, v0, v3
	s_addc_u32 s4, s11, s1
	s_lshl_b64 s[0:1], s[6:7], 2
	s_waitcnt lgkmcnt(5)
	v_add_f32_e32 v0, v0, v4
	s_add_u32 s3, s3, s0
	s_waitcnt lgkmcnt(4)
	v_add_f32_e32 v0, v0, v5
	s_addc_u32 s4, s4, s1
	s_mul_hi_i32 s1, s2, s16
	s_mul_i32 s0, s2, s16
	s_waitcnt lgkmcnt(3)
	v_add_f32_e32 v0, v0, v6
	s_lshl_b64 s[0:1], s[0:1], 2
	s_waitcnt lgkmcnt(2)
	v_add_f32_e32 v0, v0, v7
	s_add_u32 s0, s3, s0
	s_waitcnt lgkmcnt(1)
	v_add_f32_e32 v0, v0, v8
	s_addc_u32 s1, s4, s1
	s_waitcnt lgkmcnt(0)
	v_add_f32_e32 v2, v0, v1
	v_mad_i64_i32 v[0:1], s[2:3], s2, v26, 0
	v_lshl_add_u64 v[0:1], v[0:1], 2, s[0:1]
	v_mul_f32_e32 v2, s5, v2
	global_atomic_add_f32 v[0:1], v2, off
.LBB43_10:
	s_endpgm
	.section	.rodata,"a",@progbits
	.p2align	6, 0x0
	.amdhsa_kernel _ZL36rocblas_gemvt_double_buffered_kernelILb1ELi128ELi8ELi8EfffEviiT4_lPKT3_lilS3_lilPT5_lili
		.amdhsa_group_segment_fixed_size 32768
		.amdhsa_private_segment_fixed_size 0
		.amdhsa_kernarg_size 384
		.amdhsa_user_sgpr_count 2
		.amdhsa_user_sgpr_dispatch_ptr 0
		.amdhsa_user_sgpr_queue_ptr 0
		.amdhsa_user_sgpr_kernarg_segment_ptr 1
		.amdhsa_user_sgpr_dispatch_id 0
		.amdhsa_user_sgpr_kernarg_preload_length 0
		.amdhsa_user_sgpr_kernarg_preload_offset 0
		.amdhsa_user_sgpr_private_segment_size 0
		.amdhsa_uses_dynamic_stack 0
		.amdhsa_enable_private_segment 0
		.amdhsa_system_sgpr_workgroup_id_x 1
		.amdhsa_system_sgpr_workgroup_id_y 1
		.amdhsa_system_sgpr_workgroup_id_z 1
		.amdhsa_system_sgpr_workgroup_info 0
		.amdhsa_system_vgpr_workitem_id 1
		.amdhsa_next_free_vgpr 64
		.amdhsa_next_free_sgpr 36
		.amdhsa_accum_offset 64
		.amdhsa_reserve_vcc 1
		.amdhsa_float_round_mode_32 0
		.amdhsa_float_round_mode_16_64 0
		.amdhsa_float_denorm_mode_32 3
		.amdhsa_float_denorm_mode_16_64 3
		.amdhsa_dx10_clamp 1
		.amdhsa_ieee_mode 1
		.amdhsa_fp16_overflow 0
		.amdhsa_tg_split 0
		.amdhsa_exception_fp_ieee_invalid_op 0
		.amdhsa_exception_fp_denorm_src 0
		.amdhsa_exception_fp_ieee_div_zero 0
		.amdhsa_exception_fp_ieee_overflow 0
		.amdhsa_exception_fp_ieee_underflow 0
		.amdhsa_exception_fp_ieee_inexact 0
		.amdhsa_exception_int_div_zero 0
	.end_amdhsa_kernel
	.section	.text._ZL36rocblas_gemvt_double_buffered_kernelILb1ELi128ELi8ELi8EfffEviiT4_lPKT3_lilS3_lilPT5_lili,"axG",@progbits,_ZL36rocblas_gemvt_double_buffered_kernelILb1ELi128ELi8ELi8EfffEviiT4_lPKT3_lilS3_lilPT5_lili,comdat
.Lfunc_end43:
	.size	_ZL36rocblas_gemvt_double_buffered_kernelILb1ELi128ELi8ELi8EfffEviiT4_lPKT3_lilS3_lilPT5_lili, .Lfunc_end43-_ZL36rocblas_gemvt_double_buffered_kernelILb1ELi128ELi8ELi8EfffEviiT4_lPKT3_lilS3_lilPT5_lili
                                        ; -- End function
	.section	.AMDGPU.csdata,"",@progbits
; Kernel info:
; codeLenInByte = 3948
; NumSgprs: 42
; NumVgprs: 64
; NumAgprs: 0
; TotalNumVgprs: 64
; ScratchSize: 0
; MemoryBound: 0
; FloatMode: 240
; IeeeMode: 1
; LDSByteSize: 32768 bytes/workgroup (compile time only)
; SGPRBlocks: 5
; VGPRBlocks: 7
; NumSGPRsForWavesPerEU: 42
; NumVGPRsForWavesPerEU: 64
; AccumOffset: 64
; Occupancy: 8
; WaveLimiterHint : 0
; COMPUTE_PGM_RSRC2:SCRATCH_EN: 0
; COMPUTE_PGM_RSRC2:USER_SGPR: 2
; COMPUTE_PGM_RSRC2:TRAP_HANDLER: 0
; COMPUTE_PGM_RSRC2:TGID_X_EN: 1
; COMPUTE_PGM_RSRC2:TGID_Y_EN: 1
; COMPUTE_PGM_RSRC2:TGID_Z_EN: 1
; COMPUTE_PGM_RSRC2:TIDIG_COMP_CNT: 1
; COMPUTE_PGM_RSRC3_GFX90A:ACCUM_OFFSET: 15
; COMPUTE_PGM_RSRC3_GFX90A:TG_SPLIT: 0
	.section	.text._ZL20rocblas_gemvt_kernelILb1ELi256EfPKffEviiT2_lPKT1_lilS5_lilS2_lPT3_lili,"axG",@progbits,_ZL20rocblas_gemvt_kernelILb1ELi256EfPKffEviiT2_lPKT1_lilS5_lilS2_lPT3_lili,comdat
	.globl	_ZL20rocblas_gemvt_kernelILb1ELi256EfPKffEviiT2_lPKT1_lilS5_lilS2_lPT3_lili ; -- Begin function _ZL20rocblas_gemvt_kernelILb1ELi256EfPKffEviiT2_lPKT1_lilS5_lilS2_lPT3_lili
	.p2align	8
	.type	_ZL20rocblas_gemvt_kernelILb1ELi256EfPKffEviiT2_lPKT1_lilS5_lilS2_lPT3_lili,@function
_ZL20rocblas_gemvt_kernelILb1ELi256EfPKffEviiT2_lPKT1_lilS5_lilS2_lPT3_lili: ; @_ZL20rocblas_gemvt_kernelILb1ELi256EfPKffEviiT2_lPKT1_lilS5_lilS2_lPT3_lili
; %bb.0:
	s_load_dwordx8 s[4:11], s[0:1], 0x8
	s_load_dwordx8 s[12:19], s[0:1], 0x50
	s_waitcnt lgkmcnt(0)
	s_mul_i32 s7, s3, s7
	s_mul_hi_u32 s20, s3, s6
	s_add_i32 s7, s20, s7
	s_mul_i32 s6, s3, s6
	s_lshl_b64 s[6:7], s[6:7], 2
	s_add_u32 s4, s4, s6
	s_addc_u32 s5, s5, s7
	s_load_dword s22, s[4:5], 0x0
	s_mul_i32 s4, s3, s17
	s_mul_hi_u32 s5, s3, s16
	s_add_i32 s5, s5, s4
	s_mul_i32 s4, s3, s16
	s_lshl_b64 s[4:5], s[4:5], 2
	s_add_u32 s4, s14, s4
	s_addc_u32 s5, s15, s5
	s_load_dword s23, s[4:5], 0x0
	s_waitcnt lgkmcnt(0)
	v_cmp_eq_f32_e64 s[4:5], s22, 0
	v_cmp_eq_f32_e64 s[6:7], s23, 1.0
	s_and_b64 s[4:5], s[4:5], s[6:7]
	s_and_b64 vcc, exec, s[4:5]
	s_cbranch_vccnz .LBB44_36
; %bb.1:
	s_load_dwordx2 s[4:5], s[0:1], 0x80
	s_load_dwordx2 s[6:7], s[0:1], 0x70
	s_load_dword s24, s[0:1], 0x78
	s_waitcnt lgkmcnt(0)
	s_mul_i32 s5, s3, s5
	s_mul_hi_u32 s14, s3, s4
	s_mul_i32 s4, s3, s4
	s_add_i32 s5, s14, s5
	s_lshl_b64 s[4:5], s[4:5], 2
	s_add_u32 s14, s18, s4
	s_addc_u32 s15, s19, s5
	s_lshl_b64 s[4:5], s[6:7], 2
	s_add_u32 s20, s14, s4
	s_addc_u32 s21, s15, s5
	v_cmp_neq_f32_e64 s[4:5], s22, 0
	s_and_b64 vcc, exec, s[4:5]
	v_cmp_eq_u32_e64 s[4:5], 0, v0
	s_cbranch_vccnz .LBB44_6
; %bb.2:
	s_mov_b64 s[16:17], 0
	s_mov_b64 s[14:15], 0
                                        ; implicit-def: $vgpr1
                                        ; implicit-def: $sgpr6_sgpr7
	s_and_saveexec_b64 s[18:19], s[4:5]
	s_cbranch_execz .LBB44_7
; %bb.3:
	v_cmp_eq_f32_e64 s[4:5], s23, 0
	v_mov_b32_e32 v1, 0
	s_mul_hi_i32 s7, s24, s2
	s_mul_i32 s6, s24, s2
	s_and_b64 vcc, exec, s[4:5]
	s_cbranch_vccnz .LBB44_5
; %bb.4:
	s_lshl_b64 s[4:5], s[6:7], 2
	s_add_u32 s4, s20, s4
	s_addc_u32 s5, s21, s5
	s_load_dword s4, s[4:5], 0x0
	s_waitcnt lgkmcnt(0)
	v_mov_b32_e32 v1, s4
	v_mul_f32_e32 v1, s23, v1
.LBB44_5:
	s_mov_b64 s[14:15], exec
	s_or_b64 exec, exec, s[18:19]
	s_and_b64 vcc, exec, s[16:17]
	s_cbranch_vccnz .LBB44_8
	s_branch .LBB44_34
.LBB44_6:
	s_mov_b64 s[14:15], 0
                                        ; implicit-def: $vgpr1
                                        ; implicit-def: $sgpr6_sgpr7
	s_cbranch_execnz .LBB44_8
	s_branch .LBB44_34
.LBB44_7:
	s_or_b64 exec, exec, s[18:19]
	s_and_b64 vcc, exec, s[16:17]
	s_cbranch_vccz .LBB44_34
.LBB44_8:
	s_load_dword s18, s[0:1], 0x0
	s_load_dword s19, s[0:1], 0x28
	s_load_dwordx4 s[4:7], s[0:1], 0x30
	s_load_dwordx2 s[16:17], s[0:1], 0x40
	s_mul_i32 s13, s3, s13
	s_load_dword s0, s[0:1], 0x48
	s_mul_hi_u32 s25, s3, s12
	s_waitcnt lgkmcnt(0)
	s_mul_i32 s1, s3, s5
	s_mul_hi_u32 s5, s3, s4
	s_add_i32 s5, s5, s1
	s_mul_i32 s4, s3, s4
	s_add_i32 s13, s25, s13
	s_lshl_b64 s[4:5], s[4:5], 2
	s_add_u32 s1, s8, s4
	s_mul_i32 s12, s3, s12
	s_addc_u32 s3, s9, s5
	s_lshl_b64 s[4:5], s[10:11], 2
	s_add_u32 s1, s1, s4
	s_addc_u32 s9, s3, s5
	s_mul_hi_i32 s5, s19, s2
	s_mul_i32 s4, s19, s2
	s_lshl_b64 s[4:5], s[4:5], 2
	s_add_u32 s8, s4, s1
	s_addc_u32 s9, s5, s9
	s_ashr_i32 s1, s18, 31
	v_cmp_gt_i32_e32 vcc, s18, v0
	s_lshr_b32 s1, s1, 24
	s_add_i32 s1, s18, s1
	v_cndmask_b32_e32 v1, 0, v0, vcc
	v_lshlrev_b32_e32 v2, 2, v1
	v_mov_b32_e32 v3, 0
	s_and_b32 s4, s1, 0xffffff00
	s_mov_b32 s3, 0
	s_cmpk_lt_i32 s18, 0x100
	v_lshl_add_u64 v[4:5], s[8:9], 0, v[2:3]
	s_cbranch_scc1 .LBB44_11
; %bb.9:
	v_mad_i64_i32 v[2:3], s[10:11], s0, v0, 0
	s_ashr_i32 s1, s0, 31
	s_lshl_b64 s[8:9], s[12:13], 2
	s_lshl_b64 s[10:11], s[16:17], 2
	s_add_u32 s5, s6, s10
	s_addc_u32 s10, s7, s11
	s_add_u32 s8, s5, s8
	s_addc_u32 s9, s10, s9
	v_lshl_add_u64 v[6:7], v[2:3], 2, s[8:9]
	s_lshl_b64 s[8:9], s[0:1], 10
	v_mov_b32_e32 v3, 0
	s_mov_b64 s[10:11], 0x400
	v_mov_b64_e32 v[8:9], v[4:5]
.LBB44_10:                              ; =>This Inner Loop Header: Depth=1
	global_load_dword v1, v[8:9], off
	global_load_dword v2, v[6:7], off
	s_addk_i32 s3, 0x100
	v_lshl_add_u64 v[6:7], v[6:7], 0, s[8:9]
	v_lshl_add_u64 v[8:9], v[8:9], 0, s[10:11]
	s_cmp_ge_i32 s3, s4
	s_waitcnt vmcnt(0)
	v_fmac_f32_e32 v3, v1, v2
	s_cbranch_scc0 .LBB44_10
.LBB44_11:
	v_add_u32_e32 v1, s4, v0
	v_cmp_gt_i32_e32 vcc, s18, v1
	s_and_saveexec_b64 s[8:9], vcc
	s_cbranch_execz .LBB44_13
; %bb.12:
	s_lshl_b64 s[10:11], s[12:13], 2
	s_add_u32 s1, s6, s10
	s_addc_u32 s3, s7, s11
	s_lshl_b64 s[6:7], s[16:17], 2
	s_add_u32 s6, s1, s6
	s_addc_u32 s7, s3, s7
	s_ashr_i32 s5, s4, 31
	v_lshl_add_u64 v[4:5], s[4:5], 2, v[4:5]
	global_load_dword v2, v[4:5], off
	v_mad_i64_i32 v[4:5], s[0:1], s0, v1, 0
	v_lshl_add_u64 v[4:5], v[4:5], 2, s[6:7]
	global_load_dword v1, v[4:5], off
	s_waitcnt vmcnt(0)
	v_fmac_f32_e32 v3, v2, v1
.LBB44_13:
	s_or_b64 exec, exec, s[8:9]
	s_movk_i32 s0, 0x80
	v_lshlrev_b32_e32 v1, 2, v0
	v_cmp_gt_u32_e32 vcc, s0, v0
	ds_write_b32 v1, v3
	s_waitcnt lgkmcnt(0)
	s_barrier
	s_and_saveexec_b64 s[0:1], vcc
	s_cbranch_execz .LBB44_15
; %bb.14:
	ds_read2st64_b32 v[2:3], v1 offset1:2
	s_waitcnt lgkmcnt(0)
	v_add_f32_e32 v2, v3, v2
	ds_write_b32 v1, v2
.LBB44_15:
	s_or_b64 exec, exec, s[0:1]
	v_cmp_gt_u32_e32 vcc, 64, v0
	s_waitcnt lgkmcnt(0)
	s_barrier
	s_and_saveexec_b64 s[0:1], vcc
	s_cbranch_execz .LBB44_17
; %bb.16:
	ds_read2st64_b32 v[2:3], v1 offset1:1
	s_waitcnt lgkmcnt(0)
	v_add_f32_e32 v2, v3, v2
	ds_write_b32 v1, v2
.LBB44_17:
	s_or_b64 exec, exec, s[0:1]
	v_cmp_gt_u32_e32 vcc, 32, v0
	s_waitcnt lgkmcnt(0)
	s_barrier
	s_and_saveexec_b64 s[0:1], vcc
	s_cbranch_execz .LBB44_19
; %bb.18:
	ds_read2_b32 v[2:3], v1 offset1:32
	s_waitcnt lgkmcnt(0)
	v_add_f32_e32 v2, v3, v2
	ds_write_b32 v1, v2
.LBB44_19:
	s_or_b64 exec, exec, s[0:1]
	v_cmp_gt_u32_e32 vcc, 16, v0
	s_waitcnt lgkmcnt(0)
	s_barrier
	s_and_saveexec_b64 s[0:1], vcc
	s_cbranch_execz .LBB44_21
; %bb.20:
	ds_read2_b32 v[2:3], v1 offset1:16
	s_waitcnt lgkmcnt(0)
	v_add_f32_e32 v2, v3, v2
	ds_write_b32 v1, v2
.LBB44_21:
	;; [unrolled: 12-line block ×5, first 2 shown]
	s_or_b64 exec, exec, s[0:1]
	v_cmp_eq_u32_e32 vcc, 0, v0
	s_waitcnt lgkmcnt(0)
	s_barrier
	s_and_saveexec_b64 s[0:1], vcc
	s_cbranch_execz .LBB44_29
; %bb.28:
	v_mov_b32_e32 v2, 0
	ds_read_b64 v[0:1], v2
	s_waitcnt lgkmcnt(0)
	v_add_f32_e32 v0, v1, v0
	ds_write_b32 v2, v0
.LBB44_29:
	s_or_b64 exec, exec, s[0:1]
	s_waitcnt lgkmcnt(0)
	s_barrier
	s_waitcnt lgkmcnt(0)
                                        ; implicit-def: $vgpr1
                                        ; implicit-def: $sgpr6_sgpr7
	s_and_saveexec_b64 s[0:1], vcc
	s_cbranch_execz .LBB44_33
; %bb.30:
	v_mov_b32_e32 v0, 0
	ds_read_b32 v0, v0
	v_cmp_eq_f32_e64 s[4:5], s23, 0
	s_mul_hi_i32 s7, s24, s2
	s_mul_i32 s6, s24, s2
	s_and_b64 vcc, exec, s[4:5]
	s_waitcnt lgkmcnt(0)
	v_mul_f32_e32 v1, s22, v0
	s_cbranch_vccnz .LBB44_32
; %bb.31:
	s_lshl_b64 s[2:3], s[6:7], 2
	s_add_u32 s2, s20, s2
	s_addc_u32 s3, s21, s3
	s_load_dword s2, s[2:3], 0x0
	s_waitcnt lgkmcnt(0)
	v_mov_b32_e32 v0, s2
	v_fmac_f32_e32 v1, s23, v0
.LBB44_32:
	s_or_b64 s[14:15], s[14:15], exec
.LBB44_33:
	s_or_b64 exec, exec, s[0:1]
.LBB44_34:
	s_and_saveexec_b64 s[0:1], s[14:15]
	s_cbranch_execz .LBB44_36
; %bb.35:
	s_lshl_b64 s[0:1], s[6:7], 2
	s_add_u32 s0, s20, s0
	s_addc_u32 s1, s21, s1
	v_mov_b32_e32 v0, 0
	global_store_dword v0, v1, s[0:1]
.LBB44_36:
	s_endpgm
	.section	.rodata,"a",@progbits
	.p2align	6, 0x0
	.amdhsa_kernel _ZL20rocblas_gemvt_kernelILb1ELi256EfPKffEviiT2_lPKT1_lilS5_lilS2_lPT3_lili
		.amdhsa_group_segment_fixed_size 1024
		.amdhsa_private_segment_fixed_size 0
		.amdhsa_kernarg_size 140
		.amdhsa_user_sgpr_count 2
		.amdhsa_user_sgpr_dispatch_ptr 0
		.amdhsa_user_sgpr_queue_ptr 0
		.amdhsa_user_sgpr_kernarg_segment_ptr 1
		.amdhsa_user_sgpr_dispatch_id 0
		.amdhsa_user_sgpr_kernarg_preload_length 0
		.amdhsa_user_sgpr_kernarg_preload_offset 0
		.amdhsa_user_sgpr_private_segment_size 0
		.amdhsa_uses_dynamic_stack 0
		.amdhsa_enable_private_segment 0
		.amdhsa_system_sgpr_workgroup_id_x 1
		.amdhsa_system_sgpr_workgroup_id_y 0
		.amdhsa_system_sgpr_workgroup_id_z 1
		.amdhsa_system_sgpr_workgroup_info 0
		.amdhsa_system_vgpr_workitem_id 0
		.amdhsa_next_free_vgpr 10
		.amdhsa_next_free_sgpr 26
		.amdhsa_accum_offset 12
		.amdhsa_reserve_vcc 1
		.amdhsa_float_round_mode_32 0
		.amdhsa_float_round_mode_16_64 0
		.amdhsa_float_denorm_mode_32 3
		.amdhsa_float_denorm_mode_16_64 3
		.amdhsa_dx10_clamp 1
		.amdhsa_ieee_mode 1
		.amdhsa_fp16_overflow 0
		.amdhsa_tg_split 0
		.amdhsa_exception_fp_ieee_invalid_op 0
		.amdhsa_exception_fp_denorm_src 0
		.amdhsa_exception_fp_ieee_div_zero 0
		.amdhsa_exception_fp_ieee_overflow 0
		.amdhsa_exception_fp_ieee_underflow 0
		.amdhsa_exception_fp_ieee_inexact 0
		.amdhsa_exception_int_div_zero 0
	.end_amdhsa_kernel
	.section	.text._ZL20rocblas_gemvt_kernelILb1ELi256EfPKffEviiT2_lPKT1_lilS5_lilS2_lPT3_lili,"axG",@progbits,_ZL20rocblas_gemvt_kernelILb1ELi256EfPKffEviiT2_lPKT1_lilS5_lilS2_lPT3_lili,comdat
.Lfunc_end44:
	.size	_ZL20rocblas_gemvt_kernelILb1ELi256EfPKffEviiT2_lPKT1_lilS5_lilS2_lPT3_lili, .Lfunc_end44-_ZL20rocblas_gemvt_kernelILb1ELi256EfPKffEviiT2_lPKT1_lilS5_lilS2_lPT3_lili
                                        ; -- End function
	.section	.AMDGPU.csdata,"",@progbits
; Kernel info:
; codeLenInByte = 1268
; NumSgprs: 32
; NumVgprs: 10
; NumAgprs: 0
; TotalNumVgprs: 10
; ScratchSize: 0
; MemoryBound: 0
; FloatMode: 240
; IeeeMode: 1
; LDSByteSize: 1024 bytes/workgroup (compile time only)
; SGPRBlocks: 3
; VGPRBlocks: 1
; NumSGPRsForWavesPerEU: 32
; NumVGPRsForWavesPerEU: 10
; AccumOffset: 12
; Occupancy: 8
; WaveLimiterHint : 1
; COMPUTE_PGM_RSRC2:SCRATCH_EN: 0
; COMPUTE_PGM_RSRC2:USER_SGPR: 2
; COMPUTE_PGM_RSRC2:TRAP_HANDLER: 0
; COMPUTE_PGM_RSRC2:TGID_X_EN: 1
; COMPUTE_PGM_RSRC2:TGID_Y_EN: 0
; COMPUTE_PGM_RSRC2:TGID_Z_EN: 1
; COMPUTE_PGM_RSRC2:TIDIG_COMP_CNT: 0
; COMPUTE_PGM_RSRC3_GFX90A:ACCUM_OFFSET: 2
; COMPUTE_PGM_RSRC3_GFX90A:TG_SPLIT: 0
	.section	.text._ZL20rocblas_gemvt_kernelILb1ELi256EfffEviiT2_lPKT1_lilS3_lilS0_lPT3_lili,"axG",@progbits,_ZL20rocblas_gemvt_kernelILb1ELi256EfffEviiT2_lPKT1_lilS3_lilS0_lPT3_lili,comdat
	.globl	_ZL20rocblas_gemvt_kernelILb1ELi256EfffEviiT2_lPKT1_lilS3_lilS0_lPT3_lili ; -- Begin function _ZL20rocblas_gemvt_kernelILb1ELi256EfffEviiT2_lPKT1_lilS3_lilS0_lPT3_lili
	.p2align	8
	.type	_ZL20rocblas_gemvt_kernelILb1ELi256EfffEviiT2_lPKT1_lilS3_lilS0_lPT3_lili,@function
_ZL20rocblas_gemvt_kernelILb1ELi256EfffEviiT2_lPKT1_lilS3_lilS0_lPT3_lili: ; @_ZL20rocblas_gemvt_kernelILb1ELi256EfffEviiT2_lPKT1_lilS3_lilS0_lPT3_lili
; %bb.0:
	s_load_dword s21, s[0:1], 0x8
	s_load_dword s20, s[0:1], 0x58
	s_waitcnt lgkmcnt(0)
	v_cmp_eq_f32_e64 s[4:5], s21, 0
	v_cmp_eq_f32_e64 s[6:7], s20, 1.0
	s_and_b64 s[4:5], s[4:5], s[6:7]
	s_and_b64 vcc, exec, s[4:5]
	s_cbranch_vccnz .LBB45_36
; %bb.1:
	s_load_dwordx2 s[8:9], s[0:1], 0x80
	s_load_dwordx4 s[4:7], s[0:1], 0x68
	s_load_dword s22, s[0:1], 0x78
	s_waitcnt lgkmcnt(0)
	s_mul_i32 s9, s3, s9
	s_mul_hi_u32 s10, s3, s8
	s_mul_i32 s8, s3, s8
	s_add_i32 s9, s10, s9
	s_lshl_b64 s[8:9], s[8:9], 2
	s_add_u32 s8, s4, s8
	s_addc_u32 s9, s5, s9
	s_lshl_b64 s[4:5], s[6:7], 2
	s_add_u32 s18, s8, s4
	s_addc_u32 s19, s9, s5
	v_cmp_neq_f32_e64 s[4:5], s21, 0
	s_and_b64 vcc, exec, s[4:5]
	v_cmp_eq_u32_e64 s[4:5], 0, v0
	s_cbranch_vccnz .LBB45_6
; %bb.2:
	s_mov_b64 s[10:11], 0
	s_mov_b64 s[8:9], 0
                                        ; implicit-def: $vgpr1
                                        ; implicit-def: $sgpr6_sgpr7
	s_and_saveexec_b64 s[12:13], s[4:5]
	s_cbranch_execz .LBB45_7
; %bb.3:
	v_cmp_eq_f32_e64 s[4:5], s20, 0
	v_mov_b32_e32 v1, 0
	s_mul_hi_i32 s7, s22, s2
	s_mul_i32 s6, s22, s2
	s_and_b64 vcc, exec, s[4:5]
	s_cbranch_vccnz .LBB45_5
; %bb.4:
	s_lshl_b64 s[4:5], s[6:7], 2
	s_add_u32 s4, s18, s4
	s_addc_u32 s5, s19, s5
	s_load_dword s4, s[4:5], 0x0
	v_mov_b32_e32 v1, s20
	s_waitcnt lgkmcnt(0)
	v_mul_f32_e32 v1, s4, v1
.LBB45_5:
	s_mov_b64 s[8:9], exec
	s_or_b64 exec, exec, s[12:13]
	s_and_b64 vcc, exec, s[10:11]
	s_cbranch_vccnz .LBB45_8
	s_branch .LBB45_34
.LBB45_6:
	s_mov_b64 s[8:9], 0
                                        ; implicit-def: $vgpr1
                                        ; implicit-def: $sgpr6_sgpr7
	s_cbranch_execnz .LBB45_8
	s_branch .LBB45_34
.LBB45_7:
	s_or_b64 exec, exec, s[12:13]
	s_and_b64 vcc, exec, s[10:11]
	s_cbranch_vccz .LBB45_34
.LBB45_8:
	s_load_dwordx2 s[14:15], s[0:1], 0x50
	s_load_dword s23, s[0:1], 0x0
	s_load_dwordx4 s[24:27], s[0:1], 0x18
	s_load_dword s13, s[0:1], 0x28
	s_load_dwordx4 s[4:7], s[0:1], 0x30
	s_load_dwordx2 s[10:11], s[0:1], 0x40
	s_load_dword s12, s[0:1], 0x48
	s_waitcnt lgkmcnt(0)
	s_mul_i32 s0, s3, s15
	s_mul_hi_u32 s1, s3, s14
	s_add_i32 s1, s1, s0
	s_mul_i32 s0, s3, s14
	s_mul_i32 s5, s3, s5
	s_mul_hi_u32 s14, s3, s4
	s_add_i32 s5, s14, s5
	s_mul_i32 s4, s3, s4
	s_lshl_b64 s[4:5], s[4:5], 2
	s_add_u32 s3, s24, s4
	s_addc_u32 s14, s25, s5
	s_lshl_b64 s[4:5], s[26:27], 2
	s_add_u32 s15, s3, s4
	s_addc_u32 s16, s14, s5
	s_mul_hi_i32 s5, s13, s2
	s_mul_i32 s4, s13, s2
	s_lshl_b64 s[4:5], s[4:5], 2
	s_add_u32 s14, s4, s15
	s_addc_u32 s15, s5, s16
	s_ashr_i32 s4, s23, 31
	v_cmp_gt_i32_e32 vcc, s23, v0
	s_lshr_b32 s4, s4, 24
	s_add_i32 s4, s23, s4
	v_cndmask_b32_e32 v1, 0, v0, vcc
	v_lshlrev_b32_e32 v2, 2, v1
	v_mov_b32_e32 v3, 0
	s_and_b32 s4, s4, 0xffffff00
	s_mov_b32 s3, 0
	s_cmpk_lt_i32 s23, 0x100
	v_lshl_add_u64 v[4:5], s[14:15], 0, v[2:3]
	s_cbranch_scc1 .LBB45_11
; %bb.9:
	v_mad_i64_i32 v[2:3], s[16:17], s12, v0, 0
	s_ashr_i32 s13, s12, 31
	s_lshl_b64 s[14:15], s[0:1], 2
	s_lshl_b64 s[16:17], s[10:11], 2
	s_add_u32 s5, s6, s16
	s_addc_u32 s16, s7, s17
	s_add_u32 s14, s5, s14
	s_addc_u32 s15, s16, s15
	v_lshl_add_u64 v[6:7], v[2:3], 2, s[14:15]
	s_lshl_b64 s[14:15], s[12:13], 10
	v_mov_b32_e32 v3, 0
	s_mov_b64 s[16:17], 0x400
	v_mov_b64_e32 v[8:9], v[4:5]
.LBB45_10:                              ; =>This Inner Loop Header: Depth=1
	global_load_dword v1, v[8:9], off
	global_load_dword v2, v[6:7], off
	s_addk_i32 s3, 0x100
	v_lshl_add_u64 v[6:7], v[6:7], 0, s[14:15]
	v_lshl_add_u64 v[8:9], v[8:9], 0, s[16:17]
	s_cmp_ge_i32 s3, s4
	s_waitcnt vmcnt(0)
	v_fmac_f32_e32 v3, v1, v2
	s_cbranch_scc0 .LBB45_10
.LBB45_11:
	v_add_u32_e32 v1, s4, v0
	v_cmp_gt_i32_e32 vcc, s23, v1
	s_and_saveexec_b64 s[14:15], vcc
	s_cbranch_execz .LBB45_13
; %bb.12:
	s_lshl_b64 s[0:1], s[0:1], 2
	s_add_u32 s3, s6, s0
	s_addc_u32 s5, s7, s1
	s_lshl_b64 s[0:1], s[10:11], 2
	s_add_u32 s0, s3, s0
	s_addc_u32 s1, s5, s1
	s_ashr_i32 s5, s4, 31
	v_lshl_add_u64 v[4:5], s[4:5], 2, v[4:5]
	global_load_dword v2, v[4:5], off
	v_mad_i64_i32 v[4:5], s[4:5], s12, v1, 0
	v_lshl_add_u64 v[4:5], v[4:5], 2, s[0:1]
	global_load_dword v1, v[4:5], off
	s_waitcnt vmcnt(0)
	v_fmac_f32_e32 v3, v2, v1
.LBB45_13:
	s_or_b64 exec, exec, s[14:15]
	s_movk_i32 s0, 0x80
	v_lshlrev_b32_e32 v1, 2, v0
	v_cmp_gt_u32_e32 vcc, s0, v0
	ds_write_b32 v1, v3
	s_waitcnt lgkmcnt(0)
	s_barrier
	s_and_saveexec_b64 s[0:1], vcc
	s_cbranch_execz .LBB45_15
; %bb.14:
	ds_read2st64_b32 v[2:3], v1 offset1:2
	s_waitcnt lgkmcnt(0)
	v_add_f32_e32 v2, v3, v2
	ds_write_b32 v1, v2
.LBB45_15:
	s_or_b64 exec, exec, s[0:1]
	v_cmp_gt_u32_e32 vcc, 64, v0
	s_waitcnt lgkmcnt(0)
	s_barrier
	s_and_saveexec_b64 s[0:1], vcc
	s_cbranch_execz .LBB45_17
; %bb.16:
	ds_read2st64_b32 v[2:3], v1 offset1:1
	s_waitcnt lgkmcnt(0)
	v_add_f32_e32 v2, v3, v2
	ds_write_b32 v1, v2
.LBB45_17:
	s_or_b64 exec, exec, s[0:1]
	v_cmp_gt_u32_e32 vcc, 32, v0
	s_waitcnt lgkmcnt(0)
	s_barrier
	s_and_saveexec_b64 s[0:1], vcc
	s_cbranch_execz .LBB45_19
; %bb.18:
	ds_read2_b32 v[2:3], v1 offset1:32
	s_waitcnt lgkmcnt(0)
	v_add_f32_e32 v2, v3, v2
	ds_write_b32 v1, v2
.LBB45_19:
	s_or_b64 exec, exec, s[0:1]
	v_cmp_gt_u32_e32 vcc, 16, v0
	s_waitcnt lgkmcnt(0)
	s_barrier
	s_and_saveexec_b64 s[0:1], vcc
	s_cbranch_execz .LBB45_21
; %bb.20:
	ds_read2_b32 v[2:3], v1 offset1:16
	s_waitcnt lgkmcnt(0)
	v_add_f32_e32 v2, v3, v2
	ds_write_b32 v1, v2
.LBB45_21:
	;; [unrolled: 12-line block ×5, first 2 shown]
	s_or_b64 exec, exec, s[0:1]
	v_cmp_eq_u32_e32 vcc, 0, v0
	s_waitcnt lgkmcnt(0)
	s_barrier
	s_and_saveexec_b64 s[0:1], vcc
	s_cbranch_execz .LBB45_29
; %bb.28:
	v_mov_b32_e32 v2, 0
	ds_read_b64 v[0:1], v2
	s_waitcnt lgkmcnt(0)
	v_add_f32_e32 v0, v1, v0
	ds_write_b32 v2, v0
.LBB45_29:
	s_or_b64 exec, exec, s[0:1]
	s_waitcnt lgkmcnt(0)
	s_barrier
	s_waitcnt lgkmcnt(0)
                                        ; implicit-def: $vgpr1
                                        ; implicit-def: $sgpr6_sgpr7
	s_and_saveexec_b64 s[0:1], vcc
	s_cbranch_execz .LBB45_33
; %bb.30:
	v_mov_b32_e32 v0, 0
	ds_read_b32 v0, v0
	v_cmp_eq_f32_e64 s[4:5], s20, 0
	s_mul_hi_i32 s7, s22, s2
	s_mul_i32 s6, s22, s2
	s_and_b64 vcc, exec, s[4:5]
	s_waitcnt lgkmcnt(0)
	v_mul_f32_e32 v1, s21, v0
	s_cbranch_vccnz .LBB45_32
; %bb.31:
	s_lshl_b64 s[2:3], s[6:7], 2
	s_add_u32 s2, s18, s2
	s_addc_u32 s3, s19, s3
	s_load_dword s2, s[2:3], 0x0
	v_mov_b32_e32 v0, s20
	s_waitcnt lgkmcnt(0)
	v_fmac_f32_e32 v1, s2, v0
.LBB45_32:
	s_or_b64 s[8:9], s[8:9], exec
.LBB45_33:
	s_or_b64 exec, exec, s[0:1]
.LBB45_34:
	s_and_saveexec_b64 s[0:1], s[8:9]
	s_cbranch_execz .LBB45_36
; %bb.35:
	s_lshl_b64 s[0:1], s[6:7], 2
	s_add_u32 s0, s18, s0
	s_addc_u32 s1, s19, s1
	v_mov_b32_e32 v0, 0
	global_store_dword v0, v1, s[0:1]
.LBB45_36:
	s_endpgm
	.section	.rodata,"a",@progbits
	.p2align	6, 0x0
	.amdhsa_kernel _ZL20rocblas_gemvt_kernelILb1ELi256EfffEviiT2_lPKT1_lilS3_lilS0_lPT3_lili
		.amdhsa_group_segment_fixed_size 1024
		.amdhsa_private_segment_fixed_size 0
		.amdhsa_kernarg_size 140
		.amdhsa_user_sgpr_count 2
		.amdhsa_user_sgpr_dispatch_ptr 0
		.amdhsa_user_sgpr_queue_ptr 0
		.amdhsa_user_sgpr_kernarg_segment_ptr 1
		.amdhsa_user_sgpr_dispatch_id 0
		.amdhsa_user_sgpr_kernarg_preload_length 0
		.amdhsa_user_sgpr_kernarg_preload_offset 0
		.amdhsa_user_sgpr_private_segment_size 0
		.amdhsa_uses_dynamic_stack 0
		.amdhsa_enable_private_segment 0
		.amdhsa_system_sgpr_workgroup_id_x 1
		.amdhsa_system_sgpr_workgroup_id_y 0
		.amdhsa_system_sgpr_workgroup_id_z 1
		.amdhsa_system_sgpr_workgroup_info 0
		.amdhsa_system_vgpr_workitem_id 0
		.amdhsa_next_free_vgpr 10
		.amdhsa_next_free_sgpr 28
		.amdhsa_accum_offset 12
		.amdhsa_reserve_vcc 1
		.amdhsa_float_round_mode_32 0
		.amdhsa_float_round_mode_16_64 0
		.amdhsa_float_denorm_mode_32 3
		.amdhsa_float_denorm_mode_16_64 3
		.amdhsa_dx10_clamp 1
		.amdhsa_ieee_mode 1
		.amdhsa_fp16_overflow 0
		.amdhsa_tg_split 0
		.amdhsa_exception_fp_ieee_invalid_op 0
		.amdhsa_exception_fp_denorm_src 0
		.amdhsa_exception_fp_ieee_div_zero 0
		.amdhsa_exception_fp_ieee_overflow 0
		.amdhsa_exception_fp_ieee_underflow 0
		.amdhsa_exception_fp_ieee_inexact 0
		.amdhsa_exception_int_div_zero 0
	.end_amdhsa_kernel
	.section	.text._ZL20rocblas_gemvt_kernelILb1ELi256EfffEviiT2_lPKT1_lilS3_lilS0_lPT3_lili,"axG",@progbits,_ZL20rocblas_gemvt_kernelILb1ELi256EfffEviiT2_lPKT1_lilS3_lilS0_lPT3_lili,comdat
.Lfunc_end45:
	.size	_ZL20rocblas_gemvt_kernelILb1ELi256EfffEviiT2_lPKT1_lilS3_lilS0_lPT3_lili, .Lfunc_end45-_ZL20rocblas_gemvt_kernelILb1ELi256EfffEviiT2_lPKT1_lilS3_lilS0_lPT3_lili
                                        ; -- End function
	.section	.AMDGPU.csdata,"",@progbits
; Kernel info:
; codeLenInByte = 1208
; NumSgprs: 34
; NumVgprs: 10
; NumAgprs: 0
; TotalNumVgprs: 10
; ScratchSize: 0
; MemoryBound: 0
; FloatMode: 240
; IeeeMode: 1
; LDSByteSize: 1024 bytes/workgroup (compile time only)
; SGPRBlocks: 4
; VGPRBlocks: 1
; NumSGPRsForWavesPerEU: 34
; NumVGPRsForWavesPerEU: 10
; AccumOffset: 12
; Occupancy: 8
; WaveLimiterHint : 1
; COMPUTE_PGM_RSRC2:SCRATCH_EN: 0
; COMPUTE_PGM_RSRC2:USER_SGPR: 2
; COMPUTE_PGM_RSRC2:TRAP_HANDLER: 0
; COMPUTE_PGM_RSRC2:TGID_X_EN: 1
; COMPUTE_PGM_RSRC2:TGID_Y_EN: 0
; COMPUTE_PGM_RSRC2:TGID_Z_EN: 1
; COMPUTE_PGM_RSRC2:TIDIG_COMP_CNT: 0
; COMPUTE_PGM_RSRC3_GFX90A:ACCUM_OFFSET: 2
; COMPUTE_PGM_RSRC3_GFX90A:TG_SPLIT: 0
	.section	.text._ZL32rocblas_gemvt_warp_reduce_kernelILb1ELi1024EifPKffEviiT3_lPKT2_lT1_lS5_lS6_lS2_lPT4_lS6_li,"axG",@progbits,_ZL32rocblas_gemvt_warp_reduce_kernelILb1ELi1024EifPKffEviiT3_lPKT2_lT1_lS5_lS6_lS2_lPT4_lS6_li,comdat
	.globl	_ZL32rocblas_gemvt_warp_reduce_kernelILb1ELi1024EifPKffEviiT3_lPKT2_lT1_lS5_lS6_lS2_lPT4_lS6_li ; -- Begin function _ZL32rocblas_gemvt_warp_reduce_kernelILb1ELi1024EifPKffEviiT3_lPKT2_lT1_lS5_lS6_lS2_lPT4_lS6_li
	.p2align	8
	.type	_ZL32rocblas_gemvt_warp_reduce_kernelILb1ELi1024EifPKffEviiT3_lPKT2_lT1_lS5_lS6_lS2_lPT4_lS6_li,@function
_ZL32rocblas_gemvt_warp_reduce_kernelILb1ELi1024EifPKffEviiT3_lPKT2_lT1_lS5_lS6_lS2_lPT4_lS6_li: ; @_ZL32rocblas_gemvt_warp_reduce_kernelILb1ELi1024EifPKffEviiT3_lPKT2_lT1_lS5_lS6_lS2_lPT4_lS6_li
; %bb.0:
	s_load_dwordx8 s[4:11], s[0:1], 0x8
	s_load_dwordx8 s[12:19], s[0:1], 0x50
	s_waitcnt lgkmcnt(0)
	s_mul_i32 s7, s3, s7
	s_mul_hi_u32 s20, s3, s6
	s_add_i32 s7, s20, s7
	s_mul_i32 s6, s3, s6
	s_lshl_b64 s[6:7], s[6:7], 2
	s_add_u32 s4, s4, s6
	s_addc_u32 s5, s5, s7
	s_load_dword s23, s[4:5], 0x0
	s_mul_i32 s4, s3, s17
	s_mul_hi_u32 s5, s3, s16
	s_add_i32 s5, s5, s4
	s_mul_i32 s4, s3, s16
	s_lshl_b64 s[4:5], s[4:5], 2
	s_add_u32 s4, s14, s4
	s_addc_u32 s5, s15, s5
	s_load_dword s22, s[4:5], 0x0
	s_waitcnt lgkmcnt(0)
	v_cmp_eq_f32_e64 s[4:5], s23, 0
	v_cmp_eq_f32_e64 s[6:7], s22, 1.0
	s_and_b64 s[4:5], s[4:5], s[6:7]
	s_and_b64 vcc, exec, s[4:5]
	s_cbranch_vccnz .LBB46_29
; %bb.1:
	s_load_dwordx2 s[4:5], s[0:1], 0x80
	s_load_dwordx2 s[6:7], s[0:1], 0x70
	s_load_dword s24, s[0:1], 0x78
	s_waitcnt lgkmcnt(0)
	s_mul_i32 s5, s3, s5
	s_mul_hi_u32 s14, s3, s4
	s_mul_i32 s4, s3, s4
	s_add_i32 s5, s14, s5
	s_lshl_b64 s[4:5], s[4:5], 2
	s_add_u32 s14, s18, s4
	s_addc_u32 s15, s19, s5
	s_lshl_b64 s[4:5], s[6:7], 2
	s_add_u32 s20, s14, s4
	s_addc_u32 s21, s15, s5
	v_cmp_neq_f32_e64 s[4:5], s23, 0
	s_and_b64 vcc, exec, s[4:5]
	v_cmp_eq_u32_e64 s[4:5], 0, v0
	s_cbranch_vccnz .LBB46_6
; %bb.2:
	s_mov_b64 s[16:17], 0
	s_mov_b64 s[6:7], 0
                                        ; implicit-def: $vgpr1
                                        ; implicit-def: $sgpr14_sgpr15
	s_and_saveexec_b64 s[18:19], s[4:5]
	s_cbranch_execz .LBB46_7
; %bb.3:
	v_cmp_eq_f32_e64 s[4:5], s22, 0
	s_mul_i32 s14, s2, s24
	v_mov_b32_e32 v1, 0
	s_ashr_i32 s15, s14, 31
	s_and_b64 vcc, exec, s[4:5]
	s_cbranch_vccnz .LBB46_5
; %bb.4:
	s_lshl_b64 s[4:5], s[14:15], 2
	s_add_u32 s4, s20, s4
	s_addc_u32 s5, s21, s5
	s_load_dword s4, s[4:5], 0x0
	s_waitcnt lgkmcnt(0)
	v_mov_b32_e32 v1, s4
	v_mul_f32_e32 v1, s22, v1
.LBB46_5:
	s_mov_b64 s[6:7], exec
	s_or_b64 exec, exec, s[18:19]
	s_and_b64 vcc, exec, s[16:17]
	s_cbranch_vccnz .LBB46_8
	s_branch .LBB46_27
.LBB46_6:
	s_mov_b64 s[6:7], 0
                                        ; implicit-def: $vgpr1
                                        ; implicit-def: $sgpr14_sgpr15
	s_cbranch_execnz .LBB46_8
	s_branch .LBB46_27
.LBB46_7:
	s_or_b64 exec, exec, s[18:19]
	s_and_b64 vcc, exec, s[16:17]
	s_cbranch_vccz .LBB46_27
.LBB46_8:
	s_load_dword s14, s[0:1], 0x0
	s_load_dword s25, s[0:1], 0x28
	s_load_dwordx4 s[16:19], s[0:1], 0x30
	s_load_dwordx2 s[4:5], s[0:1], 0x40
	s_mul_i32 s13, s3, s13
	s_mul_hi_u32 s15, s3, s12
	s_add_i32 s13, s15, s13
	s_mul_i32 s12, s3, s12
	s_lshl_b64 s[12:13], s[12:13], 2
	s_waitcnt lgkmcnt(0)
	s_add_u32 s12, s18, s12
	s_addc_u32 s13, s19, s13
	s_lshl_b64 s[4:5], s[4:5], 2
	s_add_u32 s4, s12, s4
	s_load_dword s15, s[0:1], 0x48
	s_mul_i32 s0, s3, s17
	s_mul_hi_u32 s1, s3, s16
	s_addc_u32 s5, s13, s5
	s_add_i32 s1, s1, s0
	s_mul_i32 s0, s3, s16
	s_lshl_b64 s[0:1], s[0:1], 2
	s_add_u32 s3, s8, s0
	s_addc_u32 s8, s9, s1
	s_lshl_b64 s[0:1], s[10:11], 2
	s_add_u32 s3, s3, s0
	s_mul_i32 s0, s2, s25
	s_addc_u32 s8, s8, s1
	s_ashr_i32 s1, s0, 31
	v_cmp_gt_i32_e32 vcc, s14, v0
	s_lshl_b64 s[0:1], s[0:1], 2
	s_add_u32 s0, s0, s3
	v_cndmask_b32_e32 v1, 0, v0, vcc
	v_lshlrev_b32_e32 v2, 2, v1
	v_mov_b32_e32 v3, 0
	s_addc_u32 s1, s1, s8
	v_lshl_add_u64 v[4:5], s[0:1], 0, v[2:3]
	s_ashr_i32 s0, s14, 31
	s_lshr_b32 s0, s0, 22
	s_add_i32 s0, s14, s0
	s_and_b32 s0, s0, 0xfffffc00
	v_cmp_gt_i32_e32 vcc, s0, v0
	s_and_saveexec_b64 s[8:9], vcc
	s_cbranch_execz .LBB46_12
; %bb.9:
	s_waitcnt lgkmcnt(0)
	v_mul_lo_u32 v6, v0, s15
	s_lshl_b32 s1, s15, 10
	s_mov_b64 s[10:11], 0
	v_mov_b32_e32 v3, 0
	s_mov_b64 s[12:13], 0x1000
	v_mov_b64_e32 v[8:9], v[4:5]
	v_mov_b32_e32 v1, v0
.LBB46_10:                              ; =>This Inner Loop Header: Depth=1
	v_ashrrev_i32_e32 v7, 31, v6
	v_lshl_add_u64 v[10:11], v[6:7], 2, s[4:5]
	global_load_dword v2, v[8:9], off
	global_load_dword v7, v[10:11], off
	v_add_u32_e32 v1, 0x400, v1
	v_cmp_le_i32_e32 vcc, s0, v1
	v_lshl_add_u64 v[8:9], v[8:9], 0, s[12:13]
	v_add_u32_e32 v6, s1, v6
	s_or_b64 s[10:11], vcc, s[10:11]
	s_waitcnt vmcnt(0)
	v_fmac_f32_e32 v3, v2, v7
	s_andn2_b64 exec, exec, s[10:11]
	s_cbranch_execnz .LBB46_10
; %bb.11:
	s_or_b64 exec, exec, s[10:11]
.LBB46_12:
	s_or_b64 exec, exec, s[8:9]
	v_or_b32_e32 v1, s0, v0
	v_cmp_gt_i32_e32 vcc, s14, v1
	s_and_saveexec_b64 s[8:9], vcc
	s_cbranch_execz .LBB46_14
; %bb.13:
	s_ashr_i32 s1, s0, 31
	v_lshl_add_u64 v[4:5], s[0:1], 2, v[4:5]
	global_load_dword v2, v[4:5], off
	s_waitcnt lgkmcnt(0)
	v_mul_lo_u32 v4, v1, s15
	v_ashrrev_i32_e32 v5, 31, v4
	v_lshl_add_u64 v[4:5], v[4:5], 2, s[4:5]
	global_load_dword v1, v[4:5], off
	s_waitcnt vmcnt(0)
	v_fmac_f32_e32 v3, v2, v1
.LBB46_14:
	s_or_b64 exec, exec, s[8:9]
	v_and_b32_e32 v2, 63, v0
	v_cmp_gt_u32_e32 vcc, 64, v0
	v_lshlrev_b32_e32 v1, 2, v2
	s_and_saveexec_b64 s[0:1], vcc
	s_cbranch_execz .LBB46_16
; %bb.15:
	v_mov_b32_e32 v4, 0
	ds_write_b32 v1, v4
.LBB46_16:
	s_or_b64 exec, exec, s[0:1]
	v_mbcnt_lo_u32_b32 v4, -1, 0
	v_mbcnt_hi_u32_b32 v6, -1, v4
	v_and_b32_e32 v7, 63, v6
	v_cmp_gt_u32_e64 s[0:1], 32, v7
	s_waitcnt lgkmcnt(0)
	s_barrier
	v_cndmask_b32_e64 v4, 0, 1, s[0:1]
	v_lshlrev_b32_e32 v4, 5, v4
	v_add_lshl_u32 v4, v4, v6, 2
	ds_bpermute_b32 v4, v4, v3
	v_cmp_gt_u32_e64 s[0:1], 48, v7
	s_waitcnt lgkmcnt(0)
	v_add_f32_e32 v3, v3, v4
	v_cndmask_b32_e64 v5, 0, 1, s[0:1]
	v_lshlrev_b32_e32 v5, 4, v5
	v_add_lshl_u32 v4, v5, v6, 2
	ds_bpermute_b32 v4, v4, v3
	v_cmp_gt_u32_e64 s[0:1], 56, v7
	s_waitcnt lgkmcnt(0)
	v_add_f32_e32 v4, v3, v4
	;; [unrolled: 7-line block ×4, first 2 shown]
	v_cndmask_b32_e64 v9, 0, 1, s[0:1]
	v_lshlrev_b32_e32 v9, 1, v9
	v_add_lshl_u32 v5, v9, v6, 2
	ds_bpermute_b32 v9, v5, v8
	v_cmp_ne_u32_e64 s[0:1], 63, v7
	s_waitcnt lgkmcnt(0)
	v_add_f32_e32 v7, v8, v9
	v_addc_co_u32_e64 v6, s[0:1], 0, v6, s[0:1]
	v_lshlrev_b32_e32 v6, 2, v6
	ds_bpermute_b32 v8, v6, v7
	v_cmp_eq_u32_e64 s[0:1], 0, v2
	s_and_saveexec_b64 s[4:5], s[0:1]
	s_cbranch_execz .LBB46_18
; %bb.17:
	v_lshrrev_b32_e32 v2, 4, v0
	v_and_b32_e32 v2, 60, v2
	s_waitcnt lgkmcnt(0)
	v_add_f32_e32 v7, v7, v8
	ds_write_b32 v2, v7
.LBB46_18:
	s_or_b64 exec, exec, s[4:5]
	v_cmp_gt_u32_e64 s[0:1], 16, v0
	v_mov_b32_e32 v2, 0
	s_waitcnt lgkmcnt(0)
	s_barrier
	s_and_saveexec_b64 s[4:5], s[0:1]
	s_cbranch_execz .LBB46_20
; %bb.19:
	ds_read_b32 v2, v1
	s_or_b64 exec, exec, s[4:5]
	s_and_saveexec_b64 s[0:1], vcc
	s_cbranch_execz .LBB46_22
	s_branch .LBB46_21
.LBB46_20:
	s_or_b64 exec, exec, s[4:5]
	s_and_saveexec_b64 s[0:1], vcc
	s_cbranch_execz .LBB46_22
.LBB46_21:
	s_waitcnt lgkmcnt(0)
	ds_bpermute_b32 v1, v3, v2
	s_waitcnt lgkmcnt(0)
	v_add_f32_e32 v1, v2, v1
	ds_bpermute_b32 v2, v4, v1
	s_waitcnt lgkmcnt(0)
	v_add_f32_e32 v1, v1, v2
	;; [unrolled: 3-line block ×4, first 2 shown]
.LBB46_22:
	s_or_b64 exec, exec, s[0:1]
	v_cmp_eq_u32_e32 vcc, 0, v0
                                        ; implicit-def: $vgpr1
                                        ; implicit-def: $sgpr14_sgpr15
	s_and_saveexec_b64 s[0:1], vcc
	s_cbranch_execz .LBB46_26
; %bb.23:
	v_cmp_eq_f32_e64 s[4:5], s22, 0
	s_mul_i32 s14, s2, s24
	s_waitcnt lgkmcnt(0)
	v_mul_f32_e32 v1, s23, v2
	s_ashr_i32 s15, s14, 31
	s_and_b64 vcc, exec, s[4:5]
	s_cbranch_vccnz .LBB46_25
; %bb.24:
	s_lshl_b64 s[2:3], s[14:15], 2
	s_add_u32 s2, s20, s2
	s_addc_u32 s3, s21, s3
	s_load_dword s2, s[2:3], 0x0
	s_waitcnt lgkmcnt(0)
	v_mov_b32_e32 v0, s2
	v_fmac_f32_e32 v1, s22, v0
.LBB46_25:
	s_or_b64 s[6:7], s[6:7], exec
.LBB46_26:
	s_or_b64 exec, exec, s[0:1]
.LBB46_27:
	s_and_saveexec_b64 s[0:1], s[6:7]
	s_cbranch_execz .LBB46_29
; %bb.28:
	s_lshl_b64 s[0:1], s[14:15], 2
	s_add_u32 s0, s20, s0
	s_addc_u32 s1, s21, s1
	v_mov_b32_e32 v0, 0
	global_store_dword v0, v1, s[0:1]
.LBB46_29:
	s_endpgm
	.section	.rodata,"a",@progbits
	.p2align	6, 0x0
	.amdhsa_kernel _ZL32rocblas_gemvt_warp_reduce_kernelILb1ELi1024EifPKffEviiT3_lPKT2_lT1_lS5_lS6_lS2_lPT4_lS6_li
		.amdhsa_group_segment_fixed_size 256
		.amdhsa_private_segment_fixed_size 0
		.amdhsa_kernarg_size 140
		.amdhsa_user_sgpr_count 2
		.amdhsa_user_sgpr_dispatch_ptr 0
		.amdhsa_user_sgpr_queue_ptr 0
		.amdhsa_user_sgpr_kernarg_segment_ptr 1
		.amdhsa_user_sgpr_dispatch_id 0
		.amdhsa_user_sgpr_kernarg_preload_length 0
		.amdhsa_user_sgpr_kernarg_preload_offset 0
		.amdhsa_user_sgpr_private_segment_size 0
		.amdhsa_uses_dynamic_stack 0
		.amdhsa_enable_private_segment 0
		.amdhsa_system_sgpr_workgroup_id_x 1
		.amdhsa_system_sgpr_workgroup_id_y 0
		.amdhsa_system_sgpr_workgroup_id_z 1
		.amdhsa_system_sgpr_workgroup_info 0
		.amdhsa_system_vgpr_workitem_id 0
		.amdhsa_next_free_vgpr 12
		.amdhsa_next_free_sgpr 26
		.amdhsa_accum_offset 12
		.amdhsa_reserve_vcc 1
		.amdhsa_float_round_mode_32 0
		.amdhsa_float_round_mode_16_64 0
		.amdhsa_float_denorm_mode_32 3
		.amdhsa_float_denorm_mode_16_64 3
		.amdhsa_dx10_clamp 1
		.amdhsa_ieee_mode 1
		.amdhsa_fp16_overflow 0
		.amdhsa_tg_split 0
		.amdhsa_exception_fp_ieee_invalid_op 0
		.amdhsa_exception_fp_denorm_src 0
		.amdhsa_exception_fp_ieee_div_zero 0
		.amdhsa_exception_fp_ieee_overflow 0
		.amdhsa_exception_fp_ieee_underflow 0
		.amdhsa_exception_fp_ieee_inexact 0
		.amdhsa_exception_int_div_zero 0
	.end_amdhsa_kernel
	.section	.text._ZL32rocblas_gemvt_warp_reduce_kernelILb1ELi1024EifPKffEviiT3_lPKT2_lT1_lS5_lS6_lS2_lPT4_lS6_li,"axG",@progbits,_ZL32rocblas_gemvt_warp_reduce_kernelILb1ELi1024EifPKffEviiT3_lPKT2_lT1_lS5_lS6_lS2_lPT4_lS6_li,comdat
.Lfunc_end46:
	.size	_ZL32rocblas_gemvt_warp_reduce_kernelILb1ELi1024EifPKffEviiT3_lPKT2_lT1_lS5_lS6_lS2_lPT4_lS6_li, .Lfunc_end46-_ZL32rocblas_gemvt_warp_reduce_kernelILb1ELi1024EifPKffEviiT3_lPKT2_lT1_lS5_lS6_lS2_lPT4_lS6_li
                                        ; -- End function
	.section	.AMDGPU.csdata,"",@progbits
; Kernel info:
; codeLenInByte = 1348
; NumSgprs: 32
; NumVgprs: 12
; NumAgprs: 0
; TotalNumVgprs: 12
; ScratchSize: 0
; MemoryBound: 0
; FloatMode: 240
; IeeeMode: 1
; LDSByteSize: 256 bytes/workgroup (compile time only)
; SGPRBlocks: 3
; VGPRBlocks: 1
; NumSGPRsForWavesPerEU: 32
; NumVGPRsForWavesPerEU: 12
; AccumOffset: 12
; Occupancy: 8
; WaveLimiterHint : 1
; COMPUTE_PGM_RSRC2:SCRATCH_EN: 0
; COMPUTE_PGM_RSRC2:USER_SGPR: 2
; COMPUTE_PGM_RSRC2:TRAP_HANDLER: 0
; COMPUTE_PGM_RSRC2:TGID_X_EN: 1
; COMPUTE_PGM_RSRC2:TGID_Y_EN: 0
; COMPUTE_PGM_RSRC2:TGID_Z_EN: 1
; COMPUTE_PGM_RSRC2:TIDIG_COMP_CNT: 0
; COMPUTE_PGM_RSRC3_GFX90A:ACCUM_OFFSET: 2
; COMPUTE_PGM_RSRC3_GFX90A:TG_SPLIT: 0
	.section	.text._ZL32rocblas_gemvt_warp_reduce_kernelILb1ELi1024ElfPKffEviiT3_lPKT2_lT1_lS5_lS6_lS2_lPT4_lS6_li,"axG",@progbits,_ZL32rocblas_gemvt_warp_reduce_kernelILb1ELi1024ElfPKffEviiT3_lPKT2_lT1_lS5_lS6_lS2_lPT4_lS6_li,comdat
	.globl	_ZL32rocblas_gemvt_warp_reduce_kernelILb1ELi1024ElfPKffEviiT3_lPKT2_lT1_lS5_lS6_lS2_lPT4_lS6_li ; -- Begin function _ZL32rocblas_gemvt_warp_reduce_kernelILb1ELi1024ElfPKffEviiT3_lPKT2_lT1_lS5_lS6_lS2_lPT4_lS6_li
	.p2align	8
	.type	_ZL32rocblas_gemvt_warp_reduce_kernelILb1ELi1024ElfPKffEviiT3_lPKT2_lT1_lS5_lS6_lS2_lPT4_lS6_li,@function
_ZL32rocblas_gemvt_warp_reduce_kernelILb1ELi1024ElfPKffEviiT3_lPKT2_lT1_lS5_lS6_lS2_lPT4_lS6_li: ; @_ZL32rocblas_gemvt_warp_reduce_kernelILb1ELi1024ElfPKffEviiT3_lPKT2_lT1_lS5_lS6_lS2_lPT4_lS6_li
; %bb.0:
	s_load_dwordx16 s[36:51], s[0:1], 0x8
	s_load_dwordx16 s[8:23], s[0:1], 0x48
	s_waitcnt lgkmcnt(0)
	s_mul_i32 s4, s3, s39
	s_mul_hi_u32 s5, s3, s38
	s_add_i32 s5, s5, s4
	s_mul_i32 s4, s3, s38
	s_lshl_b64 s[4:5], s[4:5], 2
	s_add_u32 s4, s36, s4
	s_addc_u32 s5, s37, s5
	s_load_dword s25, s[4:5], 0x0
	s_mul_i32 s4, s3, s15
	s_mul_hi_u32 s5, s3, s14
	s_add_i32 s5, s5, s4
	s_mul_i32 s4, s3, s14
	s_lshl_b64 s[4:5], s[4:5], 2
	s_add_u32 s4, s12, s4
	s_addc_u32 s5, s13, s5
	s_load_dword s24, s[4:5], 0x0
	s_waitcnt lgkmcnt(0)
	v_cmp_eq_f32_e64 s[4:5], s25, 0
	v_cmp_eq_f32_e64 s[6:7], s24, 1.0
	s_and_b64 s[4:5], s[4:5], s[6:7]
	s_and_b64 vcc, exec, s[4:5]
	s_cbranch_vccnz .LBB47_29
; %bb.1:
	s_mul_i32 s4, s3, s23
	s_mul_hi_u32 s5, s3, s22
	s_add_i32 s5, s5, s4
	s_mul_i32 s4, s3, s22
	s_lshl_b64 s[4:5], s[4:5], 2
	s_add_u32 s6, s16, s4
	s_addc_u32 s7, s17, s5
	s_lshl_b64 s[4:5], s[18:19], 2
	s_add_u32 s18, s6, s4
	s_addc_u32 s19, s7, s5
	v_cmp_neq_f32_e64 s[4:5], s25, 0
	s_and_b64 vcc, exec, s[4:5]
	v_cmp_eq_u32_e64 s[4:5], 0, v0
	s_cbranch_vccnz .LBB47_6
; %bb.2:
	s_mov_b64 s[14:15], 0
	s_mov_b64 s[6:7], 0
                                        ; implicit-def: $vgpr1
                                        ; implicit-def: $sgpr12_sgpr13
	s_and_saveexec_b64 s[16:17], s[4:5]
	s_cbranch_execz .LBB47_7
; %bb.3:
	s_ashr_i32 s6, s2, 31
	s_mul_i32 s7, s2, s21
	s_mul_hi_u32 s12, s2, s20
	v_cmp_eq_f32_e64 s[4:5], s24, 0
	s_add_i32 s7, s12, s7
	s_mul_i32 s6, s6, s20
	v_mov_b32_e32 v1, 0
	s_add_i32 s13, s7, s6
	s_mul_i32 s12, s2, s20
	s_and_b64 vcc, exec, s[4:5]
	s_cbranch_vccnz .LBB47_5
; %bb.4:
	s_lshl_b64 s[4:5], s[12:13], 2
	s_add_u32 s4, s18, s4
	s_addc_u32 s5, s19, s5
	s_load_dword s4, s[4:5], 0x0
	s_waitcnt lgkmcnt(0)
	v_mov_b32_e32 v1, s4
	v_mul_f32_e32 v1, s24, v1
.LBB47_5:
	s_mov_b64 s[6:7], exec
	s_or_b64 exec, exec, s[16:17]
	s_and_b64 vcc, exec, s[14:15]
	s_cbranch_vccnz .LBB47_8
	s_branch .LBB47_27
.LBB47_6:
	s_mov_b64 s[6:7], 0
                                        ; implicit-def: $vgpr1
                                        ; implicit-def: $sgpr12_sgpr13
	s_cbranch_execnz .LBB47_8
	s_branch .LBB47_27
.LBB47_7:
	s_or_b64 exec, exec, s[16:17]
	s_and_b64 vcc, exec, s[14:15]
	s_cbranch_vccz .LBB47_27
.LBB47_8:
	s_mul_i32 s4, s3, s11
	s_mul_hi_u32 s5, s3, s10
	s_add_i32 s5, s5, s4
	s_mul_i32 s4, s3, s10
	s_load_dword s1, s[0:1], 0x0
	s_mul_i32 s0, s3, s47
	s_mul_hi_u32 s10, s3, s46
	s_add_i32 s11, s10, s0
	s_mul_i32 s10, s3, s46
	s_lshl_b64 s[10:11], s[10:11], 2
	s_add_u32 s0, s40, s10
	s_addc_u32 s3, s41, s11
	s_lshl_b64 s[10:11], s[42:43], 2
	s_add_u32 s0, s0, s10
	s_addc_u32 s12, s3, s11
	s_ashr_i32 s3, s2, 31
	s_mul_i32 s10, s2, s45
	s_mul_hi_u32 s11, s2, s44
	s_add_i32 s10, s11, s10
	s_mul_i32 s11, s3, s44
	s_add_i32 s11, s10, s11
	s_mul_i32 s10, s2, s44
	s_lshl_b64 s[10:11], s[10:11], 2
	s_add_u32 s10, s10, s0
	s_addc_u32 s11, s11, s12
	s_waitcnt lgkmcnt(0)
	s_ashr_i32 s0, s1, 31
	v_cmp_gt_i32_e32 vcc, s1, v0
	s_lshr_b32 s0, s0, 22
	s_add_i32 s0, s1, s0
	v_cndmask_b32_e32 v1, 0, v0, vcc
	v_lshlrev_b32_e32 v2, 2, v1
	v_mov_b32_e32 v3, 0
	s_and_b32 s0, s0, 0xfffffc00
	v_lshl_add_u64 v[4:5], s[10:11], 0, v[2:3]
	v_cmp_gt_i32_e32 vcc, s0, v0
	s_and_saveexec_b64 s[10:11], vcc
	s_cbranch_execz .LBB47_12
; %bb.9:
	v_mad_u64_u32 v[2:3], s[14:15], s8, v0, 0
	v_mov_b32_e32 v6, v3
	v_mad_u64_u32 v[6:7], s[14:15], s9, v0, v[6:7]
	s_lshl_b64 s[12:13], s[4:5], 2
	s_lshl_b64 s[14:15], s[50:51], 2
	s_add_u32 s14, s48, s14
	s_addc_u32 s15, s49, s15
	s_add_u32 s12, s14, s12
	v_mov_b32_e32 v3, v6
	s_addc_u32 s13, s15, s13
	v_lshl_add_u64 v[6:7], v[2:3], 2, s[12:13]
	s_lshl_b64 s[14:15], s[8:9], 12
	s_mov_b64 s[12:13], 0
	v_mov_b32_e32 v3, 0
	s_mov_b64 s[16:17], 0x1000
	v_mov_b64_e32 v[8:9], v[4:5]
	v_mov_b32_e32 v1, v0
.LBB47_10:                              ; =>This Inner Loop Header: Depth=1
	global_load_dword v2, v[8:9], off
	global_load_dword v10, v[6:7], off
	v_add_u32_e32 v1, 0x400, v1
	v_cmp_le_i32_e32 vcc, s0, v1
	v_lshl_add_u64 v[8:9], v[8:9], 0, s[16:17]
	v_lshl_add_u64 v[6:7], v[6:7], 0, s[14:15]
	s_or_b64 s[12:13], vcc, s[12:13]
	s_waitcnt vmcnt(0)
	v_fmac_f32_e32 v3, v2, v10
	s_andn2_b64 exec, exec, s[12:13]
	s_cbranch_execnz .LBB47_10
; %bb.11:
	s_or_b64 exec, exec, s[12:13]
.LBB47_12:
	s_or_b64 exec, exec, s[10:11]
	v_or_b32_e32 v1, s0, v0
	v_cmp_gt_i32_e32 vcc, s1, v1
	s_and_saveexec_b64 s[10:11], vcc
	s_cbranch_execz .LBB47_14
; %bb.13:
	s_lshl_b64 s[4:5], s[4:5], 2
	s_add_u32 s1, s48, s4
	s_addc_u32 s12, s49, s5
	s_lshl_b64 s[4:5], s[50:51], 2
	s_add_u32 s4, s1, s4
	s_addc_u32 s5, s12, s5
	s_ashr_i32 s1, s0, 31
	v_lshl_add_u64 v[4:5], s[0:1], 2, v[4:5]
	global_load_dword v2, v[4:5], off
	v_ashrrev_i32_e32 v4, 31, v1
	v_mul_lo_u32 v6, v1, s9
	v_mul_lo_u32 v7, v4, s8
	v_mad_u64_u32 v[4:5], s[0:1], v1, s8, 0
	v_add3_u32 v5, v5, v6, v7
	v_lshl_add_u64 v[4:5], v[4:5], 2, s[4:5]
	global_load_dword v1, v[4:5], off
	s_waitcnt vmcnt(0)
	v_fmac_f32_e32 v3, v2, v1
.LBB47_14:
	s_or_b64 exec, exec, s[10:11]
	v_and_b32_e32 v2, 63, v0
	v_cmp_gt_u32_e32 vcc, 64, v0
	v_lshlrev_b32_e32 v1, 2, v2
	s_and_saveexec_b64 s[0:1], vcc
	s_cbranch_execz .LBB47_16
; %bb.15:
	v_mov_b32_e32 v4, 0
	ds_write_b32 v1, v4
.LBB47_16:
	s_or_b64 exec, exec, s[0:1]
	v_mbcnt_lo_u32_b32 v4, -1, 0
	v_mbcnt_hi_u32_b32 v6, -1, v4
	v_and_b32_e32 v7, 63, v6
	v_cmp_gt_u32_e64 s[0:1], 32, v7
	s_waitcnt lgkmcnt(0)
	s_barrier
	v_cndmask_b32_e64 v4, 0, 1, s[0:1]
	v_lshlrev_b32_e32 v4, 5, v4
	v_add_lshl_u32 v4, v4, v6, 2
	ds_bpermute_b32 v4, v4, v3
	v_cmp_gt_u32_e64 s[0:1], 48, v7
	s_waitcnt lgkmcnt(0)
	v_add_f32_e32 v3, v3, v4
	v_cndmask_b32_e64 v5, 0, 1, s[0:1]
	v_lshlrev_b32_e32 v5, 4, v5
	v_add_lshl_u32 v4, v5, v6, 2
	ds_bpermute_b32 v4, v4, v3
	v_cmp_gt_u32_e64 s[0:1], 56, v7
	s_waitcnt lgkmcnt(0)
	v_add_f32_e32 v4, v3, v4
	;; [unrolled: 7-line block ×4, first 2 shown]
	v_cndmask_b32_e64 v9, 0, 1, s[0:1]
	v_lshlrev_b32_e32 v9, 1, v9
	v_add_lshl_u32 v5, v9, v6, 2
	ds_bpermute_b32 v9, v5, v8
	v_cmp_ne_u32_e64 s[0:1], 63, v7
	s_waitcnt lgkmcnt(0)
	v_add_f32_e32 v7, v8, v9
	v_addc_co_u32_e64 v6, s[0:1], 0, v6, s[0:1]
	v_lshlrev_b32_e32 v6, 2, v6
	ds_bpermute_b32 v8, v6, v7
	v_cmp_eq_u32_e64 s[0:1], 0, v2
	s_and_saveexec_b64 s[4:5], s[0:1]
	s_cbranch_execz .LBB47_18
; %bb.17:
	v_lshrrev_b32_e32 v2, 4, v0
	v_and_b32_e32 v2, 60, v2
	s_waitcnt lgkmcnt(0)
	v_add_f32_e32 v7, v7, v8
	ds_write_b32 v2, v7
.LBB47_18:
	s_or_b64 exec, exec, s[4:5]
	v_cmp_gt_u32_e64 s[0:1], 16, v0
	v_mov_b32_e32 v2, 0
	s_waitcnt lgkmcnt(0)
	s_barrier
	s_and_saveexec_b64 s[4:5], s[0:1]
	s_cbranch_execz .LBB47_20
; %bb.19:
	ds_read_b32 v2, v1
	s_or_b64 exec, exec, s[4:5]
	s_and_saveexec_b64 s[0:1], vcc
	s_cbranch_execz .LBB47_22
	s_branch .LBB47_21
.LBB47_20:
	s_or_b64 exec, exec, s[4:5]
	s_and_saveexec_b64 s[0:1], vcc
	s_cbranch_execz .LBB47_22
.LBB47_21:
	s_waitcnt lgkmcnt(0)
	ds_bpermute_b32 v1, v3, v2
	s_waitcnt lgkmcnt(0)
	v_add_f32_e32 v1, v2, v1
	ds_bpermute_b32 v2, v4, v1
	s_waitcnt lgkmcnt(0)
	v_add_f32_e32 v1, v1, v2
	;; [unrolled: 3-line block ×4, first 2 shown]
.LBB47_22:
	s_or_b64 exec, exec, s[0:1]
	v_cmp_eq_u32_e32 vcc, 0, v0
                                        ; implicit-def: $vgpr1
                                        ; implicit-def: $sgpr12_sgpr13
	s_and_saveexec_b64 s[0:1], vcc
	s_cbranch_execz .LBB47_26
; %bb.23:
	s_mul_i32 s8, s2, s21
	s_mul_hi_u32 s9, s2, s20
	v_cmp_eq_f32_e64 s[4:5], s24, 0
	s_add_i32 s8, s9, s8
	s_mul_i32 s3, s3, s20
	s_waitcnt lgkmcnt(0)
	v_mul_f32_e32 v1, s25, v2
	s_add_i32 s13, s8, s3
	s_mul_i32 s12, s2, s20
	s_and_b64 vcc, exec, s[4:5]
	s_cbranch_vccnz .LBB47_25
; %bb.24:
	s_lshl_b64 s[2:3], s[12:13], 2
	s_add_u32 s2, s18, s2
	s_addc_u32 s3, s19, s3
	s_load_dword s2, s[2:3], 0x0
	s_waitcnt lgkmcnt(0)
	v_mov_b32_e32 v0, s2
	v_fmac_f32_e32 v1, s24, v0
.LBB47_25:
	s_or_b64 s[6:7], s[6:7], exec
.LBB47_26:
	s_or_b64 exec, exec, s[0:1]
.LBB47_27:
	s_and_saveexec_b64 s[0:1], s[6:7]
	s_cbranch_execz .LBB47_29
; %bb.28:
	s_lshl_b64 s[0:1], s[12:13], 2
	s_add_u32 s0, s18, s0
	s_addc_u32 s1, s19, s1
	v_mov_b32_e32 v0, 0
	global_store_dword v0, v1, s[0:1]
.LBB47_29:
	s_endpgm
	.section	.rodata,"a",@progbits
	.p2align	6, 0x0
	.amdhsa_kernel _ZL32rocblas_gemvt_warp_reduce_kernelILb1ELi1024ElfPKffEviiT3_lPKT2_lT1_lS5_lS6_lS2_lPT4_lS6_li
		.amdhsa_group_segment_fixed_size 256
		.amdhsa_private_segment_fixed_size 0
		.amdhsa_kernarg_size 140
		.amdhsa_user_sgpr_count 2
		.amdhsa_user_sgpr_dispatch_ptr 0
		.amdhsa_user_sgpr_queue_ptr 0
		.amdhsa_user_sgpr_kernarg_segment_ptr 1
		.amdhsa_user_sgpr_dispatch_id 0
		.amdhsa_user_sgpr_kernarg_preload_length 0
		.amdhsa_user_sgpr_kernarg_preload_offset 0
		.amdhsa_user_sgpr_private_segment_size 0
		.amdhsa_uses_dynamic_stack 0
		.amdhsa_enable_private_segment 0
		.amdhsa_system_sgpr_workgroup_id_x 1
		.amdhsa_system_sgpr_workgroup_id_y 0
		.amdhsa_system_sgpr_workgroup_id_z 1
		.amdhsa_system_sgpr_workgroup_info 0
		.amdhsa_system_vgpr_workitem_id 0
		.amdhsa_next_free_vgpr 11
		.amdhsa_next_free_sgpr 52
		.amdhsa_accum_offset 12
		.amdhsa_reserve_vcc 1
		.amdhsa_float_round_mode_32 0
		.amdhsa_float_round_mode_16_64 0
		.amdhsa_float_denorm_mode_32 3
		.amdhsa_float_denorm_mode_16_64 3
		.amdhsa_dx10_clamp 1
		.amdhsa_ieee_mode 1
		.amdhsa_fp16_overflow 0
		.amdhsa_tg_split 0
		.amdhsa_exception_fp_ieee_invalid_op 0
		.amdhsa_exception_fp_denorm_src 0
		.amdhsa_exception_fp_ieee_div_zero 0
		.amdhsa_exception_fp_ieee_overflow 0
		.amdhsa_exception_fp_ieee_underflow 0
		.amdhsa_exception_fp_ieee_inexact 0
		.amdhsa_exception_int_div_zero 0
	.end_amdhsa_kernel
	.section	.text._ZL32rocblas_gemvt_warp_reduce_kernelILb1ELi1024ElfPKffEviiT3_lPKT2_lT1_lS5_lS6_lS2_lPT4_lS6_li,"axG",@progbits,_ZL32rocblas_gemvt_warp_reduce_kernelILb1ELi1024ElfPKffEviiT3_lPKT2_lT1_lS5_lS6_lS2_lPT4_lS6_li,comdat
.Lfunc_end47:
	.size	_ZL32rocblas_gemvt_warp_reduce_kernelILb1ELi1024ElfPKffEviiT3_lPKT2_lT1_lS5_lS6_lS2_lPT4_lS6_li, .Lfunc_end47-_ZL32rocblas_gemvt_warp_reduce_kernelILb1ELi1024ElfPKffEviiT3_lPKT2_lT1_lS5_lS6_lS2_lPT4_lS6_li
                                        ; -- End function
	.section	.AMDGPU.csdata,"",@progbits
; Kernel info:
; codeLenInByte = 1400
; NumSgprs: 58
; NumVgprs: 11
; NumAgprs: 0
; TotalNumVgprs: 11
; ScratchSize: 0
; MemoryBound: 0
; FloatMode: 240
; IeeeMode: 1
; LDSByteSize: 256 bytes/workgroup (compile time only)
; SGPRBlocks: 7
; VGPRBlocks: 1
; NumSGPRsForWavesPerEU: 58
; NumVGPRsForWavesPerEU: 11
; AccumOffset: 12
; Occupancy: 8
; WaveLimiterHint : 0
; COMPUTE_PGM_RSRC2:SCRATCH_EN: 0
; COMPUTE_PGM_RSRC2:USER_SGPR: 2
; COMPUTE_PGM_RSRC2:TRAP_HANDLER: 0
; COMPUTE_PGM_RSRC2:TGID_X_EN: 1
; COMPUTE_PGM_RSRC2:TGID_Y_EN: 0
; COMPUTE_PGM_RSRC2:TGID_Z_EN: 1
; COMPUTE_PGM_RSRC2:TIDIG_COMP_CNT: 0
; COMPUTE_PGM_RSRC3_GFX90A:ACCUM_OFFSET: 2
; COMPUTE_PGM_RSRC3_GFX90A:TG_SPLIT: 0
	.section	.text._ZL32rocblas_gemvt_warp_reduce_kernelILb1ELi1024EifffEviiT3_lPKT2_lT1_lS3_lS4_lS0_lPT4_lS4_li,"axG",@progbits,_ZL32rocblas_gemvt_warp_reduce_kernelILb1ELi1024EifffEviiT3_lPKT2_lT1_lS3_lS4_lS0_lPT4_lS4_li,comdat
	.globl	_ZL32rocblas_gemvt_warp_reduce_kernelILb1ELi1024EifffEviiT3_lPKT2_lT1_lS3_lS4_lS0_lPT4_lS4_li ; -- Begin function _ZL32rocblas_gemvt_warp_reduce_kernelILb1ELi1024EifffEviiT3_lPKT2_lT1_lS3_lS4_lS0_lPT4_lS4_li
	.p2align	8
	.type	_ZL32rocblas_gemvt_warp_reduce_kernelILb1ELi1024EifffEviiT3_lPKT2_lT1_lS3_lS4_lS0_lPT4_lS4_li,@function
_ZL32rocblas_gemvt_warp_reduce_kernelILb1ELi1024EifffEviiT3_lPKT2_lT1_lS3_lS4_lS0_lPT4_lS4_li: ; @_ZL32rocblas_gemvt_warp_reduce_kernelILb1ELi1024EifffEviiT3_lPKT2_lT1_lS3_lS4_lS0_lPT4_lS4_li
; %bb.0:
	s_load_dword s17, s[0:1], 0x8
	s_load_dword s16, s[0:1], 0x58
	s_waitcnt lgkmcnt(0)
	v_cmp_eq_f32_e64 s[4:5], s17, 0
	v_cmp_eq_f32_e64 s[6:7], s16, 1.0
	s_and_b64 s[4:5], s[4:5], s[6:7]
	s_and_b64 vcc, exec, s[4:5]
	s_cbranch_vccnz .LBB48_29
; %bb.1:
	s_load_dwordx2 s[8:9], s[0:1], 0x80
	s_load_dwordx4 s[4:7], s[0:1], 0x68
	s_load_dword s18, s[0:1], 0x78
	s_waitcnt lgkmcnt(0)
	s_mul_i32 s9, s3, s9
	s_mul_hi_u32 s10, s3, s8
	s_mul_i32 s8, s3, s8
	s_add_i32 s9, s10, s9
	s_lshl_b64 s[8:9], s[8:9], 2
	s_add_u32 s8, s4, s8
	s_addc_u32 s9, s5, s9
	s_lshl_b64 s[4:5], s[6:7], 2
	s_add_u32 s14, s8, s4
	s_addc_u32 s15, s9, s5
	v_cmp_neq_f32_e64 s[4:5], s17, 0
	s_and_b64 vcc, exec, s[4:5]
	v_cmp_eq_u32_e64 s[4:5], 0, v0
	s_cbranch_vccnz .LBB48_6
; %bb.2:
	s_mov_b64 s[10:11], 0
	s_mov_b64 s[6:7], 0
                                        ; implicit-def: $vgpr1
                                        ; implicit-def: $sgpr8_sgpr9
	s_and_saveexec_b64 s[12:13], s[4:5]
	s_cbranch_execz .LBB48_7
; %bb.3:
	v_cmp_eq_f32_e64 s[4:5], s16, 0
	s_mul_i32 s8, s2, s18
	v_mov_b32_e32 v1, 0
	s_ashr_i32 s9, s8, 31
	s_and_b64 vcc, exec, s[4:5]
	s_cbranch_vccnz .LBB48_5
; %bb.4:
	s_lshl_b64 s[4:5], s[8:9], 2
	s_add_u32 s4, s14, s4
	s_addc_u32 s5, s15, s5
	s_load_dword s4, s[4:5], 0x0
	v_mov_b32_e32 v1, s16
	s_waitcnt lgkmcnt(0)
	v_mul_f32_e32 v1, s4, v1
.LBB48_5:
	s_mov_b64 s[6:7], exec
	s_or_b64 exec, exec, s[12:13]
	s_and_b64 vcc, exec, s[10:11]
	s_cbranch_vccnz .LBB48_8
	s_branch .LBB48_27
.LBB48_6:
	s_mov_b64 s[6:7], 0
                                        ; implicit-def: $vgpr1
                                        ; implicit-def: $sgpr8_sgpr9
	s_cbranch_execnz .LBB48_8
	s_branch .LBB48_27
.LBB48_7:
	s_or_b64 exec, exec, s[12:13]
	s_and_b64 vcc, exec, s[10:11]
	s_cbranch_vccz .LBB48_27
.LBB48_8:
	s_load_dwordx2 s[12:13], s[0:1], 0x50
	s_load_dword s5, s[0:1], 0x0
	s_load_dwordx4 s[8:11], s[0:1], 0x18
	s_load_dword s4, s[0:1], 0x28
	s_load_dwordx4 s[20:23], s[0:1], 0x30
	s_load_dwordx2 s[24:25], s[0:1], 0x40
	s_load_dword s19, s[0:1], 0x48
	s_waitcnt lgkmcnt(0)
	s_mul_i32 s0, s3, s13
	s_mul_hi_u32 s1, s3, s12
	s_add_i32 s1, s1, s0
	s_mul_i32 s0, s3, s12
	s_lshl_b64 s[0:1], s[0:1], 2
	s_add_u32 s12, s22, s0
	s_addc_u32 s13, s23, s1
	s_lshl_b64 s[0:1], s[24:25], 2
	s_add_u32 s0, s12, s0
	s_addc_u32 s1, s13, s1
	s_mul_i32 s12, s3, s21
	s_mul_hi_u32 s13, s3, s20
	s_add_i32 s13, s13, s12
	s_mul_i32 s12, s3, s20
	s_lshl_b64 s[12:13], s[12:13], 2
	s_add_u32 s3, s8, s12
	s_addc_u32 s12, s9, s13
	s_lshl_b64 s[8:9], s[10:11], 2
	s_add_u32 s3, s3, s8
	s_mul_i32 s8, s2, s4
	s_addc_u32 s10, s12, s9
	s_ashr_i32 s9, s8, 31
	s_lshl_b64 s[8:9], s[8:9], 2
	s_add_u32 s8, s8, s3
	s_addc_u32 s9, s9, s10
	s_ashr_i32 s3, s5, 31
	v_cmp_gt_i32_e32 vcc, s5, v0
	s_lshr_b32 s3, s3, 22
	s_add_i32 s3, s5, s3
	v_cndmask_b32_e32 v1, 0, v0, vcc
	v_lshlrev_b32_e32 v2, 2, v1
	v_mov_b32_e32 v3, 0
	s_and_b32 s4, s3, 0xfffffc00
	v_lshl_add_u64 v[4:5], s[8:9], 0, v[2:3]
	v_cmp_gt_i32_e32 vcc, s4, v0
	s_and_saveexec_b64 s[8:9], vcc
	s_cbranch_execz .LBB48_12
; %bb.9:
	v_mul_lo_u32 v6, v0, s19
	s_lshl_b32 s3, s19, 10
	s_mov_b64 s[10:11], 0
	v_mov_b32_e32 v3, 0
	s_mov_b64 s[12:13], 0x1000
	v_mov_b64_e32 v[8:9], v[4:5]
	v_mov_b32_e32 v1, v0
.LBB48_10:                              ; =>This Inner Loop Header: Depth=1
	v_ashrrev_i32_e32 v7, 31, v6
	v_lshl_add_u64 v[10:11], v[6:7], 2, s[0:1]
	global_load_dword v2, v[8:9], off
	global_load_dword v7, v[10:11], off
	v_add_u32_e32 v1, 0x400, v1
	v_cmp_le_i32_e32 vcc, s4, v1
	v_lshl_add_u64 v[8:9], v[8:9], 0, s[12:13]
	v_add_u32_e32 v6, s3, v6
	s_or_b64 s[10:11], vcc, s[10:11]
	s_waitcnt vmcnt(0)
	v_fmac_f32_e32 v3, v2, v7
	s_andn2_b64 exec, exec, s[10:11]
	s_cbranch_execnz .LBB48_10
; %bb.11:
	s_or_b64 exec, exec, s[10:11]
.LBB48_12:
	s_or_b64 exec, exec, s[8:9]
	v_or_b32_e32 v1, s4, v0
	v_cmp_gt_i32_e32 vcc, s5, v1
	s_and_saveexec_b64 s[8:9], vcc
	s_cbranch_execz .LBB48_14
; %bb.13:
	s_ashr_i32 s5, s4, 31
	v_lshl_add_u64 v[4:5], s[4:5], 2, v[4:5]
	global_load_dword v2, v[4:5], off
	v_mul_lo_u32 v4, v1, s19
	v_ashrrev_i32_e32 v5, 31, v4
	v_lshl_add_u64 v[4:5], v[4:5], 2, s[0:1]
	global_load_dword v1, v[4:5], off
	s_waitcnt vmcnt(0)
	v_fmac_f32_e32 v3, v2, v1
.LBB48_14:
	s_or_b64 exec, exec, s[8:9]
	v_and_b32_e32 v2, 63, v0
	v_cmp_gt_u32_e32 vcc, 64, v0
	v_lshlrev_b32_e32 v1, 2, v2
	s_and_saveexec_b64 s[0:1], vcc
	s_cbranch_execz .LBB48_16
; %bb.15:
	v_mov_b32_e32 v4, 0
	ds_write_b32 v1, v4
.LBB48_16:
	s_or_b64 exec, exec, s[0:1]
	v_mbcnt_lo_u32_b32 v4, -1, 0
	v_mbcnt_hi_u32_b32 v6, -1, v4
	v_and_b32_e32 v7, 63, v6
	v_cmp_gt_u32_e64 s[0:1], 32, v7
	s_waitcnt lgkmcnt(0)
	s_barrier
	v_cndmask_b32_e64 v4, 0, 1, s[0:1]
	v_lshlrev_b32_e32 v4, 5, v4
	v_add_lshl_u32 v4, v4, v6, 2
	ds_bpermute_b32 v4, v4, v3
	v_cmp_gt_u32_e64 s[0:1], 48, v7
	s_waitcnt lgkmcnt(0)
	v_add_f32_e32 v3, v3, v4
	v_cndmask_b32_e64 v5, 0, 1, s[0:1]
	v_lshlrev_b32_e32 v5, 4, v5
	v_add_lshl_u32 v4, v5, v6, 2
	ds_bpermute_b32 v4, v4, v3
	v_cmp_gt_u32_e64 s[0:1], 56, v7
	s_waitcnt lgkmcnt(0)
	v_add_f32_e32 v4, v3, v4
	;; [unrolled: 7-line block ×4, first 2 shown]
	v_cndmask_b32_e64 v9, 0, 1, s[0:1]
	v_lshlrev_b32_e32 v9, 1, v9
	v_add_lshl_u32 v5, v9, v6, 2
	ds_bpermute_b32 v9, v5, v8
	v_cmp_ne_u32_e64 s[0:1], 63, v7
	s_waitcnt lgkmcnt(0)
	v_add_f32_e32 v7, v8, v9
	v_addc_co_u32_e64 v6, s[0:1], 0, v6, s[0:1]
	v_lshlrev_b32_e32 v6, 2, v6
	ds_bpermute_b32 v8, v6, v7
	v_cmp_eq_u32_e64 s[0:1], 0, v2
	s_and_saveexec_b64 s[4:5], s[0:1]
	s_cbranch_execz .LBB48_18
; %bb.17:
	v_lshrrev_b32_e32 v2, 4, v0
	v_and_b32_e32 v2, 60, v2
	s_waitcnt lgkmcnt(0)
	v_add_f32_e32 v7, v7, v8
	ds_write_b32 v2, v7
.LBB48_18:
	s_or_b64 exec, exec, s[4:5]
	v_cmp_gt_u32_e64 s[0:1], 16, v0
	v_mov_b32_e32 v2, 0
	s_waitcnt lgkmcnt(0)
	s_barrier
	s_and_saveexec_b64 s[4:5], s[0:1]
	s_cbranch_execz .LBB48_20
; %bb.19:
	ds_read_b32 v2, v1
	s_or_b64 exec, exec, s[4:5]
	s_and_saveexec_b64 s[0:1], vcc
	s_cbranch_execz .LBB48_22
	s_branch .LBB48_21
.LBB48_20:
	s_or_b64 exec, exec, s[4:5]
	s_and_saveexec_b64 s[0:1], vcc
	s_cbranch_execz .LBB48_22
.LBB48_21:
	s_waitcnt lgkmcnt(0)
	ds_bpermute_b32 v1, v3, v2
	s_waitcnt lgkmcnt(0)
	v_add_f32_e32 v1, v2, v1
	ds_bpermute_b32 v2, v4, v1
	s_waitcnt lgkmcnt(0)
	v_add_f32_e32 v1, v1, v2
	;; [unrolled: 3-line block ×4, first 2 shown]
.LBB48_22:
	s_or_b64 exec, exec, s[0:1]
	v_cmp_eq_u32_e32 vcc, 0, v0
                                        ; implicit-def: $vgpr1
                                        ; implicit-def: $sgpr8_sgpr9
	s_and_saveexec_b64 s[0:1], vcc
	s_cbranch_execz .LBB48_26
; %bb.23:
	v_cmp_eq_f32_e64 s[4:5], s16, 0
	s_mul_i32 s8, s2, s18
	s_waitcnt lgkmcnt(0)
	v_mul_f32_e32 v1, s17, v2
	s_ashr_i32 s9, s8, 31
	s_and_b64 vcc, exec, s[4:5]
	s_cbranch_vccnz .LBB48_25
; %bb.24:
	s_lshl_b64 s[2:3], s[8:9], 2
	s_add_u32 s2, s14, s2
	s_addc_u32 s3, s15, s3
	s_load_dword s2, s[2:3], 0x0
	v_mov_b32_e32 v0, s16
	s_waitcnt lgkmcnt(0)
	v_fmac_f32_e32 v1, s2, v0
.LBB48_25:
	s_or_b64 s[6:7], s[6:7], exec
.LBB48_26:
	s_or_b64 exec, exec, s[0:1]
.LBB48_27:
	s_and_saveexec_b64 s[0:1], s[6:7]
	s_cbranch_execz .LBB48_29
; %bb.28:
	s_lshl_b64 s[0:1], s[8:9], 2
	s_add_u32 s0, s14, s0
	s_addc_u32 s1, s15, s1
	v_mov_b32_e32 v0, 0
	global_store_dword v0, v1, s[0:1]
.LBB48_29:
	s_endpgm
	.section	.rodata,"a",@progbits
	.p2align	6, 0x0
	.amdhsa_kernel _ZL32rocblas_gemvt_warp_reduce_kernelILb1ELi1024EifffEviiT3_lPKT2_lT1_lS3_lS4_lS0_lPT4_lS4_li
		.amdhsa_group_segment_fixed_size 256
		.amdhsa_private_segment_fixed_size 0
		.amdhsa_kernarg_size 140
		.amdhsa_user_sgpr_count 2
		.amdhsa_user_sgpr_dispatch_ptr 0
		.amdhsa_user_sgpr_queue_ptr 0
		.amdhsa_user_sgpr_kernarg_segment_ptr 1
		.amdhsa_user_sgpr_dispatch_id 0
		.amdhsa_user_sgpr_kernarg_preload_length 0
		.amdhsa_user_sgpr_kernarg_preload_offset 0
		.amdhsa_user_sgpr_private_segment_size 0
		.amdhsa_uses_dynamic_stack 0
		.amdhsa_enable_private_segment 0
		.amdhsa_system_sgpr_workgroup_id_x 1
		.amdhsa_system_sgpr_workgroup_id_y 0
		.amdhsa_system_sgpr_workgroup_id_z 1
		.amdhsa_system_sgpr_workgroup_info 0
		.amdhsa_system_vgpr_workitem_id 0
		.amdhsa_next_free_vgpr 12
		.amdhsa_next_free_sgpr 26
		.amdhsa_accum_offset 12
		.amdhsa_reserve_vcc 1
		.amdhsa_float_round_mode_32 0
		.amdhsa_float_round_mode_16_64 0
		.amdhsa_float_denorm_mode_32 3
		.amdhsa_float_denorm_mode_16_64 3
		.amdhsa_dx10_clamp 1
		.amdhsa_ieee_mode 1
		.amdhsa_fp16_overflow 0
		.amdhsa_tg_split 0
		.amdhsa_exception_fp_ieee_invalid_op 0
		.amdhsa_exception_fp_denorm_src 0
		.amdhsa_exception_fp_ieee_div_zero 0
		.amdhsa_exception_fp_ieee_overflow 0
		.amdhsa_exception_fp_ieee_underflow 0
		.amdhsa_exception_fp_ieee_inexact 0
		.amdhsa_exception_int_div_zero 0
	.end_amdhsa_kernel
	.section	.text._ZL32rocblas_gemvt_warp_reduce_kernelILb1ELi1024EifffEviiT3_lPKT2_lT1_lS3_lS4_lS0_lPT4_lS4_li,"axG",@progbits,_ZL32rocblas_gemvt_warp_reduce_kernelILb1ELi1024EifffEviiT3_lPKT2_lT1_lS3_lS4_lS0_lPT4_lS4_li,comdat
.Lfunc_end48:
	.size	_ZL32rocblas_gemvt_warp_reduce_kernelILb1ELi1024EifffEviiT3_lPKT2_lT1_lS3_lS4_lS0_lPT4_lS4_li, .Lfunc_end48-_ZL32rocblas_gemvt_warp_reduce_kernelILb1ELi1024EifffEviiT3_lPKT2_lT1_lS3_lS4_lS0_lPT4_lS4_li
                                        ; -- End function
	.section	.AMDGPU.csdata,"",@progbits
; Kernel info:
; codeLenInByte = 1280
; NumSgprs: 32
; NumVgprs: 12
; NumAgprs: 0
; TotalNumVgprs: 12
; ScratchSize: 0
; MemoryBound: 0
; FloatMode: 240
; IeeeMode: 1
; LDSByteSize: 256 bytes/workgroup (compile time only)
; SGPRBlocks: 3
; VGPRBlocks: 1
; NumSGPRsForWavesPerEU: 32
; NumVGPRsForWavesPerEU: 12
; AccumOffset: 12
; Occupancy: 8
; WaveLimiterHint : 1
; COMPUTE_PGM_RSRC2:SCRATCH_EN: 0
; COMPUTE_PGM_RSRC2:USER_SGPR: 2
; COMPUTE_PGM_RSRC2:TRAP_HANDLER: 0
; COMPUTE_PGM_RSRC2:TGID_X_EN: 1
; COMPUTE_PGM_RSRC2:TGID_Y_EN: 0
; COMPUTE_PGM_RSRC2:TGID_Z_EN: 1
; COMPUTE_PGM_RSRC2:TIDIG_COMP_CNT: 0
; COMPUTE_PGM_RSRC3_GFX90A:ACCUM_OFFSET: 2
; COMPUTE_PGM_RSRC3_GFX90A:TG_SPLIT: 0
	.section	.text._ZL32rocblas_gemvt_warp_reduce_kernelILb1ELi1024ElfffEviiT3_lPKT2_lT1_lS3_lS4_lS0_lPT4_lS4_li,"axG",@progbits,_ZL32rocblas_gemvt_warp_reduce_kernelILb1ELi1024ElfffEviiT3_lPKT2_lT1_lS3_lS4_lS0_lPT4_lS4_li,comdat
	.globl	_ZL32rocblas_gemvt_warp_reduce_kernelILb1ELi1024ElfffEviiT3_lPKT2_lT1_lS3_lS4_lS0_lPT4_lS4_li ; -- Begin function _ZL32rocblas_gemvt_warp_reduce_kernelILb1ELi1024ElfffEviiT3_lPKT2_lT1_lS3_lS4_lS0_lPT4_lS4_li
	.p2align	8
	.type	_ZL32rocblas_gemvt_warp_reduce_kernelILb1ELi1024ElfffEviiT3_lPKT2_lT1_lS3_lS4_lS0_lPT4_lS4_li,@function
_ZL32rocblas_gemvt_warp_reduce_kernelILb1ELi1024ElfffEviiT3_lPKT2_lT1_lS3_lS4_lS0_lPT4_lS4_li: ; @_ZL32rocblas_gemvt_warp_reduce_kernelILb1ELi1024ElfffEviiT3_lPKT2_lT1_lS3_lS4_lS0_lPT4_lS4_li
; %bb.0:
	s_load_dword s27, s[0:1], 0x8
	s_load_dword s26, s[0:1], 0x58
	s_waitcnt lgkmcnt(0)
	v_cmp_eq_f32_e64 s[4:5], s27, 0
	v_cmp_eq_f32_e64 s[6:7], s26, 1.0
	s_and_b64 s[4:5], s[4:5], s[6:7]
	s_and_b64 vcc, exec, s[4:5]
	s_cbranch_vccnz .LBB49_29
; %bb.1:
	s_load_dwordx8 s[16:23], s[0:1], 0x68
	v_cmp_neq_f32_e64 s[4:5], s27, 0
	s_waitcnt lgkmcnt(0)
	s_mul_i32 s7, s3, s23
	s_mul_hi_u32 s8, s3, s22
	s_mul_i32 s6, s3, s22
	s_add_i32 s7, s8, s7
	s_lshl_b64 s[6:7], s[6:7], 2
	s_add_u32 s8, s16, s6
	s_addc_u32 s9, s17, s7
	s_lshl_b64 s[6:7], s[18:19], 2
	s_add_u32 s24, s8, s6
	s_addc_u32 s25, s9, s7
	s_and_b64 vcc, exec, s[4:5]
	v_cmp_eq_u32_e64 s[4:5], 0, v0
	s_cbranch_vccnz .LBB49_6
; %bb.2:
	s_mov_b64 s[8:9], 0
	s_mov_b64 s[22:23], 0
                                        ; implicit-def: $vgpr1
                                        ; implicit-def: $sgpr6_sgpr7
	s_and_saveexec_b64 s[10:11], s[4:5]
	s_cbranch_execz .LBB49_7
; %bb.3:
	s_ashr_i32 s6, s2, 31
	s_mul_i32 s7, s2, s21
	s_mul_hi_u32 s12, s2, s20
	v_cmp_eq_f32_e64 s[4:5], s26, 0
	s_add_i32 s7, s12, s7
	s_mul_i32 s6, s6, s20
	v_mov_b32_e32 v1, 0
	s_add_i32 s7, s7, s6
	s_mul_i32 s6, s2, s20
	s_and_b64 vcc, exec, s[4:5]
	s_cbranch_vccnz .LBB49_5
; %bb.4:
	s_lshl_b64 s[4:5], s[6:7], 2
	s_add_u32 s4, s24, s4
	s_addc_u32 s5, s25, s5
	s_load_dword s4, s[4:5], 0x0
	v_mov_b32_e32 v1, s26
	s_waitcnt lgkmcnt(0)
	v_mul_f32_e32 v1, s4, v1
.LBB49_5:
	s_mov_b64 s[22:23], exec
	s_or_b64 exec, exec, s[10:11]
	s_and_b64 vcc, exec, s[8:9]
	s_cbranch_vccnz .LBB49_8
	s_branch .LBB49_27
.LBB49_6:
	s_mov_b64 s[22:23], 0
                                        ; implicit-def: $vgpr1
                                        ; implicit-def: $sgpr6_sgpr7
	s_cbranch_execnz .LBB49_8
	s_branch .LBB49_27
.LBB49_7:
	s_or_b64 exec, exec, s[10:11]
	s_and_b64 vcc, exec, s[8:9]
	s_cbranch_vccz .LBB49_27
.LBB49_8:
	s_load_dwordx16 s[4:19], s[0:1], 0x18
	s_load_dword s28, s[0:1], 0x0
	v_mov_b32_e32 v3, 0
	s_waitcnt lgkmcnt(0)
	s_mul_i32 s1, s3, s19
	s_mul_hi_u32 s19, s3, s18
	s_mul_i32 s0, s3, s18
	s_mul_i32 s11, s3, s11
	s_mul_hi_u32 s18, s3, s10
	s_add_i32 s11, s18, s11
	s_mul_i32 s10, s3, s10
	s_add_i32 s1, s19, s1
	s_lshl_b64 s[10:11], s[10:11], 2
	s_add_u32 s3, s4, s10
	s_addc_u32 s10, s5, s11
	s_lshl_b64 s[4:5], s[6:7], 2
	s_add_u32 s6, s3, s4
	s_addc_u32 s7, s10, s5
	s_ashr_i32 s3, s2, 31
	s_mul_i32 s4, s2, s9
	s_mul_hi_u32 s5, s2, s8
	s_add_i32 s4, s5, s4
	s_mul_i32 s5, s3, s8
	s_add_i32 s5, s4, s5
	s_mul_i32 s4, s2, s8
	v_cmp_gt_i32_e32 vcc, s28, v0
	s_lshl_b64 s[4:5], s[4:5], 2
	s_add_u32 s4, s4, s6
	v_cndmask_b32_e32 v1, 0, v0, vcc
	v_lshlrev_b32_e32 v2, 2, v1
	s_addc_u32 s5, s5, s7
	v_lshl_add_u64 v[4:5], s[4:5], 0, v[2:3]
	s_ashr_i32 s4, s28, 31
	s_lshr_b32 s4, s4, 22
	s_add_i32 s4, s28, s4
	s_and_b32 s4, s4, 0xfffffc00
	v_cmp_gt_i32_e32 vcc, s4, v0
	s_and_saveexec_b64 s[6:7], vcc
	s_cbranch_execz .LBB49_12
; %bb.9:
	v_mad_u64_u32 v[2:3], s[10:11], s16, v0, 0
	v_mov_b32_e32 v6, v3
	v_mad_u64_u32 v[6:7], s[10:11], s17, v0, v[6:7]
	s_lshl_b64 s[8:9], s[0:1], 2
	s_lshl_b64 s[10:11], s[14:15], 2
	s_add_u32 s5, s12, s10
	s_addc_u32 s10, s13, s11
	s_add_u32 s8, s5, s8
	v_mov_b32_e32 v3, v6
	s_addc_u32 s9, s10, s9
	v_lshl_add_u64 v[6:7], v[2:3], 2, s[8:9]
	s_lshl_b64 s[10:11], s[16:17], 12
	s_mov_b64 s[8:9], 0
	v_mov_b32_e32 v3, 0
	s_mov_b64 s[18:19], 0x1000
	v_mov_b64_e32 v[8:9], v[4:5]
	v_mov_b32_e32 v1, v0
.LBB49_10:                              ; =>This Inner Loop Header: Depth=1
	global_load_dword v2, v[8:9], off
	global_load_dword v10, v[6:7], off
	v_add_u32_e32 v1, 0x400, v1
	v_cmp_le_i32_e32 vcc, s4, v1
	v_lshl_add_u64 v[8:9], v[8:9], 0, s[18:19]
	v_lshl_add_u64 v[6:7], v[6:7], 0, s[10:11]
	s_or_b64 s[8:9], vcc, s[8:9]
	s_waitcnt vmcnt(0)
	v_fmac_f32_e32 v3, v2, v10
	s_andn2_b64 exec, exec, s[8:9]
	s_cbranch_execnz .LBB49_10
; %bb.11:
	s_or_b64 exec, exec, s[8:9]
.LBB49_12:
	s_or_b64 exec, exec, s[6:7]
	v_or_b32_e32 v1, s4, v0
	v_cmp_gt_i32_e32 vcc, s28, v1
	s_and_saveexec_b64 s[6:7], vcc
	s_cbranch_execz .LBB49_14
; %bb.13:
	s_lshl_b64 s[0:1], s[0:1], 2
	s_add_u32 s5, s12, s0
	s_addc_u32 s8, s13, s1
	s_lshl_b64 s[0:1], s[14:15], 2
	s_add_u32 s0, s5, s0
	s_addc_u32 s1, s8, s1
	s_ashr_i32 s5, s4, 31
	v_lshl_add_u64 v[4:5], s[4:5], 2, v[4:5]
	global_load_dword v2, v[4:5], off
	v_ashrrev_i32_e32 v4, 31, v1
	v_mul_lo_u32 v6, v1, s17
	v_mul_lo_u32 v7, v4, s16
	v_mad_u64_u32 v[4:5], s[4:5], v1, s16, 0
	v_add3_u32 v5, v5, v6, v7
	v_lshl_add_u64 v[4:5], v[4:5], 2, s[0:1]
	global_load_dword v1, v[4:5], off
	s_waitcnt vmcnt(0)
	v_fmac_f32_e32 v3, v2, v1
.LBB49_14:
	s_or_b64 exec, exec, s[6:7]
	v_and_b32_e32 v2, 63, v0
	v_cmp_gt_u32_e32 vcc, 64, v0
	v_lshlrev_b32_e32 v1, 2, v2
	s_and_saveexec_b64 s[0:1], vcc
	s_cbranch_execz .LBB49_16
; %bb.15:
	v_mov_b32_e32 v4, 0
	ds_write_b32 v1, v4
.LBB49_16:
	s_or_b64 exec, exec, s[0:1]
	v_mbcnt_lo_u32_b32 v4, -1, 0
	v_mbcnt_hi_u32_b32 v6, -1, v4
	v_and_b32_e32 v7, 63, v6
	v_cmp_gt_u32_e64 s[0:1], 32, v7
	s_waitcnt lgkmcnt(0)
	s_barrier
	v_cndmask_b32_e64 v4, 0, 1, s[0:1]
	v_lshlrev_b32_e32 v4, 5, v4
	v_add_lshl_u32 v4, v4, v6, 2
	ds_bpermute_b32 v4, v4, v3
	v_cmp_gt_u32_e64 s[0:1], 48, v7
	s_waitcnt lgkmcnt(0)
	v_add_f32_e32 v3, v3, v4
	v_cndmask_b32_e64 v5, 0, 1, s[0:1]
	v_lshlrev_b32_e32 v5, 4, v5
	v_add_lshl_u32 v4, v5, v6, 2
	ds_bpermute_b32 v4, v4, v3
	v_cmp_gt_u32_e64 s[0:1], 56, v7
	s_waitcnt lgkmcnt(0)
	v_add_f32_e32 v4, v3, v4
	;; [unrolled: 7-line block ×4, first 2 shown]
	v_cndmask_b32_e64 v9, 0, 1, s[0:1]
	v_lshlrev_b32_e32 v9, 1, v9
	v_add_lshl_u32 v5, v9, v6, 2
	ds_bpermute_b32 v9, v5, v8
	v_cmp_ne_u32_e64 s[0:1], 63, v7
	s_waitcnt lgkmcnt(0)
	v_add_f32_e32 v7, v8, v9
	v_addc_co_u32_e64 v6, s[0:1], 0, v6, s[0:1]
	v_lshlrev_b32_e32 v6, 2, v6
	ds_bpermute_b32 v8, v6, v7
	v_cmp_eq_u32_e64 s[0:1], 0, v2
	s_and_saveexec_b64 s[4:5], s[0:1]
	s_cbranch_execz .LBB49_18
; %bb.17:
	v_lshrrev_b32_e32 v2, 4, v0
	v_and_b32_e32 v2, 60, v2
	s_waitcnt lgkmcnt(0)
	v_add_f32_e32 v7, v7, v8
	ds_write_b32 v2, v7
.LBB49_18:
	s_or_b64 exec, exec, s[4:5]
	v_cmp_gt_u32_e64 s[0:1], 16, v0
	v_mov_b32_e32 v2, 0
	s_waitcnt lgkmcnt(0)
	s_barrier
	s_and_saveexec_b64 s[4:5], s[0:1]
	s_cbranch_execz .LBB49_20
; %bb.19:
	ds_read_b32 v2, v1
	s_or_b64 exec, exec, s[4:5]
	s_and_saveexec_b64 s[0:1], vcc
	s_cbranch_execz .LBB49_22
	s_branch .LBB49_21
.LBB49_20:
	s_or_b64 exec, exec, s[4:5]
	s_and_saveexec_b64 s[0:1], vcc
	s_cbranch_execz .LBB49_22
.LBB49_21:
	s_waitcnt lgkmcnt(0)
	ds_bpermute_b32 v1, v3, v2
	s_waitcnt lgkmcnt(0)
	v_add_f32_e32 v1, v2, v1
	ds_bpermute_b32 v2, v4, v1
	s_waitcnt lgkmcnt(0)
	v_add_f32_e32 v1, v1, v2
	;; [unrolled: 3-line block ×4, first 2 shown]
.LBB49_22:
	s_or_b64 exec, exec, s[0:1]
	v_cmp_eq_u32_e32 vcc, 0, v0
                                        ; implicit-def: $vgpr1
                                        ; implicit-def: $sgpr6_sgpr7
	s_and_saveexec_b64 s[0:1], vcc
	s_cbranch_execz .LBB49_26
; %bb.23:
	s_mul_i32 s6, s2, s21
	s_mul_hi_u32 s7, s2, s20
	v_cmp_eq_f32_e64 s[4:5], s26, 0
	s_add_i32 s6, s7, s6
	s_mul_i32 s3, s3, s20
	s_waitcnt lgkmcnt(0)
	v_mul_f32_e32 v1, s27, v2
	s_add_i32 s7, s6, s3
	s_mul_i32 s6, s2, s20
	s_and_b64 vcc, exec, s[4:5]
	s_cbranch_vccnz .LBB49_25
; %bb.24:
	s_lshl_b64 s[2:3], s[6:7], 2
	s_add_u32 s2, s24, s2
	s_addc_u32 s3, s25, s3
	s_load_dword s2, s[2:3], 0x0
	v_mov_b32_e32 v0, s26
	s_waitcnt lgkmcnt(0)
	v_fmac_f32_e32 v1, s2, v0
.LBB49_25:
	s_or_b64 s[22:23], s[22:23], exec
.LBB49_26:
	s_or_b64 exec, exec, s[0:1]
.LBB49_27:
	s_and_saveexec_b64 s[0:1], s[22:23]
	s_cbranch_execz .LBB49_29
; %bb.28:
	s_lshl_b64 s[0:1], s[6:7], 2
	s_add_u32 s0, s24, s0
	s_addc_u32 s1, s25, s1
	v_mov_b32_e32 v0, 0
	global_store_dword v0, v1, s[0:1]
.LBB49_29:
	s_endpgm
	.section	.rodata,"a",@progbits
	.p2align	6, 0x0
	.amdhsa_kernel _ZL32rocblas_gemvt_warp_reduce_kernelILb1ELi1024ElfffEviiT3_lPKT2_lT1_lS3_lS4_lS0_lPT4_lS4_li
		.amdhsa_group_segment_fixed_size 256
		.amdhsa_private_segment_fixed_size 0
		.amdhsa_kernarg_size 140
		.amdhsa_user_sgpr_count 2
		.amdhsa_user_sgpr_dispatch_ptr 0
		.amdhsa_user_sgpr_queue_ptr 0
		.amdhsa_user_sgpr_kernarg_segment_ptr 1
		.amdhsa_user_sgpr_dispatch_id 0
		.amdhsa_user_sgpr_kernarg_preload_length 0
		.amdhsa_user_sgpr_kernarg_preload_offset 0
		.amdhsa_user_sgpr_private_segment_size 0
		.amdhsa_uses_dynamic_stack 0
		.amdhsa_enable_private_segment 0
		.amdhsa_system_sgpr_workgroup_id_x 1
		.amdhsa_system_sgpr_workgroup_id_y 0
		.amdhsa_system_sgpr_workgroup_id_z 1
		.amdhsa_system_sgpr_workgroup_info 0
		.amdhsa_system_vgpr_workitem_id 0
		.amdhsa_next_free_vgpr 11
		.amdhsa_next_free_sgpr 29
		.amdhsa_accum_offset 12
		.amdhsa_reserve_vcc 1
		.amdhsa_float_round_mode_32 0
		.amdhsa_float_round_mode_16_64 0
		.amdhsa_float_denorm_mode_32 3
		.amdhsa_float_denorm_mode_16_64 3
		.amdhsa_dx10_clamp 1
		.amdhsa_ieee_mode 1
		.amdhsa_fp16_overflow 0
		.amdhsa_tg_split 0
		.amdhsa_exception_fp_ieee_invalid_op 0
		.amdhsa_exception_fp_denorm_src 0
		.amdhsa_exception_fp_ieee_div_zero 0
		.amdhsa_exception_fp_ieee_overflow 0
		.amdhsa_exception_fp_ieee_underflow 0
		.amdhsa_exception_fp_ieee_inexact 0
		.amdhsa_exception_int_div_zero 0
	.end_amdhsa_kernel
	.section	.text._ZL32rocblas_gemvt_warp_reduce_kernelILb1ELi1024ElfffEviiT3_lPKT2_lT1_lS3_lS4_lS0_lPT4_lS4_li,"axG",@progbits,_ZL32rocblas_gemvt_warp_reduce_kernelILb1ELi1024ElfffEviiT3_lPKT2_lT1_lS3_lS4_lS0_lPT4_lS4_li,comdat
.Lfunc_end49:
	.size	_ZL32rocblas_gemvt_warp_reduce_kernelILb1ELi1024ElfffEviiT3_lPKT2_lT1_lS3_lS4_lS0_lPT4_lS4_li, .Lfunc_end49-_ZL32rocblas_gemvt_warp_reduce_kernelILb1ELi1024ElfffEviiT3_lPKT2_lT1_lS3_lS4_lS0_lPT4_lS4_li
                                        ; -- End function
	.section	.AMDGPU.csdata,"",@progbits
; Kernel info:
; codeLenInByte = 1344
; NumSgprs: 35
; NumVgprs: 11
; NumAgprs: 0
; TotalNumVgprs: 11
; ScratchSize: 0
; MemoryBound: 0
; FloatMode: 240
; IeeeMode: 1
; LDSByteSize: 256 bytes/workgroup (compile time only)
; SGPRBlocks: 4
; VGPRBlocks: 1
; NumSGPRsForWavesPerEU: 35
; NumVGPRsForWavesPerEU: 11
; AccumOffset: 12
; Occupancy: 8
; WaveLimiterHint : 1
; COMPUTE_PGM_RSRC2:SCRATCH_EN: 0
; COMPUTE_PGM_RSRC2:USER_SGPR: 2
; COMPUTE_PGM_RSRC2:TRAP_HANDLER: 0
; COMPUTE_PGM_RSRC2:TGID_X_EN: 1
; COMPUTE_PGM_RSRC2:TGID_Y_EN: 0
; COMPUTE_PGM_RSRC2:TGID_Z_EN: 1
; COMPUTE_PGM_RSRC2:TIDIG_COMP_CNT: 0
; COMPUTE_PGM_RSRC3_GFX90A:ACCUM_OFFSET: 2
; COMPUTE_PGM_RSRC3_GFX90A:TG_SPLIT: 0
	.section	.text._ZL34rocblas_gemvn_sm_mn_batched_kernelILi32ELi24EdPKddEviiT2_lPKT1_lilS5_lilS2_lPT3_lili,"axG",@progbits,_ZL34rocblas_gemvn_sm_mn_batched_kernelILi32ELi24EdPKddEviiT2_lPKT1_lilS5_lilS2_lPT3_lili,comdat
	.globl	_ZL34rocblas_gemvn_sm_mn_batched_kernelILi32ELi24EdPKddEviiT2_lPKT1_lilS5_lilS2_lPT3_lili ; -- Begin function _ZL34rocblas_gemvn_sm_mn_batched_kernelILi32ELi24EdPKddEviiT2_lPKT1_lilS5_lilS2_lPT3_lili
	.p2align	8
	.type	_ZL34rocblas_gemvn_sm_mn_batched_kernelILi32ELi24EdPKddEviiT2_lPKT1_lilS5_lilS2_lPT3_lili,@function
_ZL34rocblas_gemvn_sm_mn_batched_kernelILi32ELi24EdPKddEviiT2_lPKT1_lilS5_lilS2_lPT3_lili: ; @_ZL34rocblas_gemvn_sm_mn_batched_kernelILi32ELi24EdPKddEviiT2_lPKT1_lilS5_lilS2_lPT3_lili
; %bb.0:
	s_load_dword s3, s[0:1], 0x9c
	s_load_dword s4, s[0:1], 0x88
	v_bfe_u32 v1, v0, 10, 10
	s_waitcnt lgkmcnt(0)
	s_lshr_b32 s3, s3, 16
	s_mul_i32 s2, s2, s3
	v_add_u32_e32 v8, s2, v1
	v_cmp_gt_i32_e32 vcc, s4, v8
	s_and_saveexec_b64 s[2:3], vcc
	s_cbranch_execz .LBB50_115
; %bb.1:
	s_load_dwordx8 s[4:11], s[0:1], 0x8
	s_load_dwordx8 s[12:19], s[0:1], 0x50
	s_waitcnt lgkmcnt(0)
	v_mad_u64_u32 v[4:5], s[2:3], v8, s6, 0
	v_mov_b32_e32 v10, v5
	v_mad_u64_u32 v[10:11], s[2:3], v8, s7, v[10:11]
	v_mov_b32_e32 v2, s4
	v_mov_b32_e32 v3, s5
	;; [unrolled: 1-line block ×3, first 2 shown]
	v_lshl_add_u64 v[2:3], v[4:5], 3, v[2:3]
	global_load_dwordx2 v[4:5], v[2:3], off
	v_mad_u64_u32 v[2:3], s[2:3], v8, s16, 0
	v_mov_b32_e32 v10, v3
	v_mad_u64_u32 v[10:11], s[2:3], v8, s17, v[10:11]
	v_mov_b32_e32 v6, s14
	v_mov_b32_e32 v7, s15
	;; [unrolled: 1-line block ×3, first 2 shown]
	v_lshl_add_u64 v[2:3], v[2:3], 3, v[6:7]
	global_load_dwordx2 v[6:7], v[2:3], off
	s_waitcnt vmcnt(1)
	v_cmp_neq_f64_e32 vcc, 0, v[4:5]
	s_waitcnt vmcnt(0)
	v_cmp_neq_f64_e64 s[2:3], 1.0, v[6:7]
	s_or_b64 s[2:3], vcc, s[2:3]
	s_and_b64 exec, exec, s[2:3]
	s_cbranch_execz .LBB50_115
; %bb.2:
	s_load_dwordx2 s[2:3], s[0:1], 0x80
	s_load_dword s33, s[0:1], 0x78
	s_load_dwordx2 s[4:5], s[0:1], 0x70
	s_load_dwordx2 s[14:15], s[0:1], 0x0
	v_and_b32_e32 v72, 0x3ff, v0
	s_waitcnt lgkmcnt(0)
	v_mad_u64_u32 v[2:3], s[6:7], v8, s2, 0
	v_mov_b32_e32 v10, v3
	v_mad_u64_u32 v[10:11], s[2:3], v8, s3, v[10:11]
	s_lshl_b64 s[2:3], s[4:5], 3
	s_add_u32 s2, s2, s18
	v_mov_b32_e32 v3, v10
	s_addc_u32 s3, s3, s19
	v_lshl_add_u64 v[2:3], v[2:3], 3, s[2:3]
	v_cmp_eq_f64_e32 vcc, 0, v[4:5]
	s_and_saveexec_b64 s[2:3], vcc
	s_xor_b64 s[4:5], exec, s[2:3]
	s_cbranch_execz .LBB50_12
; %bb.3:
	v_cmp_eq_f64_e64 s[2:3], 0, v[6:7]
	v_cmp_gt_i32_e32 vcc, s14, v72
	s_and_saveexec_b64 s[6:7], s[2:3]
	s_xor_b64 s[2:3], exec, s[6:7]
	s_cbranch_execz .LBB50_7
; %bb.4:
	s_and_saveexec_b64 s[6:7], vcc
	s_cbranch_execz .LBB50_6
; %bb.5:
	v_mad_i64_i32 v[0:1], s[16:17], s33, v72, 0
	v_lshl_add_u64 v[0:1], v[0:1], 3, v[2:3]
	v_mov_b32_e32 v2, 0
	v_mov_b32_e32 v3, v2
	global_store_dwordx2 v[0:1], v[2:3], off
.LBB50_6:
	s_or_b64 exec, exec, s[6:7]
                                        ; implicit-def: $vgpr72
                                        ; implicit-def: $vgpr2_vgpr3
                                        ; implicit-def: $vgpr6_vgpr7
.LBB50_7:
	s_andn2_saveexec_b64 s[2:3], s[2:3]
	s_cbranch_execz .LBB50_11
; %bb.8:
	s_and_saveexec_b64 s[6:7], vcc
	s_cbranch_execz .LBB50_10
; %bb.9:
	v_mad_i64_i32 v[0:1], s[16:17], s33, v72, 0
	v_lshl_add_u64 v[0:1], v[0:1], 3, v[2:3]
	global_load_dwordx2 v[2:3], v[0:1], off
	s_waitcnt vmcnt(0)
	v_mul_f64 v[2:3], v[6:7], v[2:3]
	global_store_dwordx2 v[0:1], v[2:3], off
.LBB50_10:
	s_or_b64 exec, exec, s[6:7]
.LBB50_11:
	s_or_b64 exec, exec, s[2:3]
                                        ; implicit-def: $vgpr72
                                        ; implicit-def: $vgpr2_vgpr3
                                        ; implicit-def: $vgpr1
                                        ; implicit-def: $vgpr8
                                        ; implicit-def: $vgpr4_vgpr5
                                        ; implicit-def: $vgpr6_vgpr7
.LBB50_12:
	s_andn2_saveexec_b64 s[2:3], s[4:5]
	s_cbranch_execz .LBB50_115
; %bb.13:
	s_load_dwordx4 s[4:7], s[0:1], 0x30
	s_load_dwordx2 s[16:17], s[0:1], 0x40
	v_lshlrev_b32_e32 v73, 8, v1
	v_cmp_gt_i32_e32 vcc, s15, v72
	s_and_saveexec_b64 s[2:3], vcc
	s_cbranch_execz .LBB50_15
; %bb.14:
	v_mad_u64_u32 v[0:1], s[18:19], v8, s12, 0
	v_mov_b32_e32 v10, v1
	v_mad_u64_u32 v[10:11], s[12:13], v8, s13, v[10:11]
	s_waitcnt lgkmcnt(0)
	s_lshl_b64 s[12:13], s[16:17], 3
	s_load_dword s16, s[0:1], 0x48
	s_add_u32 s6, s12, s6
	v_mov_b32_e32 v1, v10
	s_addc_u32 s7, s13, s7
	v_lshl_add_u64 v[0:1], v[0:1], 3, s[6:7]
	s_waitcnt lgkmcnt(0)
	v_mad_i64_i32 v[10:11], s[6:7], s16, v72, 0
	v_lshl_add_u64 v[0:1], v[10:11], 3, v[0:1]
	global_load_dwordx2 v[0:1], v[0:1], off
	s_waitcnt vmcnt(0)
	v_mul_f64 v[0:1], v[4:5], v[0:1]
	v_lshl_add_u32 v4, v72, 3, v73
	ds_write_b64 v4, v[0:1]
.LBB50_15:
	s_or_b64 exec, exec, s[2:3]
	v_cmp_gt_i32_e32 vcc, s14, v72
	s_waitcnt lgkmcnt(0)
	s_barrier
	s_and_saveexec_b64 s[2:3], vcc
	s_cbranch_execz .LBB50_115
; %bb.16:
	v_mov_b64_e32 v[4:5], 0
	v_cmp_neq_f64_e32 vcc, 0, v[6:7]
	v_mov_b32_e32 v9, 0
	v_mov_b64_e32 v[0:1], v[4:5]
	s_and_saveexec_b64 s[2:3], vcc
	s_cbranch_execz .LBB50_18
; %bb.17:
	v_mad_i64_i32 v[0:1], s[6:7], s33, v72, 0
	v_lshl_add_u64 v[0:1], v[0:1], 3, v[2:3]
	global_load_dwordx2 v[0:1], v[0:1], off
	s_waitcnt vmcnt(0)
	v_mul_f64 v[0:1], v[6:7], v[0:1]
.LBB50_18:
	s_or_b64 exec, exec, s[2:3]
	v_mad_u64_u32 v[6:7], s[2:3], v8, s4, 0
	v_mov_b32_e32 v10, v7
	v_mad_u64_u32 v[10:11], s[2:3], v8, s5, v[10:11]
	s_lshl_b64 s[2:3], s[10:11], 3
	s_add_u32 s2, s2, s8
	v_mov_b32_e32 v7, v10
	s_addc_u32 s3, s3, s9
	v_lshl_add_u64 v[6:7], v[6:7], 3, s[2:3]
	v_lshlrev_b32_e32 v8, 3, v72
	s_cmp_gt_i32 s15, 0
	v_lshl_add_u64 v[40:41], v[6:7], 0, v[8:9]
	s_cselect_b64 s[2:3], -1, 0
	s_cmp_lt_i32 s15, 1
	v_mov_b64_e32 v[20:21], v[4:5]
	s_cbranch_scc1 .LBB50_20
; %bb.19:
	global_load_dwordx2 v[20:21], v[40:41], off
.LBB50_20:
	s_load_dword s48, s[0:1], 0x28
	s_waitcnt lgkmcnt(0)
	s_ashr_i32 s49, s48, 31
	s_cmp_gt_i32 s15, 1
	s_cselect_b64 s[0:1], -1, 0
	s_cmp_lt_i32 s15, 2
	s_cbranch_scc1 .LBB50_22
; %bb.21:
	v_lshl_add_u64 v[4:5], s[48:49], 3, v[40:41]
	global_load_dwordx2 v[4:5], v[4:5], off
.LBB50_22:
	s_cmp_gt_i32 s15, 2
	v_mov_b64_e32 v[6:7], 0
	s_cselect_b64 s[4:5], -1, 0
	s_cmp_lt_i32 s15, 3
	v_mov_b64_e32 v[26:27], v[6:7]
	s_cbranch_scc1 .LBB50_24
; %bb.23:
	v_lshl_add_u64 v[8:9], s[48:49], 4, v[40:41]
	global_load_dwordx2 v[26:27], v[8:9], off
.LBB50_24:
	s_cmp_gt_i32 s15, 3
	s_cselect_b64 s[6:7], -1, 0
	s_cmp_lt_i32 s15, 4
	s_cbranch_scc1 .LBB50_26
; %bb.25:
	v_mad_i64_i32 v[6:7], s[8:9], s48, 24, v[40:41]
	global_load_dwordx2 v[6:7], v[6:7], off
.LBB50_26:
	s_cmp_gt_i32 s15, 4
	v_mov_b64_e32 v[8:9], 0
	s_cselect_b64 s[8:9], -1, 0
	s_cmp_lt_i32 s15, 5
	v_mov_b64_e32 v[28:29], v[8:9]
	s_cbranch_scc1 .LBB50_28
; %bb.27:
	s_lshl_b64 s[10:11], s[48:49], 5
	v_lshl_add_u64 v[10:11], v[40:41], 0, s[10:11]
	global_load_dwordx2 v[28:29], v[10:11], off
.LBB50_28:
	s_cmp_gt_i32 s15, 5
	s_cselect_b64 s[10:11], -1, 0
	s_cmp_lt_i32 s15, 6
	s_cbranch_scc1 .LBB50_30
; %bb.29:
	v_mad_i64_i32 v[8:9], s[12:13], s48, 40, v[40:41]
	global_load_dwordx2 v[8:9], v[8:9], off
.LBB50_30:
	s_cmp_gt_i32 s15, 6
	v_mov_b64_e32 v[10:11], 0
	s_cselect_b64 s[12:13], -1, 0
	s_cmp_lt_i32 s15, 7
	v_mov_b64_e32 v[30:31], v[10:11]
	s_cbranch_scc1 .LBB50_32
; %bb.31:
	v_mad_i64_i32 v[12:13], s[16:17], s48, 48, v[40:41]
	global_load_dwordx2 v[30:31], v[12:13], off
.LBB50_32:
	s_cmp_gt_i32 s15, 7
	s_cselect_b64 s[16:17], -1, 0
	s_cmp_lt_i32 s15, 8
	s_cbranch_scc1 .LBB50_34
; %bb.33:
	v_mad_i64_i32 v[10:11], s[18:19], s48, 56, v[40:41]
	global_load_dwordx2 v[10:11], v[10:11], off
.LBB50_34:
	s_cmp_gt_i32 s15, 8
	v_mov_b64_e32 v[12:13], 0
	s_cselect_b64 s[18:19], -1, 0
	s_cmp_lt_i32 s15, 9
	v_mov_b64_e32 v[34:35], v[12:13]
	s_cbranch_scc1 .LBB50_36
; %bb.35:
	s_lshl_b64 s[20:21], s[48:49], 6
	v_lshl_add_u64 v[14:15], v[40:41], 0, s[20:21]
	global_load_dwordx2 v[34:35], v[14:15], off
.LBB50_36:
	s_cmp_gt_i32 s15, 9
	s_cselect_b64 s[20:21], -1, 0
	s_cmp_lt_i32 s15, 10
	s_cbranch_scc1 .LBB50_38
; %bb.37:
	v_mov_b32_e32 v12, 0x48
	v_mad_i64_i32 v[12:13], s[22:23], s48, v12, v[40:41]
	global_load_dwordx2 v[12:13], v[12:13], off
.LBB50_38:
	s_cmp_gt_i32 s15, 10
	v_mov_b64_e32 v[14:15], 0
	s_cselect_b64 s[22:23], -1, 0
	s_cmp_lt_i32 s15, 11
	v_mov_b64_e32 v[38:39], v[14:15]
	s_cbranch_scc1 .LBB50_40
; %bb.39:
	v_mov_b32_e32 v16, 0x50
	v_mad_i64_i32 v[16:17], s[24:25], s48, v16, v[40:41]
	global_load_dwordx2 v[38:39], v[16:17], off
.LBB50_40:
	s_cmp_gt_i32 s15, 11
	s_cselect_b64 s[24:25], -1, 0
	s_cmp_lt_i32 s15, 12
	s_cbranch_scc1 .LBB50_42
; %bb.41:
	v_mov_b32_e32 v14, 0x58
	v_mad_i64_i32 v[14:15], s[26:27], s48, v14, v[40:41]
	global_load_dwordx2 v[14:15], v[14:15], off
.LBB50_42:
	s_cmp_gt_i32 s15, 12
	v_mov_b64_e32 v[16:17], 0
	s_cselect_b64 s[26:27], -1, 0
	s_cmp_lt_i32 s15, 13
	v_mov_b64_e32 v[44:45], v[16:17]
	s_cbranch_scc1 .LBB50_44
; %bb.43:
	v_mov_b32_e32 v18, 0x60
	v_mad_i64_i32 v[18:19], s[28:29], s48, v18, v[40:41]
	global_load_dwordx2 v[44:45], v[18:19], off
.LBB50_44:
	;; [unrolled: 20-line block ×3, first 2 shown]
	s_cmp_gt_i32 s15, 15
	s_cselect_b64 s[34:35], -1, 0
	s_cmp_lt_i32 s15, 16
	s_cbranch_scc1 .LBB50_50
; %bb.49:
	v_mov_b32_e32 v18, 0x78
	v_mad_i64_i32 v[18:19], s[36:37], s48, v18, v[40:41]
	global_load_dwordx2 v[18:19], v[18:19], off
.LBB50_50:
	s_cmp_gt_i32 s15, 16
	v_mov_b64_e32 v[22:23], 0
	s_cselect_b64 s[36:37], -1, 0
	s_cmp_lt_i32 s15, 17
	v_mov_b64_e32 v[52:53], v[22:23]
	s_cbranch_scc1 .LBB50_52
; %bb.51:
	s_lshl_b64 s[38:39], s[48:49], 7
	v_lshl_add_u64 v[24:25], v[40:41], 0, s[38:39]
	global_load_dwordx2 v[52:53], v[24:25], off
.LBB50_52:
	s_cmp_gt_i32 s15, 17
	s_cselect_b64 s[38:39], -1, 0
	s_cmp_lt_i32 s15, 18
	s_cbranch_scc1 .LBB50_54
; %bb.53:
	v_mov_b32_e32 v22, 0x88
	v_mad_i64_i32 v[22:23], s[40:41], s48, v22, v[40:41]
	global_load_dwordx2 v[22:23], v[22:23], off
.LBB50_54:
	s_cmp_gt_i32 s15, 18
	v_mov_b64_e32 v[24:25], 0
	s_cselect_b64 s[40:41], -1, 0
	s_cmp_lt_i32 s15, 19
	v_mov_b64_e32 v[56:57], v[24:25]
	s_cbranch_scc1 .LBB50_56
; %bb.55:
	v_mov_b32_e32 v32, 0x90
	v_mad_i64_i32 v[32:33], s[42:43], s48, v32, v[40:41]
	global_load_dwordx2 v[56:57], v[32:33], off
.LBB50_56:
	s_cmp_gt_i32 s15, 19
	s_cselect_b64 s[42:43], -1, 0
	s_cmp_lt_i32 s15, 20
	s_cbranch_scc1 .LBB50_58
; %bb.57:
	v_mov_b32_e32 v24, 0x98
	v_mad_i64_i32 v[24:25], s[44:45], s48, v24, v[40:41]
	global_load_dwordx2 v[24:25], v[24:25], off
.LBB50_58:
	s_cmp_gt_i32 s15, 20
	v_mov_b64_e32 v[32:33], 0
	s_cselect_b64 s[44:45], -1, 0
	s_cmp_lt_i32 s15, 21
	v_mov_b64_e32 v[58:59], v[32:33]
	s_cbranch_scc1 .LBB50_60
; %bb.59:
	v_mov_b32_e32 v36, 0xa0
	v_mad_i64_i32 v[36:37], s[46:47], s48, v36, v[40:41]
	global_load_dwordx2 v[58:59], v[36:37], off
.LBB50_60:
	;; [unrolled: 20-line block ×6, first 2 shown]
	s_cmp_gt_i32 s15, 29
	s_cselect_b64 s[64:65], -1, 0
	s_cmp_lt_i32 s15, 30
	s_cbranch_scc1 .LBB50_78
; %bb.77:
	v_mov_b32_e32 v50, 0xe8
	v_mad_i64_i32 v[50:51], s[66:67], s48, v50, v[40:41]
	global_load_dwordx2 v[50:51], v[50:51], off
.LBB50_78:
	s_cmp_gt_i32 s15, 30
	v_mov_b64_e32 v[54:55], 0
	s_cselect_b64 s[66:67], -1, 0
	s_cmp_lt_i32 s15, 31
	v_mov_b64_e32 v[68:69], v[54:55]
	s_cbranch_scc0 .LBB50_116
; %bb.79:
	s_cmp_gt_i32 s15, 31
	s_cselect_b64 s[68:69], -1, 0
	s_cmp_lt_i32 s15, 32
	s_cbranch_scc0 .LBB50_117
.LBB50_80:
	v_mov_b64_e32 v[40:41], 0
	s_andn2_b64 vcc, exec, s[2:3]
	v_mov_b64_e32 v[70:71], v[40:41]
	s_cbranch_vccnz .LBB50_82
.LBB50_81:
	ds_read_b64 v[70:71], v73
	s_waitcnt vmcnt(0) lgkmcnt(0)
	v_mul_f64 v[70:71], v[20:21], v[70:71]
.LBB50_82:
	s_andn2_b64 vcc, exec, s[0:1]
	s_cbranch_vccz .LBB50_118
; %bb.83:
	s_waitcnt vmcnt(0)
	v_mov_b64_e32 v[4:5], 0
	s_andn2_b64 vcc, exec, s[4:5]
	v_mov_b64_e32 v[20:21], v[4:5]
	s_cbranch_vccz .LBB50_119
.LBB50_84:
	s_andn2_b64 vcc, exec, s[6:7]
	s_cbranch_vccz .LBB50_120
.LBB50_85:
	v_mov_b64_e32 v[6:7], 0
	s_andn2_b64 vcc, exec, s[8:9]
	v_mov_b64_e32 v[26:27], v[6:7]
	s_cbranch_vccz .LBB50_121
.LBB50_86:
	s_andn2_b64 vcc, exec, s[10:11]
	s_cbranch_vccz .LBB50_122
.LBB50_87:
	v_mov_b64_e32 v[8:9], 0
	s_andn2_b64 vcc, exec, s[12:13]
	v_mov_b64_e32 v[28:29], v[8:9]
	s_cbranch_vccz .LBB50_123
.LBB50_88:
	s_andn2_b64 vcc, exec, s[16:17]
	s_cbranch_vccz .LBB50_124
.LBB50_89:
	v_mov_b64_e32 v[10:11], 0
	s_andn2_b64 vcc, exec, s[18:19]
	v_mov_b64_e32 v[30:31], v[10:11]
	s_cbranch_vccz .LBB50_125
.LBB50_90:
	s_andn2_b64 vcc, exec, s[20:21]
	s_cbranch_vccz .LBB50_126
.LBB50_91:
	v_mov_b64_e32 v[12:13], 0
	s_andn2_b64 vcc, exec, s[22:23]
	v_mov_b64_e32 v[34:35], v[12:13]
	s_cbranch_vccz .LBB50_127
.LBB50_92:
	s_andn2_b64 vcc, exec, s[24:25]
	s_cbranch_vccz .LBB50_128
.LBB50_93:
	v_mov_b64_e32 v[14:15], 0
	s_andn2_b64 vcc, exec, s[26:27]
	v_mov_b64_e32 v[38:39], v[14:15]
	s_cbranch_vccz .LBB50_129
.LBB50_94:
	s_andn2_b64 vcc, exec, s[28:29]
	s_cbranch_vccz .LBB50_130
.LBB50_95:
	v_mov_b64_e32 v[16:17], 0
	s_andn2_b64 vcc, exec, s[30:31]
	v_mov_b64_e32 v[44:45], v[16:17]
	s_cbranch_vccz .LBB50_131
.LBB50_96:
	s_andn2_b64 vcc, exec, s[34:35]
	s_cbranch_vccz .LBB50_132
.LBB50_97:
	v_mov_b64_e32 v[18:19], 0
	s_andn2_b64 vcc, exec, s[36:37]
	v_mov_b64_e32 v[48:49], v[18:19]
	s_cbranch_vccz .LBB50_133
.LBB50_98:
	s_andn2_b64 vcc, exec, s[38:39]
	s_cbranch_vccz .LBB50_134
.LBB50_99:
	v_mov_b64_e32 v[22:23], 0
	s_andn2_b64 vcc, exec, s[40:41]
	v_mov_b64_e32 v[52:53], v[22:23]
	s_cbranch_vccz .LBB50_135
.LBB50_100:
	s_andn2_b64 vcc, exec, s[42:43]
	s_cbranch_vccz .LBB50_136
.LBB50_101:
	v_mov_b64_e32 v[24:25], 0
	s_andn2_b64 vcc, exec, s[44:45]
	v_mov_b64_e32 v[56:57], v[24:25]
	s_cbranch_vccz .LBB50_137
.LBB50_102:
	s_andn2_b64 vcc, exec, s[46:47]
	s_cbranch_vccz .LBB50_138
.LBB50_103:
	v_mov_b64_e32 v[32:33], 0
	s_andn2_b64 vcc, exec, s[50:51]
	v_mov_b64_e32 v[58:59], v[32:33]
	s_cbranch_vccz .LBB50_139
.LBB50_104:
	s_andn2_b64 vcc, exec, s[52:53]
	s_cbranch_vccz .LBB50_140
.LBB50_105:
	v_mov_b64_e32 v[36:37], 0
	s_andn2_b64 vcc, exec, s[54:55]
	v_mov_b64_e32 v[60:61], v[36:37]
	s_cbranch_vccz .LBB50_141
.LBB50_106:
	s_andn2_b64 vcc, exec, s[56:57]
	s_cbranch_vccz .LBB50_142
.LBB50_107:
	v_mov_b64_e32 v[42:43], 0
	s_andn2_b64 vcc, exec, s[58:59]
	v_mov_b64_e32 v[62:63], v[42:43]
	s_cbranch_vccz .LBB50_143
.LBB50_108:
	s_andn2_b64 vcc, exec, s[60:61]
	s_cbranch_vccz .LBB50_144
.LBB50_109:
	v_mov_b64_e32 v[46:47], 0
	s_andn2_b64 vcc, exec, s[62:63]
	v_mov_b64_e32 v[64:65], v[46:47]
	s_cbranch_vccz .LBB50_145
.LBB50_110:
	s_andn2_b64 vcc, exec, s[64:65]
	s_cbranch_vccz .LBB50_146
.LBB50_111:
	v_mov_b64_e32 v[50:51], 0
	s_andn2_b64 vcc, exec, s[66:67]
	v_mov_b64_e32 v[66:67], v[50:51]
	s_cbranch_vccz .LBB50_147
.LBB50_112:
	s_andn2_b64 vcc, exec, s[68:69]
	s_cbranch_vccnz .LBB50_114
.LBB50_113:
	ds_read_b64 v[50:51], v73 offset:248
	s_waitcnt lgkmcnt(0)
	v_mul_f64 v[50:51], v[54:55], v[50:51]
.LBB50_114:
	v_add_f64 v[0:1], v[0:1], v[70:71]
	v_add_f64 v[0:1], v[0:1], v[40:41]
	v_add_f64 v[0:1], v[0:1], v[20:21]
	v_add_f64 v[0:1], v[0:1], v[4:5]
	v_add_f64 v[0:1], v[0:1], v[26:27]
	v_add_f64 v[0:1], v[0:1], v[6:7]
	v_add_f64 v[0:1], v[0:1], v[28:29]
	v_add_f64 v[0:1], v[0:1], v[8:9]
	v_add_f64 v[0:1], v[0:1], v[30:31]
	v_add_f64 v[0:1], v[0:1], v[10:11]
	v_add_f64 v[0:1], v[0:1], v[34:35]
	v_add_f64 v[0:1], v[0:1], v[12:13]
	v_add_f64 v[0:1], v[0:1], v[38:39]
	v_add_f64 v[0:1], v[0:1], v[14:15]
	v_add_f64 v[0:1], v[0:1], v[44:45]
	v_add_f64 v[0:1], v[0:1], v[16:17]
	v_add_f64 v[0:1], v[0:1], v[48:49]
	v_add_f64 v[0:1], v[0:1], v[18:19]
	v_add_f64 v[0:1], v[0:1], v[52:53]
	v_add_f64 v[0:1], v[0:1], v[22:23]
	v_add_f64 v[0:1], v[0:1], v[56:57]
	v_add_f64 v[0:1], v[0:1], v[24:25]
	v_add_f64 v[0:1], v[0:1], v[58:59]
	v_add_f64 v[0:1], v[0:1], v[32:33]
	v_add_f64 v[0:1], v[0:1], v[60:61]
	v_add_f64 v[0:1], v[0:1], v[36:37]
	v_add_f64 v[0:1], v[0:1], v[62:63]
	v_add_f64 v[0:1], v[0:1], v[42:43]
	v_add_f64 v[0:1], v[0:1], v[64:65]
	v_add_f64 v[0:1], v[0:1], v[46:47]
	v_add_f64 v[0:1], v[0:1], v[66:67]
	v_mad_i64_i32 v[4:5], s[0:1], s33, v72, 0
	v_add_f64 v[0:1], v[0:1], v[50:51]
	v_lshl_add_u64 v[2:3], v[4:5], 3, v[2:3]
	global_store_dwordx2 v[2:3], v[0:1], off
.LBB50_115:
	s_endpgm
.LBB50_116:
	v_mov_b32_e32 v68, 0xf0
	v_mad_i64_i32 v[68:69], s[68:69], s48, v68, v[40:41]
	global_load_dwordx2 v[68:69], v[68:69], off
	s_cmp_gt_i32 s15, 31
	s_cselect_b64 s[68:69], -1, 0
	s_cmp_lt_i32 s15, 32
	s_cbranch_scc1 .LBB50_80
.LBB50_117:
	v_mov_b32_e32 v54, 0xf8
	v_mad_i64_i32 v[40:41], s[14:15], s48, v54, v[40:41]
	global_load_dwordx2 v[54:55], v[40:41], off
	v_mov_b64_e32 v[40:41], 0
	s_andn2_b64 vcc, exec, s[2:3]
	v_mov_b64_e32 v[70:71], v[40:41]
	s_cbranch_vccz .LBB50_81
	s_branch .LBB50_82
.LBB50_118:
	s_waitcnt vmcnt(0)
	ds_read_b64 v[20:21], v73 offset:8
	s_waitcnt lgkmcnt(0)
	v_mul_f64 v[40:41], v[4:5], v[20:21]
	v_mov_b64_e32 v[4:5], 0
	s_andn2_b64 vcc, exec, s[4:5]
	v_mov_b64_e32 v[20:21], v[4:5]
	s_cbranch_vccnz .LBB50_84
.LBB50_119:
	ds_read_b64 v[20:21], v73 offset:16
	s_waitcnt lgkmcnt(0)
	v_mul_f64 v[20:21], v[26:27], v[20:21]
	s_andn2_b64 vcc, exec, s[6:7]
	s_cbranch_vccnz .LBB50_85
.LBB50_120:
	ds_read_b64 v[4:5], v73 offset:24
	s_waitcnt lgkmcnt(0)
	v_mul_f64 v[4:5], v[6:7], v[4:5]
	v_mov_b64_e32 v[6:7], 0
	s_andn2_b64 vcc, exec, s[8:9]
	v_mov_b64_e32 v[26:27], v[6:7]
	s_cbranch_vccnz .LBB50_86
.LBB50_121:
	ds_read_b64 v[26:27], v73 offset:32
	s_waitcnt lgkmcnt(0)
	v_mul_f64 v[26:27], v[28:29], v[26:27]
	s_andn2_b64 vcc, exec, s[10:11]
	s_cbranch_vccnz .LBB50_87
.LBB50_122:
	ds_read_b64 v[6:7], v73 offset:40
	s_waitcnt lgkmcnt(0)
	v_mul_f64 v[6:7], v[8:9], v[6:7]
	v_mov_b64_e32 v[8:9], 0
	s_andn2_b64 vcc, exec, s[12:13]
	v_mov_b64_e32 v[28:29], v[8:9]
	s_cbranch_vccnz .LBB50_88
.LBB50_123:
	ds_read_b64 v[28:29], v73 offset:48
	s_waitcnt lgkmcnt(0)
	v_mul_f64 v[28:29], v[30:31], v[28:29]
	s_andn2_b64 vcc, exec, s[16:17]
	s_cbranch_vccnz .LBB50_89
.LBB50_124:
	ds_read_b64 v[8:9], v73 offset:56
	s_waitcnt lgkmcnt(0)
	v_mul_f64 v[8:9], v[10:11], v[8:9]
	v_mov_b64_e32 v[10:11], 0
	s_andn2_b64 vcc, exec, s[18:19]
	v_mov_b64_e32 v[30:31], v[10:11]
	s_cbranch_vccnz .LBB50_90
.LBB50_125:
	ds_read_b64 v[30:31], v73 offset:64
	s_waitcnt lgkmcnt(0)
	v_mul_f64 v[30:31], v[34:35], v[30:31]
	s_andn2_b64 vcc, exec, s[20:21]
	s_cbranch_vccnz .LBB50_91
.LBB50_126:
	ds_read_b64 v[10:11], v73 offset:72
	s_waitcnt lgkmcnt(0)
	v_mul_f64 v[10:11], v[12:13], v[10:11]
	v_mov_b64_e32 v[12:13], 0
	s_andn2_b64 vcc, exec, s[22:23]
	v_mov_b64_e32 v[34:35], v[12:13]
	s_cbranch_vccnz .LBB50_92
.LBB50_127:
	ds_read_b64 v[34:35], v73 offset:80
	s_waitcnt lgkmcnt(0)
	v_mul_f64 v[34:35], v[38:39], v[34:35]
	s_andn2_b64 vcc, exec, s[24:25]
	s_cbranch_vccnz .LBB50_93
.LBB50_128:
	ds_read_b64 v[12:13], v73 offset:88
	s_waitcnt lgkmcnt(0)
	v_mul_f64 v[12:13], v[14:15], v[12:13]
	v_mov_b64_e32 v[14:15], 0
	s_andn2_b64 vcc, exec, s[26:27]
	v_mov_b64_e32 v[38:39], v[14:15]
	s_cbranch_vccnz .LBB50_94
.LBB50_129:
	ds_read_b64 v[38:39], v73 offset:96
	s_waitcnt lgkmcnt(0)
	v_mul_f64 v[38:39], v[44:45], v[38:39]
	s_andn2_b64 vcc, exec, s[28:29]
	s_cbranch_vccnz .LBB50_95
.LBB50_130:
	ds_read_b64 v[14:15], v73 offset:104
	s_waitcnt lgkmcnt(0)
	v_mul_f64 v[14:15], v[16:17], v[14:15]
	v_mov_b64_e32 v[16:17], 0
	s_andn2_b64 vcc, exec, s[30:31]
	v_mov_b64_e32 v[44:45], v[16:17]
	s_cbranch_vccnz .LBB50_96
.LBB50_131:
	ds_read_b64 v[44:45], v73 offset:112
	s_waitcnt lgkmcnt(0)
	v_mul_f64 v[44:45], v[48:49], v[44:45]
	s_andn2_b64 vcc, exec, s[34:35]
	s_cbranch_vccnz .LBB50_97
.LBB50_132:
	ds_read_b64 v[16:17], v73 offset:120
	s_waitcnt lgkmcnt(0)
	v_mul_f64 v[16:17], v[18:19], v[16:17]
	v_mov_b64_e32 v[18:19], 0
	s_andn2_b64 vcc, exec, s[36:37]
	v_mov_b64_e32 v[48:49], v[18:19]
	s_cbranch_vccnz .LBB50_98
.LBB50_133:
	ds_read_b64 v[48:49], v73 offset:128
	s_waitcnt lgkmcnt(0)
	v_mul_f64 v[48:49], v[52:53], v[48:49]
	s_andn2_b64 vcc, exec, s[38:39]
	s_cbranch_vccnz .LBB50_99
.LBB50_134:
	ds_read_b64 v[18:19], v73 offset:136
	s_waitcnt lgkmcnt(0)
	v_mul_f64 v[18:19], v[22:23], v[18:19]
	v_mov_b64_e32 v[22:23], 0
	s_andn2_b64 vcc, exec, s[40:41]
	v_mov_b64_e32 v[52:53], v[22:23]
	s_cbranch_vccnz .LBB50_100
.LBB50_135:
	ds_read_b64 v[52:53], v73 offset:144
	s_waitcnt lgkmcnt(0)
	v_mul_f64 v[52:53], v[56:57], v[52:53]
	s_andn2_b64 vcc, exec, s[42:43]
	s_cbranch_vccnz .LBB50_101
.LBB50_136:
	ds_read_b64 v[22:23], v73 offset:152
	s_waitcnt lgkmcnt(0)
	v_mul_f64 v[22:23], v[24:25], v[22:23]
	v_mov_b64_e32 v[24:25], 0
	s_andn2_b64 vcc, exec, s[44:45]
	v_mov_b64_e32 v[56:57], v[24:25]
	s_cbranch_vccnz .LBB50_102
.LBB50_137:
	ds_read_b64 v[56:57], v73 offset:160
	s_waitcnt lgkmcnt(0)
	v_mul_f64 v[56:57], v[58:59], v[56:57]
	s_andn2_b64 vcc, exec, s[46:47]
	s_cbranch_vccnz .LBB50_103
.LBB50_138:
	ds_read_b64 v[24:25], v73 offset:168
	s_waitcnt lgkmcnt(0)
	v_mul_f64 v[24:25], v[32:33], v[24:25]
	v_mov_b64_e32 v[32:33], 0
	s_andn2_b64 vcc, exec, s[50:51]
	v_mov_b64_e32 v[58:59], v[32:33]
	s_cbranch_vccnz .LBB50_104
.LBB50_139:
	ds_read_b64 v[58:59], v73 offset:176
	s_waitcnt lgkmcnt(0)
	v_mul_f64 v[58:59], v[60:61], v[58:59]
	s_andn2_b64 vcc, exec, s[52:53]
	s_cbranch_vccnz .LBB50_105
.LBB50_140:
	ds_read_b64 v[32:33], v73 offset:184
	s_waitcnt lgkmcnt(0)
	v_mul_f64 v[32:33], v[36:37], v[32:33]
	v_mov_b64_e32 v[36:37], 0
	s_andn2_b64 vcc, exec, s[54:55]
	v_mov_b64_e32 v[60:61], v[36:37]
	s_cbranch_vccnz .LBB50_106
.LBB50_141:
	ds_read_b64 v[60:61], v73 offset:192
	s_waitcnt lgkmcnt(0)
	v_mul_f64 v[60:61], v[62:63], v[60:61]
	s_andn2_b64 vcc, exec, s[56:57]
	s_cbranch_vccnz .LBB50_107
.LBB50_142:
	ds_read_b64 v[36:37], v73 offset:200
	s_waitcnt lgkmcnt(0)
	v_mul_f64 v[36:37], v[42:43], v[36:37]
	v_mov_b64_e32 v[42:43], 0
	s_andn2_b64 vcc, exec, s[58:59]
	v_mov_b64_e32 v[62:63], v[42:43]
	s_cbranch_vccnz .LBB50_108
.LBB50_143:
	ds_read_b64 v[62:63], v73 offset:208
	s_waitcnt lgkmcnt(0)
	v_mul_f64 v[62:63], v[64:65], v[62:63]
	s_andn2_b64 vcc, exec, s[60:61]
	s_cbranch_vccnz .LBB50_109
.LBB50_144:
	ds_read_b64 v[42:43], v73 offset:216
	s_waitcnt lgkmcnt(0)
	v_mul_f64 v[42:43], v[46:47], v[42:43]
	v_mov_b64_e32 v[46:47], 0
	s_andn2_b64 vcc, exec, s[62:63]
	v_mov_b64_e32 v[64:65], v[46:47]
	s_cbranch_vccnz .LBB50_110
.LBB50_145:
	ds_read_b64 v[64:65], v73 offset:224
	s_waitcnt lgkmcnt(0)
	v_mul_f64 v[64:65], v[66:67], v[64:65]
	s_andn2_b64 vcc, exec, s[64:65]
	s_cbranch_vccnz .LBB50_111
.LBB50_146:
	ds_read_b64 v[46:47], v73 offset:232
	s_waitcnt lgkmcnt(0)
	v_mul_f64 v[46:47], v[50:51], v[46:47]
	v_mov_b64_e32 v[50:51], 0
	s_andn2_b64 vcc, exec, s[66:67]
	v_mov_b64_e32 v[66:67], v[50:51]
	s_cbranch_vccnz .LBB50_112
.LBB50_147:
	ds_read_b64 v[66:67], v73 offset:240
	s_waitcnt lgkmcnt(0)
	v_mul_f64 v[66:67], v[68:69], v[66:67]
	s_andn2_b64 vcc, exec, s[68:69]
	s_cbranch_vccz .LBB50_113
	s_branch .LBB50_114
	.section	.rodata,"a",@progbits
	.p2align	6, 0x0
	.amdhsa_kernel _ZL34rocblas_gemvn_sm_mn_batched_kernelILi32ELi24EdPKddEviiT2_lPKT1_lilS5_lilS2_lPT3_lili
		.amdhsa_group_segment_fixed_size 6144
		.amdhsa_private_segment_fixed_size 0
		.amdhsa_kernarg_size 400
		.amdhsa_user_sgpr_count 2
		.amdhsa_user_sgpr_dispatch_ptr 0
		.amdhsa_user_sgpr_queue_ptr 0
		.amdhsa_user_sgpr_kernarg_segment_ptr 1
		.amdhsa_user_sgpr_dispatch_id 0
		.amdhsa_user_sgpr_kernarg_preload_length 0
		.amdhsa_user_sgpr_kernarg_preload_offset 0
		.amdhsa_user_sgpr_private_segment_size 0
		.amdhsa_uses_dynamic_stack 0
		.amdhsa_enable_private_segment 0
		.amdhsa_system_sgpr_workgroup_id_x 1
		.amdhsa_system_sgpr_workgroup_id_y 0
		.amdhsa_system_sgpr_workgroup_id_z 0
		.amdhsa_system_sgpr_workgroup_info 0
		.amdhsa_system_vgpr_workitem_id 1
		.amdhsa_next_free_vgpr 74
		.amdhsa_next_free_sgpr 70
		.amdhsa_accum_offset 76
		.amdhsa_reserve_vcc 1
		.amdhsa_float_round_mode_32 0
		.amdhsa_float_round_mode_16_64 0
		.amdhsa_float_denorm_mode_32 3
		.amdhsa_float_denorm_mode_16_64 3
		.amdhsa_dx10_clamp 1
		.amdhsa_ieee_mode 1
		.amdhsa_fp16_overflow 0
		.amdhsa_tg_split 0
		.amdhsa_exception_fp_ieee_invalid_op 0
		.amdhsa_exception_fp_denorm_src 0
		.amdhsa_exception_fp_ieee_div_zero 0
		.amdhsa_exception_fp_ieee_overflow 0
		.amdhsa_exception_fp_ieee_underflow 0
		.amdhsa_exception_fp_ieee_inexact 0
		.amdhsa_exception_int_div_zero 0
	.end_amdhsa_kernel
	.section	.text._ZL34rocblas_gemvn_sm_mn_batched_kernelILi32ELi24EdPKddEviiT2_lPKT1_lilS5_lilS2_lPT3_lili,"axG",@progbits,_ZL34rocblas_gemvn_sm_mn_batched_kernelILi32ELi24EdPKddEviiT2_lPKT1_lilS5_lilS2_lPT3_lili,comdat
.Lfunc_end50:
	.size	_ZL34rocblas_gemvn_sm_mn_batched_kernelILi32ELi24EdPKddEviiT2_lPKT1_lilS5_lilS2_lPT3_lili, .Lfunc_end50-_ZL34rocblas_gemvn_sm_mn_batched_kernelILi32ELi24EdPKddEviiT2_lPKT1_lilS5_lilS2_lPT3_lili
                                        ; -- End function
	.section	.AMDGPU.csdata,"",@progbits
; Kernel info:
; codeLenInByte = 3796
; NumSgprs: 76
; NumVgprs: 74
; NumAgprs: 0
; TotalNumVgprs: 74
; ScratchSize: 0
; MemoryBound: 0
; FloatMode: 240
; IeeeMode: 1
; LDSByteSize: 6144 bytes/workgroup (compile time only)
; SGPRBlocks: 9
; VGPRBlocks: 9
; NumSGPRsForWavesPerEU: 76
; NumVGPRsForWavesPerEU: 74
; AccumOffset: 76
; Occupancy: 6
; WaveLimiterHint : 1
; COMPUTE_PGM_RSRC2:SCRATCH_EN: 0
; COMPUTE_PGM_RSRC2:USER_SGPR: 2
; COMPUTE_PGM_RSRC2:TRAP_HANDLER: 0
; COMPUTE_PGM_RSRC2:TGID_X_EN: 1
; COMPUTE_PGM_RSRC2:TGID_Y_EN: 0
; COMPUTE_PGM_RSRC2:TGID_Z_EN: 0
; COMPUTE_PGM_RSRC2:TIDIG_COMP_CNT: 1
; COMPUTE_PGM_RSRC3_GFX90A:ACCUM_OFFSET: 18
; COMPUTE_PGM_RSRC3_GFX90A:TG_SPLIT: 0
	.section	.text._ZL34rocblas_gemvn_sm_mn_batched_kernelILi32ELi24EdddEviiT2_lPKT1_lilS3_lilS0_lPT3_lili,"axG",@progbits,_ZL34rocblas_gemvn_sm_mn_batched_kernelILi32ELi24EdddEviiT2_lPKT1_lilS3_lilS0_lPT3_lili,comdat
	.globl	_ZL34rocblas_gemvn_sm_mn_batched_kernelILi32ELi24EdddEviiT2_lPKT1_lilS3_lilS0_lPT3_lili ; -- Begin function _ZL34rocblas_gemvn_sm_mn_batched_kernelILi32ELi24EdddEviiT2_lPKT1_lilS3_lilS0_lPT3_lili
	.p2align	8
	.type	_ZL34rocblas_gemvn_sm_mn_batched_kernelILi32ELi24EdddEviiT2_lPKT1_lilS3_lilS0_lPT3_lili,@function
_ZL34rocblas_gemvn_sm_mn_batched_kernelILi32ELi24EdddEviiT2_lPKT1_lilS3_lilS0_lPT3_lili: ; @_ZL34rocblas_gemvn_sm_mn_batched_kernelILi32ELi24EdddEviiT2_lPKT1_lilS3_lilS0_lPT3_lili
; %bb.0:
	s_load_dword s3, s[0:1], 0x9c
	s_load_dword s4, s[0:1], 0x88
	v_bfe_u32 v1, v0, 10, 10
	s_waitcnt lgkmcnt(0)
	s_lshr_b32 s3, s3, 16
	s_mul_i32 s2, s2, s3
	v_add_u32_e32 v6, s2, v1
	v_cmp_gt_i32_e32 vcc, s4, v6
	s_and_saveexec_b64 s[2:3], vcc
	s_cbranch_execz .LBB51_8
; %bb.1:
	s_load_dwordx2 s[14:15], s[0:1], 0x8
	s_load_dwordx4 s[4:7], s[0:1], 0x50
	s_waitcnt lgkmcnt(0)
	v_cmp_eq_f64_e64 s[2:3], s[14:15], 0
	v_cmp_eq_f64_e64 s[8:9], s[6:7], 1.0
	s_and_b64 s[2:3], s[2:3], s[8:9]
	s_and_b64 vcc, exec, s[2:3]
	s_cbranch_vccnz .LBB51_8
; %bb.2:
	s_load_dwordx2 s[2:3], s[0:1], 0x80
	s_load_dword s33, s[0:1], 0x78
	s_load_dwordx2 s[12:13], s[0:1], 0x0
	s_load_dwordx4 s[8:11], s[0:1], 0x68
	v_and_b32_e32 v72, 0x3ff, v0
	s_waitcnt lgkmcnt(0)
	v_mad_u64_u32 v[2:3], s[16:17], v6, s2, 0
	v_mov_b32_e32 v4, v3
	v_mad_u64_u32 v[4:5], s[2:3], v6, s3, v[4:5]
	s_lshl_b64 s[2:3], s[10:11], 3
	s_add_u32 s2, s2, s8
	v_mov_b32_e32 v3, v4
	s_addc_u32 s3, s3, s9
	v_lshl_add_u64 v[2:3], v[2:3], 3, s[2:3]
	v_cmp_neq_f64_e64 s[2:3], s[14:15], 0
	s_and_b64 vcc, exec, s[2:3]
	v_cmp_gt_i32_e64 s[2:3], s12, v72
	s_cbranch_vccnz .LBB51_7
; %bb.3:
	v_cmp_eq_f64_e64 s[8:9], s[6:7], 0
	s_and_b64 vcc, exec, s[8:9]
	s_cbranch_vccz .LBB51_9
; %bb.4:
	s_and_saveexec_b64 s[8:9], s[2:3]
	s_cbranch_execz .LBB51_6
; %bb.5:
	v_mad_i64_i32 v[4:5], s[10:11], s33, v72, 0
	v_mov_b32_e32 v8, 0
	v_lshl_add_u64 v[4:5], v[4:5], 3, v[2:3]
	v_mov_b32_e32 v9, v8
	global_store_dwordx2 v[4:5], v[8:9], off
.LBB51_6:
	s_or_b64 exec, exec, s[8:9]
	s_cbranch_execz .LBB51_10
	s_branch .LBB51_13
.LBB51_7:
	s_branch .LBB51_14
.LBB51_8:
	s_endpgm
.LBB51_9:
.LBB51_10:
	s_and_saveexec_b64 s[8:9], s[2:3]
	s_cbranch_execz .LBB51_12
; %bb.11:
	v_mad_i64_i32 v[4:5], s[2:3], s33, v72, 0
	v_lshl_add_u64 v[4:5], v[4:5], 3, v[2:3]
	global_load_dwordx2 v[8:9], v[4:5], off
	s_waitcnt vmcnt(0)
	v_mul_f64 v[8:9], v[8:9], s[6:7]
	global_store_dwordx2 v[4:5], v[8:9], off
.LBB51_12:
	s_or_b64 exec, exec, s[8:9]
.LBB51_13:
	s_cbranch_execnz .LBB51_8
.LBB51_14:
	s_load_dwordx4 s[8:11], s[0:1], 0x30
	s_load_dwordx2 s[16:17], s[0:1], 0x40
	v_lshlrev_b32_e32 v73, 8, v1
	v_cmp_gt_i32_e32 vcc, s13, v72
	s_and_saveexec_b64 s[2:3], vcc
	s_cbranch_execz .LBB51_16
; %bb.15:
	v_mad_u64_u32 v[0:1], s[18:19], v6, s4, 0
	v_mov_b32_e32 v4, v1
	v_mad_u64_u32 v[4:5], s[4:5], v6, s5, v[4:5]
	s_waitcnt lgkmcnt(0)
	s_lshl_b64 s[4:5], s[16:17], 3
	s_load_dword s16, s[0:1], 0x48
	s_add_u32 s4, s4, s10
	v_mov_b32_e32 v1, v4
	s_addc_u32 s5, s5, s11
	v_lshl_add_u64 v[0:1], v[0:1], 3, s[4:5]
	s_waitcnt lgkmcnt(0)
	v_mad_i64_i32 v[4:5], s[4:5], s16, v72, 0
	v_lshl_add_u64 v[0:1], v[4:5], 3, v[0:1]
	global_load_dwordx2 v[0:1], v[0:1], off
	v_lshl_add_u32 v4, v72, 3, v73
	s_waitcnt vmcnt(0)
	v_mul_f64 v[0:1], v[0:1], s[14:15]
	ds_write_b64 v4, v[0:1]
.LBB51_16:
	s_or_b64 exec, exec, s[2:3]
	v_cmp_gt_i32_e32 vcc, s12, v72
	s_waitcnt lgkmcnt(0)
	s_barrier
	s_and_b64 exec, exec, vcc
	s_cbranch_execz .LBB51_8
; %bb.17:
	v_mov_b64_e32 v[4:5], 0
	v_cmp_eq_f64_e64 s[2:3], s[6:7], 0
	v_mov_b32_e32 v7, 0
	s_and_b64 vcc, exec, s[2:3]
	v_mov_b64_e32 v[0:1], v[4:5]
	s_cbranch_vccnz .LBB51_19
; %bb.18:
	v_mad_i64_i32 v[0:1], s[2:3], s33, v72, 0
	v_lshl_add_u64 v[0:1], v[0:1], 3, v[2:3]
	global_load_dwordx2 v[0:1], v[0:1], off
	s_waitcnt vmcnt(0)
	v_mul_f64 v[0:1], v[0:1], s[6:7]
.LBB51_19:
	s_load_dwordx4 s[4:7], s[0:1], 0x18
	v_mad_u64_u32 v[8:9], s[2:3], v6, s8, 0
	v_mov_b32_e32 v10, v9
	v_mad_u64_u32 v[10:11], s[2:3], v6, s9, v[10:11]
	s_waitcnt lgkmcnt(0)
	s_lshl_b64 s[2:3], s[6:7], 3
	s_add_u32 s2, s2, s4
	v_mov_b32_e32 v9, v10
	s_addc_u32 s3, s3, s5
	v_lshl_add_u64 v[8:9], v[8:9], 3, s[2:3]
	v_lshlrev_b32_e32 v6, 3, v72
	s_cmp_gt_i32 s13, 0
	v_lshl_add_u64 v[40:41], v[8:9], 0, v[6:7]
	s_cselect_b64 s[2:3], -1, 0
	s_cmp_lt_i32 s13, 1
	v_mov_b64_e32 v[20:21], v[4:5]
	s_cbranch_scc1 .LBB51_21
; %bb.20:
	global_load_dwordx2 v[20:21], v[40:41], off
.LBB51_21:
	s_load_dword s48, s[0:1], 0x28
	s_waitcnt lgkmcnt(0)
	s_ashr_i32 s49, s48, 31
	s_cmp_gt_i32 s13, 1
	s_cselect_b64 s[0:1], -1, 0
	s_cmp_lt_i32 s13, 2
	s_cbranch_scc1 .LBB51_23
; %bb.22:
	v_lshl_add_u64 v[4:5], s[48:49], 3, v[40:41]
	global_load_dwordx2 v[4:5], v[4:5], off
.LBB51_23:
	s_cmp_gt_i32 s13, 2
	v_mov_b64_e32 v[6:7], 0
	s_cselect_b64 s[4:5], -1, 0
	s_cmp_lt_i32 s13, 3
	v_mov_b64_e32 v[26:27], v[6:7]
	s_cbranch_scc1 .LBB51_25
; %bb.24:
	v_lshl_add_u64 v[8:9], s[48:49], 4, v[40:41]
	global_load_dwordx2 v[26:27], v[8:9], off
.LBB51_25:
	s_cmp_gt_i32 s13, 3
	s_cselect_b64 s[6:7], -1, 0
	s_cmp_lt_i32 s13, 4
	s_cbranch_scc1 .LBB51_27
; %bb.26:
	v_mad_i64_i32 v[6:7], s[8:9], s48, 24, v[40:41]
	global_load_dwordx2 v[6:7], v[6:7], off
.LBB51_27:
	s_cmp_gt_i32 s13, 4
	v_mov_b64_e32 v[8:9], 0
	s_cselect_b64 s[8:9], -1, 0
	s_cmp_lt_i32 s13, 5
	v_mov_b64_e32 v[28:29], v[8:9]
	s_cbranch_scc1 .LBB51_29
; %bb.28:
	s_lshl_b64 s[10:11], s[48:49], 5
	v_lshl_add_u64 v[10:11], v[40:41], 0, s[10:11]
	global_load_dwordx2 v[28:29], v[10:11], off
.LBB51_29:
	s_cmp_gt_i32 s13, 5
	s_cselect_b64 s[10:11], -1, 0
	s_cmp_lt_i32 s13, 6
	s_cbranch_scc1 .LBB51_31
; %bb.30:
	v_mad_i64_i32 v[8:9], s[14:15], s48, 40, v[40:41]
	global_load_dwordx2 v[8:9], v[8:9], off
.LBB51_31:
	s_cmp_gt_i32 s13, 6
	v_mov_b64_e32 v[10:11], 0
	s_cselect_b64 s[14:15], -1, 0
	s_cmp_lt_i32 s13, 7
	v_mov_b64_e32 v[30:31], v[10:11]
	s_cbranch_scc1 .LBB51_33
; %bb.32:
	v_mad_i64_i32 v[12:13], s[16:17], s48, 48, v[40:41]
	global_load_dwordx2 v[30:31], v[12:13], off
.LBB51_33:
	s_cmp_gt_i32 s13, 7
	s_cselect_b64 s[16:17], -1, 0
	s_cmp_lt_i32 s13, 8
	s_cbranch_scc1 .LBB51_35
; %bb.34:
	v_mad_i64_i32 v[10:11], s[18:19], s48, 56, v[40:41]
	global_load_dwordx2 v[10:11], v[10:11], off
.LBB51_35:
	s_cmp_gt_i32 s13, 8
	v_mov_b64_e32 v[12:13], 0
	s_cselect_b64 s[18:19], -1, 0
	s_cmp_lt_i32 s13, 9
	v_mov_b64_e32 v[34:35], v[12:13]
	s_cbranch_scc1 .LBB51_37
; %bb.36:
	s_lshl_b64 s[20:21], s[48:49], 6
	v_lshl_add_u64 v[14:15], v[40:41], 0, s[20:21]
	global_load_dwordx2 v[34:35], v[14:15], off
.LBB51_37:
	s_cmp_gt_i32 s13, 9
	s_cselect_b64 s[20:21], -1, 0
	s_cmp_lt_i32 s13, 10
	s_cbranch_scc1 .LBB51_39
; %bb.38:
	v_mov_b32_e32 v12, 0x48
	v_mad_i64_i32 v[12:13], s[22:23], s48, v12, v[40:41]
	global_load_dwordx2 v[12:13], v[12:13], off
.LBB51_39:
	s_cmp_gt_i32 s13, 10
	v_mov_b64_e32 v[14:15], 0
	s_cselect_b64 s[22:23], -1, 0
	s_cmp_lt_i32 s13, 11
	v_mov_b64_e32 v[38:39], v[14:15]
	s_cbranch_scc1 .LBB51_41
; %bb.40:
	v_mov_b32_e32 v16, 0x50
	v_mad_i64_i32 v[16:17], s[24:25], s48, v16, v[40:41]
	global_load_dwordx2 v[38:39], v[16:17], off
.LBB51_41:
	s_cmp_gt_i32 s13, 11
	s_cselect_b64 s[24:25], -1, 0
	s_cmp_lt_i32 s13, 12
	s_cbranch_scc1 .LBB51_43
; %bb.42:
	v_mov_b32_e32 v14, 0x58
	v_mad_i64_i32 v[14:15], s[26:27], s48, v14, v[40:41]
	global_load_dwordx2 v[14:15], v[14:15], off
.LBB51_43:
	s_cmp_gt_i32 s13, 12
	v_mov_b64_e32 v[16:17], 0
	s_cselect_b64 s[26:27], -1, 0
	s_cmp_lt_i32 s13, 13
	v_mov_b64_e32 v[44:45], v[16:17]
	s_cbranch_scc1 .LBB51_45
; %bb.44:
	v_mov_b32_e32 v18, 0x60
	v_mad_i64_i32 v[18:19], s[28:29], s48, v18, v[40:41]
	global_load_dwordx2 v[44:45], v[18:19], off
.LBB51_45:
	;; [unrolled: 20-line block ×3, first 2 shown]
	s_cmp_gt_i32 s13, 15
	s_cselect_b64 s[34:35], -1, 0
	s_cmp_lt_i32 s13, 16
	s_cbranch_scc1 .LBB51_51
; %bb.50:
	v_mov_b32_e32 v18, 0x78
	v_mad_i64_i32 v[18:19], s[36:37], s48, v18, v[40:41]
	global_load_dwordx2 v[18:19], v[18:19], off
.LBB51_51:
	s_cmp_gt_i32 s13, 16
	v_mov_b64_e32 v[22:23], 0
	s_cselect_b64 s[36:37], -1, 0
	s_cmp_lt_i32 s13, 17
	v_mov_b64_e32 v[52:53], v[22:23]
	s_cbranch_scc1 .LBB51_53
; %bb.52:
	s_lshl_b64 s[38:39], s[48:49], 7
	v_lshl_add_u64 v[24:25], v[40:41], 0, s[38:39]
	global_load_dwordx2 v[52:53], v[24:25], off
.LBB51_53:
	s_cmp_gt_i32 s13, 17
	s_cselect_b64 s[38:39], -1, 0
	s_cmp_lt_i32 s13, 18
	s_cbranch_scc1 .LBB51_55
; %bb.54:
	v_mov_b32_e32 v22, 0x88
	v_mad_i64_i32 v[22:23], s[40:41], s48, v22, v[40:41]
	global_load_dwordx2 v[22:23], v[22:23], off
.LBB51_55:
	s_cmp_gt_i32 s13, 18
	v_mov_b64_e32 v[24:25], 0
	s_cselect_b64 s[40:41], -1, 0
	s_cmp_lt_i32 s13, 19
	v_mov_b64_e32 v[56:57], v[24:25]
	s_cbranch_scc1 .LBB51_57
; %bb.56:
	v_mov_b32_e32 v32, 0x90
	v_mad_i64_i32 v[32:33], s[42:43], s48, v32, v[40:41]
	global_load_dwordx2 v[56:57], v[32:33], off
.LBB51_57:
	s_cmp_gt_i32 s13, 19
	s_cselect_b64 s[42:43], -1, 0
	s_cmp_lt_i32 s13, 20
	s_cbranch_scc1 .LBB51_59
; %bb.58:
	v_mov_b32_e32 v24, 0x98
	v_mad_i64_i32 v[24:25], s[44:45], s48, v24, v[40:41]
	global_load_dwordx2 v[24:25], v[24:25], off
.LBB51_59:
	s_cmp_gt_i32 s13, 20
	v_mov_b64_e32 v[32:33], 0
	s_cselect_b64 s[44:45], -1, 0
	s_cmp_lt_i32 s13, 21
	v_mov_b64_e32 v[58:59], v[32:33]
	s_cbranch_scc1 .LBB51_61
; %bb.60:
	v_mov_b32_e32 v36, 0xa0
	v_mad_i64_i32 v[36:37], s[46:47], s48, v36, v[40:41]
	global_load_dwordx2 v[58:59], v[36:37], off
.LBB51_61:
	;; [unrolled: 20-line block ×6, first 2 shown]
	s_cmp_gt_i32 s13, 29
	s_cselect_b64 s[64:65], -1, 0
	s_cmp_lt_i32 s13, 30
	s_cbranch_scc1 .LBB51_79
; %bb.78:
	v_mov_b32_e32 v50, 0xe8
	v_mad_i64_i32 v[50:51], s[66:67], s48, v50, v[40:41]
	global_load_dwordx2 v[50:51], v[50:51], off
.LBB51_79:
	s_cmp_gt_i32 s13, 30
	v_mov_b64_e32 v[54:55], 0
	s_cselect_b64 s[66:67], -1, 0
	s_cmp_lt_i32 s13, 31
	v_mov_b64_e32 v[68:69], v[54:55]
	s_cbranch_scc0 .LBB51_116
; %bb.80:
	s_cmp_gt_i32 s13, 31
	s_cselect_b64 s[68:69], -1, 0
	s_cmp_lt_i32 s13, 32
	s_cbranch_scc0 .LBB51_117
.LBB51_81:
	v_mov_b64_e32 v[40:41], 0
	s_andn2_b64 vcc, exec, s[2:3]
	v_mov_b64_e32 v[70:71], v[40:41]
	s_cbranch_vccnz .LBB51_83
.LBB51_82:
	ds_read_b64 v[70:71], v73
	s_waitcnt vmcnt(0) lgkmcnt(0)
	v_mul_f64 v[70:71], v[20:21], v[70:71]
.LBB51_83:
	s_andn2_b64 vcc, exec, s[0:1]
	s_cbranch_vccz .LBB51_118
; %bb.84:
	s_waitcnt vmcnt(0)
	v_mov_b64_e32 v[4:5], 0
	s_andn2_b64 vcc, exec, s[4:5]
	v_mov_b64_e32 v[20:21], v[4:5]
	s_cbranch_vccz .LBB51_119
.LBB51_85:
	s_andn2_b64 vcc, exec, s[6:7]
	s_cbranch_vccz .LBB51_120
.LBB51_86:
	v_mov_b64_e32 v[6:7], 0
	s_andn2_b64 vcc, exec, s[8:9]
	v_mov_b64_e32 v[26:27], v[6:7]
	s_cbranch_vccz .LBB51_121
.LBB51_87:
	s_andn2_b64 vcc, exec, s[10:11]
	s_cbranch_vccz .LBB51_122
.LBB51_88:
	v_mov_b64_e32 v[8:9], 0
	s_andn2_b64 vcc, exec, s[14:15]
	v_mov_b64_e32 v[28:29], v[8:9]
	s_cbranch_vccz .LBB51_123
.LBB51_89:
	s_andn2_b64 vcc, exec, s[16:17]
	s_cbranch_vccz .LBB51_124
.LBB51_90:
	v_mov_b64_e32 v[10:11], 0
	s_andn2_b64 vcc, exec, s[18:19]
	v_mov_b64_e32 v[30:31], v[10:11]
	s_cbranch_vccz .LBB51_125
.LBB51_91:
	s_andn2_b64 vcc, exec, s[20:21]
	s_cbranch_vccz .LBB51_126
.LBB51_92:
	v_mov_b64_e32 v[12:13], 0
	s_andn2_b64 vcc, exec, s[22:23]
	v_mov_b64_e32 v[34:35], v[12:13]
	s_cbranch_vccz .LBB51_127
.LBB51_93:
	s_andn2_b64 vcc, exec, s[24:25]
	s_cbranch_vccz .LBB51_128
.LBB51_94:
	v_mov_b64_e32 v[14:15], 0
	s_andn2_b64 vcc, exec, s[26:27]
	v_mov_b64_e32 v[38:39], v[14:15]
	s_cbranch_vccz .LBB51_129
.LBB51_95:
	s_andn2_b64 vcc, exec, s[28:29]
	s_cbranch_vccz .LBB51_130
.LBB51_96:
	v_mov_b64_e32 v[16:17], 0
	s_andn2_b64 vcc, exec, s[30:31]
	v_mov_b64_e32 v[44:45], v[16:17]
	s_cbranch_vccz .LBB51_131
.LBB51_97:
	s_andn2_b64 vcc, exec, s[34:35]
	s_cbranch_vccz .LBB51_132
.LBB51_98:
	v_mov_b64_e32 v[18:19], 0
	s_andn2_b64 vcc, exec, s[36:37]
	v_mov_b64_e32 v[48:49], v[18:19]
	s_cbranch_vccz .LBB51_133
.LBB51_99:
	s_andn2_b64 vcc, exec, s[38:39]
	s_cbranch_vccz .LBB51_134
.LBB51_100:
	v_mov_b64_e32 v[22:23], 0
	s_andn2_b64 vcc, exec, s[40:41]
	v_mov_b64_e32 v[52:53], v[22:23]
	s_cbranch_vccz .LBB51_135
.LBB51_101:
	s_andn2_b64 vcc, exec, s[42:43]
	s_cbranch_vccz .LBB51_136
.LBB51_102:
	v_mov_b64_e32 v[24:25], 0
	s_andn2_b64 vcc, exec, s[44:45]
	v_mov_b64_e32 v[56:57], v[24:25]
	s_cbranch_vccz .LBB51_137
.LBB51_103:
	s_andn2_b64 vcc, exec, s[46:47]
	s_cbranch_vccz .LBB51_138
.LBB51_104:
	v_mov_b64_e32 v[32:33], 0
	s_andn2_b64 vcc, exec, s[50:51]
	v_mov_b64_e32 v[58:59], v[32:33]
	s_cbranch_vccz .LBB51_139
.LBB51_105:
	s_andn2_b64 vcc, exec, s[52:53]
	s_cbranch_vccz .LBB51_140
.LBB51_106:
	v_mov_b64_e32 v[36:37], 0
	s_andn2_b64 vcc, exec, s[54:55]
	v_mov_b64_e32 v[60:61], v[36:37]
	s_cbranch_vccz .LBB51_141
.LBB51_107:
	s_andn2_b64 vcc, exec, s[56:57]
	s_cbranch_vccz .LBB51_142
.LBB51_108:
	v_mov_b64_e32 v[42:43], 0
	s_andn2_b64 vcc, exec, s[58:59]
	v_mov_b64_e32 v[62:63], v[42:43]
	s_cbranch_vccz .LBB51_143
.LBB51_109:
	s_andn2_b64 vcc, exec, s[60:61]
	s_cbranch_vccz .LBB51_144
.LBB51_110:
	v_mov_b64_e32 v[46:47], 0
	s_andn2_b64 vcc, exec, s[62:63]
	v_mov_b64_e32 v[64:65], v[46:47]
	s_cbranch_vccz .LBB51_145
.LBB51_111:
	s_andn2_b64 vcc, exec, s[64:65]
	s_cbranch_vccz .LBB51_146
.LBB51_112:
	v_mov_b64_e32 v[50:51], 0
	s_andn2_b64 vcc, exec, s[66:67]
	v_mov_b64_e32 v[66:67], v[50:51]
	s_cbranch_vccz .LBB51_147
.LBB51_113:
	s_andn2_b64 vcc, exec, s[68:69]
	s_cbranch_vccnz .LBB51_115
.LBB51_114:
	ds_read_b64 v[50:51], v73 offset:248
	s_waitcnt lgkmcnt(0)
	v_mul_f64 v[50:51], v[54:55], v[50:51]
.LBB51_115:
	v_add_f64 v[0:1], v[0:1], v[70:71]
	v_add_f64 v[0:1], v[0:1], v[40:41]
	;; [unrolled: 1-line block ×31, first 2 shown]
	v_mad_i64_i32 v[4:5], s[0:1], s33, v72, 0
	v_add_f64 v[0:1], v[0:1], v[50:51]
	v_lshl_add_u64 v[2:3], v[4:5], 3, v[2:3]
	global_store_dwordx2 v[2:3], v[0:1], off
	s_endpgm
.LBB51_116:
	v_mov_b32_e32 v68, 0xf0
	v_mad_i64_i32 v[68:69], s[68:69], s48, v68, v[40:41]
	global_load_dwordx2 v[68:69], v[68:69], off
	s_cmp_gt_i32 s13, 31
	s_cselect_b64 s[68:69], -1, 0
	s_cmp_lt_i32 s13, 32
	s_cbranch_scc1 .LBB51_81
.LBB51_117:
	v_mov_b32_e32 v54, 0xf8
	v_mad_i64_i32 v[40:41], s[12:13], s48, v54, v[40:41]
	global_load_dwordx2 v[54:55], v[40:41], off
	v_mov_b64_e32 v[40:41], 0
	s_andn2_b64 vcc, exec, s[2:3]
	v_mov_b64_e32 v[70:71], v[40:41]
	s_cbranch_vccz .LBB51_82
	s_branch .LBB51_83
.LBB51_118:
	s_waitcnt vmcnt(0)
	ds_read_b64 v[20:21], v73 offset:8
	s_waitcnt lgkmcnt(0)
	v_mul_f64 v[40:41], v[4:5], v[20:21]
	v_mov_b64_e32 v[4:5], 0
	s_andn2_b64 vcc, exec, s[4:5]
	v_mov_b64_e32 v[20:21], v[4:5]
	s_cbranch_vccnz .LBB51_85
.LBB51_119:
	ds_read_b64 v[20:21], v73 offset:16
	s_waitcnt lgkmcnt(0)
	v_mul_f64 v[20:21], v[26:27], v[20:21]
	s_andn2_b64 vcc, exec, s[6:7]
	s_cbranch_vccnz .LBB51_86
.LBB51_120:
	ds_read_b64 v[4:5], v73 offset:24
	s_waitcnt lgkmcnt(0)
	v_mul_f64 v[4:5], v[6:7], v[4:5]
	v_mov_b64_e32 v[6:7], 0
	s_andn2_b64 vcc, exec, s[8:9]
	v_mov_b64_e32 v[26:27], v[6:7]
	s_cbranch_vccnz .LBB51_87
.LBB51_121:
	ds_read_b64 v[26:27], v73 offset:32
	s_waitcnt lgkmcnt(0)
	v_mul_f64 v[26:27], v[28:29], v[26:27]
	s_andn2_b64 vcc, exec, s[10:11]
	s_cbranch_vccnz .LBB51_88
.LBB51_122:
	ds_read_b64 v[6:7], v73 offset:40
	s_waitcnt lgkmcnt(0)
	v_mul_f64 v[6:7], v[8:9], v[6:7]
	v_mov_b64_e32 v[8:9], 0
	s_andn2_b64 vcc, exec, s[14:15]
	v_mov_b64_e32 v[28:29], v[8:9]
	s_cbranch_vccnz .LBB51_89
.LBB51_123:
	ds_read_b64 v[28:29], v73 offset:48
	s_waitcnt lgkmcnt(0)
	v_mul_f64 v[28:29], v[30:31], v[28:29]
	s_andn2_b64 vcc, exec, s[16:17]
	s_cbranch_vccnz .LBB51_90
.LBB51_124:
	ds_read_b64 v[8:9], v73 offset:56
	s_waitcnt lgkmcnt(0)
	v_mul_f64 v[8:9], v[10:11], v[8:9]
	v_mov_b64_e32 v[10:11], 0
	s_andn2_b64 vcc, exec, s[18:19]
	v_mov_b64_e32 v[30:31], v[10:11]
	s_cbranch_vccnz .LBB51_91
.LBB51_125:
	ds_read_b64 v[30:31], v73 offset:64
	s_waitcnt lgkmcnt(0)
	v_mul_f64 v[30:31], v[34:35], v[30:31]
	s_andn2_b64 vcc, exec, s[20:21]
	s_cbranch_vccnz .LBB51_92
.LBB51_126:
	ds_read_b64 v[10:11], v73 offset:72
	s_waitcnt lgkmcnt(0)
	v_mul_f64 v[10:11], v[12:13], v[10:11]
	v_mov_b64_e32 v[12:13], 0
	s_andn2_b64 vcc, exec, s[22:23]
	v_mov_b64_e32 v[34:35], v[12:13]
	s_cbranch_vccnz .LBB51_93
.LBB51_127:
	ds_read_b64 v[34:35], v73 offset:80
	s_waitcnt lgkmcnt(0)
	v_mul_f64 v[34:35], v[38:39], v[34:35]
	s_andn2_b64 vcc, exec, s[24:25]
	s_cbranch_vccnz .LBB51_94
.LBB51_128:
	ds_read_b64 v[12:13], v73 offset:88
	s_waitcnt lgkmcnt(0)
	v_mul_f64 v[12:13], v[14:15], v[12:13]
	v_mov_b64_e32 v[14:15], 0
	s_andn2_b64 vcc, exec, s[26:27]
	v_mov_b64_e32 v[38:39], v[14:15]
	s_cbranch_vccnz .LBB51_95
.LBB51_129:
	ds_read_b64 v[38:39], v73 offset:96
	s_waitcnt lgkmcnt(0)
	v_mul_f64 v[38:39], v[44:45], v[38:39]
	s_andn2_b64 vcc, exec, s[28:29]
	s_cbranch_vccnz .LBB51_96
.LBB51_130:
	ds_read_b64 v[14:15], v73 offset:104
	s_waitcnt lgkmcnt(0)
	v_mul_f64 v[14:15], v[16:17], v[14:15]
	v_mov_b64_e32 v[16:17], 0
	s_andn2_b64 vcc, exec, s[30:31]
	v_mov_b64_e32 v[44:45], v[16:17]
	s_cbranch_vccnz .LBB51_97
.LBB51_131:
	ds_read_b64 v[44:45], v73 offset:112
	s_waitcnt lgkmcnt(0)
	v_mul_f64 v[44:45], v[48:49], v[44:45]
	s_andn2_b64 vcc, exec, s[34:35]
	s_cbranch_vccnz .LBB51_98
.LBB51_132:
	ds_read_b64 v[16:17], v73 offset:120
	s_waitcnt lgkmcnt(0)
	v_mul_f64 v[16:17], v[18:19], v[16:17]
	v_mov_b64_e32 v[18:19], 0
	s_andn2_b64 vcc, exec, s[36:37]
	v_mov_b64_e32 v[48:49], v[18:19]
	s_cbranch_vccnz .LBB51_99
.LBB51_133:
	ds_read_b64 v[48:49], v73 offset:128
	s_waitcnt lgkmcnt(0)
	v_mul_f64 v[48:49], v[52:53], v[48:49]
	s_andn2_b64 vcc, exec, s[38:39]
	s_cbranch_vccnz .LBB51_100
.LBB51_134:
	ds_read_b64 v[18:19], v73 offset:136
	s_waitcnt lgkmcnt(0)
	v_mul_f64 v[18:19], v[22:23], v[18:19]
	v_mov_b64_e32 v[22:23], 0
	s_andn2_b64 vcc, exec, s[40:41]
	v_mov_b64_e32 v[52:53], v[22:23]
	s_cbranch_vccnz .LBB51_101
.LBB51_135:
	ds_read_b64 v[52:53], v73 offset:144
	s_waitcnt lgkmcnt(0)
	v_mul_f64 v[52:53], v[56:57], v[52:53]
	s_andn2_b64 vcc, exec, s[42:43]
	s_cbranch_vccnz .LBB51_102
.LBB51_136:
	ds_read_b64 v[22:23], v73 offset:152
	s_waitcnt lgkmcnt(0)
	v_mul_f64 v[22:23], v[24:25], v[22:23]
	v_mov_b64_e32 v[24:25], 0
	s_andn2_b64 vcc, exec, s[44:45]
	v_mov_b64_e32 v[56:57], v[24:25]
	s_cbranch_vccnz .LBB51_103
.LBB51_137:
	ds_read_b64 v[56:57], v73 offset:160
	s_waitcnt lgkmcnt(0)
	v_mul_f64 v[56:57], v[58:59], v[56:57]
	s_andn2_b64 vcc, exec, s[46:47]
	s_cbranch_vccnz .LBB51_104
.LBB51_138:
	ds_read_b64 v[24:25], v73 offset:168
	s_waitcnt lgkmcnt(0)
	v_mul_f64 v[24:25], v[32:33], v[24:25]
	v_mov_b64_e32 v[32:33], 0
	s_andn2_b64 vcc, exec, s[50:51]
	v_mov_b64_e32 v[58:59], v[32:33]
	s_cbranch_vccnz .LBB51_105
.LBB51_139:
	ds_read_b64 v[58:59], v73 offset:176
	s_waitcnt lgkmcnt(0)
	v_mul_f64 v[58:59], v[60:61], v[58:59]
	s_andn2_b64 vcc, exec, s[52:53]
	s_cbranch_vccnz .LBB51_106
.LBB51_140:
	ds_read_b64 v[32:33], v73 offset:184
	s_waitcnt lgkmcnt(0)
	v_mul_f64 v[32:33], v[36:37], v[32:33]
	v_mov_b64_e32 v[36:37], 0
	s_andn2_b64 vcc, exec, s[54:55]
	v_mov_b64_e32 v[60:61], v[36:37]
	s_cbranch_vccnz .LBB51_107
.LBB51_141:
	ds_read_b64 v[60:61], v73 offset:192
	s_waitcnt lgkmcnt(0)
	v_mul_f64 v[60:61], v[62:63], v[60:61]
	s_andn2_b64 vcc, exec, s[56:57]
	s_cbranch_vccnz .LBB51_108
.LBB51_142:
	ds_read_b64 v[36:37], v73 offset:200
	s_waitcnt lgkmcnt(0)
	v_mul_f64 v[36:37], v[42:43], v[36:37]
	v_mov_b64_e32 v[42:43], 0
	s_andn2_b64 vcc, exec, s[58:59]
	v_mov_b64_e32 v[62:63], v[42:43]
	s_cbranch_vccnz .LBB51_109
.LBB51_143:
	ds_read_b64 v[62:63], v73 offset:208
	s_waitcnt lgkmcnt(0)
	v_mul_f64 v[62:63], v[64:65], v[62:63]
	s_andn2_b64 vcc, exec, s[60:61]
	s_cbranch_vccnz .LBB51_110
.LBB51_144:
	ds_read_b64 v[42:43], v73 offset:216
	s_waitcnt lgkmcnt(0)
	v_mul_f64 v[42:43], v[46:47], v[42:43]
	v_mov_b64_e32 v[46:47], 0
	s_andn2_b64 vcc, exec, s[62:63]
	v_mov_b64_e32 v[64:65], v[46:47]
	s_cbranch_vccnz .LBB51_111
.LBB51_145:
	ds_read_b64 v[64:65], v73 offset:224
	s_waitcnt lgkmcnt(0)
	v_mul_f64 v[64:65], v[66:67], v[64:65]
	s_andn2_b64 vcc, exec, s[64:65]
	s_cbranch_vccnz .LBB51_112
.LBB51_146:
	ds_read_b64 v[46:47], v73 offset:232
	s_waitcnt lgkmcnt(0)
	v_mul_f64 v[46:47], v[50:51], v[46:47]
	v_mov_b64_e32 v[50:51], 0
	s_andn2_b64 vcc, exec, s[66:67]
	v_mov_b64_e32 v[66:67], v[50:51]
	s_cbranch_vccnz .LBB51_113
.LBB51_147:
	ds_read_b64 v[66:67], v73 offset:240
	s_waitcnt lgkmcnt(0)
	v_mul_f64 v[66:67], v[68:69], v[66:67]
	s_andn2_b64 vcc, exec, s[68:69]
	s_cbranch_vccz .LBB51_114
	s_branch .LBB51_115
	.section	.rodata,"a",@progbits
	.p2align	6, 0x0
	.amdhsa_kernel _ZL34rocblas_gemvn_sm_mn_batched_kernelILi32ELi24EdddEviiT2_lPKT1_lilS3_lilS0_lPT3_lili
		.amdhsa_group_segment_fixed_size 6144
		.amdhsa_private_segment_fixed_size 0
		.amdhsa_kernarg_size 400
		.amdhsa_user_sgpr_count 2
		.amdhsa_user_sgpr_dispatch_ptr 0
		.amdhsa_user_sgpr_queue_ptr 0
		.amdhsa_user_sgpr_kernarg_segment_ptr 1
		.amdhsa_user_sgpr_dispatch_id 0
		.amdhsa_user_sgpr_kernarg_preload_length 0
		.amdhsa_user_sgpr_kernarg_preload_offset 0
		.amdhsa_user_sgpr_private_segment_size 0
		.amdhsa_uses_dynamic_stack 0
		.amdhsa_enable_private_segment 0
		.amdhsa_system_sgpr_workgroup_id_x 1
		.amdhsa_system_sgpr_workgroup_id_y 0
		.amdhsa_system_sgpr_workgroup_id_z 0
		.amdhsa_system_sgpr_workgroup_info 0
		.amdhsa_system_vgpr_workitem_id 1
		.amdhsa_next_free_vgpr 74
		.amdhsa_next_free_sgpr 70
		.amdhsa_accum_offset 76
		.amdhsa_reserve_vcc 1
		.amdhsa_float_round_mode_32 0
		.amdhsa_float_round_mode_16_64 0
		.amdhsa_float_denorm_mode_32 3
		.amdhsa_float_denorm_mode_16_64 3
		.amdhsa_dx10_clamp 1
		.amdhsa_ieee_mode 1
		.amdhsa_fp16_overflow 0
		.amdhsa_tg_split 0
		.amdhsa_exception_fp_ieee_invalid_op 0
		.amdhsa_exception_fp_denorm_src 0
		.amdhsa_exception_fp_ieee_div_zero 0
		.amdhsa_exception_fp_ieee_overflow 0
		.amdhsa_exception_fp_ieee_underflow 0
		.amdhsa_exception_fp_ieee_inexact 0
		.amdhsa_exception_int_div_zero 0
	.end_amdhsa_kernel
	.section	.text._ZL34rocblas_gemvn_sm_mn_batched_kernelILi32ELi24EdddEviiT2_lPKT1_lilS3_lilS0_lPT3_lili,"axG",@progbits,_ZL34rocblas_gemvn_sm_mn_batched_kernelILi32ELi24EdddEviiT2_lPKT1_lilS3_lilS0_lPT3_lili,comdat
.Lfunc_end51:
	.size	_ZL34rocblas_gemvn_sm_mn_batched_kernelILi32ELi24EdddEviiT2_lPKT1_lilS3_lilS0_lPT3_lili, .Lfunc_end51-_ZL34rocblas_gemvn_sm_mn_batched_kernelILi32ELi24EdddEviiT2_lPKT1_lilS3_lilS0_lPT3_lili
                                        ; -- End function
	.section	.AMDGPU.csdata,"",@progbits
; Kernel info:
; codeLenInByte = 3708
; NumSgprs: 76
; NumVgprs: 74
; NumAgprs: 0
; TotalNumVgprs: 74
; ScratchSize: 0
; MemoryBound: 0
; FloatMode: 240
; IeeeMode: 1
; LDSByteSize: 6144 bytes/workgroup (compile time only)
; SGPRBlocks: 9
; VGPRBlocks: 9
; NumSGPRsForWavesPerEU: 76
; NumVGPRsForWavesPerEU: 74
; AccumOffset: 76
; Occupancy: 6
; WaveLimiterHint : 1
; COMPUTE_PGM_RSRC2:SCRATCH_EN: 0
; COMPUTE_PGM_RSRC2:USER_SGPR: 2
; COMPUTE_PGM_RSRC2:TRAP_HANDLER: 0
; COMPUTE_PGM_RSRC2:TGID_X_EN: 1
; COMPUTE_PGM_RSRC2:TGID_Y_EN: 0
; COMPUTE_PGM_RSRC2:TGID_Z_EN: 0
; COMPUTE_PGM_RSRC2:TIDIG_COMP_CNT: 1
; COMPUTE_PGM_RSRC3_GFX90A:ACCUM_OFFSET: 18
; COMPUTE_PGM_RSRC3_GFX90A:TG_SPLIT: 0
	.section	.text._ZL20rocblas_gemvn_kernelILi64ELi4EidPKddEviiT3_lPKT2_lT1_lS5_lS6_lS2_lPT4_lS6_li,"axG",@progbits,_ZL20rocblas_gemvn_kernelILi64ELi4EidPKddEviiT3_lPKT2_lT1_lS5_lS6_lS2_lPT4_lS6_li,comdat
	.globl	_ZL20rocblas_gemvn_kernelILi64ELi4EidPKddEviiT3_lPKT2_lT1_lS5_lS6_lS2_lPT4_lS6_li ; -- Begin function _ZL20rocblas_gemvn_kernelILi64ELi4EidPKddEviiT3_lPKT2_lT1_lS5_lS6_lS2_lPT4_lS6_li
	.p2align	8
	.type	_ZL20rocblas_gemvn_kernelILi64ELi4EidPKddEviiT3_lPKT2_lT1_lS5_lS6_lS2_lPT4_lS6_li,@function
_ZL20rocblas_gemvn_kernelILi64ELi4EidPKddEviiT3_lPKT2_lT1_lS5_lS6_lS2_lPT4_lS6_li: ; @_ZL20rocblas_gemvn_kernelILi64ELi4EidPKddEviiT3_lPKT2_lT1_lS5_lS6_lS2_lPT4_lS6_li
; %bb.0:
	s_load_dwordx2 s[4:5], s[0:1], 0x9c
	s_waitcnt lgkmcnt(0)
	s_lshr_b32 s6, s4, 16
	s_and_b32 s4, s4, 0xffff
	s_and_b32 s5, s5, 0xffff
	s_mul_i32 s4, s6, s4
	s_mul_i32 s4, s4, s5
	s_cmpk_lg_i32 s4, 0x100
	s_cbranch_scc1 .LBB52_50
; %bb.1:
	s_load_dwordx8 s[12:19], s[0:1], 0x8
	s_load_dwordx8 s[4:11], s[0:1], 0x50
	s_waitcnt lgkmcnt(0)
	s_mul_i32 s15, s3, s15
	s_mul_hi_u32 s20, s3, s14
	s_mul_i32 s14, s3, s14
	s_add_i32 s15, s20, s15
	s_lshl_b64 s[14:15], s[14:15], 3
	s_add_u32 s12, s12, s14
	s_addc_u32 s13, s13, s15
	s_mul_i32 s9, s3, s9
	s_load_dwordx2 s[14:15], s[12:13], 0x0
	s_mul_hi_u32 s12, s3, s8
	s_add_i32 s9, s12, s9
	s_mul_i32 s8, s3, s8
	s_lshl_b64 s[8:9], s[8:9], 3
	s_add_u32 s6, s6, s8
	s_addc_u32 s7, s7, s9
	s_load_dwordx2 s[12:13], s[6:7], 0x0
	s_waitcnt lgkmcnt(0)
	v_cmp_eq_f64_e64 s[6:7], s[14:15], 0
	v_cmp_eq_f64_e64 s[8:9], s[12:13], 1.0
	s_and_b64 s[6:7], s[6:7], s[8:9]
	s_and_b64 vcc, exec, s[6:7]
	s_cbranch_vccnz .LBB52_50
; %bb.2:
	s_load_dwordx2 s[6:7], s[0:1], 0x80
	s_load_dword s33, s[0:1], 0x78
	s_load_dwordx2 s[8:9], s[0:1], 0x70
	s_load_dwordx2 s[20:21], s[0:1], 0x0
	v_and_b32_e32 v2, 0x3ff, v0
	s_waitcnt lgkmcnt(0)
	s_mul_i32 s7, s3, s7
	s_mul_hi_u32 s22, s3, s6
	s_add_i32 s7, s22, s7
	s_mul_i32 s6, s3, s6
	s_lshl_b64 s[6:7], s[6:7], 3
	s_add_u32 s10, s10, s6
	s_addc_u32 s11, s11, s7
	s_lshl_b64 s[6:7], s[8:9], 3
	s_add_u32 s8, s10, s6
	s_addc_u32 s9, s11, s7
	v_bfe_u32 v54, v0, 10, 10
	v_cmp_neq_f64_e64 s[6:7], s[14:15], 0
	v_lshl_add_u32 v3, v54, 6, v2
	s_mov_b64 s[10:11], 0
	s_and_b64 vcc, exec, s[6:7]
	s_cbranch_vccnz .LBB52_9
; %bb.3:
	s_movk_i32 s6, 0x100
	v_cmp_gt_u32_e32 vcc, s6, v3
	s_mov_b64 s[6:7], 0
                                        ; implicit-def: $vgpr0_vgpr1
                                        ; implicit-def: $vgpr4_vgpr5
	s_and_saveexec_b64 s[22:23], vcc
	s_cbranch_execz .LBB52_10
; %bb.4:
	v_lshl_or_b32 v6, s2, 8, v3
	v_mov_b32_e32 v7, 0
	s_ashr_i32 s11, s20, 31
	s_mov_b32 s10, s20
	v_cmp_gt_i64_e32 vcc, s[10:11], v[6:7]
	s_mov_b64 s[24:25], 0
                                        ; implicit-def: $vgpr0_vgpr1
                                        ; implicit-def: $vgpr4_vgpr5
	s_and_saveexec_b64 s[10:11], vcc
	s_cbranch_execz .LBB52_8
; %bb.5:
	v_mad_u64_u32 v[4:5], s[26:27], s33, v6, 0
	s_ashr_i32 s28, s33, 31
	v_mov_b32_e32 v8, v5
	v_cmp_eq_f64_e64 s[24:25], s[12:13], 0
	v_mad_u64_u32 v[6:7], s[26:27], s28, v6, v[8:9]
	v_mov_b64_e32 v[0:1], 0
	v_mov_b32_e32 v5, v6
	s_and_b64 vcc, exec, s[24:25]
	s_cbranch_vccnz .LBB52_7
; %bb.6:
	v_lshl_add_u64 v[0:1], v[4:5], 3, s[8:9]
	global_load_dwordx2 v[0:1], v[0:1], off
	s_waitcnt vmcnt(0)
	v_mul_f64 v[0:1], s[12:13], v[0:1]
.LBB52_7:
	s_mov_b64 s[24:25], exec
.LBB52_8:
	s_or_b64 exec, exec, s[10:11]
	s_and_b64 s[10:11], s[24:25], exec
	s_or_b64 exec, exec, s[22:23]
	s_and_b64 vcc, exec, s[6:7]
	s_cbranch_vccnz .LBB52_11
	s_branch .LBB52_48
.LBB52_9:
                                        ; implicit-def: $vgpr0_vgpr1
                                        ; implicit-def: $vgpr4_vgpr5
	s_cbranch_execnz .LBB52_11
	s_branch .LBB52_48
.LBB52_10:
	s_or_b64 exec, exec, s[22:23]
	s_and_b64 vcc, exec, s[6:7]
	s_cbranch_vccz .LBB52_48
.LBB52_11:
	s_load_dwordx4 s[24:27], s[0:1], 0x30
	s_load_dword s35, s[0:1], 0x28
	s_load_dwordx2 s[6:7], s[0:1], 0x40
	s_load_dword s36, s[0:1], 0x48
	v_lshlrev_b32_e32 v56, 2, v54
	s_waitcnt lgkmcnt(0)
	s_mul_i32 s0, s3, s25
	s_mul_hi_u32 s1, s3, s24
	s_add_i32 s1, s1, s0
	s_mul_i32 s0, s3, s24
	s_lshl_b64 s[0:1], s[0:1], 3
	s_add_u32 s16, s16, s0
	s_addc_u32 s17, s17, s1
	s_lshl_b64 s[0:1], s[18:19], 3
	s_add_u32 s16, s16, s0
	s_addc_u32 s17, s17, s1
	s_mul_i32 s0, s3, s5
	s_mul_hi_u32 s1, s3, s4
	s_add_i32 s1, s1, s0
	s_mul_i32 s0, s3, s4
	s_lshl_b64 s[0:1], s[0:1], 3
	s_add_u32 s3, s26, s0
	s_addc_u32 s4, s27, s1
	s_lshl_b64 s[0:1], s[6:7], 3
	s_add_u32 s18, s3, s0
	s_addc_u32 s19, s4, s1
	s_ashr_i32 s0, s21, 31
	s_lshr_b32 s0, s0, 28
	s_add_i32 s0, s21, s0
	s_lshl_b32 s34, s2, 8
	s_and_b32 s37, s0, -16
	v_mov_b64_e32 v[0:1], 0
	v_add_u32_e32 v55, s34, v2
	v_cmp_gt_i32_e32 vcc, s37, v56
	v_mov_b64_e32 v[4:5], v[0:1]
	v_mov_b64_e32 v[6:7], v[0:1]
	;; [unrolled: 1-line block ×3, first 2 shown]
	s_and_saveexec_b64 s[22:23], vcc
	s_cbranch_execz .LBB52_23
; %bb.12:
	v_add_u32_e32 v0, 64, v55
	v_cmp_gt_i32_e64 s[0:1], s20, v0
	v_add_u32_e32 v0, 0x80, v55
	v_cmp_gt_i32_e64 s[2:3], s20, v0
	;; [unrolled: 2-line block ×3, first 2 shown]
	v_mul_lo_u32 v0, s35, v56
	v_add3_u32 v57, v0, s35, v2
	v_add_u32_e32 v0, 2, v56
	v_mad_u64_u32 v[10:11], s[6:7], s35, v0, v[2:3]
	v_add_u32_e32 v1, 3, v56
	v_mul_lo_u32 v4, v54, s35
	v_mul_lo_u32 v58, s36, v0
	;; [unrolled: 1-line block ×3, first 2 shown]
	v_mad_u64_u32 v[12:13], s[6:7], s35, v1, v[2:3]
	v_lshl_add_u32 v11, v4, 2, v2
	v_mul_lo_u32 v4, s36, v56
	v_mul_lo_u32 v59, s36, v1
	v_lshlrev_b32_e32 v60, 2, v0
	v_mov_b64_e32 v[0:1], 0
	v_cmp_gt_i32_e32 vcc, s20, v55
	s_lshl_b32 s38, s35, 4
	v_add_u32_e32 v13, s36, v4
	s_lshl_b32 s39, s36, 4
	s_mov_b64 s[24:25], 0
	s_mov_b32 s40, 0
	v_mov_b64_e32 v[4:5], v[0:1]
	v_mov_b64_e32 v[6:7], v[0:1]
	;; [unrolled: 1-line block ×3, first 2 shown]
	s_branch .LBB52_17
.LBB52_13:                              ;   in Loop: Header=BB52_17 Depth=1
	s_or_b64 exec, exec, s[30:31]
	s_waitcnt vmcnt(3)
	v_fmac_f64_e32 v[6:7], v[20:21], v[52:53]
	s_waitcnt vmcnt(2)
	v_fmac_f64_e32 v[6:7], v[18:19], v[50:51]
	;; [unrolled: 2-line block ×4, first 2 shown]
.LBB52_14:                              ;   in Loop: Header=BB52_17 Depth=1
	s_or_b64 exec, exec, s[28:29]
	s_waitcnt vmcnt(3)
	v_fmac_f64_e32 v[4:5], v[20:21], v[40:41]
	s_waitcnt vmcnt(2)
	v_fmac_f64_e32 v[4:5], v[18:19], v[38:39]
	;; [unrolled: 2-line block ×4, first 2 shown]
.LBB52_15:                              ;   in Loop: Header=BB52_17 Depth=1
	s_or_b64 exec, exec, s[26:27]
	s_waitcnt vmcnt(3)
	v_fmac_f64_e32 v[0:1], v[20:21], v[28:29]
	s_waitcnt vmcnt(2)
	v_fmac_f64_e32 v[0:1], v[18:19], v[26:27]
	;; [unrolled: 2-line block ×4, first 2 shown]
.LBB52_16:                              ;   in Loop: Header=BB52_17 Depth=1
	s_or_b64 exec, exec, s[6:7]
	v_add_u32_e32 v56, 16, v56
	s_add_i32 s40, s40, s39
	v_cmp_le_i32_e64 s[6:7], s37, v56
	v_add_u32_e32 v57, s38, v57
	v_add_u32_e32 v10, s38, v10
	v_add_u32_e32 v12, s38, v12
	s_or_b64 s[24:25], s[6:7], s[24:25]
	v_add_u32_e32 v11, s38, v11
	s_andn2_b64 exec, exec, s[24:25]
	s_cbranch_execz .LBB52_22
.LBB52_17:                              ; =>This Inner Loop Header: Depth=1
	s_and_saveexec_b64 s[6:7], vcc
	s_cbranch_execz .LBB52_16
; %bb.18:                               ;   in Loop: Header=BB52_17 Depth=1
	v_add_u32_e32 v14, s40, v60
	v_ashrrev_i32_e32 v15, 31, v14
	v_lshl_add_u64 v[22:23], v[14:15], 3, s[18:19]
	v_add_u32_e32 v14, s40, v13
	v_ashrrev_i32_e32 v15, 31, v14
	v_lshl_add_u64 v[24:25], v[14:15], 3, s[18:19]
	;; [unrolled: 3-line block ×4, first 2 shown]
	global_load_dwordx2 v[20:21], v[22:23], off
	global_load_dwordx2 v[18:19], v[24:25], off
	global_load_dwordx2 v[16:17], v[26:27], off
	global_load_dwordx2 v[14:15], v[28:29], off
	v_add_u32_e32 v22, s34, v11
	v_ashrrev_i32_e32 v23, 31, v22
	v_lshl_add_u64 v[30:31], v[22:23], 3, s[16:17]
	v_add_u32_e32 v22, s34, v57
	v_ashrrev_i32_e32 v23, 31, v22
	v_lshl_add_u64 v[36:37], v[22:23], 3, s[16:17]
	;; [unrolled: 3-line block ×4, first 2 shown]
	global_load_dwordx2 v[28:29], v[30:31], off
	global_load_dwordx2 v[26:27], v[36:37], off
	;; [unrolled: 1-line block ×4, first 2 shown]
	s_and_saveexec_b64 s[26:27], s[0:1]
	s_cbranch_execz .LBB52_15
; %bb.19:                               ;   in Loop: Header=BB52_17 Depth=1
	global_load_dwordx2 v[40:41], v[30:31], off offset:512
	global_load_dwordx2 v[38:39], v[36:37], off offset:512
	global_load_dwordx2 v[34:35], v[42:43], off offset:512
	global_load_dwordx2 v[32:33], v[44:45], off offset:512
	s_and_saveexec_b64 s[28:29], s[2:3]
	s_cbranch_execz .LBB52_14
; %bb.20:                               ;   in Loop: Header=BB52_17 Depth=1
	global_load_dwordx2 v[52:53], v[30:31], off offset:1024
	global_load_dwordx2 v[50:51], v[36:37], off offset:1024
	global_load_dwordx2 v[48:49], v[42:43], off offset:1024
	global_load_dwordx2 v[46:47], v[44:45], off offset:1024
	;; [unrolled: 7-line block ×3, first 2 shown]
	s_waitcnt vmcnt(3)
	v_fmac_f64_e32 v[8:9], v[20:21], v[62:63]
	s_waitcnt vmcnt(2)
	v_fmac_f64_e32 v[8:9], v[18:19], v[64:65]
	;; [unrolled: 2-line block ×4, first 2 shown]
	s_branch .LBB52_13
.LBB52_22:
	s_or_b64 exec, exec, s[24:25]
.LBB52_23:
	s_or_b64 exec, exec, s[22:23]
	s_sub_i32 s0, s21, s37
	s_cmp_lt_i32 s0, 1
	s_cbranch_scc1 .LBB52_41
; %bb.24:
	v_mov_b64_e32 v[10:11], 0
	v_cmp_gt_i32_e32 vcc, s21, v56
	v_or_b32_e32 v20, 1, v56
	v_mov_b64_e32 v[16:17], v[10:11]
	v_mov_b64_e32 v[14:15], v[10:11]
	;; [unrolled: 1-line block ×3, first 2 shown]
	s_and_saveexec_b64 s[2:3], vcc
	s_cbranch_execz .LBB52_32
; %bb.25:
	v_mul_lo_u32 v10, v56, s36
	v_ashrrev_i32_e32 v11, 31, v10
	v_lshl_add_u64 v[10:11], v[10:11], 3, s[18:19]
	global_load_dwordx2 v[12:13], v[10:11], off
	v_mov_b64_e32 v[14:15], 0
	v_cmp_gt_i32_e64 s[0:1], s21, v20
	v_mov_b64_e32 v[16:17], v[14:15]
	v_mov_b64_e32 v[10:11], v[14:15]
	s_and_saveexec_b64 s[4:5], s[0:1]
	s_cbranch_execz .LBB52_31
; %bb.26:
	v_mul_lo_u32 v10, v20, s36
	v_ashrrev_i32_e32 v11, 31, v10
	v_lshl_add_u64 v[10:11], v[10:11], 3, s[18:19]
	global_load_dwordx2 v[14:15], v[10:11], off
	v_or_b32_e32 v18, 2, v56
	v_mov_b64_e32 v[16:17], 0
	v_cmp_gt_i32_e64 s[0:1], s21, v18
	v_mov_b64_e32 v[10:11], v[16:17]
	s_and_saveexec_b64 s[6:7], s[0:1]
	s_cbranch_execz .LBB52_30
; %bb.27:
	v_mul_lo_u32 v10, v18, s36
	v_ashrrev_i32_e32 v11, 31, v10
	v_lshl_add_u64 v[10:11], v[10:11], 3, s[18:19]
	global_load_dwordx2 v[16:17], v[10:11], off
	v_or_b32_e32 v18, 3, v56
	v_cmp_gt_i32_e64 s[0:1], s21, v18
	v_mov_b64_e32 v[10:11], 0
	s_and_saveexec_b64 s[22:23], s[0:1]
	s_cbranch_execz .LBB52_29
; %bb.28:
	v_mul_lo_u32 v10, v18, s36
	v_ashrrev_i32_e32 v11, 31, v10
	v_lshl_add_u64 v[10:11], v[10:11], 3, s[18:19]
	global_load_dwordx2 v[10:11], v[10:11], off
.LBB52_29:
	s_or_b64 exec, exec, s[22:23]
.LBB52_30:
	s_or_b64 exec, exec, s[6:7]
.LBB52_31:
	s_or_b64 exec, exec, s[4:5]
.LBB52_32:
	s_or_b64 exec, exec, s[2:3]
	v_cmp_gt_i32_e64 s[0:1], s20, v55
	s_and_saveexec_b64 s[2:3], s[0:1]
	s_cbranch_execz .LBB52_40
; %bb.33:
	v_mul_lo_u32 v18, v56, s35
	v_cndmask_b32_e32 v18, 0, v18, vcc
	v_mul_lo_u32 v21, v20, s35
	v_cmp_gt_i32_e32 vcc, s21, v20
	v_add_u32_e32 v18, v18, v55
	v_ashrrev_i32_e32 v19, 31, v18
	v_cndmask_b32_e32 v20, 0, v21, vcc
	v_add_u32_e32 v20, v20, v55
	v_ashrrev_i32_e32 v21, 31, v20
	v_lshl_add_u64 v[22:23], v[20:21], 3, s[16:17]
	v_or_b32_e32 v20, 2, v56
	v_mul_lo_u32 v21, v20, s35
	v_cmp_gt_i32_e32 vcc, s21, v20
	v_lshl_add_u64 v[18:19], v[18:19], 3, s[16:17]
	v_add_u32_e32 v34, 64, v55
	v_cndmask_b32_e32 v20, 0, v21, vcc
	v_add_u32_e32 v20, v20, v55
	v_ashrrev_i32_e32 v21, 31, v20
	v_lshl_add_u64 v[24:25], v[20:21], 3, s[16:17]
	v_or_b32_e32 v20, 3, v56
	v_mul_lo_u32 v21, v20, s35
	v_cmp_gt_i32_e32 vcc, s21, v20
	global_load_dwordx2 v[28:29], v[18:19], off
	global_load_dwordx2 v[30:31], v[22:23], off
	;; [unrolled: 1-line block ×3, first 2 shown]
	v_cndmask_b32_e32 v20, 0, v21, vcc
	v_add_u32_e32 v20, v20, v55
	v_ashrrev_i32_e32 v21, 31, v20
	v_lshl_add_u64 v[26:27], v[20:21], 3, s[16:17]
	global_load_dwordx2 v[20:21], v[26:27], off
	v_cmp_gt_i32_e32 vcc, s20, v34
	s_waitcnt vmcnt(3)
	v_fmac_f64_e32 v[0:1], v[12:13], v[28:29]
	s_waitcnt vmcnt(2)
	v_fmac_f64_e32 v[0:1], v[14:15], v[30:31]
	;; [unrolled: 2-line block ×3, first 2 shown]
	s_and_saveexec_b64 s[0:1], vcc
	s_cbranch_execz .LBB52_39
; %bb.34:
	global_load_dwordx2 v[30:31], v[18:19], off offset:512
	global_load_dwordx2 v[32:33], v[22:23], off offset:512
	;; [unrolled: 1-line block ×4, first 2 shown]
	v_add_u32_e32 v36, 0x80, v55
	v_cmp_gt_i32_e32 vcc, s20, v36
	s_waitcnt vmcnt(3)
	v_fmac_f64_e32 v[4:5], v[12:13], v[30:31]
	s_waitcnt vmcnt(2)
	v_fmac_f64_e32 v[4:5], v[14:15], v[32:33]
	;; [unrolled: 2-line block ×3, first 2 shown]
	s_and_saveexec_b64 s[4:5], vcc
	s_cbranch_execz .LBB52_38
; %bb.35:
	global_load_dwordx2 v[32:33], v[18:19], off offset:1024
	global_load_dwordx2 v[34:35], v[22:23], off offset:1024
	;; [unrolled: 1-line block ×4, first 2 shown]
	v_add_u32_e32 v38, 0xc0, v55
	v_cmp_gt_i32_e32 vcc, s20, v38
	s_waitcnt vmcnt(3)
	v_fmac_f64_e32 v[6:7], v[12:13], v[32:33]
	s_waitcnt vmcnt(2)
	v_fmac_f64_e32 v[6:7], v[14:15], v[34:35]
	;; [unrolled: 2-line block ×3, first 2 shown]
	s_and_saveexec_b64 s[6:7], vcc
	s_cbranch_execz .LBB52_37
; %bb.36:
	global_load_dwordx2 v[32:33], v[18:19], off offset:1536
	global_load_dwordx2 v[34:35], v[22:23], off offset:1536
	;; [unrolled: 1-line block ×4, first 2 shown]
	s_waitcnt vmcnt(3)
	v_fmac_f64_e32 v[8:9], v[12:13], v[32:33]
	s_waitcnt vmcnt(2)
	v_fmac_f64_e32 v[8:9], v[14:15], v[34:35]
	s_waitcnt vmcnt(1)
	v_fmac_f64_e32 v[8:9], v[16:17], v[36:37]
	s_waitcnt vmcnt(0)
	v_fmac_f64_e32 v[8:9], v[10:11], v[38:39]
.LBB52_37:
	s_or_b64 exec, exec, s[6:7]
	s_waitcnt vmcnt(0)
	v_fmac_f64_e32 v[6:7], v[10:11], v[30:31]
.LBB52_38:
	s_or_b64 exec, exec, s[4:5]
	s_waitcnt vmcnt(0)
	v_fmac_f64_e32 v[4:5], v[10:11], v[28:29]
.LBB52_39:
	s_or_b64 exec, exec, s[0:1]
	s_waitcnt vmcnt(0)
	v_fmac_f64_e32 v[0:1], v[10:11], v[20:21]
.LBB52_40:
	s_or_b64 exec, exec, s[2:3]
.LBB52_41:
	s_waitcnt vmcnt(0)
	v_lshlrev_b32_e32 v10, 8, v54
	s_movk_i32 s0, 0x100
	v_add_lshl_u32 v2, v10, v2, 3
	v_cmp_gt_u32_e32 vcc, s0, v3
	ds_write2st64_b64 v2, v[0:1], v[4:5] offset1:1
	ds_write2st64_b64 v2, v[6:7], v[8:9] offset0:2 offset1:3
	s_waitcnt lgkmcnt(0)
	s_barrier
	s_waitcnt lgkmcnt(0)
                                        ; implicit-def: $vgpr0_vgpr1
                                        ; implicit-def: $vgpr4_vgpr5
	s_and_saveexec_b64 s[0:1], vcc
	s_cbranch_execz .LBB52_47
; %bb.42:
	v_lshlrev_b32_e32 v4, 3, v3
	ds_read2st64_b64 v[8:11], v4 offset1:4
	ds_read2st64_b64 v[12:15], v4 offset0:8 offset1:12
	v_or_b32_e32 v6, s34, v3
	v_cmp_gt_i32_e32 vcc, s20, v6
	s_mov_b64 s[4:5], s[10:11]
	s_waitcnt lgkmcnt(1)
	v_add_f64 v[0:1], v[8:9], v[10:11]
	s_waitcnt lgkmcnt(0)
	v_add_f64 v[0:1], v[12:13], v[0:1]
	v_add_f64 v[2:3], v[14:15], v[0:1]
	ds_write_b64 v4, v[2:3]
                                        ; implicit-def: $vgpr0_vgpr1
                                        ; implicit-def: $vgpr4_vgpr5
	s_and_saveexec_b64 s[2:3], vcc
	s_cbranch_execz .LBB52_46
; %bb.43:
	v_cmp_eq_f64_e64 s[4:5], s[12:13], 0
	v_mul_lo_u32 v4, v6, s33
	v_mul_f64 v[0:1], s[14:15], v[2:3]
	v_ashrrev_i32_e32 v5, 31, v4
	s_and_b64 vcc, exec, s[4:5]
	s_cbranch_vccnz .LBB52_45
; %bb.44:
	v_lshl_add_u64 v[2:3], v[4:5], 3, s[8:9]
	global_load_dwordx2 v[2:3], v[2:3], off
	s_waitcnt vmcnt(0)
	v_fmac_f64_e32 v[0:1], s[12:13], v[2:3]
.LBB52_45:
	s_or_b64 s[4:5], s[10:11], exec
.LBB52_46:
	s_or_b64 exec, exec, s[2:3]
	s_andn2_b64 s[2:3], s[10:11], exec
	s_and_b64 s[4:5], s[4:5], exec
	s_or_b64 s[10:11], s[2:3], s[4:5]
.LBB52_47:
	s_or_b64 exec, exec, s[0:1]
.LBB52_48:
	s_and_saveexec_b64 s[0:1], s[10:11]
	s_cbranch_execz .LBB52_50
; %bb.49:
	v_lshl_add_u64 v[2:3], v[4:5], 3, s[8:9]
	global_store_dwordx2 v[2:3], v[0:1], off
.LBB52_50:
	s_endpgm
	.section	.rodata,"a",@progbits
	.p2align	6, 0x0
	.amdhsa_kernel _ZL20rocblas_gemvn_kernelILi64ELi4EidPKddEviiT3_lPKT2_lT1_lS5_lS6_lS2_lPT4_lS6_li
		.amdhsa_group_segment_fixed_size 8192
		.amdhsa_private_segment_fixed_size 0
		.amdhsa_kernarg_size 400
		.amdhsa_user_sgpr_count 2
		.amdhsa_user_sgpr_dispatch_ptr 0
		.amdhsa_user_sgpr_queue_ptr 0
		.amdhsa_user_sgpr_kernarg_segment_ptr 1
		.amdhsa_user_sgpr_dispatch_id 0
		.amdhsa_user_sgpr_kernarg_preload_length 0
		.amdhsa_user_sgpr_kernarg_preload_offset 0
		.amdhsa_user_sgpr_private_segment_size 0
		.amdhsa_uses_dynamic_stack 0
		.amdhsa_enable_private_segment 0
		.amdhsa_system_sgpr_workgroup_id_x 1
		.amdhsa_system_sgpr_workgroup_id_y 0
		.amdhsa_system_sgpr_workgroup_id_z 1
		.amdhsa_system_sgpr_workgroup_info 0
		.amdhsa_system_vgpr_workitem_id 1
		.amdhsa_next_free_vgpr 70
		.amdhsa_next_free_sgpr 41
		.amdhsa_accum_offset 72
		.amdhsa_reserve_vcc 1
		.amdhsa_float_round_mode_32 0
		.amdhsa_float_round_mode_16_64 0
		.amdhsa_float_denorm_mode_32 3
		.amdhsa_float_denorm_mode_16_64 3
		.amdhsa_dx10_clamp 1
		.amdhsa_ieee_mode 1
		.amdhsa_fp16_overflow 0
		.amdhsa_tg_split 0
		.amdhsa_exception_fp_ieee_invalid_op 0
		.amdhsa_exception_fp_denorm_src 0
		.amdhsa_exception_fp_ieee_div_zero 0
		.amdhsa_exception_fp_ieee_overflow 0
		.amdhsa_exception_fp_ieee_underflow 0
		.amdhsa_exception_fp_ieee_inexact 0
		.amdhsa_exception_int_div_zero 0
	.end_amdhsa_kernel
	.section	.text._ZL20rocblas_gemvn_kernelILi64ELi4EidPKddEviiT3_lPKT2_lT1_lS5_lS6_lS2_lPT4_lS6_li,"axG",@progbits,_ZL20rocblas_gemvn_kernelILi64ELi4EidPKddEviiT3_lPKT2_lT1_lS5_lS6_lS2_lPT4_lS6_li,comdat
.Lfunc_end52:
	.size	_ZL20rocblas_gemvn_kernelILi64ELi4EidPKddEviiT3_lPKT2_lT1_lS5_lS6_lS2_lPT4_lS6_li, .Lfunc_end52-_ZL20rocblas_gemvn_kernelILi64ELi4EidPKddEviiT3_lPKT2_lT1_lS5_lS6_lS2_lPT4_lS6_li
                                        ; -- End function
	.section	.AMDGPU.csdata,"",@progbits
; Kernel info:
; codeLenInByte = 2324
; NumSgprs: 47
; NumVgprs: 70
; NumAgprs: 0
; TotalNumVgprs: 70
; ScratchSize: 0
; MemoryBound: 0
; FloatMode: 240
; IeeeMode: 1
; LDSByteSize: 8192 bytes/workgroup (compile time only)
; SGPRBlocks: 5
; VGPRBlocks: 8
; NumSGPRsForWavesPerEU: 47
; NumVGPRsForWavesPerEU: 70
; AccumOffset: 72
; Occupancy: 7
; WaveLimiterHint : 1
; COMPUTE_PGM_RSRC2:SCRATCH_EN: 0
; COMPUTE_PGM_RSRC2:USER_SGPR: 2
; COMPUTE_PGM_RSRC2:TRAP_HANDLER: 0
; COMPUTE_PGM_RSRC2:TGID_X_EN: 1
; COMPUTE_PGM_RSRC2:TGID_Y_EN: 0
; COMPUTE_PGM_RSRC2:TGID_Z_EN: 1
; COMPUTE_PGM_RSRC2:TIDIG_COMP_CNT: 1
; COMPUTE_PGM_RSRC3_GFX90A:ACCUM_OFFSET: 17
; COMPUTE_PGM_RSRC3_GFX90A:TG_SPLIT: 0
	.section	.text._ZL20rocblas_gemvn_kernelILi64ELi4EldPKddEviiT3_lPKT2_lT1_lS5_lS6_lS2_lPT4_lS6_li,"axG",@progbits,_ZL20rocblas_gemvn_kernelILi64ELi4EldPKddEviiT3_lPKT2_lT1_lS5_lS6_lS2_lPT4_lS6_li,comdat
	.globl	_ZL20rocblas_gemvn_kernelILi64ELi4EldPKddEviiT3_lPKT2_lT1_lS5_lS6_lS2_lPT4_lS6_li ; -- Begin function _ZL20rocblas_gemvn_kernelILi64ELi4EldPKddEviiT3_lPKT2_lT1_lS5_lS6_lS2_lPT4_lS6_li
	.p2align	8
	.type	_ZL20rocblas_gemvn_kernelILi64ELi4EldPKddEviiT3_lPKT2_lT1_lS5_lS6_lS2_lPT4_lS6_li,@function
_ZL20rocblas_gemvn_kernelILi64ELi4EldPKddEviiT3_lPKT2_lT1_lS5_lS6_lS2_lPT4_lS6_li: ; @_ZL20rocblas_gemvn_kernelILi64ELi4EldPKddEviiT3_lPKT2_lT1_lS5_lS6_lS2_lPT4_lS6_li
; %bb.0:
	s_load_dwordx2 s[4:5], s[0:1], 0x9c
	s_waitcnt lgkmcnt(0)
	s_lshr_b32 s6, s4, 16
	s_and_b32 s4, s4, 0xffff
	s_and_b32 s5, s5, 0xffff
	s_mul_i32 s4, s6, s4
	s_mul_i32 s4, s4, s5
	s_cmpk_lg_i32 s4, 0x100
	s_cbranch_scc1 .LBB53_50
; %bb.1:
	s_load_dwordx16 s[36:51], s[0:1], 0x8
	s_load_dwordx16 s[8:23], s[0:1], 0x48
	s_waitcnt lgkmcnt(0)
	s_mul_i32 s5, s3, s39
	s_mul_hi_u32 s6, s3, s38
	s_mul_i32 s4, s3, s38
	s_add_i32 s5, s6, s5
	s_lshl_b64 s[4:5], s[4:5], 3
	s_add_u32 s4, s36, s4
	s_addc_u32 s5, s37, s5
	s_mul_i32 s7, s3, s15
	s_load_dwordx2 s[24:25], s[4:5], 0x0
	s_mul_hi_u32 s4, s3, s14
	s_add_i32 s5, s4, s7
	s_mul_i32 s4, s3, s14
	s_lshl_b64 s[4:5], s[4:5], 3
	s_add_u32 s4, s12, s4
	s_addc_u32 s5, s13, s5
	s_load_dwordx2 s[14:15], s[4:5], 0x0
	s_waitcnt lgkmcnt(0)
	v_cmp_eq_f64_e64 s[4:5], s[24:25], 0
	v_cmp_eq_f64_e64 s[6:7], s[14:15], 1.0
	s_and_b64 s[4:5], s[4:5], s[6:7]
	s_and_b64 vcc, exec, s[4:5]
	s_cbranch_vccnz .LBB53_50
; %bb.2:
	s_load_dwordx2 s[26:27], s[0:1], 0x0
	s_mul_i32 s0, s3, s23
	s_mul_hi_u32 s1, s3, s22
	s_add_i32 s1, s1, s0
	s_mul_i32 s0, s3, s22
	s_lshl_b64 s[0:1], s[0:1], 3
	s_add_u32 s4, s16, s0
	s_addc_u32 s5, s17, s1
	s_lshl_b64 s[0:1], s[18:19], 3
	s_add_u32 s12, s4, s0
	s_addc_u32 s13, s5, s1
	v_and_b32_e32 v69, 0x3ff, v0
	v_bfe_u32 v70, v0, 10, 10
	v_cmp_neq_f64_e64 s[0:1], s[24:25], 0
	v_lshl_add_u32 v68, v70, 6, v69
	s_mov_b64 s[16:17], 0
	s_and_b64 vcc, exec, s[0:1]
	s_cbranch_vccnz .LBB53_9
; %bb.3:
	s_movk_i32 s0, 0x100
	v_cmp_gt_u32_e32 vcc, s0, v68
	s_mov_b64 s[0:1], 0
                                        ; implicit-def: $vgpr0_vgpr1
                                        ; implicit-def: $vgpr2_vgpr3
	s_and_saveexec_b64 s[4:5], vcc
	s_cbranch_execz .LBB53_10
; %bb.4:
	v_lshl_or_b32 v4, s2, 8, v68
	v_mov_b32_e32 v5, 0
	s_waitcnt lgkmcnt(0)
	s_ashr_i32 s7, s26, 31
	s_mov_b32 s6, s26
	v_cmp_gt_i64_e32 vcc, s[6:7], v[4:5]
                                        ; implicit-def: $vgpr0_vgpr1
                                        ; implicit-def: $vgpr2_vgpr3
	s_and_saveexec_b64 s[6:7], vcc
	s_cbranch_execz .LBB53_8
; %bb.5:
	v_mad_u64_u32 v[2:3], s[18:19], v4, s20, 0
	v_mov_b32_e32 v6, v3
	v_cmp_eq_f64_e64 s[16:17], s[14:15], 0
	v_mad_u64_u32 v[4:5], s[18:19], v4, s21, v[6:7]
	v_mov_b64_e32 v[0:1], 0
	v_mov_b32_e32 v3, v4
	s_and_b64 vcc, exec, s[16:17]
	s_cbranch_vccnz .LBB53_7
; %bb.6:
	v_lshl_add_u64 v[0:1], v[2:3], 3, s[12:13]
	global_load_dwordx2 v[0:1], v[0:1], off
	s_waitcnt vmcnt(0)
	v_mul_f64 v[0:1], s[14:15], v[0:1]
.LBB53_7:
	s_mov_b64 s[16:17], exec
.LBB53_8:
	s_or_b64 exec, exec, s[6:7]
	s_and_b64 s[16:17], s[16:17], exec
	s_or_b64 exec, exec, s[4:5]
	s_and_b64 vcc, exec, s[0:1]
	s_cbranch_vccnz .LBB53_11
	s_branch .LBB53_48
.LBB53_9:
                                        ; implicit-def: $vgpr0_vgpr1
                                        ; implicit-def: $vgpr2_vgpr3
	s_cbranch_execnz .LBB53_11
	s_branch .LBB53_48
.LBB53_10:
	s_or_b64 exec, exec, s[4:5]
	s_and_b64 vcc, exec, s[0:1]
	s_cbranch_vccz .LBB53_48
.LBB53_11:
	s_mul_i32 s0, s3, s47
	s_mul_hi_u32 s1, s3, s46
	s_add_i32 s19, s1, s0
	s_mul_i32 s0, s3, s11
	s_mul_hi_u32 s1, s3, s10
	s_add_i32 s11, s1, s0
	s_waitcnt lgkmcnt(0)
	s_ashr_i32 s0, s27, 31
	s_lshr_b32 s0, s0, 28
	s_add_i32 s0, s27, s0
	s_lshl_b32 s33, s2, 8
	s_and_b32 s54, s0, -16
	v_lshlrev_b32_e32 v71, 2, v70
	v_mov_b64_e32 v[2:3], 0
	s_mul_i32 s18, s3, s46
	s_mul_i32 s10, s3, s10
	v_add_u32_e32 v0, s33, v69
	v_cmp_gt_i32_e32 vcc, s54, v71
	v_mov_b64_e32 v[4:5], v[2:3]
	v_mov_b64_e32 v[6:7], v[2:3]
	;; [unrolled: 1-line block ×3, first 2 shown]
	s_and_saveexec_b64 s[22:23], vcc
	s_cbranch_execz .LBB53_23
; %bb.12:
	v_add_u32_e32 v2, 64, v0
	v_cmp_gt_i32_e64 s[0:1], s26, v2
	v_add_u32_e32 v2, 0x80, v0
	v_cmp_gt_i32_e64 s[2:3], s26, v2
	;; [unrolled: 2-line block ×3, first 2 shown]
	v_mad_u64_u32 v[2:3], s[6:7], s8, v70, 0
	v_mov_b32_e32 v4, v3
	v_mad_u64_u32 v[4:5], s[6:7], s9, v70, v[4:5]
	v_ashrrev_i32_e32 v1, 31, v0
	s_lshl_b64 s[28:29], s[50:51], 3
	s_lshl_b64 s[6:7], s[10:11], 3
	v_mov_b32_e32 v3, v4
	s_add_u32 s6, s48, s6
	v_lshlrev_b64 v[12:13], 3, v[0:1]
	v_lshlrev_b32_e32 v1, 2, v70
	v_lshlrev_b64 v[2:3], 5, v[2:3]
	s_addc_u32 s7, s49, s7
	v_or_b32_e32 v6, 3, v1
	v_lshl_add_u64 v[10:11], s[6:7], 0, v[2:3]
	v_mad_u64_u32 v[2:3], s[34:35], s44, v6, 0
	v_mov_b32_e32 v4, v3
	v_mad_u64_u32 v[4:5], s[34:35], s45, v6, v[4:5]
	s_lshl_b64 s[30:31], s[8:9], 7
	s_lshl_b64 s[34:35], s[18:19], 3
	;; [unrolled: 1-line block ×3, first 2 shown]
	s_add_u32 s36, s40, s36
	s_addc_u32 s37, s41, s37
	s_add_u32 s36, s36, s34
	v_mov_b32_e32 v3, v4
	s_addc_u32 s37, s37, s35
	v_lshl_add_u64 v[14:15], v[2:3], 3, s[36:37]
	v_mad_u64_u32 v[2:3], s[38:39], s8, v6, 0
	v_mov_b32_e32 v4, v3
	v_mad_u64_u32 v[4:5], s[38:39], s9, v6, v[4:5]
	v_mov_b32_e32 v3, v4
	v_lshl_add_u64 v[16:17], v[2:3], 3, s[6:7]
	v_mad_u64_u32 v[2:3], s[38:39], s44, v70, 0
	v_mov_b32_e32 v4, v3
	v_mad_u64_u32 v[4:5], s[38:39], s45, v70, v[4:5]
	v_mov_b32_e32 v3, v4
	v_lshlrev_b64 v[2:3], 5, v[2:3]
	v_or_b32_e32 v6, 2, v1
	v_lshl_add_u64 v[18:19], s[36:37], 0, v[2:3]
	v_mad_u64_u32 v[2:3], s[38:39], s44, v6, 0
	v_mov_b32_e32 v4, v3
	v_mad_u64_u32 v[4:5], s[38:39], s45, v6, v[4:5]
	v_mov_b32_e32 v3, v4
	v_lshl_add_u64 v[20:21], v[2:3], 3, s[36:37]
	v_mad_u64_u32 v[2:3], s[38:39], s8, v6, 0
	v_mov_b32_e32 v4, v3
	v_mad_u64_u32 v[4:5], s[38:39], s9, v6, v[4:5]
	v_mov_b32_e32 v3, v4
	v_lshl_add_u64 v[22:23], v[2:3], 3, s[6:7]
	v_mov_b64_e32 v[2:3], s[8:9]
	v_mad_u64_u32 v[2:3], s[38:39], s8, v1, v[2:3]
	v_mov_b32_e32 v4, v3
	v_mad_u64_u32 v[4:5], s[38:39], s9, v1, v[4:5]
	v_mov_b32_e32 v3, v4
	v_lshl_add_u64 v[24:25], v[2:3], 3, s[6:7]
	v_mov_b64_e32 v[2:3], s[44:45]
	v_mad_u64_u32 v[2:3], s[6:7], s44, v1, v[2:3]
	v_mov_b32_e32 v4, v3
	v_mad_u64_u32 v[4:5], s[6:7], s45, v1, v[4:5]
	v_mov_b32_e32 v3, v4
	v_lshl_add_u64 v[26:27], v[2:3], 3, s[36:37]
	v_mov_b64_e32 v[2:3], 0
	v_cmp_gt_i32_e32 vcc, s26, v0
	s_lshl_b64 s[34:35], s[44:45], 7
	s_mov_b64 s[36:37], 0
	v_mov_b64_e32 v[4:5], v[2:3]
	v_mov_b64_e32 v[6:7], v[2:3]
	;; [unrolled: 1-line block ×3, first 2 shown]
	s_branch .LBB53_17
.LBB53_13:                              ;   in Loop: Header=BB53_17 Depth=1
	s_or_b64 exec, exec, s[52:53]
	s_waitcnt vmcnt(3)
	v_fmac_f64_e32 v[6:7], v[28:29], v[66:67]
	s_waitcnt vmcnt(2)
	v_fmac_f64_e32 v[6:7], v[30:31], v[64:65]
	s_waitcnt vmcnt(1)
	v_fmac_f64_e32 v[6:7], v[32:33], v[62:63]
	s_waitcnt vmcnt(0)
	v_fmac_f64_e32 v[6:7], v[34:35], v[60:61]
.LBB53_14:                              ;   in Loop: Header=BB53_17 Depth=1
	s_or_b64 exec, exec, s[46:47]
	s_waitcnt vmcnt(3)
	v_fmac_f64_e32 v[4:5], v[28:29], v[50:51]
	s_waitcnt vmcnt(2)
	v_fmac_f64_e32 v[4:5], v[30:31], v[48:49]
	;; [unrolled: 2-line block ×4, first 2 shown]
.LBB53_15:                              ;   in Loop: Header=BB53_17 Depth=1
	s_or_b64 exec, exec, s[38:39]
	s_waitcnt vmcnt(3)
	v_fmac_f64_e32 v[2:3], v[28:29], v[36:37]
	s_waitcnt vmcnt(2)
	v_fmac_f64_e32 v[2:3], v[30:31], v[38:39]
	;; [unrolled: 2-line block ×4, first 2 shown]
.LBB53_16:                              ;   in Loop: Header=BB53_17 Depth=1
	s_or_b64 exec, exec, s[6:7]
	v_add_u32_e32 v71, 16, v71
	v_cmp_le_i32_e64 s[6:7], s54, v71
	v_lshl_add_u64 v[10:11], v[10:11], 0, s[30:31]
	v_lshl_add_u64 v[14:15], v[14:15], 0, s[34:35]
	;; [unrolled: 1-line block ×7, first 2 shown]
	s_or_b64 s[36:37], s[6:7], s[36:37]
	v_lshl_add_u64 v[26:27], v[26:27], 0, s[34:35]
	s_andn2_b64 exec, exec, s[36:37]
	s_cbranch_execz .LBB53_22
.LBB53_17:                              ; =>This Inner Loop Header: Depth=1
	s_and_saveexec_b64 s[6:7], vcc
	s_cbranch_execz .LBB53_16
; %bb.18:                               ;   in Loop: Header=BB53_17 Depth=1
	v_lshl_add_u64 v[28:29], v[10:11], 0, s[28:29]
	v_lshl_add_u64 v[30:31], v[24:25], 0, s[28:29]
	;; [unrolled: 1-line block ×8, first 2 shown]
	global_load_dwordx2 v[28:29], v[28:29], off
	s_nop 0
	global_load_dwordx2 v[30:31], v[30:31], off
	s_nop 0
	;; [unrolled: 2-line block ×4, first 2 shown]
	global_load_dwordx2 v[36:37], v[58:59], off
	global_load_dwordx2 v[38:39], v[56:57], off
	;; [unrolled: 1-line block ×4, first 2 shown]
	s_and_saveexec_b64 s[38:39], s[0:1]
	s_cbranch_execz .LBB53_15
; %bb.19:                               ;   in Loop: Header=BB53_17 Depth=1
	global_load_dwordx2 v[50:51], v[58:59], off offset:512
	global_load_dwordx2 v[48:49], v[56:57], off offset:512
	;; [unrolled: 1-line block ×4, first 2 shown]
	s_and_saveexec_b64 s[46:47], s[2:3]
	s_cbranch_execz .LBB53_14
; %bb.20:                               ;   in Loop: Header=BB53_17 Depth=1
	global_load_dwordx2 v[66:67], v[58:59], off offset:1024
	global_load_dwordx2 v[64:65], v[56:57], off offset:1024
	;; [unrolled: 1-line block ×4, first 2 shown]
	s_and_saveexec_b64 s[52:53], s[4:5]
	s_cbranch_execz .LBB53_13
; %bb.21:                               ;   in Loop: Header=BB53_17 Depth=1
	global_load_dwordx2 v[58:59], v[58:59], off offset:1536
	s_nop 0
	global_load_dwordx2 v[56:57], v[56:57], off offset:1536
	s_nop 0
	global_load_dwordx2 v[54:55], v[54:55], off offset:1536
	s_nop 0
	global_load_dwordx2 v[52:53], v[52:53], off offset:1536
	s_waitcnt vmcnt(3)
	v_fmac_f64_e32 v[8:9], v[28:29], v[58:59]
	s_waitcnt vmcnt(2)
	v_fmac_f64_e32 v[8:9], v[30:31], v[56:57]
	;; [unrolled: 2-line block ×4, first 2 shown]
	s_branch .LBB53_13
.LBB53_22:
	s_or_b64 exec, exec, s[36:37]
.LBB53_23:
	s_or_b64 exec, exec, s[22:23]
	s_sub_i32 s0, s27, s54
	s_cmp_lt_i32 s0, 1
	s_cbranch_scc1 .LBB53_41
; %bb.24:
	v_mov_b64_e32 v[12:13], 0
	v_cmp_gt_i32_e32 vcc, s27, v71
	v_or_b32_e32 v20, 1, v71
	v_mov_b64_e32 v[16:17], v[12:13]
	v_mov_b64_e32 v[14:15], v[12:13]
	;; [unrolled: 1-line block ×3, first 2 shown]
	s_and_saveexec_b64 s[2:3], vcc
	s_cbranch_execz .LBB53_32
; %bb.25:
	s_lshl_b64 s[0:1], s[10:11], 3
	s_add_u32 s4, s48, s0
	s_addc_u32 s5, s49, s1
	s_lshl_b64 s[0:1], s[50:51], 3
	s_add_u32 s4, s4, s0
	s_addc_u32 s5, s5, s1
	v_mad_u64_u32 v[10:11], s[0:1], v71, s8, 0
	v_mov_b32_e32 v12, v11
	v_mad_u64_u32 v[12:13], s[0:1], v71, s9, v[12:13]
	v_mov_b32_e32 v11, v12
	v_lshl_add_u64 v[10:11], v[10:11], 3, s[4:5]
	global_load_dwordx2 v[10:11], v[10:11], off
	v_mov_b64_e32 v[14:15], 0
	v_cmp_gt_i32_e64 s[0:1], s27, v20
	v_mov_b64_e32 v[16:17], v[14:15]
	v_mov_b64_e32 v[12:13], v[14:15]
	s_and_saveexec_b64 s[6:7], s[0:1]
	s_cbranch_execz .LBB53_31
; %bb.26:
	v_mad_u64_u32 v[12:13], s[0:1], v20, s8, 0
	v_mov_b32_e32 v14, v13
	v_mad_u64_u32 v[14:15], s[0:1], v20, s9, v[14:15]
	v_mov_b32_e32 v13, v14
	v_lshl_add_u64 v[12:13], v[12:13], 3, s[4:5]
	global_load_dwordx2 v[14:15], v[12:13], off
	v_or_b32_e32 v1, 2, v71
	v_mov_b64_e32 v[16:17], 0
	v_cmp_gt_i32_e64 s[0:1], s27, v1
	v_mov_b64_e32 v[12:13], v[16:17]
	s_and_saveexec_b64 s[10:11], s[0:1]
	s_cbranch_execz .LBB53_30
; %bb.27:
	v_mad_u64_u32 v[12:13], s[0:1], v1, s8, 0
	v_mov_b32_e32 v16, v13
	v_mad_u64_u32 v[16:17], s[0:1], v1, s9, v[16:17]
	v_mov_b32_e32 v13, v16
	v_lshl_add_u64 v[12:13], v[12:13], 3, s[4:5]
	global_load_dwordx2 v[16:17], v[12:13], off
	v_or_b32_e32 v1, 3, v71
	v_cmp_gt_i32_e64 s[0:1], s27, v1
	v_mov_b64_e32 v[12:13], 0
	s_and_saveexec_b64 s[22:23], s[0:1]
	s_cbranch_execz .LBB53_29
; %bb.28:
	v_mad_u64_u32 v[12:13], s[0:1], v1, s8, 0
	v_mov_b32_e32 v18, v13
	v_mad_u64_u32 v[18:19], s[0:1], v1, s9, v[18:19]
	v_mov_b32_e32 v13, v18
	v_lshl_add_u64 v[12:13], v[12:13], 3, s[4:5]
	global_load_dwordx2 v[12:13], v[12:13], off
.LBB53_29:
	s_or_b64 exec, exec, s[22:23]
.LBB53_30:
	s_or_b64 exec, exec, s[10:11]
.LBB53_31:
	s_or_b64 exec, exec, s[6:7]
.LBB53_32:
	s_or_b64 exec, exec, s[2:3]
	v_cmp_gt_i32_e64 s[0:1], s26, v0
	s_and_saveexec_b64 s[2:3], s[0:1]
	s_cbranch_execz .LBB53_40
; %bb.33:
	s_lshl_b64 s[0:1], s[18:19], 3
	s_add_u32 s4, s40, s0
	s_addc_u32 s5, s41, s1
	s_lshl_b64 s[0:1], s[42:43], 3
	s_add_u32 s0, s4, s0
	s_addc_u32 s1, s5, s1
	v_mad_u64_u32 v[18:19], s[4:5], v71, s44, 0
	v_mov_b32_e32 v22, v19
	v_ashrrev_i32_e32 v1, 31, v0
	v_mad_u64_u32 v[22:23], s[4:5], v71, s45, v[22:23]
	v_mad_u64_u32 v[24:25], s[4:5], v20, s44, 0
	v_cndmask_b32_e32 v18, 0, v18, vcc
	v_cndmask_b32_e32 v19, 0, v22, vcc
	v_lshlrev_b64 v[22:23], 3, v[0:1]
	v_mov_b32_e32 v26, v25
	v_cmp_gt_i32_e32 vcc, s27, v20
	v_or_b32_e32 v1, 2, v71
	v_mad_u64_u32 v[26:27], s[4:5], v20, s45, v[26:27]
	v_cndmask_b32_e32 v20, 0, v24, vcc
	v_mad_u64_u32 v[24:25], s[4:5], v1, s44, 0
	v_cndmask_b32_e32 v21, 0, v26, vcc
	v_mov_b32_e32 v26, v25
	v_mad_u64_u32 v[26:27], s[4:5], v1, s45, v[26:27]
	v_cmp_gt_i32_e32 vcc, s27, v1
	v_or_b32_e32 v1, 3, v71
	v_lshl_add_u64 v[18:19], v[18:19], 3, s[0:1]
	v_cndmask_b32_e32 v25, 0, v26, vcc
	v_mad_u64_u32 v[26:27], s[4:5], v1, s44, 0
	v_mov_b32_e32 v28, v27
	v_cndmask_b32_e32 v24, 0, v24, vcc
	v_mad_u64_u32 v[28:29], s[4:5], v1, s45, v[28:29]
	v_cmp_gt_i32_e32 vcc, s27, v1
	v_lshl_add_u64 v[18:19], v[18:19], 0, v[22:23]
	v_lshl_add_u64 v[20:21], v[20:21], 3, s[0:1]
	v_cndmask_b32_e32 v26, 0, v26, vcc
	v_cndmask_b32_e32 v27, 0, v28, vcc
	v_lshl_add_u64 v[24:25], v[24:25], 3, s[0:1]
	v_lshl_add_u64 v[26:27], v[26:27], 3, s[0:1]
	;; [unrolled: 1-line block ×4, first 2 shown]
	global_load_dwordx2 v[28:29], v[18:19], off
	global_load_dwordx2 v[30:31], v[20:21], off
	;; [unrolled: 1-line block ×3, first 2 shown]
	v_lshl_add_u64 v[26:27], v[26:27], 0, v[22:23]
	global_load_dwordx2 v[22:23], v[26:27], off
	v_add_u32_e32 v1, 64, v0
	v_cmp_gt_i32_e32 vcc, s26, v1
	s_waitcnt vmcnt(3)
	v_fmac_f64_e32 v[2:3], v[10:11], v[28:29]
	s_waitcnt vmcnt(2)
	v_fmac_f64_e32 v[2:3], v[14:15], v[30:31]
	s_waitcnt vmcnt(1)
	v_fmac_f64_e32 v[2:3], v[16:17], v[32:33]
	s_and_saveexec_b64 s[0:1], vcc
	s_cbranch_execz .LBB53_39
; %bb.34:
	global_load_dwordx2 v[30:31], v[18:19], off offset:512
	global_load_dwordx2 v[32:33], v[20:21], off offset:512
	global_load_dwordx2 v[34:35], v[24:25], off offset:512
	global_load_dwordx2 v[28:29], v[26:27], off offset:512
	v_add_u32_e32 v1, 0x80, v0
	v_cmp_gt_i32_e32 vcc, s26, v1
	s_waitcnt vmcnt(3)
	v_fmac_f64_e32 v[4:5], v[10:11], v[30:31]
	s_waitcnt vmcnt(2)
	v_fmac_f64_e32 v[4:5], v[14:15], v[32:33]
	s_waitcnt vmcnt(1)
	v_fmac_f64_e32 v[4:5], v[16:17], v[34:35]
	s_and_saveexec_b64 s[4:5], vcc
	s_cbranch_execz .LBB53_38
; %bb.35:
	global_load_dwordx2 v[32:33], v[18:19], off offset:1024
	global_load_dwordx2 v[34:35], v[20:21], off offset:1024
	global_load_dwordx2 v[36:37], v[24:25], off offset:1024
	global_load_dwordx2 v[30:31], v[26:27], off offset:1024
	;; [unrolled: 15-line block ×3, first 2 shown]
	s_waitcnt vmcnt(3)
	v_fmac_f64_e32 v[8:9], v[10:11], v[0:1]
	s_waitcnt vmcnt(2)
	v_fmac_f64_e32 v[8:9], v[14:15], v[32:33]
	;; [unrolled: 2-line block ×4, first 2 shown]
.LBB53_37:
	s_or_b64 exec, exec, s[6:7]
	s_waitcnt vmcnt(0)
	v_fmac_f64_e32 v[6:7], v[12:13], v[30:31]
.LBB53_38:
	s_or_b64 exec, exec, s[4:5]
	s_waitcnt vmcnt(0)
	v_fmac_f64_e32 v[4:5], v[12:13], v[28:29]
.LBB53_39:
	s_or_b64 exec, exec, s[0:1]
	s_waitcnt vmcnt(0)
	v_fmac_f64_e32 v[2:3], v[12:13], v[22:23]
.LBB53_40:
	s_or_b64 exec, exec, s[2:3]
.LBB53_41:
	v_lshlrev_b32_e32 v0, 8, v70
	s_movk_i32 s0, 0x100
	v_add_lshl_u32 v0, v0, v69, 3
	v_cmp_gt_u32_e32 vcc, s0, v68
	ds_write2st64_b64 v0, v[2:3], v[4:5] offset1:1
	ds_write2st64_b64 v0, v[6:7], v[8:9] offset0:2 offset1:3
	s_waitcnt lgkmcnt(0)
	s_barrier
	s_waitcnt lgkmcnt(0)
                                        ; implicit-def: $vgpr0_vgpr1
                                        ; implicit-def: $vgpr2_vgpr3
	s_and_saveexec_b64 s[0:1], vcc
	s_cbranch_execz .LBB53_47
; %bb.42:
	v_lshlrev_b32_e32 v7, 3, v68
	ds_read2st64_b64 v[0:3], v7 offset1:4
	s_waitcnt vmcnt(0)
	ds_read2st64_b64 v[8:11], v7 offset0:8 offset1:12
	v_or_b32_e32 v6, s33, v68
	v_cmp_gt_i32_e32 vcc, s26, v6
	s_mov_b64 s[4:5], s[16:17]
	s_waitcnt lgkmcnt(1)
	v_add_f64 v[0:1], v[0:1], v[2:3]
	s_waitcnt lgkmcnt(0)
	v_add_f64 v[0:1], v[8:9], v[0:1]
	v_add_f64 v[4:5], v[10:11], v[0:1]
	ds_write_b64 v7, v[4:5]
                                        ; implicit-def: $vgpr0_vgpr1
                                        ; implicit-def: $vgpr2_vgpr3
	s_and_saveexec_b64 s[2:3], vcc
	s_cbranch_execz .LBB53_46
; %bb.43:
	v_ashrrev_i32_e32 v2, 31, v6
	v_cmp_eq_f64_e64 s[4:5], s[14:15], 0
	v_mul_f64 v[0:1], s[24:25], v[4:5]
	v_mul_lo_u32 v4, v6, s21
	v_mul_lo_u32 v5, v2, s20
	v_mad_u64_u32 v[2:3], s[6:7], v6, s20, 0
	v_add3_u32 v3, v3, v4, v5
	s_and_b64 vcc, exec, s[4:5]
	s_cbranch_vccnz .LBB53_45
; %bb.44:
	v_lshl_add_u64 v[4:5], v[2:3], 3, s[12:13]
	global_load_dwordx2 v[4:5], v[4:5], off
	s_waitcnt vmcnt(0)
	v_fmac_f64_e32 v[0:1], s[14:15], v[4:5]
.LBB53_45:
	s_or_b64 s[4:5], s[16:17], exec
.LBB53_46:
	s_or_b64 exec, exec, s[2:3]
	s_andn2_b64 s[2:3], s[16:17], exec
	s_and_b64 s[4:5], s[4:5], exec
	s_or_b64 s[16:17], s[2:3], s[4:5]
.LBB53_47:
	s_or_b64 exec, exec, s[0:1]
.LBB53_48:
	s_and_saveexec_b64 s[0:1], s[16:17]
	s_cbranch_execz .LBB53_50
; %bb.49:
	v_lshl_add_u64 v[2:3], v[2:3], 3, s[12:13]
	global_store_dwordx2 v[2:3], v[0:1], off
.LBB53_50:
	s_endpgm
	.section	.rodata,"a",@progbits
	.p2align	6, 0x0
	.amdhsa_kernel _ZL20rocblas_gemvn_kernelILi64ELi4EldPKddEviiT3_lPKT2_lT1_lS5_lS6_lS2_lPT4_lS6_li
		.amdhsa_group_segment_fixed_size 8192
		.amdhsa_private_segment_fixed_size 0
		.amdhsa_kernarg_size 400
		.amdhsa_user_sgpr_count 2
		.amdhsa_user_sgpr_dispatch_ptr 0
		.amdhsa_user_sgpr_queue_ptr 0
		.amdhsa_user_sgpr_kernarg_segment_ptr 1
		.amdhsa_user_sgpr_dispatch_id 0
		.amdhsa_user_sgpr_kernarg_preload_length 0
		.amdhsa_user_sgpr_kernarg_preload_offset 0
		.amdhsa_user_sgpr_private_segment_size 0
		.amdhsa_uses_dynamic_stack 0
		.amdhsa_enable_private_segment 0
		.amdhsa_system_sgpr_workgroup_id_x 1
		.amdhsa_system_sgpr_workgroup_id_y 0
		.amdhsa_system_sgpr_workgroup_id_z 1
		.amdhsa_system_sgpr_workgroup_info 0
		.amdhsa_system_vgpr_workitem_id 1
		.amdhsa_next_free_vgpr 72
		.amdhsa_next_free_sgpr 55
		.amdhsa_accum_offset 72
		.amdhsa_reserve_vcc 1
		.amdhsa_float_round_mode_32 0
		.amdhsa_float_round_mode_16_64 0
		.amdhsa_float_denorm_mode_32 3
		.amdhsa_float_denorm_mode_16_64 3
		.amdhsa_dx10_clamp 1
		.amdhsa_ieee_mode 1
		.amdhsa_fp16_overflow 0
		.amdhsa_tg_split 0
		.amdhsa_exception_fp_ieee_invalid_op 0
		.amdhsa_exception_fp_denorm_src 0
		.amdhsa_exception_fp_ieee_div_zero 0
		.amdhsa_exception_fp_ieee_overflow 0
		.amdhsa_exception_fp_ieee_underflow 0
		.amdhsa_exception_fp_ieee_inexact 0
		.amdhsa_exception_int_div_zero 0
	.end_amdhsa_kernel
	.section	.text._ZL20rocblas_gemvn_kernelILi64ELi4EldPKddEviiT3_lPKT2_lT1_lS5_lS6_lS2_lPT4_lS6_li,"axG",@progbits,_ZL20rocblas_gemvn_kernelILi64ELi4EldPKddEviiT3_lPKT2_lT1_lS5_lS6_lS2_lPT4_lS6_li,comdat
.Lfunc_end53:
	.size	_ZL20rocblas_gemvn_kernelILi64ELi4EldPKddEviiT3_lPKT2_lT1_lS5_lS6_lS2_lPT4_lS6_li, .Lfunc_end53-_ZL20rocblas_gemvn_kernelILi64ELi4EldPKddEviiT3_lPKT2_lT1_lS5_lS6_lS2_lPT4_lS6_li
                                        ; -- End function
	.section	.AMDGPU.csdata,"",@progbits
; Kernel info:
; codeLenInByte = 2660
; NumSgprs: 61
; NumVgprs: 72
; NumAgprs: 0
; TotalNumVgprs: 72
; ScratchSize: 0
; MemoryBound: 1
; FloatMode: 240
; IeeeMode: 1
; LDSByteSize: 8192 bytes/workgroup (compile time only)
; SGPRBlocks: 7
; VGPRBlocks: 8
; NumSGPRsForWavesPerEU: 61
; NumVGPRsForWavesPerEU: 72
; AccumOffset: 72
; Occupancy: 7
; WaveLimiterHint : 0
; COMPUTE_PGM_RSRC2:SCRATCH_EN: 0
; COMPUTE_PGM_RSRC2:USER_SGPR: 2
; COMPUTE_PGM_RSRC2:TRAP_HANDLER: 0
; COMPUTE_PGM_RSRC2:TGID_X_EN: 1
; COMPUTE_PGM_RSRC2:TGID_Y_EN: 0
; COMPUTE_PGM_RSRC2:TGID_Z_EN: 1
; COMPUTE_PGM_RSRC2:TIDIG_COMP_CNT: 1
; COMPUTE_PGM_RSRC3_GFX90A:ACCUM_OFFSET: 17
; COMPUTE_PGM_RSRC3_GFX90A:TG_SPLIT: 0
	.section	.text._ZL20rocblas_gemvn_kernelILi64ELi4EidddEviiT3_lPKT2_lT1_lS3_lS4_lS0_lPT4_lS4_li,"axG",@progbits,_ZL20rocblas_gemvn_kernelILi64ELi4EidddEviiT3_lPKT2_lT1_lS3_lS4_lS0_lPT4_lS4_li,comdat
	.globl	_ZL20rocblas_gemvn_kernelILi64ELi4EidddEviiT3_lPKT2_lT1_lS3_lS4_lS0_lPT4_lS4_li ; -- Begin function _ZL20rocblas_gemvn_kernelILi64ELi4EidddEviiT3_lPKT2_lT1_lS3_lS4_lS0_lPT4_lS4_li
	.p2align	8
	.type	_ZL20rocblas_gemvn_kernelILi64ELi4EidddEviiT3_lPKT2_lT1_lS3_lS4_lS0_lPT4_lS4_li,@function
_ZL20rocblas_gemvn_kernelILi64ELi4EidddEviiT3_lPKT2_lT1_lS3_lS4_lS0_lPT4_lS4_li: ; @_ZL20rocblas_gemvn_kernelILi64ELi4EidddEviiT3_lPKT2_lT1_lS3_lS4_lS0_lPT4_lS4_li
; %bb.0:
	s_load_dwordx2 s[4:5], s[0:1], 0x9c
	s_waitcnt lgkmcnt(0)
	s_lshr_b32 s6, s4, 16
	s_and_b32 s4, s4, 0xffff
	s_and_b32 s5, s5, 0xffff
	s_mul_i32 s4, s6, s4
	s_mul_i32 s4, s4, s5
	s_cmpk_lg_i32 s4, 0x100
	s_cbranch_scc1 .LBB54_50
; %bb.1:
	s_load_dwordx2 s[14:15], s[0:1], 0x8
	s_load_dwordx4 s[8:11], s[0:1], 0x50
	s_waitcnt lgkmcnt(0)
	v_cmp_eq_f64_e64 s[4:5], s[14:15], 0
	v_cmp_eq_f64_e64 s[6:7], s[10:11], 1.0
	s_and_b64 s[4:5], s[4:5], s[6:7]
	s_and_b64 vcc, exec, s[4:5]
	s_cbranch_vccnz .LBB54_50
; %bb.2:
	s_load_dwordx2 s[12:13], s[0:1], 0x80
	s_load_dword s33, s[0:1], 0x78
	s_load_dwordx2 s[16:17], s[0:1], 0x0
	s_load_dwordx4 s[4:7], s[0:1], 0x68
	v_and_b32_e32 v2, 0x3ff, v0
	s_waitcnt lgkmcnt(0)
	s_mul_i32 s13, s3, s13
	s_mul_hi_u32 s18, s3, s12
	s_add_i32 s13, s18, s13
	s_mul_i32 s12, s3, s12
	s_lshl_b64 s[12:13], s[12:13], 3
	s_add_u32 s12, s4, s12
	s_addc_u32 s13, s5, s13
	s_lshl_b64 s[4:5], s[6:7], 3
	s_add_u32 s12, s12, s4
	s_addc_u32 s13, s13, s5
	v_bfe_u32 v54, v0, 10, 10
	v_cmp_neq_f64_e64 s[4:5], s[14:15], 0
	v_lshl_add_u32 v3, v54, 6, v2
	s_mov_b64 s[18:19], 0
	s_and_b64 vcc, exec, s[4:5]
	s_cbranch_vccnz .LBB54_9
; %bb.3:
	s_movk_i32 s4, 0x100
	v_cmp_gt_u32_e32 vcc, s4, v3
	s_mov_b64 s[4:5], 0
                                        ; implicit-def: $vgpr0_vgpr1
                                        ; implicit-def: $vgpr4_vgpr5
	s_and_saveexec_b64 s[6:7], vcc
	s_cbranch_execz .LBB54_10
; %bb.4:
	v_lshl_or_b32 v6, s2, 8, v3
	v_mov_b32_e32 v7, 0
	s_ashr_i32 s19, s16, 31
	s_mov_b32 s18, s16
	v_cmp_gt_i64_e32 vcc, s[18:19], v[6:7]
	s_mov_b64 s[20:21], 0
                                        ; implicit-def: $vgpr0_vgpr1
                                        ; implicit-def: $vgpr4_vgpr5
	s_and_saveexec_b64 s[18:19], vcc
	s_cbranch_execz .LBB54_8
; %bb.5:
	v_mad_u64_u32 v[4:5], s[22:23], s33, v6, 0
	s_ashr_i32 s24, s33, 31
	v_mov_b32_e32 v8, v5
	v_cmp_eq_f64_e64 s[20:21], s[10:11], 0
	v_mad_u64_u32 v[6:7], s[22:23], s24, v6, v[8:9]
	v_mov_b64_e32 v[0:1], 0
	v_mov_b32_e32 v5, v6
	s_and_b64 vcc, exec, s[20:21]
	s_cbranch_vccnz .LBB54_7
; %bb.6:
	v_lshl_add_u64 v[0:1], v[4:5], 3, s[12:13]
	global_load_dwordx2 v[0:1], v[0:1], off
	s_waitcnt vmcnt(0)
	v_mul_f64 v[0:1], v[0:1], s[10:11]
.LBB54_7:
	s_mov_b64 s[20:21], exec
.LBB54_8:
	s_or_b64 exec, exec, s[18:19]
	s_and_b64 s[18:19], s[20:21], exec
	s_or_b64 exec, exec, s[6:7]
	s_and_b64 vcc, exec, s[4:5]
	s_cbranch_vccnz .LBB54_11
	s_branch .LBB54_48
.LBB54_9:
                                        ; implicit-def: $vgpr0_vgpr1
                                        ; implicit-def: $vgpr4_vgpr5
	s_cbranch_execnz .LBB54_11
	s_branch .LBB54_48
.LBB54_10:
	s_or_b64 exec, exec, s[6:7]
	s_and_b64 vcc, exec, s[4:5]
	s_cbranch_vccz .LBB54_48
.LBB54_11:
	s_load_dwordx4 s[4:7], s[0:1], 0x30
	s_load_dwordx4 s[20:23], s[0:1], 0x18
	s_load_dword s35, s[0:1], 0x28
	s_load_dwordx2 s[24:25], s[0:1], 0x40
	s_load_dword s36, s[0:1], 0x48
	s_waitcnt lgkmcnt(0)
	s_mul_i32 s0, s3, s5
	s_mul_hi_u32 s1, s3, s4
	s_add_i32 s1, s1, s0
	s_mul_i32 s0, s3, s4
	s_lshl_b64 s[0:1], s[0:1], 3
	s_add_u32 s4, s20, s0
	s_addc_u32 s5, s21, s1
	s_lshl_b64 s[0:1], s[22:23], 3
	s_add_u32 s20, s4, s0
	s_addc_u32 s21, s5, s1
	s_mul_i32 s0, s3, s9
	s_mul_hi_u32 s1, s3, s8
	s_add_i32 s1, s1, s0
	s_mul_i32 s0, s3, s8
	s_lshl_b64 s[0:1], s[0:1], 3
	s_add_u32 s3, s6, s0
	s_addc_u32 s4, s7, s1
	s_lshl_b64 s[0:1], s[24:25], 3
	s_add_u32 s8, s3, s0
	s_addc_u32 s9, s4, s1
	s_ashr_i32 s0, s17, 31
	s_lshr_b32 s0, s0, 28
	s_add_i32 s0, s17, s0
	s_lshl_b32 s34, s2, 8
	s_and_b32 s38, s0, -16
	v_lshlrev_b32_e32 v56, 2, v54
	v_mov_b64_e32 v[0:1], 0
	s_mov_b32 s37, 0
	v_add_u32_e32 v55, s34, v2
	v_cmp_gt_i32_e32 vcc, s38, v56
	v_mov_b64_e32 v[4:5], v[0:1]
	v_mov_b64_e32 v[6:7], v[0:1]
	;; [unrolled: 1-line block ×3, first 2 shown]
	s_and_saveexec_b64 s[22:23], vcc
	s_cbranch_execz .LBB54_23
; %bb.12:
	v_add_u32_e32 v0, 64, v55
	v_cmp_gt_i32_e64 s[0:1], s16, v0
	v_add_u32_e32 v0, 0x80, v55
	v_cmp_gt_i32_e64 s[2:3], s16, v0
	;; [unrolled: 2-line block ×3, first 2 shown]
	v_mul_lo_u32 v0, s35, v56
	v_add3_u32 v57, v0, s35, v2
	v_add_u32_e32 v0, 2, v56
	v_mad_u64_u32 v[10:11], s[6:7], s35, v0, v[2:3]
	v_add_u32_e32 v1, 3, v56
	v_mul_lo_u32 v4, v54, s35
	v_mul_lo_u32 v58, s36, v0
	;; [unrolled: 1-line block ×3, first 2 shown]
	v_mad_u64_u32 v[12:13], s[6:7], s35, v1, v[2:3]
	v_lshl_add_u32 v11, v4, 2, v2
	v_mul_lo_u32 v4, s36, v56
	v_mul_lo_u32 v59, s36, v1
	v_lshlrev_b32_e32 v60, 2, v0
	v_mov_b64_e32 v[0:1], 0
	v_cmp_gt_i32_e32 vcc, s16, v55
	s_lshl_b32 s39, s35, 4
	v_add_u32_e32 v13, s36, v4
	s_lshl_b32 s40, s36, 4
	s_mov_b64 s[24:25], 0
	v_mov_b64_e32 v[4:5], v[0:1]
	v_mov_b64_e32 v[6:7], v[0:1]
	;; [unrolled: 1-line block ×3, first 2 shown]
	s_branch .LBB54_17
.LBB54_13:                              ;   in Loop: Header=BB54_17 Depth=1
	s_or_b64 exec, exec, s[30:31]
	s_waitcnt vmcnt(3)
	v_fmac_f64_e32 v[6:7], v[20:21], v[52:53]
	s_waitcnt vmcnt(2)
	v_fmac_f64_e32 v[6:7], v[18:19], v[50:51]
	;; [unrolled: 2-line block ×4, first 2 shown]
.LBB54_14:                              ;   in Loop: Header=BB54_17 Depth=1
	s_or_b64 exec, exec, s[28:29]
	s_waitcnt vmcnt(3)
	v_fmac_f64_e32 v[4:5], v[20:21], v[38:39]
	s_waitcnt vmcnt(2)
	v_fmac_f64_e32 v[4:5], v[18:19], v[36:37]
	;; [unrolled: 2-line block ×4, first 2 shown]
.LBB54_15:                              ;   in Loop: Header=BB54_17 Depth=1
	s_or_b64 exec, exec, s[26:27]
	s_waitcnt vmcnt(3)
	v_fmac_f64_e32 v[0:1], v[20:21], v[28:29]
	s_waitcnt vmcnt(2)
	v_fmac_f64_e32 v[0:1], v[18:19], v[26:27]
	;; [unrolled: 2-line block ×4, first 2 shown]
.LBB54_16:                              ;   in Loop: Header=BB54_17 Depth=1
	s_or_b64 exec, exec, s[6:7]
	v_add_u32_e32 v56, 16, v56
	s_add_i32 s37, s37, s40
	v_cmp_le_i32_e64 s[6:7], s38, v56
	v_add_u32_e32 v57, s39, v57
	v_add_u32_e32 v10, s39, v10
	;; [unrolled: 1-line block ×3, first 2 shown]
	s_or_b64 s[24:25], s[6:7], s[24:25]
	v_add_u32_e32 v11, s39, v11
	s_andn2_b64 exec, exec, s[24:25]
	s_cbranch_execz .LBB54_22
.LBB54_17:                              ; =>This Inner Loop Header: Depth=1
	s_and_saveexec_b64 s[6:7], vcc
	s_cbranch_execz .LBB54_16
; %bb.18:                               ;   in Loop: Header=BB54_17 Depth=1
	v_add_u32_e32 v14, s37, v60
	v_ashrrev_i32_e32 v15, 31, v14
	v_lshl_add_u64 v[22:23], v[14:15], 3, s[8:9]
	v_add_u32_e32 v14, s37, v13
	v_ashrrev_i32_e32 v15, 31, v14
	v_lshl_add_u64 v[24:25], v[14:15], 3, s[8:9]
	;; [unrolled: 3-line block ×4, first 2 shown]
	global_load_dwordx2 v[20:21], v[22:23], off
	global_load_dwordx2 v[18:19], v[24:25], off
	;; [unrolled: 1-line block ×4, first 2 shown]
	v_add_u32_e32 v22, s34, v11
	v_ashrrev_i32_e32 v23, 31, v22
	v_lshl_add_u64 v[30:31], v[22:23], 3, s[20:21]
	v_add_u32_e32 v22, s34, v57
	v_ashrrev_i32_e32 v23, 31, v22
	v_lshl_add_u64 v[40:41], v[22:23], 3, s[20:21]
	v_add_u32_e32 v22, s34, v10
	v_ashrrev_i32_e32 v23, 31, v22
	v_lshl_add_u64 v[42:43], v[22:23], 3, s[20:21]
	v_add_u32_e32 v22, s34, v12
	v_ashrrev_i32_e32 v23, 31, v22
	v_lshl_add_u64 v[44:45], v[22:23], 3, s[20:21]
	global_load_dwordx2 v[28:29], v[30:31], off
	global_load_dwordx2 v[26:27], v[40:41], off
	global_load_dwordx2 v[24:25], v[42:43], off
	global_load_dwordx2 v[22:23], v[44:45], off
	s_and_saveexec_b64 s[26:27], s[0:1]
	s_cbranch_execz .LBB54_15
; %bb.19:                               ;   in Loop: Header=BB54_17 Depth=1
	global_load_dwordx2 v[38:39], v[30:31], off offset:512
	global_load_dwordx2 v[36:37], v[40:41], off offset:512
	global_load_dwordx2 v[34:35], v[42:43], off offset:512
	global_load_dwordx2 v[32:33], v[44:45], off offset:512
	s_and_saveexec_b64 s[28:29], s[2:3]
	s_cbranch_execz .LBB54_14
; %bb.20:                               ;   in Loop: Header=BB54_17 Depth=1
	global_load_dwordx2 v[52:53], v[30:31], off offset:1024
	global_load_dwordx2 v[50:51], v[40:41], off offset:1024
	global_load_dwordx2 v[48:49], v[42:43], off offset:1024
	global_load_dwordx2 v[46:47], v[44:45], off offset:1024
	;; [unrolled: 7-line block ×3, first 2 shown]
	s_waitcnt vmcnt(3)
	v_fmac_f64_e32 v[8:9], v[20:21], v[62:63]
	s_waitcnt vmcnt(2)
	v_fmac_f64_e32 v[8:9], v[18:19], v[64:65]
	;; [unrolled: 2-line block ×4, first 2 shown]
	s_branch .LBB54_13
.LBB54_22:
	s_or_b64 exec, exec, s[24:25]
.LBB54_23:
	s_or_b64 exec, exec, s[22:23]
	s_sub_i32 s0, s17, s38
	s_cmp_lt_i32 s0, 1
	s_cbranch_scc1 .LBB54_41
; %bb.24:
	v_mov_b64_e32 v[10:11], 0
	v_cmp_gt_i32_e32 vcc, s17, v56
	v_or_b32_e32 v20, 1, v56
	v_mov_b64_e32 v[16:17], v[10:11]
	v_mov_b64_e32 v[14:15], v[10:11]
	;; [unrolled: 1-line block ×3, first 2 shown]
	s_and_saveexec_b64 s[2:3], vcc
	s_cbranch_execz .LBB54_32
; %bb.25:
	v_mul_lo_u32 v10, v56, s36
	v_ashrrev_i32_e32 v11, 31, v10
	v_lshl_add_u64 v[10:11], v[10:11], 3, s[8:9]
	global_load_dwordx2 v[12:13], v[10:11], off
	v_mov_b64_e32 v[14:15], 0
	v_cmp_gt_i32_e64 s[0:1], s17, v20
	v_mov_b64_e32 v[16:17], v[14:15]
	v_mov_b64_e32 v[10:11], v[14:15]
	s_and_saveexec_b64 s[4:5], s[0:1]
	s_cbranch_execz .LBB54_31
; %bb.26:
	v_mul_lo_u32 v10, v20, s36
	v_ashrrev_i32_e32 v11, 31, v10
	v_lshl_add_u64 v[10:11], v[10:11], 3, s[8:9]
	global_load_dwordx2 v[14:15], v[10:11], off
	v_or_b32_e32 v18, 2, v56
	v_mov_b64_e32 v[16:17], 0
	v_cmp_gt_i32_e64 s[0:1], s17, v18
	v_mov_b64_e32 v[10:11], v[16:17]
	s_and_saveexec_b64 s[6:7], s[0:1]
	s_cbranch_execz .LBB54_30
; %bb.27:
	v_mul_lo_u32 v10, v18, s36
	v_ashrrev_i32_e32 v11, 31, v10
	v_lshl_add_u64 v[10:11], v[10:11], 3, s[8:9]
	global_load_dwordx2 v[16:17], v[10:11], off
	v_or_b32_e32 v18, 3, v56
	v_cmp_gt_i32_e64 s[0:1], s17, v18
	v_mov_b64_e32 v[10:11], 0
	s_and_saveexec_b64 s[22:23], s[0:1]
	s_cbranch_execz .LBB54_29
; %bb.28:
	v_mul_lo_u32 v10, v18, s36
	v_ashrrev_i32_e32 v11, 31, v10
	v_lshl_add_u64 v[10:11], v[10:11], 3, s[8:9]
	global_load_dwordx2 v[10:11], v[10:11], off
.LBB54_29:
	s_or_b64 exec, exec, s[22:23]
.LBB54_30:
	s_or_b64 exec, exec, s[6:7]
.LBB54_31:
	s_or_b64 exec, exec, s[4:5]
.LBB54_32:
	s_or_b64 exec, exec, s[2:3]
	v_cmp_gt_i32_e64 s[0:1], s16, v55
	s_and_saveexec_b64 s[2:3], s[0:1]
	s_cbranch_execz .LBB54_40
; %bb.33:
	v_mul_lo_u32 v18, v56, s35
	v_cndmask_b32_e32 v18, 0, v18, vcc
	v_mul_lo_u32 v21, v20, s35
	v_cmp_gt_i32_e32 vcc, s17, v20
	v_add_u32_e32 v18, v18, v55
	v_ashrrev_i32_e32 v19, 31, v18
	v_cndmask_b32_e32 v20, 0, v21, vcc
	v_add_u32_e32 v20, v20, v55
	v_ashrrev_i32_e32 v21, 31, v20
	v_lshl_add_u64 v[22:23], v[20:21], 3, s[20:21]
	v_or_b32_e32 v20, 2, v56
	v_mul_lo_u32 v21, v20, s35
	v_cmp_gt_i32_e32 vcc, s17, v20
	v_lshl_add_u64 v[18:19], v[18:19], 3, s[20:21]
	v_add_u32_e32 v34, 64, v55
	v_cndmask_b32_e32 v20, 0, v21, vcc
	v_add_u32_e32 v20, v20, v55
	v_ashrrev_i32_e32 v21, 31, v20
	v_lshl_add_u64 v[24:25], v[20:21], 3, s[20:21]
	v_or_b32_e32 v20, 3, v56
	v_mul_lo_u32 v21, v20, s35
	v_cmp_gt_i32_e32 vcc, s17, v20
	global_load_dwordx2 v[28:29], v[18:19], off
	global_load_dwordx2 v[30:31], v[22:23], off
	;; [unrolled: 1-line block ×3, first 2 shown]
	v_cndmask_b32_e32 v20, 0, v21, vcc
	v_add_u32_e32 v20, v20, v55
	v_ashrrev_i32_e32 v21, 31, v20
	v_lshl_add_u64 v[26:27], v[20:21], 3, s[20:21]
	global_load_dwordx2 v[20:21], v[26:27], off
	v_cmp_gt_i32_e32 vcc, s16, v34
	s_waitcnt vmcnt(3)
	v_fmac_f64_e32 v[0:1], v[12:13], v[28:29]
	s_waitcnt vmcnt(2)
	v_fmac_f64_e32 v[0:1], v[14:15], v[30:31]
	;; [unrolled: 2-line block ×3, first 2 shown]
	s_and_saveexec_b64 s[0:1], vcc
	s_cbranch_execz .LBB54_39
; %bb.34:
	global_load_dwordx2 v[30:31], v[18:19], off offset:512
	global_load_dwordx2 v[32:33], v[22:23], off offset:512
	;; [unrolled: 1-line block ×4, first 2 shown]
	v_add_u32_e32 v36, 0x80, v55
	v_cmp_gt_i32_e32 vcc, s16, v36
	s_waitcnt vmcnt(3)
	v_fmac_f64_e32 v[4:5], v[12:13], v[30:31]
	s_waitcnt vmcnt(2)
	v_fmac_f64_e32 v[4:5], v[14:15], v[32:33]
	;; [unrolled: 2-line block ×3, first 2 shown]
	s_and_saveexec_b64 s[4:5], vcc
	s_cbranch_execz .LBB54_38
; %bb.35:
	global_load_dwordx2 v[32:33], v[18:19], off offset:1024
	global_load_dwordx2 v[34:35], v[22:23], off offset:1024
	;; [unrolled: 1-line block ×4, first 2 shown]
	v_add_u32_e32 v38, 0xc0, v55
	v_cmp_gt_i32_e32 vcc, s16, v38
	s_waitcnt vmcnt(3)
	v_fmac_f64_e32 v[6:7], v[12:13], v[32:33]
	s_waitcnt vmcnt(2)
	v_fmac_f64_e32 v[6:7], v[14:15], v[34:35]
	;; [unrolled: 2-line block ×3, first 2 shown]
	s_and_saveexec_b64 s[6:7], vcc
	s_cbranch_execz .LBB54_37
; %bb.36:
	global_load_dwordx2 v[32:33], v[18:19], off offset:1536
	global_load_dwordx2 v[34:35], v[22:23], off offset:1536
	;; [unrolled: 1-line block ×4, first 2 shown]
	s_waitcnt vmcnt(3)
	v_fmac_f64_e32 v[8:9], v[12:13], v[32:33]
	s_waitcnt vmcnt(2)
	v_fmac_f64_e32 v[8:9], v[14:15], v[34:35]
	;; [unrolled: 2-line block ×4, first 2 shown]
.LBB54_37:
	s_or_b64 exec, exec, s[6:7]
	s_waitcnt vmcnt(0)
	v_fmac_f64_e32 v[6:7], v[10:11], v[30:31]
.LBB54_38:
	s_or_b64 exec, exec, s[4:5]
	s_waitcnt vmcnt(0)
	v_fmac_f64_e32 v[4:5], v[10:11], v[28:29]
.LBB54_39:
	s_or_b64 exec, exec, s[0:1]
	s_waitcnt vmcnt(0)
	v_fmac_f64_e32 v[0:1], v[10:11], v[20:21]
.LBB54_40:
	s_or_b64 exec, exec, s[2:3]
.LBB54_41:
	s_waitcnt vmcnt(0)
	v_lshlrev_b32_e32 v10, 8, v54
	s_movk_i32 s0, 0x100
	v_add_lshl_u32 v2, v10, v2, 3
	v_cmp_gt_u32_e32 vcc, s0, v3
	ds_write2st64_b64 v2, v[0:1], v[4:5] offset1:1
	ds_write2st64_b64 v2, v[6:7], v[8:9] offset0:2 offset1:3
	s_waitcnt lgkmcnt(0)
	s_barrier
	s_waitcnt lgkmcnt(0)
                                        ; implicit-def: $vgpr0_vgpr1
                                        ; implicit-def: $vgpr4_vgpr5
	s_and_saveexec_b64 s[0:1], vcc
	s_cbranch_execz .LBB54_47
; %bb.42:
	v_lshlrev_b32_e32 v4, 3, v3
	ds_read2st64_b64 v[8:11], v4 offset1:4
	ds_read2st64_b64 v[12:15], v4 offset0:8 offset1:12
	v_or_b32_e32 v6, s34, v3
	v_cmp_gt_i32_e32 vcc, s16, v6
	s_mov_b64 s[4:5], s[18:19]
	s_waitcnt lgkmcnt(1)
	v_add_f64 v[0:1], v[8:9], v[10:11]
	s_waitcnt lgkmcnt(0)
	v_add_f64 v[0:1], v[12:13], v[0:1]
	v_add_f64 v[2:3], v[14:15], v[0:1]
	ds_write_b64 v4, v[2:3]
                                        ; implicit-def: $vgpr0_vgpr1
                                        ; implicit-def: $vgpr4_vgpr5
	s_and_saveexec_b64 s[2:3], vcc
	s_cbranch_execz .LBB54_46
; %bb.43:
	v_cmp_eq_f64_e64 s[4:5], s[10:11], 0
	v_mul_lo_u32 v4, v6, s33
	v_mul_f64 v[0:1], v[2:3], s[14:15]
	v_ashrrev_i32_e32 v5, 31, v4
	s_and_b64 vcc, exec, s[4:5]
	s_cbranch_vccnz .LBB54_45
; %bb.44:
	v_lshl_add_u64 v[2:3], v[4:5], 3, s[12:13]
	global_load_dwordx2 v[2:3], v[2:3], off
	s_waitcnt vmcnt(0)
	v_fmac_f64_e32 v[0:1], s[10:11], v[2:3]
.LBB54_45:
	s_or_b64 s[4:5], s[18:19], exec
.LBB54_46:
	s_or_b64 exec, exec, s[2:3]
	s_andn2_b64 s[2:3], s[18:19], exec
	s_and_b64 s[4:5], s[4:5], exec
	s_or_b64 s[18:19], s[2:3], s[4:5]
.LBB54_47:
	s_or_b64 exec, exec, s[0:1]
.LBB54_48:
	s_and_saveexec_b64 s[0:1], s[18:19]
	s_cbranch_execz .LBB54_50
; %bb.49:
	v_lshl_add_u64 v[2:3], v[4:5], 3, s[12:13]
	global_store_dwordx2 v[2:3], v[0:1], off
.LBB54_50:
	s_endpgm
	.section	.rodata,"a",@progbits
	.p2align	6, 0x0
	.amdhsa_kernel _ZL20rocblas_gemvn_kernelILi64ELi4EidddEviiT3_lPKT2_lT1_lS3_lS4_lS0_lPT4_lS4_li
		.amdhsa_group_segment_fixed_size 8192
		.amdhsa_private_segment_fixed_size 0
		.amdhsa_kernarg_size 400
		.amdhsa_user_sgpr_count 2
		.amdhsa_user_sgpr_dispatch_ptr 0
		.amdhsa_user_sgpr_queue_ptr 0
		.amdhsa_user_sgpr_kernarg_segment_ptr 1
		.amdhsa_user_sgpr_dispatch_id 0
		.amdhsa_user_sgpr_kernarg_preload_length 0
		.amdhsa_user_sgpr_kernarg_preload_offset 0
		.amdhsa_user_sgpr_private_segment_size 0
		.amdhsa_uses_dynamic_stack 0
		.amdhsa_enable_private_segment 0
		.amdhsa_system_sgpr_workgroup_id_x 1
		.amdhsa_system_sgpr_workgroup_id_y 0
		.amdhsa_system_sgpr_workgroup_id_z 1
		.amdhsa_system_sgpr_workgroup_info 0
		.amdhsa_system_vgpr_workitem_id 1
		.amdhsa_next_free_vgpr 70
		.amdhsa_next_free_sgpr 41
		.amdhsa_accum_offset 72
		.amdhsa_reserve_vcc 1
		.amdhsa_float_round_mode_32 0
		.amdhsa_float_round_mode_16_64 0
		.amdhsa_float_denorm_mode_32 3
		.amdhsa_float_denorm_mode_16_64 3
		.amdhsa_dx10_clamp 1
		.amdhsa_ieee_mode 1
		.amdhsa_fp16_overflow 0
		.amdhsa_tg_split 0
		.amdhsa_exception_fp_ieee_invalid_op 0
		.amdhsa_exception_fp_denorm_src 0
		.amdhsa_exception_fp_ieee_div_zero 0
		.amdhsa_exception_fp_ieee_overflow 0
		.amdhsa_exception_fp_ieee_underflow 0
		.amdhsa_exception_fp_ieee_inexact 0
		.amdhsa_exception_int_div_zero 0
	.end_amdhsa_kernel
	.section	.text._ZL20rocblas_gemvn_kernelILi64ELi4EidddEviiT3_lPKT2_lT1_lS3_lS4_lS0_lPT4_lS4_li,"axG",@progbits,_ZL20rocblas_gemvn_kernelILi64ELi4EidddEviiT3_lPKT2_lT1_lS3_lS4_lS0_lPT4_lS4_li,comdat
.Lfunc_end54:
	.size	_ZL20rocblas_gemvn_kernelILi64ELi4EidddEviiT3_lPKT2_lT1_lS3_lS4_lS0_lPT4_lS4_li, .Lfunc_end54-_ZL20rocblas_gemvn_kernelILi64ELi4EidddEviiT3_lPKT2_lT1_lS3_lS4_lS0_lPT4_lS4_li
                                        ; -- End function
	.section	.AMDGPU.csdata,"",@progbits
; Kernel info:
; codeLenInByte = 2256
; NumSgprs: 47
; NumVgprs: 70
; NumAgprs: 0
; TotalNumVgprs: 70
; ScratchSize: 0
; MemoryBound: 0
; FloatMode: 240
; IeeeMode: 1
; LDSByteSize: 8192 bytes/workgroup (compile time only)
; SGPRBlocks: 5
; VGPRBlocks: 8
; NumSGPRsForWavesPerEU: 47
; NumVGPRsForWavesPerEU: 70
; AccumOffset: 72
; Occupancy: 7
; WaveLimiterHint : 1
; COMPUTE_PGM_RSRC2:SCRATCH_EN: 0
; COMPUTE_PGM_RSRC2:USER_SGPR: 2
; COMPUTE_PGM_RSRC2:TRAP_HANDLER: 0
; COMPUTE_PGM_RSRC2:TGID_X_EN: 1
; COMPUTE_PGM_RSRC2:TGID_Y_EN: 0
; COMPUTE_PGM_RSRC2:TGID_Z_EN: 1
; COMPUTE_PGM_RSRC2:TIDIG_COMP_CNT: 1
; COMPUTE_PGM_RSRC3_GFX90A:ACCUM_OFFSET: 17
; COMPUTE_PGM_RSRC3_GFX90A:TG_SPLIT: 0
	.section	.text._ZL20rocblas_gemvn_kernelILi64ELi4EldddEviiT3_lPKT2_lT1_lS3_lS4_lS0_lPT4_lS4_li,"axG",@progbits,_ZL20rocblas_gemvn_kernelILi64ELi4EldddEviiT3_lPKT2_lT1_lS3_lS4_lS0_lPT4_lS4_li,comdat
	.globl	_ZL20rocblas_gemvn_kernelILi64ELi4EldddEviiT3_lPKT2_lT1_lS3_lS4_lS0_lPT4_lS4_li ; -- Begin function _ZL20rocblas_gemvn_kernelILi64ELi4EldddEviiT3_lPKT2_lT1_lS3_lS4_lS0_lPT4_lS4_li
	.p2align	8
	.type	_ZL20rocblas_gemvn_kernelILi64ELi4EldddEviiT3_lPKT2_lT1_lS3_lS4_lS0_lPT4_lS4_li,@function
_ZL20rocblas_gemvn_kernelILi64ELi4EldddEviiT3_lPKT2_lT1_lS3_lS4_lS0_lPT4_lS4_li: ; @_ZL20rocblas_gemvn_kernelILi64ELi4EldddEviiT3_lPKT2_lT1_lS3_lS4_lS0_lPT4_lS4_li
; %bb.0:
	s_load_dwordx2 s[4:5], s[0:1], 0x9c
	s_waitcnt lgkmcnt(0)
	s_lshr_b32 s6, s4, 16
	s_and_b32 s4, s4, 0xffff
	s_and_b32 s5, s5, 0xffff
	s_mul_i32 s4, s6, s4
	s_mul_i32 s4, s4, s5
	s_cmpk_lg_i32 s4, 0x100
	s_cbranch_scc1 .LBB55_50
; %bb.1:
	s_load_dwordx2 s[30:31], s[0:1], 0x8
	s_load_dwordx2 s[28:29], s[0:1], 0x58
	s_waitcnt lgkmcnt(0)
	v_cmp_eq_f64_e64 s[4:5], s[30:31], 0
	v_cmp_eq_f64_e64 s[6:7], s[28:29], 1.0
	s_and_b64 s[4:5], s[4:5], s[6:7]
	s_and_b64 vcc, exec, s[4:5]
	s_cbranch_vccnz .LBB55_50
; %bb.2:
	s_load_dwordx8 s[20:27], s[0:1], 0x68
	s_load_dwordx2 s[34:35], s[0:1], 0x0
	v_and_b32_e32 v69, 0x3ff, v0
	v_bfe_u32 v70, v0, 10, 10
	v_lshl_add_u32 v68, v70, 6, v69
	s_waitcnt lgkmcnt(0)
	s_mul_i32 s5, s3, s27
	s_mul_hi_u32 s6, s3, s26
	s_mul_i32 s4, s3, s26
	s_add_i32 s5, s6, s5
	s_lshl_b64 s[4:5], s[4:5], 3
	s_add_u32 s6, s20, s4
	s_addc_u32 s7, s21, s5
	s_lshl_b64 s[4:5], s[22:23], 3
	s_add_u32 s26, s6, s4
	s_addc_u32 s27, s7, s5
	v_cmp_neq_f64_e64 s[4:5], s[30:31], 0
	s_mov_b64 s[36:37], 0
	s_and_b64 vcc, exec, s[4:5]
	s_cbranch_vccnz .LBB55_9
; %bb.3:
	s_movk_i32 s4, 0x100
	v_cmp_gt_u32_e32 vcc, s4, v68
	s_mov_b64 s[4:5], 0
                                        ; implicit-def: $vgpr0_vgpr1
                                        ; implicit-def: $vgpr2_vgpr3
	s_and_saveexec_b64 s[6:7], vcc
	s_cbranch_execz .LBB55_10
; %bb.4:
	v_lshl_or_b32 v4, s2, 8, v68
	v_mov_b32_e32 v5, 0
	s_ashr_i32 s9, s34, 31
	s_mov_b32 s8, s34
	v_cmp_gt_i64_e32 vcc, s[8:9], v[4:5]
	s_mov_b64 s[10:11], 0
                                        ; implicit-def: $vgpr0_vgpr1
                                        ; implicit-def: $vgpr2_vgpr3
	s_and_saveexec_b64 s[8:9], vcc
	s_cbranch_execz .LBB55_8
; %bb.5:
	v_mad_u64_u32 v[2:3], s[12:13], v4, s24, 0
	v_mov_b32_e32 v6, v3
	v_cmp_eq_f64_e64 s[10:11], s[28:29], 0
	v_mad_u64_u32 v[4:5], s[12:13], v4, s25, v[6:7]
	v_mov_b64_e32 v[0:1], 0
	v_mov_b32_e32 v3, v4
	s_and_b64 vcc, exec, s[10:11]
	s_cbranch_vccnz .LBB55_7
; %bb.6:
	v_lshl_add_u64 v[0:1], v[2:3], 3, s[26:27]
	global_load_dwordx2 v[0:1], v[0:1], off
	s_waitcnt vmcnt(0)
	v_mul_f64 v[0:1], v[0:1], s[28:29]
.LBB55_7:
	s_mov_b64 s[10:11], exec
.LBB55_8:
	s_or_b64 exec, exec, s[8:9]
	s_and_b64 s[36:37], s[10:11], exec
	s_or_b64 exec, exec, s[6:7]
	s_and_b64 vcc, exec, s[4:5]
	s_cbranch_vccnz .LBB55_11
	s_branch .LBB55_48
.LBB55_9:
                                        ; implicit-def: $vgpr0_vgpr1
                                        ; implicit-def: $vgpr2_vgpr3
	s_cbranch_execnz .LBB55_11
	s_branch .LBB55_48
.LBB55_10:
	s_or_b64 exec, exec, s[6:7]
	s_and_b64 vcc, exec, s[4:5]
	s_cbranch_vccz .LBB55_48
.LBB55_11:
	s_load_dwordx16 s[8:23], s[0:1], 0x18
	s_lshl_b32 s33, s2, 8
	v_lshlrev_b32_e32 v71, 2, v70
	v_mov_b64_e32 v[2:3], 0
	v_add_u32_e32 v0, s33, v69
	s_waitcnt lgkmcnt(0)
	s_mul_i32 s0, s3, s15
	s_mul_hi_u32 s1, s3, s14
	s_add_i32 s15, s1, s0
	s_ashr_i32 s0, s35, 31
	s_lshr_b32 s0, s0, 28
	s_add_i32 s0, s35, s0
	s_mul_i32 s4, s3, s23
	s_mul_hi_u32 s5, s3, s22
	s_and_b32 s54, s0, -16
	s_mul_i32 s14, s3, s14
	s_add_i32 s23, s5, s4
	s_mul_i32 s22, s3, s22
	v_cmp_gt_i32_e32 vcc, s54, v71
	v_mov_b64_e32 v[4:5], v[2:3]
	v_mov_b64_e32 v[6:7], v[2:3]
	;; [unrolled: 1-line block ×3, first 2 shown]
	s_and_saveexec_b64 s[38:39], vcc
	s_cbranch_execz .LBB55_23
; %bb.12:
	v_add_u32_e32 v2, 64, v0
	v_cmp_gt_i32_e64 s[0:1], s34, v2
	v_add_u32_e32 v2, 0x80, v0
	v_cmp_gt_i32_e64 s[2:3], s34, v2
	;; [unrolled: 2-line block ×3, first 2 shown]
	v_mad_u64_u32 v[2:3], s[6:7], s20, v70, 0
	v_mov_b32_e32 v4, v3
	v_mad_u64_u32 v[4:5], s[6:7], s21, v70, v[4:5]
	v_ashrrev_i32_e32 v1, 31, v0
	s_lshl_b64 s[40:41], s[18:19], 3
	s_lshl_b64 s[6:7], s[22:23], 3
	v_mov_b32_e32 v3, v4
	s_add_u32 s6, s16, s6
	v_lshlrev_b64 v[12:13], 3, v[0:1]
	v_lshlrev_b32_e32 v1, 2, v70
	v_lshlrev_b64 v[2:3], 5, v[2:3]
	s_addc_u32 s7, s17, s7
	v_or_b32_e32 v6, 3, v1
	v_lshl_add_u64 v[10:11], s[6:7], 0, v[2:3]
	v_mad_u64_u32 v[2:3], s[44:45], s12, v6, 0
	v_mov_b32_e32 v4, v3
	v_mad_u64_u32 v[4:5], s[44:45], s13, v6, v[4:5]
	s_lshl_b64 s[42:43], s[20:21], 7
	s_lshl_b64 s[44:45], s[14:15], 3
	;; [unrolled: 1-line block ×3, first 2 shown]
	s_add_u32 s46, s8, s46
	s_addc_u32 s47, s9, s47
	s_add_u32 s46, s46, s44
	v_mov_b32_e32 v3, v4
	s_addc_u32 s47, s47, s45
	v_lshl_add_u64 v[14:15], v[2:3], 3, s[46:47]
	v_mad_u64_u32 v[2:3], s[48:49], s20, v6, 0
	v_mov_b32_e32 v4, v3
	v_mad_u64_u32 v[4:5], s[48:49], s21, v6, v[4:5]
	v_mov_b32_e32 v3, v4
	v_lshl_add_u64 v[16:17], v[2:3], 3, s[6:7]
	v_mad_u64_u32 v[2:3], s[48:49], s12, v70, 0
	v_mov_b32_e32 v4, v3
	v_mad_u64_u32 v[4:5], s[48:49], s13, v70, v[4:5]
	v_mov_b32_e32 v3, v4
	v_lshlrev_b64 v[2:3], 5, v[2:3]
	v_or_b32_e32 v6, 2, v1
	v_lshl_add_u64 v[18:19], s[46:47], 0, v[2:3]
	v_mad_u64_u32 v[2:3], s[48:49], s12, v6, 0
	v_mov_b32_e32 v4, v3
	v_mad_u64_u32 v[4:5], s[48:49], s13, v6, v[4:5]
	v_mov_b32_e32 v3, v4
	v_lshl_add_u64 v[20:21], v[2:3], 3, s[46:47]
	v_mad_u64_u32 v[2:3], s[48:49], s20, v6, 0
	v_mov_b32_e32 v4, v3
	v_mad_u64_u32 v[4:5], s[48:49], s21, v6, v[4:5]
	v_mov_b32_e32 v3, v4
	v_lshl_add_u64 v[22:23], v[2:3], 3, s[6:7]
	v_mov_b64_e32 v[2:3], s[20:21]
	v_mad_u64_u32 v[2:3], s[48:49], s20, v1, v[2:3]
	v_mov_b32_e32 v4, v3
	v_mad_u64_u32 v[4:5], s[48:49], s21, v1, v[4:5]
	v_mov_b32_e32 v3, v4
	v_lshl_add_u64 v[24:25], v[2:3], 3, s[6:7]
	v_mov_b64_e32 v[2:3], s[12:13]
	;; [unrolled: 6-line block ×3, first 2 shown]
	v_cmp_gt_i32_e32 vcc, s34, v0
	s_lshl_b64 s[44:45], s[12:13], 7
	s_mov_b64 s[46:47], 0
	v_mov_b64_e32 v[4:5], v[2:3]
	v_mov_b64_e32 v[6:7], v[2:3]
	;; [unrolled: 1-line block ×3, first 2 shown]
	s_branch .LBB55_17
.LBB55_13:                              ;   in Loop: Header=BB55_17 Depth=1
	s_or_b64 exec, exec, s[52:53]
	s_waitcnt vmcnt(3)
	v_fmac_f64_e32 v[6:7], v[28:29], v[66:67]
	s_waitcnt vmcnt(2)
	v_fmac_f64_e32 v[6:7], v[30:31], v[64:65]
	s_waitcnt vmcnt(1)
	v_fmac_f64_e32 v[6:7], v[32:33], v[62:63]
	s_waitcnt vmcnt(0)
	v_fmac_f64_e32 v[6:7], v[34:35], v[60:61]
.LBB55_14:                              ;   in Loop: Header=BB55_17 Depth=1
	s_or_b64 exec, exec, s[50:51]
	s_waitcnt vmcnt(3)
	v_fmac_f64_e32 v[4:5], v[28:29], v[50:51]
	s_waitcnt vmcnt(2)
	v_fmac_f64_e32 v[4:5], v[30:31], v[48:49]
	;; [unrolled: 2-line block ×4, first 2 shown]
.LBB55_15:                              ;   in Loop: Header=BB55_17 Depth=1
	s_or_b64 exec, exec, s[48:49]
	s_waitcnt vmcnt(3)
	v_fmac_f64_e32 v[2:3], v[28:29], v[36:37]
	s_waitcnt vmcnt(2)
	v_fmac_f64_e32 v[2:3], v[30:31], v[38:39]
	;; [unrolled: 2-line block ×4, first 2 shown]
.LBB55_16:                              ;   in Loop: Header=BB55_17 Depth=1
	s_or_b64 exec, exec, s[6:7]
	v_add_u32_e32 v71, 16, v71
	v_cmp_le_i32_e64 s[6:7], s54, v71
	v_lshl_add_u64 v[10:11], v[10:11], 0, s[42:43]
	v_lshl_add_u64 v[14:15], v[14:15], 0, s[44:45]
	;; [unrolled: 1-line block ×7, first 2 shown]
	s_or_b64 s[46:47], s[6:7], s[46:47]
	v_lshl_add_u64 v[26:27], v[26:27], 0, s[44:45]
	s_andn2_b64 exec, exec, s[46:47]
	s_cbranch_execz .LBB55_22
.LBB55_17:                              ; =>This Inner Loop Header: Depth=1
	s_and_saveexec_b64 s[6:7], vcc
	s_cbranch_execz .LBB55_16
; %bb.18:                               ;   in Loop: Header=BB55_17 Depth=1
	v_lshl_add_u64 v[28:29], v[10:11], 0, s[40:41]
	v_lshl_add_u64 v[30:31], v[24:25], 0, s[40:41]
	;; [unrolled: 1-line block ×8, first 2 shown]
	global_load_dwordx2 v[28:29], v[28:29], off
	s_nop 0
	global_load_dwordx2 v[30:31], v[30:31], off
	s_nop 0
	;; [unrolled: 2-line block ×4, first 2 shown]
	global_load_dwordx2 v[36:37], v[58:59], off
	global_load_dwordx2 v[38:39], v[56:57], off
	;; [unrolled: 1-line block ×4, first 2 shown]
	s_and_saveexec_b64 s[48:49], s[0:1]
	s_cbranch_execz .LBB55_15
; %bb.19:                               ;   in Loop: Header=BB55_17 Depth=1
	global_load_dwordx2 v[50:51], v[58:59], off offset:512
	global_load_dwordx2 v[48:49], v[56:57], off offset:512
	;; [unrolled: 1-line block ×4, first 2 shown]
	s_and_saveexec_b64 s[50:51], s[2:3]
	s_cbranch_execz .LBB55_14
; %bb.20:                               ;   in Loop: Header=BB55_17 Depth=1
	global_load_dwordx2 v[66:67], v[58:59], off offset:1024
	global_load_dwordx2 v[64:65], v[56:57], off offset:1024
	;; [unrolled: 1-line block ×4, first 2 shown]
	s_and_saveexec_b64 s[52:53], s[4:5]
	s_cbranch_execz .LBB55_13
; %bb.21:                               ;   in Loop: Header=BB55_17 Depth=1
	global_load_dwordx2 v[58:59], v[58:59], off offset:1536
	s_nop 0
	global_load_dwordx2 v[56:57], v[56:57], off offset:1536
	s_nop 0
	;; [unrolled: 2-line block ×3, first 2 shown]
	global_load_dwordx2 v[52:53], v[52:53], off offset:1536
	s_waitcnt vmcnt(3)
	v_fmac_f64_e32 v[8:9], v[28:29], v[58:59]
	s_waitcnt vmcnt(2)
	v_fmac_f64_e32 v[8:9], v[30:31], v[56:57]
	;; [unrolled: 2-line block ×4, first 2 shown]
	s_branch .LBB55_13
.LBB55_22:
	s_or_b64 exec, exec, s[46:47]
.LBB55_23:
	s_or_b64 exec, exec, s[38:39]
	s_sub_i32 s0, s35, s54
	s_cmp_lt_i32 s0, 1
	s_cbranch_scc1 .LBB55_41
; %bb.24:
	v_mov_b64_e32 v[12:13], 0
	v_cmp_gt_i32_e32 vcc, s35, v71
	v_or_b32_e32 v20, 1, v71
	v_mov_b64_e32 v[16:17], v[12:13]
	v_mov_b64_e32 v[14:15], v[12:13]
	;; [unrolled: 1-line block ×3, first 2 shown]
	s_and_saveexec_b64 s[2:3], vcc
	s_cbranch_execz .LBB55_32
; %bb.25:
	s_lshl_b64 s[0:1], s[22:23], 3
	s_add_u32 s4, s16, s0
	s_addc_u32 s5, s17, s1
	s_lshl_b64 s[0:1], s[18:19], 3
	s_add_u32 s4, s4, s0
	s_addc_u32 s5, s5, s1
	v_mad_u64_u32 v[10:11], s[0:1], v71, s20, 0
	v_mov_b32_e32 v12, v11
	v_mad_u64_u32 v[12:13], s[0:1], v71, s21, v[12:13]
	v_mov_b32_e32 v11, v12
	v_lshl_add_u64 v[10:11], v[10:11], 3, s[4:5]
	global_load_dwordx2 v[10:11], v[10:11], off
	v_mov_b64_e32 v[14:15], 0
	v_cmp_gt_i32_e64 s[0:1], s35, v20
	v_mov_b64_e32 v[16:17], v[14:15]
	v_mov_b64_e32 v[12:13], v[14:15]
	s_and_saveexec_b64 s[6:7], s[0:1]
	s_cbranch_execz .LBB55_31
; %bb.26:
	v_mad_u64_u32 v[12:13], s[0:1], v20, s20, 0
	v_mov_b32_e32 v14, v13
	v_mad_u64_u32 v[14:15], s[0:1], v20, s21, v[14:15]
	v_mov_b32_e32 v13, v14
	v_lshl_add_u64 v[12:13], v[12:13], 3, s[4:5]
	global_load_dwordx2 v[14:15], v[12:13], off
	v_or_b32_e32 v1, 2, v71
	v_mov_b64_e32 v[16:17], 0
	v_cmp_gt_i32_e64 s[0:1], s35, v1
	v_mov_b64_e32 v[12:13], v[16:17]
	s_and_saveexec_b64 s[16:17], s[0:1]
	s_cbranch_execz .LBB55_30
; %bb.27:
	v_mad_u64_u32 v[12:13], s[0:1], v1, s20, 0
	v_mov_b32_e32 v16, v13
	v_mad_u64_u32 v[16:17], s[0:1], v1, s21, v[16:17]
	v_mov_b32_e32 v13, v16
	v_lshl_add_u64 v[12:13], v[12:13], 3, s[4:5]
	global_load_dwordx2 v[16:17], v[12:13], off
	v_or_b32_e32 v1, 3, v71
	v_cmp_gt_i32_e64 s[0:1], s35, v1
	v_mov_b64_e32 v[12:13], 0
	s_and_saveexec_b64 s[18:19], s[0:1]
	s_cbranch_execz .LBB55_29
; %bb.28:
	v_mad_u64_u32 v[12:13], s[0:1], v1, s20, 0
	v_mov_b32_e32 v18, v13
	v_mad_u64_u32 v[18:19], s[0:1], v1, s21, v[18:19]
	v_mov_b32_e32 v13, v18
	v_lshl_add_u64 v[12:13], v[12:13], 3, s[4:5]
	global_load_dwordx2 v[12:13], v[12:13], off
.LBB55_29:
	s_or_b64 exec, exec, s[18:19]
.LBB55_30:
	s_or_b64 exec, exec, s[16:17]
.LBB55_31:
	s_or_b64 exec, exec, s[6:7]
.LBB55_32:
	s_or_b64 exec, exec, s[2:3]
	v_cmp_gt_i32_e64 s[0:1], s34, v0
	s_and_saveexec_b64 s[2:3], s[0:1]
	s_cbranch_execz .LBB55_40
; %bb.33:
	s_lshl_b64 s[0:1], s[14:15], 3
	s_add_u32 s4, s8, s0
	s_addc_u32 s5, s9, s1
	s_lshl_b64 s[0:1], s[10:11], 3
	s_add_u32 s0, s4, s0
	s_addc_u32 s1, s5, s1
	v_mad_u64_u32 v[18:19], s[4:5], v71, s12, 0
	v_mov_b32_e32 v22, v19
	v_ashrrev_i32_e32 v1, 31, v0
	v_mad_u64_u32 v[22:23], s[4:5], v71, s13, v[22:23]
	v_mad_u64_u32 v[24:25], s[4:5], v20, s12, 0
	v_cndmask_b32_e32 v18, 0, v18, vcc
	v_cndmask_b32_e32 v19, 0, v22, vcc
	v_lshlrev_b64 v[22:23], 3, v[0:1]
	v_mov_b32_e32 v26, v25
	v_cmp_gt_i32_e32 vcc, s35, v20
	v_or_b32_e32 v1, 2, v71
	v_mad_u64_u32 v[26:27], s[4:5], v20, s13, v[26:27]
	v_cndmask_b32_e32 v20, 0, v24, vcc
	v_mad_u64_u32 v[24:25], s[4:5], v1, s12, 0
	v_cndmask_b32_e32 v21, 0, v26, vcc
	v_mov_b32_e32 v26, v25
	v_mad_u64_u32 v[26:27], s[4:5], v1, s13, v[26:27]
	v_cmp_gt_i32_e32 vcc, s35, v1
	v_or_b32_e32 v1, 3, v71
	v_lshl_add_u64 v[18:19], v[18:19], 3, s[0:1]
	v_cndmask_b32_e32 v25, 0, v26, vcc
	v_mad_u64_u32 v[26:27], s[4:5], v1, s12, 0
	v_mov_b32_e32 v28, v27
	v_cndmask_b32_e32 v24, 0, v24, vcc
	v_mad_u64_u32 v[28:29], s[4:5], v1, s13, v[28:29]
	v_cmp_gt_i32_e32 vcc, s35, v1
	v_lshl_add_u64 v[18:19], v[18:19], 0, v[22:23]
	v_lshl_add_u64 v[20:21], v[20:21], 3, s[0:1]
	v_cndmask_b32_e32 v26, 0, v26, vcc
	v_cndmask_b32_e32 v27, 0, v28, vcc
	v_lshl_add_u64 v[24:25], v[24:25], 3, s[0:1]
	v_lshl_add_u64 v[26:27], v[26:27], 3, s[0:1]
	;; [unrolled: 1-line block ×4, first 2 shown]
	global_load_dwordx2 v[28:29], v[18:19], off
	global_load_dwordx2 v[30:31], v[20:21], off
	;; [unrolled: 1-line block ×3, first 2 shown]
	v_lshl_add_u64 v[26:27], v[26:27], 0, v[22:23]
	global_load_dwordx2 v[22:23], v[26:27], off
	v_add_u32_e32 v1, 64, v0
	v_cmp_gt_i32_e32 vcc, s34, v1
	s_waitcnt vmcnt(3)
	v_fmac_f64_e32 v[2:3], v[10:11], v[28:29]
	s_waitcnt vmcnt(2)
	v_fmac_f64_e32 v[2:3], v[14:15], v[30:31]
	s_waitcnt vmcnt(1)
	v_fmac_f64_e32 v[2:3], v[16:17], v[32:33]
	s_and_saveexec_b64 s[0:1], vcc
	s_cbranch_execz .LBB55_39
; %bb.34:
	global_load_dwordx2 v[30:31], v[18:19], off offset:512
	global_load_dwordx2 v[32:33], v[20:21], off offset:512
	global_load_dwordx2 v[34:35], v[24:25], off offset:512
	global_load_dwordx2 v[28:29], v[26:27], off offset:512
	v_add_u32_e32 v1, 0x80, v0
	v_cmp_gt_i32_e32 vcc, s34, v1
	s_waitcnt vmcnt(3)
	v_fmac_f64_e32 v[4:5], v[10:11], v[30:31]
	s_waitcnt vmcnt(2)
	v_fmac_f64_e32 v[4:5], v[14:15], v[32:33]
	s_waitcnt vmcnt(1)
	v_fmac_f64_e32 v[4:5], v[16:17], v[34:35]
	s_and_saveexec_b64 s[4:5], vcc
	s_cbranch_execz .LBB55_38
; %bb.35:
	global_load_dwordx2 v[32:33], v[18:19], off offset:1024
	global_load_dwordx2 v[34:35], v[20:21], off offset:1024
	global_load_dwordx2 v[36:37], v[24:25], off offset:1024
	global_load_dwordx2 v[30:31], v[26:27], off offset:1024
	;; [unrolled: 15-line block ×3, first 2 shown]
	s_waitcnt vmcnt(3)
	v_fmac_f64_e32 v[8:9], v[10:11], v[0:1]
	s_waitcnt vmcnt(2)
	v_fmac_f64_e32 v[8:9], v[14:15], v[32:33]
	s_waitcnt vmcnt(1)
	v_fmac_f64_e32 v[8:9], v[16:17], v[34:35]
	s_waitcnt vmcnt(0)
	v_fmac_f64_e32 v[8:9], v[12:13], v[36:37]
.LBB55_37:
	s_or_b64 exec, exec, s[6:7]
	s_waitcnt vmcnt(0)
	v_fmac_f64_e32 v[6:7], v[12:13], v[30:31]
.LBB55_38:
	s_or_b64 exec, exec, s[4:5]
	s_waitcnt vmcnt(0)
	v_fmac_f64_e32 v[4:5], v[12:13], v[28:29]
.LBB55_39:
	s_or_b64 exec, exec, s[0:1]
	s_waitcnt vmcnt(0)
	v_fmac_f64_e32 v[2:3], v[12:13], v[22:23]
.LBB55_40:
	s_or_b64 exec, exec, s[2:3]
.LBB55_41:
	v_lshlrev_b32_e32 v0, 8, v70
	s_movk_i32 s0, 0x100
	v_add_lshl_u32 v0, v0, v69, 3
	v_cmp_gt_u32_e32 vcc, s0, v68
	ds_write2st64_b64 v0, v[2:3], v[4:5] offset1:1
	ds_write2st64_b64 v0, v[6:7], v[8:9] offset0:2 offset1:3
	s_waitcnt lgkmcnt(0)
	s_barrier
	s_waitcnt lgkmcnt(0)
                                        ; implicit-def: $vgpr0_vgpr1
                                        ; implicit-def: $vgpr2_vgpr3
	s_and_saveexec_b64 s[0:1], vcc
	s_cbranch_execz .LBB55_47
; %bb.42:
	v_lshlrev_b32_e32 v7, 3, v68
	ds_read2st64_b64 v[0:3], v7 offset1:4
	s_waitcnt vmcnt(0)
	ds_read2st64_b64 v[8:11], v7 offset0:8 offset1:12
	v_or_b32_e32 v6, s33, v68
	v_cmp_gt_i32_e32 vcc, s34, v6
	s_mov_b64 s[4:5], s[36:37]
	s_waitcnt lgkmcnt(1)
	v_add_f64 v[0:1], v[0:1], v[2:3]
	s_waitcnt lgkmcnt(0)
	v_add_f64 v[0:1], v[8:9], v[0:1]
	v_add_f64 v[4:5], v[10:11], v[0:1]
	ds_write_b64 v7, v[4:5]
                                        ; implicit-def: $vgpr0_vgpr1
                                        ; implicit-def: $vgpr2_vgpr3
	s_and_saveexec_b64 s[2:3], vcc
	s_cbranch_execz .LBB55_46
; %bb.43:
	v_ashrrev_i32_e32 v2, 31, v6
	v_cmp_eq_f64_e64 s[4:5], s[28:29], 0
	v_mul_f64 v[0:1], v[4:5], s[30:31]
	v_mul_lo_u32 v4, v6, s25
	v_mul_lo_u32 v5, v2, s24
	v_mad_u64_u32 v[2:3], s[6:7], v6, s24, 0
	v_add3_u32 v3, v3, v4, v5
	s_and_b64 vcc, exec, s[4:5]
	s_cbranch_vccnz .LBB55_45
; %bb.44:
	v_lshl_add_u64 v[4:5], v[2:3], 3, s[26:27]
	global_load_dwordx2 v[4:5], v[4:5], off
	s_waitcnt vmcnt(0)
	v_fmac_f64_e32 v[0:1], s[28:29], v[4:5]
.LBB55_45:
	s_or_b64 s[4:5], s[36:37], exec
.LBB55_46:
	s_or_b64 exec, exec, s[2:3]
	s_andn2_b64 s[2:3], s[36:37], exec
	s_and_b64 s[4:5], s[4:5], exec
	s_or_b64 s[36:37], s[2:3], s[4:5]
.LBB55_47:
	s_or_b64 exec, exec, s[0:1]
.LBB55_48:
	s_and_saveexec_b64 s[0:1], s[36:37]
	s_cbranch_execz .LBB55_50
; %bb.49:
	v_lshl_add_u64 v[2:3], v[2:3], 3, s[26:27]
	global_store_dwordx2 v[2:3], v[0:1], off
.LBB55_50:
	s_endpgm
	.section	.rodata,"a",@progbits
	.p2align	6, 0x0
	.amdhsa_kernel _ZL20rocblas_gemvn_kernelILi64ELi4EldddEviiT3_lPKT2_lT1_lS3_lS4_lS0_lPT4_lS4_li
		.amdhsa_group_segment_fixed_size 8192
		.amdhsa_private_segment_fixed_size 0
		.amdhsa_kernarg_size 400
		.amdhsa_user_sgpr_count 2
		.amdhsa_user_sgpr_dispatch_ptr 0
		.amdhsa_user_sgpr_queue_ptr 0
		.amdhsa_user_sgpr_kernarg_segment_ptr 1
		.amdhsa_user_sgpr_dispatch_id 0
		.amdhsa_user_sgpr_kernarg_preload_length 0
		.amdhsa_user_sgpr_kernarg_preload_offset 0
		.amdhsa_user_sgpr_private_segment_size 0
		.amdhsa_uses_dynamic_stack 0
		.amdhsa_enable_private_segment 0
		.amdhsa_system_sgpr_workgroup_id_x 1
		.amdhsa_system_sgpr_workgroup_id_y 0
		.amdhsa_system_sgpr_workgroup_id_z 1
		.amdhsa_system_sgpr_workgroup_info 0
		.amdhsa_system_vgpr_workitem_id 1
		.amdhsa_next_free_vgpr 72
		.amdhsa_next_free_sgpr 55
		.amdhsa_accum_offset 72
		.amdhsa_reserve_vcc 1
		.amdhsa_float_round_mode_32 0
		.amdhsa_float_round_mode_16_64 0
		.amdhsa_float_denorm_mode_32 3
		.amdhsa_float_denorm_mode_16_64 3
		.amdhsa_dx10_clamp 1
		.amdhsa_ieee_mode 1
		.amdhsa_fp16_overflow 0
		.amdhsa_tg_split 0
		.amdhsa_exception_fp_ieee_invalid_op 0
		.amdhsa_exception_fp_denorm_src 0
		.amdhsa_exception_fp_ieee_div_zero 0
		.amdhsa_exception_fp_ieee_overflow 0
		.amdhsa_exception_fp_ieee_underflow 0
		.amdhsa_exception_fp_ieee_inexact 0
		.amdhsa_exception_int_div_zero 0
	.end_amdhsa_kernel
	.section	.text._ZL20rocblas_gemvn_kernelILi64ELi4EldddEviiT3_lPKT2_lT1_lS3_lS4_lS0_lPT4_lS4_li,"axG",@progbits,_ZL20rocblas_gemvn_kernelILi64ELi4EldddEviiT3_lPKT2_lT1_lS3_lS4_lS0_lPT4_lS4_li,comdat
.Lfunc_end55:
	.size	_ZL20rocblas_gemvn_kernelILi64ELi4EldddEviiT3_lPKT2_lT1_lS3_lS4_lS0_lPT4_lS4_li, .Lfunc_end55-_ZL20rocblas_gemvn_kernelILi64ELi4EldddEviiT3_lPKT2_lT1_lS3_lS4_lS0_lPT4_lS4_li
                                        ; -- End function
	.section	.AMDGPU.csdata,"",@progbits
; Kernel info:
; codeLenInByte = 2604
; NumSgprs: 61
; NumVgprs: 72
; NumAgprs: 0
; TotalNumVgprs: 72
; ScratchSize: 0
; MemoryBound: 1
; FloatMode: 240
; IeeeMode: 1
; LDSByteSize: 8192 bytes/workgroup (compile time only)
; SGPRBlocks: 7
; VGPRBlocks: 8
; NumSGPRsForWavesPerEU: 61
; NumVGPRsForWavesPerEU: 72
; AccumOffset: 72
; Occupancy: 7
; WaveLimiterHint : 1
; COMPUTE_PGM_RSRC2:SCRATCH_EN: 0
; COMPUTE_PGM_RSRC2:USER_SGPR: 2
; COMPUTE_PGM_RSRC2:TRAP_HANDLER: 0
; COMPUTE_PGM_RSRC2:TGID_X_EN: 1
; COMPUTE_PGM_RSRC2:TGID_Y_EN: 0
; COMPUTE_PGM_RSRC2:TGID_Z_EN: 1
; COMPUTE_PGM_RSRC2:TIDIG_COMP_CNT: 1
; COMPUTE_PGM_RSRC3_GFX90A:ACCUM_OFFSET: 17
; COMPUTE_PGM_RSRC3_GFX90A:TG_SPLIT: 0
	.section	.text._ZL24rocblas_gemv_scal_kernelILi256EPKdPdEviT0_lT1_lili,"axG",@progbits,_ZL24rocblas_gemv_scal_kernelILi256EPKdPdEviT0_lT1_lili,comdat
	.globl	_ZL24rocblas_gemv_scal_kernelILi256EPKdPdEviT0_lT1_lili ; -- Begin function _ZL24rocblas_gemv_scal_kernelILi256EPKdPdEviT0_lT1_lili
	.p2align	8
	.type	_ZL24rocblas_gemv_scal_kernelILi256EPKdPdEviT0_lT1_lili,@function
_ZL24rocblas_gemv_scal_kernelILi256EPKdPdEviT0_lT1_lili: ; @_ZL24rocblas_gemv_scal_kernelILi256EPKdPdEviT0_lT1_lili
; %bb.0:
	s_load_dwordx8 s[4:11], s[0:1], 0x8
	s_waitcnt lgkmcnt(0)
	s_mul_i32 s7, s3, s7
	s_mul_hi_u32 s12, s3, s6
	s_add_i32 s7, s12, s7
	s_mul_i32 s6, s3, s6
	s_lshl_b64 s[6:7], s[6:7], 3
	s_add_u32 s4, s4, s6
	s_addc_u32 s5, s5, s7
	s_load_dwordx2 s[4:5], s[4:5], 0x0
	s_waitcnt lgkmcnt(0)
	v_cmp_eq_f64_e64 s[6:7], s[4:5], 1.0
	s_and_b64 vcc, exec, s[6:7]
	s_cbranch_vccnz .LBB56_5
; %bb.1:
	s_load_dword s6, s[0:1], 0x0
	s_load_dword s12, s[0:1], 0x4c
	v_mov_b32_e32 v1, 0
	s_waitcnt lgkmcnt(0)
	s_ashr_i32 s7, s6, 31
	s_and_b32 s12, s12, 0xffff
	s_mul_i32 s2, s2, s12
	v_add_u32_e32 v0, s2, v0
	v_cmp_gt_i64_e32 vcc, s[6:7], v[0:1]
	s_and_saveexec_b64 s[6:7], vcc
	s_cbranch_execz .LBB56_5
; %bb.2:
	s_load_dword s12, s[0:1], 0x28
	s_load_dwordx2 s[6:7], s[0:1], 0x30
	v_mov_b64_e32 v[2:3], 0
	s_waitcnt lgkmcnt(0)
	s_ashr_i32 s13, s12, 31
	s_mul_i32 s1, s3, s7
	s_mul_hi_u32 s2, s3, s6
	s_mul_i32 s0, s3, s6
	s_add_i32 s1, s2, s1
	s_lshl_b64 s[0:1], s[0:1], 3
	s_add_u32 s2, s8, s0
	v_mad_u64_u32 v[4:5], s[6:7], v0, s12, 0
	s_addc_u32 s3, s9, s1
	s_lshl_b64 s[0:1], s[10:11], 3
	v_mov_b32_e32 v6, v5
	s_add_u32 s0, s2, s0
	v_mad_u64_u32 v[0:1], s[6:7], v0, s13, v[6:7]
	s_addc_u32 s1, s3, s1
	v_cmp_eq_f64_e64 s[2:3], s[4:5], 0
	v_mov_b32_e32 v5, v0
	v_lshl_add_u64 v[0:1], v[4:5], 3, s[0:1]
	s_and_b64 vcc, exec, s[2:3]
	s_cbranch_vccnz .LBB56_4
; %bb.3:
	global_load_dwordx2 v[2:3], v[0:1], off
	s_waitcnt vmcnt(0)
	v_mul_f64 v[2:3], s[4:5], v[2:3]
.LBB56_4:
	global_store_dwordx2 v[0:1], v[2:3], off
.LBB56_5:
	s_endpgm
	.section	.rodata,"a",@progbits
	.p2align	6, 0x0
	.amdhsa_kernel _ZL24rocblas_gemv_scal_kernelILi256EPKdPdEviT0_lT1_lili
		.amdhsa_group_segment_fixed_size 0
		.amdhsa_private_segment_fixed_size 0
		.amdhsa_kernarg_size 320
		.amdhsa_user_sgpr_count 2
		.amdhsa_user_sgpr_dispatch_ptr 0
		.amdhsa_user_sgpr_queue_ptr 0
		.amdhsa_user_sgpr_kernarg_segment_ptr 1
		.amdhsa_user_sgpr_dispatch_id 0
		.amdhsa_user_sgpr_kernarg_preload_length 0
		.amdhsa_user_sgpr_kernarg_preload_offset 0
		.amdhsa_user_sgpr_private_segment_size 0
		.amdhsa_uses_dynamic_stack 0
		.amdhsa_enable_private_segment 0
		.amdhsa_system_sgpr_workgroup_id_x 1
		.amdhsa_system_sgpr_workgroup_id_y 0
		.amdhsa_system_sgpr_workgroup_id_z 1
		.amdhsa_system_sgpr_workgroup_info 0
		.amdhsa_system_vgpr_workitem_id 0
		.amdhsa_next_free_vgpr 8
		.amdhsa_next_free_sgpr 14
		.amdhsa_accum_offset 8
		.amdhsa_reserve_vcc 1
		.amdhsa_float_round_mode_32 0
		.amdhsa_float_round_mode_16_64 0
		.amdhsa_float_denorm_mode_32 3
		.amdhsa_float_denorm_mode_16_64 3
		.amdhsa_dx10_clamp 1
		.amdhsa_ieee_mode 1
		.amdhsa_fp16_overflow 0
		.amdhsa_tg_split 0
		.amdhsa_exception_fp_ieee_invalid_op 0
		.amdhsa_exception_fp_denorm_src 0
		.amdhsa_exception_fp_ieee_div_zero 0
		.amdhsa_exception_fp_ieee_overflow 0
		.amdhsa_exception_fp_ieee_underflow 0
		.amdhsa_exception_fp_ieee_inexact 0
		.amdhsa_exception_int_div_zero 0
	.end_amdhsa_kernel
	.section	.text._ZL24rocblas_gemv_scal_kernelILi256EPKdPdEviT0_lT1_lili,"axG",@progbits,_ZL24rocblas_gemv_scal_kernelILi256EPKdPdEviT0_lT1_lili,comdat
.Lfunc_end56:
	.size	_ZL24rocblas_gemv_scal_kernelILi256EPKdPdEviT0_lT1_lili, .Lfunc_end56-_ZL24rocblas_gemv_scal_kernelILi256EPKdPdEviT0_lT1_lili
                                        ; -- End function
	.section	.AMDGPU.csdata,"",@progbits
; Kernel info:
; codeLenInByte = 272
; NumSgprs: 20
; NumVgprs: 8
; NumAgprs: 0
; TotalNumVgprs: 8
; ScratchSize: 0
; MemoryBound: 1
; FloatMode: 240
; IeeeMode: 1
; LDSByteSize: 0 bytes/workgroup (compile time only)
; SGPRBlocks: 2
; VGPRBlocks: 0
; NumSGPRsForWavesPerEU: 20
; NumVGPRsForWavesPerEU: 8
; AccumOffset: 8
; Occupancy: 8
; WaveLimiterHint : 0
; COMPUTE_PGM_RSRC2:SCRATCH_EN: 0
; COMPUTE_PGM_RSRC2:USER_SGPR: 2
; COMPUTE_PGM_RSRC2:TRAP_HANDLER: 0
; COMPUTE_PGM_RSRC2:TGID_X_EN: 1
; COMPUTE_PGM_RSRC2:TGID_Y_EN: 0
; COMPUTE_PGM_RSRC2:TGID_Z_EN: 1
; COMPUTE_PGM_RSRC2:TIDIG_COMP_CNT: 0
; COMPUTE_PGM_RSRC3_GFX90A:ACCUM_OFFSET: 1
; COMPUTE_PGM_RSRC3_GFX90A:TG_SPLIT: 0
	.section	.text._ZL24rocblas_gemv_scal_kernelILi256EdPdEviT0_lT1_lili,"axG",@progbits,_ZL24rocblas_gemv_scal_kernelILi256EdPdEviT0_lT1_lili,comdat
	.globl	_ZL24rocblas_gemv_scal_kernelILi256EdPdEviT0_lT1_lili ; -- Begin function _ZL24rocblas_gemv_scal_kernelILi256EdPdEviT0_lT1_lili
	.p2align	8
	.type	_ZL24rocblas_gemv_scal_kernelILi256EdPdEviT0_lT1_lili,@function
_ZL24rocblas_gemv_scal_kernelILi256EdPdEviT0_lT1_lili: ; @_ZL24rocblas_gemv_scal_kernelILi256EdPdEviT0_lT1_lili
; %bb.0:
	s_load_dwordx2 s[4:5], s[0:1], 0x8
	s_waitcnt lgkmcnt(0)
	v_cmp_eq_f64_e64 s[6:7], s[4:5], 1.0
	s_and_b64 vcc, exec, s[6:7]
	s_cbranch_vccnz .LBB57_5
; %bb.1:
	s_load_dword s6, s[0:1], 0x0
	s_load_dword s8, s[0:1], 0x4c
	v_mov_b32_e32 v1, 0
	s_waitcnt lgkmcnt(0)
	s_ashr_i32 s7, s6, 31
	s_and_b32 s8, s8, 0xffff
	s_mul_i32 s2, s2, s8
	v_add_u32_e32 v0, s2, v0
	v_cmp_gt_i64_e32 vcc, s[6:7], v[0:1]
	s_and_saveexec_b64 s[6:7], vcc
	s_cbranch_execz .LBB57_5
; %bb.2:
	s_load_dword s12, s[0:1], 0x28
	s_load_dwordx2 s[6:7], s[0:1], 0x30
	s_load_dwordx4 s[8:11], s[0:1], 0x18
	v_mov_b64_e32 v[2:3], 0
	s_waitcnt lgkmcnt(0)
	s_ashr_i32 s13, s12, 31
	s_mul_i32 s0, s3, s7
	s_mul_hi_u32 s1, s3, s6
	s_add_i32 s1, s1, s0
	s_mul_i32 s0, s3, s6
	s_lshl_b64 s[0:1], s[0:1], 3
	s_add_u32 s2, s8, s0
	v_mad_u64_u32 v[4:5], s[6:7], v0, s12, 0
	s_addc_u32 s3, s9, s1
	s_lshl_b64 s[0:1], s[10:11], 3
	v_mov_b32_e32 v6, v5
	s_add_u32 s0, s2, s0
	v_mad_u64_u32 v[0:1], s[6:7], v0, s13, v[6:7]
	s_addc_u32 s1, s3, s1
	v_cmp_eq_f64_e64 s[2:3], s[4:5], 0
	v_mov_b32_e32 v5, v0
	v_lshl_add_u64 v[0:1], v[4:5], 3, s[0:1]
	s_and_b64 vcc, exec, s[2:3]
	s_cbranch_vccnz .LBB57_4
; %bb.3:
	global_load_dwordx2 v[2:3], v[0:1], off
	s_waitcnt vmcnt(0)
	v_mul_f64 v[2:3], v[2:3], s[4:5]
.LBB57_4:
	global_store_dwordx2 v[0:1], v[2:3], off
.LBB57_5:
	s_endpgm
	.section	.rodata,"a",@progbits
	.p2align	6, 0x0
	.amdhsa_kernel _ZL24rocblas_gemv_scal_kernelILi256EdPdEviT0_lT1_lili
		.amdhsa_group_segment_fixed_size 0
		.amdhsa_private_segment_fixed_size 0
		.amdhsa_kernarg_size 320
		.amdhsa_user_sgpr_count 2
		.amdhsa_user_sgpr_dispatch_ptr 0
		.amdhsa_user_sgpr_queue_ptr 0
		.amdhsa_user_sgpr_kernarg_segment_ptr 1
		.amdhsa_user_sgpr_dispatch_id 0
		.amdhsa_user_sgpr_kernarg_preload_length 0
		.amdhsa_user_sgpr_kernarg_preload_offset 0
		.amdhsa_user_sgpr_private_segment_size 0
		.amdhsa_uses_dynamic_stack 0
		.amdhsa_enable_private_segment 0
		.amdhsa_system_sgpr_workgroup_id_x 1
		.amdhsa_system_sgpr_workgroup_id_y 0
		.amdhsa_system_sgpr_workgroup_id_z 1
		.amdhsa_system_sgpr_workgroup_info 0
		.amdhsa_system_vgpr_workitem_id 0
		.amdhsa_next_free_vgpr 8
		.amdhsa_next_free_sgpr 14
		.amdhsa_accum_offset 8
		.amdhsa_reserve_vcc 1
		.amdhsa_float_round_mode_32 0
		.amdhsa_float_round_mode_16_64 0
		.amdhsa_float_denorm_mode_32 3
		.amdhsa_float_denorm_mode_16_64 3
		.amdhsa_dx10_clamp 1
		.amdhsa_ieee_mode 1
		.amdhsa_fp16_overflow 0
		.amdhsa_tg_split 0
		.amdhsa_exception_fp_ieee_invalid_op 0
		.amdhsa_exception_fp_denorm_src 0
		.amdhsa_exception_fp_ieee_div_zero 0
		.amdhsa_exception_fp_ieee_overflow 0
		.amdhsa_exception_fp_ieee_underflow 0
		.amdhsa_exception_fp_ieee_inexact 0
		.amdhsa_exception_int_div_zero 0
	.end_amdhsa_kernel
	.section	.text._ZL24rocblas_gemv_scal_kernelILi256EdPdEviT0_lT1_lili,"axG",@progbits,_ZL24rocblas_gemv_scal_kernelILi256EdPdEviT0_lT1_lili,comdat
.Lfunc_end57:
	.size	_ZL24rocblas_gemv_scal_kernelILi256EdPdEviT0_lT1_lili, .Lfunc_end57-_ZL24rocblas_gemv_scal_kernelILi256EdPdEviT0_lT1_lili
                                        ; -- End function
	.section	.AMDGPU.csdata,"",@progbits
; Kernel info:
; codeLenInByte = 240
; NumSgprs: 20
; NumVgprs: 8
; NumAgprs: 0
; TotalNumVgprs: 8
; ScratchSize: 0
; MemoryBound: 1
; FloatMode: 240
; IeeeMode: 1
; LDSByteSize: 0 bytes/workgroup (compile time only)
; SGPRBlocks: 2
; VGPRBlocks: 0
; NumSGPRsForWavesPerEU: 20
; NumVGPRsForWavesPerEU: 8
; AccumOffset: 8
; Occupancy: 8
; WaveLimiterHint : 0
; COMPUTE_PGM_RSRC2:SCRATCH_EN: 0
; COMPUTE_PGM_RSRC2:USER_SGPR: 2
; COMPUTE_PGM_RSRC2:TRAP_HANDLER: 0
; COMPUTE_PGM_RSRC2:TGID_X_EN: 1
; COMPUTE_PGM_RSRC2:TGID_Y_EN: 0
; COMPUTE_PGM_RSRC2:TGID_Z_EN: 1
; COMPUTE_PGM_RSRC2:TIDIG_COMP_CNT: 0
; COMPUTE_PGM_RSRC3_GFX90A:ACCUM_OFFSET: 1
; COMPUTE_PGM_RSRC3_GFX90A:TG_SPLIT: 0
	.section	.text._ZL36rocblas_gemvn_double_buffered_kernelILi128ELi4ELi16EdPKddEviiT3_lPKT2_lilS5_lilPT4_lili,"axG",@progbits,_ZL36rocblas_gemvn_double_buffered_kernelILi128ELi4ELi16EdPKddEviiT3_lPKT2_lilS5_lilPT4_lili,comdat
	.globl	_ZL36rocblas_gemvn_double_buffered_kernelILi128ELi4ELi16EdPKddEviiT3_lPKT2_lilS5_lilPT4_lili ; -- Begin function _ZL36rocblas_gemvn_double_buffered_kernelILi128ELi4ELi16EdPKddEviiT3_lPKT2_lilS5_lilPT4_lili
	.p2align	8
	.type	_ZL36rocblas_gemvn_double_buffered_kernelILi128ELi4ELi16EdPKddEviiT3_lPKT2_lilS5_lilPT4_lili,@function
_ZL36rocblas_gemvn_double_buffered_kernelILi128ELi4ELi16EdPKddEviiT3_lPKT2_lilS5_lilPT4_lili: ; @_ZL36rocblas_gemvn_double_buffered_kernelILi128ELi4ELi16EdPKddEviiT3_lPKT2_lilS5_lilPT4_lili
; %bb.0:
	s_load_dwordx8 s[8:15], s[0:1], 0x8
	s_waitcnt lgkmcnt(0)
	s_mul_i32 s5, s4, s11
	s_mul_hi_u32 s6, s4, s10
	s_add_i32 s7, s6, s5
	s_mul_i32 s6, s4, s10
	s_lshl_b64 s[6:7], s[6:7], 3
	s_add_u32 s6, s8, s6
	s_addc_u32 s7, s9, s7
	s_load_dwordx2 s[6:7], s[6:7], 0x0
	s_waitcnt lgkmcnt(0)
	v_cmp_eq_f64_e64 s[8:9], s[6:7], 0
	s_and_b64 vcc, exec, s[8:9]
	s_cbranch_vccnz .LBB58_10
; %bb.1:
	s_load_dword s5, s[0:1], 0x84
	s_load_dword s8, s[0:1], 0x4
	s_waitcnt lgkmcnt(0)
	v_cvt_f32_u32_e32 v1, s5
	s_ashr_i32 s9, s8, 31
	s_lshr_b32 s9, s9, 25
	s_sub_i32 s10, 0, s5
	v_rcp_iflag_f32_e32 v1, v1
	s_add_i32 s8, s8, s9
	s_ashr_i32 s8, s8, 7
	v_mul_f32_e32 v1, 0x4f7ffffe, v1
	v_cvt_u32_f32_e32 v1, v1
	s_nop 0
	v_readfirstlane_b32 s9, v1
	s_mul_i32 s10, s10, s9
	s_mul_hi_u32 s10, s9, s10
	s_add_i32 s9, s9, s10
	s_mul_hi_u32 s9, s8, s9
	s_mul_i32 s10, s9, s5
	s_sub_i32 s10, s8, s10
	s_add_i32 s11, s9, 1
	s_sub_i32 s16, s10, s5
	s_cmp_ge_u32 s10, s5
	s_cselect_b32 s9, s11, s9
	s_cselect_b32 s10, s16, s10
	s_add_i32 s11, s9, 1
	s_cmp_ge_u32 s10, s5
	s_cselect_b32 s31, s11, s9
	s_mul_i32 s5, s31, s5
	s_sub_i32 s30, s8, s5
	s_cmp_lt_u32 s3, s30
	s_cselect_b64 s[8:9], -1, 0
	s_cmp_lg_u64 s[8:9], 0
	s_addc_u32 s5, s31, 0
	s_cmp_eq_u32 s5, 0
	s_cbranch_scc1 .LBB58_10
; %bb.2:
	s_load_dwordx4 s[8:11], s[0:1], 0x50
	s_load_dwordx2 s[20:21], s[0:1], 0x60
	v_and_b32_e32 v170, 0x3ff, v0
	v_bfe_u32 v171, v0, 10, 10
	s_lshl_b32 s22, s2, 7
	v_lshl_add_u32 v34, v171, 7, v170
	v_and_b32_e32 v32, 63, v170
	s_ashr_i32 s23, s22, 31
	v_mov_b64_e32 v[98:99], 0
	v_lshrrev_b32_e32 v172, 6, v34
	s_cmp_lt_i32 s5, 1
	v_lshlrev_b32_e32 v64, 3, v32
	v_mov_b64_e32 v[104:105], v[98:99]
	s_cbranch_scc1 .LBB58_8
; %bb.3:
	s_load_dword s26, s[0:1], 0x28
	s_load_dwordx4 s[16:19], s[0:1], 0x30
	s_load_dword s24, s[0:1], 0x48
	v_lshlrev_b32_e32 v0, 4, v172
	v_mov_b32_e32 v33, 0
	s_waitcnt lgkmcnt(0)
	v_mad_i64_i32 v[0:1], s[28:29], s26, v0, v[32:33]
	s_load_dwordx2 s[28:29], s[0:1], 0x40
	s_mul_i32 s2, s4, s17
	s_mul_hi_u32 s17, s4, s16
	s_add_i32 s17, s17, s2
	s_mul_i32 s16, s4, s16
	s_ashr_i32 s27, s26, 31
	s_ashr_i32 s25, s24, 31
	s_lshl_b64 s[34:35], s[16:17], 3
	s_add_u32 s2, s12, s34
	s_mul_i32 s31, s31, s3
	v_cvt_f64_i32_e32 v[4:5], s3
	v_cvt_f64_u32_e32 v[6:7], s30
	s_addc_u32 s16, s13, s35
	s_lshl_b64 s[36:37], s[14:15], 3
	v_cvt_f64_u32_e32 v[2:3], s31
	v_min_f64 v[4:5], v[4:5], v[6:7]
	s_add_u32 s2, s2, s36
	v_add_f64 v[2:3], v[4:5], v[2:3]
	s_addc_u32 s14, s16, s37
	v_cvt_i32_f64_e32 v2, v[2:3]
	s_lshl_b64 s[30:31], s[22:23], 3
	s_add_u32 s15, s2, s30
	v_readfirstlane_b32 s2, v2
	s_addc_u32 s14, s14, s31
	s_lshl_b32 s38, s2, 7
	s_mul_hi_i32 s3, s38, s26
	s_mul_i32 s2, s38, s26
	s_ashr_i32 s39, s38, 31
	s_lshl_b64 s[2:3], s[2:3], 3
	s_add_u32 s2, s15, s2
	s_addc_u32 s3, s14, s3
	v_lshl_add_u64 v[4:5], v[0:1], 3, s[2:3]
	s_lshl_b64 s[2:3], s[26:27], 3
	v_lshl_add_u64 v[6:7], v[4:5], 0, s[2:3]
	global_load_dwordx2 v[0:1], v[4:5], off
	global_load_dwordx2 v[2:3], v[6:7], off
	v_lshl_add_u64 v[6:7], v[6:7], 0, s[2:3]
	v_lshl_add_u64 v[8:9], v[6:7], 0, s[2:3]
	;; [unrolled: 1-line block ×13, first 2 shown]
	global_load_dwordx2 v[4:5], v[6:7], off
	s_lshl_b32 s16, s24, 7
	global_load_dwordx2 v[6:7], v[8:9], off
	s_lshl_b64 s[14:15], s[26:27], 10
	global_load_dwordx2 v[8:9], v[10:11], off
	s_add_i32 s23, s5, -1
	global_load_dwordx2 v[10:11], v[12:13], off
	s_ashr_i32 s17, s16, 31
	global_load_dwordx2 v[12:13], v[14:15], off
	s_add_u32 s12, s12, s30
	global_load_dwordx2 v[14:15], v[16:17], off
	s_addc_u32 s13, s13, s31
	global_load_dwordx2 v[16:17], v[18:19], off
	s_add_u32 s12, s12, s36
	global_load_dwordx2 v[18:19], v[20:21], off
	s_addc_u32 s13, s13, s37
	global_load_dwordx2 v[20:21], v[22:23], off
	v_lshlrev_b32_e32 v32, 1, v34
	global_load_dwordx2 v[22:23], v[24:25], off
	s_add_u32 s12, s12, s34
	global_load_dwordx2 v[24:25], v[26:27], off
	v_and_b32_e32 v32, 0x7ff80, v32
	global_load_dwordx2 v[26:27], v[28:29], off
	s_addc_u32 s13, s13, s35
	global_load_dwordx2 v[28:29], v[30:31], off
	v_lshl_add_u64 v[30:31], v[30:31], 0, s[2:3]
	global_load_dwordx2 v[30:31], v[30:31], off
	v_lshl_add_u64 v[34:35], s[38:39], 3, v[32:33]
	v_mov_b64_e32 v[36:37], s[12:13]
	v_mad_u64_u32 v[38:39], s[12:13], v34, s26, v[36:37]
	v_mul_lo_u32 v32, v34, s27
	v_mul_lo_u32 v40, v35, s26
	s_mov_b64 s[12:13], 0x400
	v_add3_u32 v39, v40, v39, v32
	v_lshl_add_u64 v[40:41], v[34:35], 0, s[12:13]
	v_mad_u64_u32 v[66:67], s[12:13], v40, s26, v[36:37]
	v_mul_lo_u32 v32, v40, s27
	v_mul_lo_u32 v40, v41, s26
	s_mov_b64 s[12:13], 0x410
	v_add3_u32 v67, v40, v67, v32
	v_lshl_add_u64 v[40:41], v[34:35], 0, s[12:13]
	v_mad_u64_u32 v[68:69], s[12:13], v40, s26, v[36:37]
	v_mul_lo_u32 v32, v40, s27
	v_mul_lo_u32 v40, v41, s26
	s_mov_b64 s[12:13], 0x418
	v_add3_u32 v69, v40, v69, v32
	v_lshl_add_u64 v[40:41], v[34:35], 0, s[12:13]
	v_mad_u64_u32 v[70:71], s[12:13], v40, s26, v[36:37]
	v_mul_lo_u32 v32, v40, s27
	v_mul_lo_u32 v40, v41, s26
	s_mov_b64 s[12:13], 0x420
	v_add3_u32 v71, v40, v71, v32
	v_lshl_add_u64 v[40:41], v[34:35], 0, s[12:13]
	v_mad_u64_u32 v[72:73], s[12:13], v40, s26, v[36:37]
	v_mul_lo_u32 v32, v40, s27
	v_mul_lo_u32 v40, v41, s26
	s_mov_b64 s[12:13], 0x428
	v_add3_u32 v73, v40, v73, v32
	v_lshl_add_u64 v[40:41], v[34:35], 0, s[12:13]
	v_mad_u64_u32 v[74:75], s[12:13], v40, s26, v[36:37]
	v_mul_lo_u32 v32, v40, s27
	v_mul_lo_u32 v40, v41, s26
	s_mov_b64 s[12:13], 0x430
	v_add3_u32 v75, v40, v75, v32
	v_lshl_add_u64 v[40:41], v[34:35], 0, s[12:13]
	v_mad_u64_u32 v[76:77], s[12:13], v40, s26, v[36:37]
	v_mul_lo_u32 v32, v40, s27
	v_mul_lo_u32 v40, v41, s26
	s_mov_b64 s[12:13], 0x438
	v_add3_u32 v77, v40, v77, v32
	v_lshl_add_u64 v[40:41], v[34:35], 0, s[12:13]
	v_mad_u64_u32 v[78:79], s[12:13], v40, s26, v[36:37]
	v_mul_lo_u32 v32, v40, s27
	v_mul_lo_u32 v40, v41, s26
	s_mov_b64 s[12:13], 0x440
	v_add3_u32 v79, v40, v79, v32
	v_lshl_add_u64 v[40:41], v[34:35], 0, s[12:13]
	v_mad_u64_u32 v[80:81], s[12:13], v40, s26, v[36:37]
	v_mul_lo_u32 v32, v40, s27
	v_mul_lo_u32 v40, v41, s26
	s_mov_b64 s[12:13], 0x448
	v_add3_u32 v81, v40, v81, v32
	v_lshl_add_u64 v[40:41], v[34:35], 0, s[12:13]
	v_mad_u64_u32 v[82:83], s[12:13], v40, s26, v[36:37]
	v_mul_lo_u32 v32, v40, s27
	v_mul_lo_u32 v41, v41, s26
	s_mov_b64 s[12:13], 0x450
	v_add3_u32 v83, v41, v83, v32
	v_lshl_add_u64 v[40:41], v[34:35], 0, s[12:13]
	v_mad_u64_u32 v[84:85], s[12:13], v40, s26, v[36:37]
	v_mul_lo_u32 v32, v40, s27
	v_mul_lo_u32 v41, v41, s26
	s_mov_b64 s[12:13], 0x458
	v_add3_u32 v85, v41, v85, v32
	v_lshl_add_u64 v[40:41], v[34:35], 0, s[12:13]
	v_mad_u64_u32 v[86:87], s[12:13], v40, s26, v[36:37]
	v_mul_lo_u32 v32, v40, s27
	v_mul_lo_u32 v41, v41, s26
	s_mov_b64 s[12:13], 0x460
	v_add3_u32 v87, v41, v87, v32
	v_lshl_add_u64 v[40:41], v[34:35], 0, s[12:13]
	v_mad_u64_u32 v[88:89], s[12:13], v40, s26, v[36:37]
	v_mul_lo_u32 v32, v40, s27
	v_mul_lo_u32 v41, v41, s26
	s_mov_b64 s[12:13], 0x468
	v_add3_u32 v89, v41, v89, v32
	v_lshl_add_u64 v[40:41], v[34:35], 0, s[12:13]
	v_mad_u64_u32 v[90:91], s[12:13], v40, s26, v[36:37]
	v_mul_lo_u32 v32, v40, s27
	v_mul_lo_u32 v41, v41, s26
	s_mov_b64 s[12:13], 0x470
	v_add3_u32 v91, v41, v91, v32
	v_lshl_add_u64 v[40:41], v[34:35], 0, s[12:13]
	v_mad_u64_u32 v[92:93], s[12:13], v40, s26, v[36:37]
	v_mul_lo_u32 v32, v40, s27
	v_mul_lo_u32 v41, v41, s26
	s_mov_b64 s[12:13], 0x478
	v_add3_u32 v93, v41, v93, v32
	v_lshl_add_u64 v[40:41], v[34:35], 0, s[12:13]
	v_mad_u64_u32 v[94:95], s[12:13], v40, s26, v[36:37]
	v_mul_lo_u32 v32, v40, s27
	v_mul_lo_u32 v41, v41, s26
	s_mov_b64 s[12:13], 0x408
	v_add3_u32 v95, v41, v95, v32
	v_lshl_add_u64 v[40:41], v[34:35], 0, s[12:13]
	v_mad_u64_u32 v[96:97], s[12:13], v40, s26, v[36:37]
	s_mul_i32 s9, s9, s4
	s_mul_hi_u32 s12, s8, s4
	s_add_i32 s9, s12, s9
	s_mul_i32 s8, s8, s4
	s_lshl_b64 s[8:9], s[8:9], 3
	s_waitcnt lgkmcnt(0)
	s_lshl_b64 s[12:13], s[28:29], 3
	s_add_u32 s12, s18, s12
	s_addc_u32 s13, s19, s13
	s_add_u32 s8, s12, s8
	v_mul_lo_u32 v32, v40, s27
	v_mul_lo_u32 v36, v41, s26
	s_addc_u32 s9, s13, s9
	v_add3_u32 v97, v36, v97, v32
	v_mov_b64_e32 v[36:37], s[8:9]
	v_mad_u64_u32 v[100:101], s[8:9], v34, s24, v[36:37]
	v_mul_lo_u32 v32, v34, s25
	v_mul_lo_u32 v34, v35, s24
	s_mov_b64 s[8:9], 0x200
	v_add3_u32 v101, v34, v101, v32
	v_mov_b32_e32 v65, v33
	v_lshl_add_u64 v[102:103], v[38:39], 0, s[8:9]
	v_mov_b64_e32 v[98:99], 0
	s_waitcnt vmcnt(0)
	v_mov_b64_e32 v[62:63], v[30:31]
	s_mov_b32 s18, 0
	s_lshl_b64 s[8:9], s[16:17], 3
	s_lshl_b64 s[12:13], s[24:25], 3
	v_mov_b64_e32 v[104:105], v[98:99]
	v_mov_b64_e32 v[60:61], v[28:29]
	;; [unrolled: 1-line block ×16, first 2 shown]
.LBB58_4:                               ; =>This Inner Loop Header: Depth=1
	v_lshl_add_u64 v[114:115], v[102:103], 0, v[64:65]
	v_lshl_add_u64 v[116:117], v[114:115], 0, s[2:3]
	;; [unrolled: 1-line block ×4, first 2 shown]
	global_load_dwordx2 v[112:113], v[114:115], off
	global_load_dwordx2 v[110:111], v[116:117], off
	;; [unrolled: 1-line block ×4, first 2 shown]
	v_lshl_add_u64 v[118:119], v[120:121], 0, s[2:3]
	v_lshl_add_u64 v[120:121], v[118:119], 0, s[2:3]
	global_load_dwordx2 v[116:117], v[118:119], off
	global_load_dwordx2 v[114:115], v[120:121], off
	v_lshl_add_u64 v[120:121], v[120:121], 0, s[2:3]
	v_lshl_add_u64 v[122:123], v[120:121], 0, s[2:3]
	;; [unrolled: 1-line block ×12, first 2 shown]
	global_load_dwordx2 v[118:119], v[120:121], off
	v_lshl_add_u64 v[146:147], v[144:145], 0, s[12:13]
	global_load_dwordx2 v[120:121], v[122:123], off
	s_cmp_eq_u32 s23, s18
	global_load_dwordx2 v[122:123], v[124:125], off
	s_nop 0
	global_load_dwordx2 v[124:125], v[126:127], off
	s_nop 0
	global_load_dwordx2 v[126:127], v[128:129], off
	s_nop 0
	global_load_dwordx2 v[128:129], v[130:131], off
	s_nop 0
	global_load_dwordx2 v[130:131], v[132:133], off
	s_nop 0
	global_load_dwordx2 v[132:133], v[134:135], off
	s_nop 0
	global_load_dwordx2 v[134:135], v[136:137], off
	v_lshl_add_u64 v[136:137], v[136:137], 0, s[2:3]
	global_load_dwordx2 v[136:137], v[136:137], off
	s_nop 0
	global_load_dwordx2 v[138:139], v[100:101], off
	global_load_dwordx2 v[168:169], v[140:141], off
	;; [unrolled: 1-line block ×3, first 2 shown]
	s_nop 0
	global_load_dwordx2 v[142:143], v[144:145], off
	global_load_dwordx2 v[140:141], v[146:147], off
	v_lshl_add_u64 v[144:145], v[146:147], 0, s[12:13]
	v_lshl_add_u64 v[146:147], v[144:145], 0, s[12:13]
	;; [unrolled: 1-line block ×10, first 2 shown]
	global_load_dwordx2 v[166:167], v[144:145], off
	s_nop 0
	global_load_dwordx2 v[144:145], v[146:147], off
	s_nop 0
	;; [unrolled: 2-line block ×9, first 2 shown]
	global_load_dwordx2 v[160:161], v[162:163], off
	v_lshl_add_u64 v[162:163], v[162:163], 0, s[12:13]
	global_load_dwordx2 v[162:163], v[162:163], off
	s_cbranch_scc1 .LBB58_6
; %bb.5:                                ;   in Loop: Header=BB58_4 Depth=1
	v_lshl_add_u64 v[32:33], v[66:67], 0, v[64:65]
	v_lshl_add_u64 v[34:35], v[96:97], 0, v[64:65]
	;; [unrolled: 1-line block ×16, first 2 shown]
	global_load_dwordx2 v[32:33], v[32:33], off
	s_nop 0
	global_load_dwordx2 v[34:35], v[34:35], off
	s_nop 0
	;; [unrolled: 2-line block ×15, first 2 shown]
	global_load_dwordx2 v[62:63], v[62:63], off
.LBB58_6:                               ;   in Loop: Header=BB58_4 Depth=1
	s_waitcnt vmcnt(15)
	v_fmac_f64_e32 v[104:105], v[0:1], v[138:139]
	v_fmac_f64_e32 v[98:99], v[112:113], v[138:139]
	s_waitcnt vmcnt(14)
	v_fmac_f64_e32 v[104:105], v[2:3], v[168:169]
	v_fmac_f64_e32 v[98:99], v[110:111], v[168:169]
	;; [unrolled: 3-line block ×15, first 2 shown]
	s_add_i32 s18, s18, 1
	s_waitcnt vmcnt(0)
	v_fmac_f64_e32 v[104:105], v[30:31], v[162:163]
	v_fmac_f64_e32 v[98:99], v[136:137], v[162:163]
	v_lshl_add_u64 v[102:103], v[102:103], 0, s[14:15]
	v_lshl_add_u64 v[66:67], v[66:67], 0, s[14:15]
	;; [unrolled: 1-line block ×17, first 2 shown]
	s_cmp_lt_i32 s18, s5
	v_lshl_add_u64 v[100:101], v[100:101], 0, s[8:9]
	s_cbranch_scc0 .LBB58_8
; %bb.7:                                ;   in Loop: Header=BB58_4 Depth=1
	v_mov_b64_e32 v[0:1], v[32:33]
	v_mov_b64_e32 v[2:3], v[34:35]
	;; [unrolled: 1-line block ×16, first 2 shown]
	s_branch .LBB58_4
.LBB58_8:
	v_lshl_or_b32 v0, v172, 10, v64
	v_cmp_eq_u32_e32 vcc, 0, v171
	ds_write2st64_b64 v0, v[104:105], v[98:99] offset1:1
	s_waitcnt lgkmcnt(0)
	s_barrier
	s_and_saveexec_b64 s[2:3], vcc
	s_cbranch_execz .LBB58_10
; %bb.9:
	s_load_dwordx2 s[2:3], s[0:1], 0x70
	s_load_dword s5, s[0:1], 0x68
	v_lshlrev_b32_e32 v14, 3, v170
	ds_read2st64_b64 v[0:3], v14 offset1:2
	ds_read2st64_b64 v[4:7], v14 offset0:4 offset1:6
	s_waitcnt lgkmcnt(0)
	s_mul_i32 s1, s4, s3
	s_mul_hi_u32 s3, s4, s2
	s_mul_i32 s0, s4, s2
	s_add_i32 s1, s3, s1
	ds_read2st64_b64 v[8:11], v14 offset0:8 offset1:10
	s_lshl_b64 s[0:1], s[0:1], 3
	v_add_f64 v[0:1], v[0:1], 0
	s_add_u32 s2, s10, s0
	v_add_f64 v[12:13], v[0:1], v[2:3]
	ds_read2st64_b64 v[0:3], v14 offset0:12 offset1:14
	s_addc_u32 s3, s11, s1
	s_lshl_b64 s[0:1], s[20:21], 3
	v_add_f64 v[4:5], v[12:13], v[4:5]
	s_add_u32 s2, s2, s0
	v_add_f64 v[4:5], v[4:5], v[6:7]
	s_addc_u32 s3, s3, s1
	s_mul_hi_i32 s1, s5, s22
	s_mul_i32 s0, s5, s22
	s_waitcnt lgkmcnt(1)
	v_add_f64 v[4:5], v[4:5], v[8:9]
	s_lshl_b64 s[0:1], s[0:1], 3
	v_add_f64 v[4:5], v[4:5], v[10:11]
	s_add_u32 s0, s2, s0
	s_waitcnt lgkmcnt(0)
	v_add_f64 v[0:1], v[4:5], v[0:1]
	s_addc_u32 s1, s3, s1
	v_add_f64 v[0:1], v[0:1], v[2:3]
	v_mad_i64_i32 v[2:3], s[2:3], s5, v170, 0
	v_lshl_add_u64 v[2:3], v[2:3], 3, s[0:1]
	v_mul_f64 v[0:1], s[6:7], v[0:1]
	global_atomic_add_f64 v[2:3], v[0:1], off
.LBB58_10:
	s_endpgm
	.section	.rodata,"a",@progbits
	.p2align	6, 0x0
	.amdhsa_kernel _ZL36rocblas_gemvn_double_buffered_kernelILi128ELi4ELi16EdPKddEviiT3_lPKT2_lilS5_lilPT4_lili
		.amdhsa_group_segment_fixed_size 8192
		.amdhsa_private_segment_fixed_size 0
		.amdhsa_kernarg_size 384
		.amdhsa_user_sgpr_count 2
		.amdhsa_user_sgpr_dispatch_ptr 0
		.amdhsa_user_sgpr_queue_ptr 0
		.amdhsa_user_sgpr_kernarg_segment_ptr 1
		.amdhsa_user_sgpr_dispatch_id 0
		.amdhsa_user_sgpr_kernarg_preload_length 0
		.amdhsa_user_sgpr_kernarg_preload_offset 0
		.amdhsa_user_sgpr_private_segment_size 0
		.amdhsa_uses_dynamic_stack 0
		.amdhsa_enable_private_segment 0
		.amdhsa_system_sgpr_workgroup_id_x 1
		.amdhsa_system_sgpr_workgroup_id_y 1
		.amdhsa_system_sgpr_workgroup_id_z 1
		.amdhsa_system_sgpr_workgroup_info 0
		.amdhsa_system_vgpr_workitem_id 1
		.amdhsa_next_free_vgpr 173
		.amdhsa_next_free_sgpr 40
		.amdhsa_accum_offset 176
		.amdhsa_reserve_vcc 1
		.amdhsa_float_round_mode_32 0
		.amdhsa_float_round_mode_16_64 0
		.amdhsa_float_denorm_mode_32 3
		.amdhsa_float_denorm_mode_16_64 3
		.amdhsa_dx10_clamp 1
		.amdhsa_ieee_mode 1
		.amdhsa_fp16_overflow 0
		.amdhsa_tg_split 0
		.amdhsa_exception_fp_ieee_invalid_op 0
		.amdhsa_exception_fp_denorm_src 0
		.amdhsa_exception_fp_ieee_div_zero 0
		.amdhsa_exception_fp_ieee_overflow 0
		.amdhsa_exception_fp_ieee_underflow 0
		.amdhsa_exception_fp_ieee_inexact 0
		.amdhsa_exception_int_div_zero 0
	.end_amdhsa_kernel
	.section	.text._ZL36rocblas_gemvn_double_buffered_kernelILi128ELi4ELi16EdPKddEviiT3_lPKT2_lilS5_lilPT4_lili,"axG",@progbits,_ZL36rocblas_gemvn_double_buffered_kernelILi128ELi4ELi16EdPKddEviiT3_lPKT2_lilS5_lilPT4_lili,comdat
.Lfunc_end58:
	.size	_ZL36rocblas_gemvn_double_buffered_kernelILi128ELi4ELi16EdPKddEviiT3_lPKT2_lilS5_lilPT4_lili, .Lfunc_end58-_ZL36rocblas_gemvn_double_buffered_kernelILi128ELi4ELi16EdPKddEviiT3_lPKT2_lilS5_lilPT4_lili
                                        ; -- End function
	.section	.AMDGPU.csdata,"",@progbits
; Kernel info:
; codeLenInByte = 3364
; NumSgprs: 46
; NumVgprs: 173
; NumAgprs: 0
; TotalNumVgprs: 173
; ScratchSize: 0
; MemoryBound: 1
; FloatMode: 240
; IeeeMode: 1
; LDSByteSize: 8192 bytes/workgroup (compile time only)
; SGPRBlocks: 5
; VGPRBlocks: 21
; NumSGPRsForWavesPerEU: 46
; NumVGPRsForWavesPerEU: 173
; AccumOffset: 176
; Occupancy: 2
; WaveLimiterHint : 0
; COMPUTE_PGM_RSRC2:SCRATCH_EN: 0
; COMPUTE_PGM_RSRC2:USER_SGPR: 2
; COMPUTE_PGM_RSRC2:TRAP_HANDLER: 0
; COMPUTE_PGM_RSRC2:TGID_X_EN: 1
; COMPUTE_PGM_RSRC2:TGID_Y_EN: 1
; COMPUTE_PGM_RSRC2:TGID_Z_EN: 1
; COMPUTE_PGM_RSRC2:TIDIG_COMP_CNT: 1
; COMPUTE_PGM_RSRC3_GFX90A:ACCUM_OFFSET: 43
; COMPUTE_PGM_RSRC3_GFX90A:TG_SPLIT: 0
	.section	.text._ZL36rocblas_gemvn_double_buffered_kernelILi128ELi4ELi16EdddEviiT3_lPKT2_lilS3_lilPT4_lili,"axG",@progbits,_ZL36rocblas_gemvn_double_buffered_kernelILi128ELi4ELi16EdddEviiT3_lPKT2_lilS3_lilPT4_lili,comdat
	.globl	_ZL36rocblas_gemvn_double_buffered_kernelILi128ELi4ELi16EdddEviiT3_lPKT2_lilS3_lilPT4_lili ; -- Begin function _ZL36rocblas_gemvn_double_buffered_kernelILi128ELi4ELi16EdddEviiT3_lPKT2_lilS3_lilPT4_lili
	.p2align	8
	.type	_ZL36rocblas_gemvn_double_buffered_kernelILi128ELi4ELi16EdddEviiT3_lPKT2_lilS3_lilPT4_lili,@function
_ZL36rocblas_gemvn_double_buffered_kernelILi128ELi4ELi16EdddEviiT3_lPKT2_lilS3_lilPT4_lili: ; @_ZL36rocblas_gemvn_double_buffered_kernelILi128ELi4ELi16EdddEviiT3_lPKT2_lilS3_lilPT4_lili
; %bb.0:
	s_load_dwordx2 s[6:7], s[0:1], 0x8
	s_waitcnt lgkmcnt(0)
	v_cmp_eq_f64_e64 s[8:9], s[6:7], 0
	s_and_b64 vcc, exec, s[8:9]
	s_cbranch_vccnz .LBB59_10
; %bb.1:
	s_load_dword s5, s[0:1], 0x84
	s_load_dword s8, s[0:1], 0x4
	s_waitcnt lgkmcnt(0)
	v_cvt_f32_u32_e32 v1, s5
	s_ashr_i32 s9, s8, 31
	s_lshr_b32 s9, s9, 25
	s_sub_i32 s10, 0, s5
	v_rcp_iflag_f32_e32 v1, v1
	s_add_i32 s8, s8, s9
	s_ashr_i32 s8, s8, 7
	v_mul_f32_e32 v1, 0x4f7ffffe, v1
	v_cvt_u32_f32_e32 v1, v1
	s_nop 0
	v_readfirstlane_b32 s9, v1
	s_mul_i32 s10, s10, s9
	s_mul_hi_u32 s10, s9, s10
	s_add_i32 s9, s9, s10
	s_mul_hi_u32 s9, s8, s9
	s_mul_i32 s10, s9, s5
	s_sub_i32 s10, s8, s10
	s_add_i32 s11, s9, 1
	s_sub_i32 s12, s10, s5
	s_cmp_ge_u32 s10, s5
	s_cselect_b32 s9, s11, s9
	s_cselect_b32 s10, s12, s10
	s_add_i32 s11, s9, 1
	s_cmp_ge_u32 s10, s5
	s_cselect_b32 s36, s11, s9
	s_mul_i32 s5, s36, s5
	s_sub_i32 s33, s8, s5
	s_cmp_lt_u32 s3, s33
	s_cselect_b64 s[8:9], -1, 0
	s_cmp_lg_u64 s[8:9], 0
	s_addc_u32 s5, s36, 0
	s_cmp_eq_u32 s5, 0
	s_cbranch_scc1 .LBB59_10
; %bb.2:
	s_load_dwordx4 s[8:11], s[0:1], 0x50
	s_load_dwordx2 s[20:21], s[0:1], 0x60
	v_and_b32_e32 v170, 0x3ff, v0
	v_bfe_u32 v171, v0, 10, 10
	s_lshl_b32 s22, s2, 7
	v_lshl_add_u32 v34, v171, 7, v170
	v_and_b32_e32 v32, 63, v170
	s_ashr_i32 s23, s22, 31
	v_mov_b64_e32 v[98:99], 0
	v_lshrrev_b32_e32 v172, 6, v34
	s_cmp_lt_i32 s5, 1
	v_lshlrev_b32_e32 v64, 3, v32
	v_mov_b64_e32 v[104:105], v[98:99]
	s_cbranch_scc1 .LBB59_8
; %bb.3:
	s_load_dword s28, s[0:1], 0x28
	s_load_dwordx4 s[16:19], s[0:1], 0x18
	s_load_dwordx4 s[12:15], s[0:1], 0x30
	s_load_dwordx2 s[26:27], s[0:1], 0x40
	s_load_dword s24, s[0:1], 0x48
	v_lshlrev_b32_e32 v0, 4, v172
	v_mov_b32_e32 v33, 0
	s_waitcnt lgkmcnt(0)
	s_mul_i32 s2, s4, s13
	s_mul_hi_u32 s13, s4, s12
	v_mad_i64_i32 v[0:1], s[30:31], s28, v0, v[32:33]
	s_add_i32 s13, s13, s2
	s_mul_i32 s12, s4, s12
	s_ashr_i32 s29, s28, 31
	s_ashr_i32 s25, s24, 31
	s_lshl_b64 s[30:31], s[12:13], 3
	s_add_u32 s2, s16, s30
	s_mul_i32 s36, s36, s3
	v_cvt_f64_i32_e32 v[4:5], s3
	v_cvt_f64_u32_e32 v[6:7], s33
	s_addc_u32 s12, s17, s31
	s_lshl_b64 s[34:35], s[18:19], 3
	v_cvt_f64_u32_e32 v[2:3], s36
	v_min_f64 v[4:5], v[4:5], v[6:7]
	s_add_u32 s2, s2, s34
	v_add_f64 v[2:3], v[4:5], v[2:3]
	s_addc_u32 s12, s12, s35
	v_cvt_i32_f64_e32 v2, v[2:3]
	s_lshl_b64 s[36:37], s[22:23], 3
	s_add_u32 s13, s2, s36
	v_readfirstlane_b32 s2, v2
	s_addc_u32 s12, s12, s37
	s_lshl_b32 s38, s2, 7
	s_mul_hi_i32 s3, s38, s28
	s_mul_i32 s2, s38, s28
	s_ashr_i32 s39, s38, 31
	s_lshl_b64 s[2:3], s[2:3], 3
	s_add_u32 s2, s13, s2
	s_addc_u32 s3, s12, s3
	v_lshl_add_u64 v[4:5], v[0:1], 3, s[2:3]
	s_lshl_b64 s[2:3], s[28:29], 3
	v_lshl_add_u64 v[6:7], v[4:5], 0, s[2:3]
	global_load_dwordx2 v[0:1], v[4:5], off
	global_load_dwordx2 v[2:3], v[6:7], off
	v_lshl_add_u64 v[6:7], v[6:7], 0, s[2:3]
	v_lshl_add_u64 v[8:9], v[6:7], 0, s[2:3]
	;; [unrolled: 1-line block ×13, first 2 shown]
	global_load_dwordx2 v[4:5], v[6:7], off
	s_lshl_b32 s18, s24, 7
	global_load_dwordx2 v[6:7], v[8:9], off
	s_lshl_b64 s[12:13], s[28:29], 10
	global_load_dwordx2 v[8:9], v[10:11], off
	s_add_i32 s23, s5, -1
	global_load_dwordx2 v[10:11], v[12:13], off
	s_ashr_i32 s19, s18, 31
	global_load_dwordx2 v[12:13], v[14:15], off
	s_add_u32 s16, s16, s36
	global_load_dwordx2 v[14:15], v[16:17], off
	s_addc_u32 s17, s17, s37
	global_load_dwordx2 v[16:17], v[18:19], off
	s_add_u32 s16, s16, s34
	global_load_dwordx2 v[18:19], v[20:21], off
	s_addc_u32 s17, s17, s35
	global_load_dwordx2 v[20:21], v[22:23], off
	v_lshlrev_b32_e32 v32, 1, v34
	global_load_dwordx2 v[22:23], v[24:25], off
	s_add_u32 s16, s16, s30
	global_load_dwordx2 v[24:25], v[26:27], off
	v_and_b32_e32 v32, 0x7ff80, v32
	global_load_dwordx2 v[26:27], v[28:29], off
	s_addc_u32 s17, s17, s31
	global_load_dwordx2 v[28:29], v[30:31], off
	v_lshl_add_u64 v[30:31], v[30:31], 0, s[2:3]
	global_load_dwordx2 v[30:31], v[30:31], off
	v_lshl_add_u64 v[34:35], s[38:39], 3, v[32:33]
	v_mov_b64_e32 v[36:37], s[16:17]
	v_mad_u64_u32 v[38:39], s[16:17], v34, s28, v[36:37]
	v_mul_lo_u32 v32, v34, s29
	v_mul_lo_u32 v40, v35, s28
	s_mov_b64 s[16:17], 0x400
	v_add3_u32 v39, v40, v39, v32
	v_lshl_add_u64 v[40:41], v[34:35], 0, s[16:17]
	v_mad_u64_u32 v[66:67], s[16:17], v40, s28, v[36:37]
	v_mul_lo_u32 v32, v40, s29
	v_mul_lo_u32 v40, v41, s28
	s_mov_b64 s[16:17], 0x410
	v_add3_u32 v67, v40, v67, v32
	v_lshl_add_u64 v[40:41], v[34:35], 0, s[16:17]
	v_mad_u64_u32 v[68:69], s[16:17], v40, s28, v[36:37]
	v_mul_lo_u32 v32, v40, s29
	v_mul_lo_u32 v40, v41, s28
	s_mov_b64 s[16:17], 0x418
	v_add3_u32 v69, v40, v69, v32
	v_lshl_add_u64 v[40:41], v[34:35], 0, s[16:17]
	v_mad_u64_u32 v[70:71], s[16:17], v40, s28, v[36:37]
	v_mul_lo_u32 v32, v40, s29
	v_mul_lo_u32 v40, v41, s28
	s_mov_b64 s[16:17], 0x420
	v_add3_u32 v71, v40, v71, v32
	v_lshl_add_u64 v[40:41], v[34:35], 0, s[16:17]
	v_mad_u64_u32 v[72:73], s[16:17], v40, s28, v[36:37]
	v_mul_lo_u32 v32, v40, s29
	v_mul_lo_u32 v40, v41, s28
	s_mov_b64 s[16:17], 0x428
	v_add3_u32 v73, v40, v73, v32
	v_lshl_add_u64 v[40:41], v[34:35], 0, s[16:17]
	v_mad_u64_u32 v[74:75], s[16:17], v40, s28, v[36:37]
	v_mul_lo_u32 v32, v40, s29
	v_mul_lo_u32 v40, v41, s28
	s_mov_b64 s[16:17], 0x430
	v_add3_u32 v75, v40, v75, v32
	v_lshl_add_u64 v[40:41], v[34:35], 0, s[16:17]
	v_mad_u64_u32 v[76:77], s[16:17], v40, s28, v[36:37]
	v_mul_lo_u32 v32, v40, s29
	v_mul_lo_u32 v40, v41, s28
	s_mov_b64 s[16:17], 0x438
	v_add3_u32 v77, v40, v77, v32
	v_lshl_add_u64 v[40:41], v[34:35], 0, s[16:17]
	v_mad_u64_u32 v[78:79], s[16:17], v40, s28, v[36:37]
	v_mul_lo_u32 v32, v40, s29
	v_mul_lo_u32 v40, v41, s28
	s_mov_b64 s[16:17], 0x440
	v_add3_u32 v79, v40, v79, v32
	v_lshl_add_u64 v[40:41], v[34:35], 0, s[16:17]
	v_mad_u64_u32 v[80:81], s[16:17], v40, s28, v[36:37]
	v_mul_lo_u32 v32, v40, s29
	v_mul_lo_u32 v40, v41, s28
	s_mov_b64 s[16:17], 0x448
	v_add3_u32 v81, v40, v81, v32
	v_lshl_add_u64 v[40:41], v[34:35], 0, s[16:17]
	v_mad_u64_u32 v[82:83], s[16:17], v40, s28, v[36:37]
	v_mul_lo_u32 v32, v40, s29
	v_mul_lo_u32 v41, v41, s28
	s_mov_b64 s[16:17], 0x450
	v_add3_u32 v83, v41, v83, v32
	v_lshl_add_u64 v[40:41], v[34:35], 0, s[16:17]
	v_mad_u64_u32 v[84:85], s[16:17], v40, s28, v[36:37]
	v_mul_lo_u32 v32, v40, s29
	v_mul_lo_u32 v41, v41, s28
	s_mov_b64 s[16:17], 0x458
	v_add3_u32 v85, v41, v85, v32
	v_lshl_add_u64 v[40:41], v[34:35], 0, s[16:17]
	v_mad_u64_u32 v[86:87], s[16:17], v40, s28, v[36:37]
	v_mul_lo_u32 v32, v40, s29
	v_mul_lo_u32 v41, v41, s28
	s_mov_b64 s[16:17], 0x460
	v_add3_u32 v87, v41, v87, v32
	v_lshl_add_u64 v[40:41], v[34:35], 0, s[16:17]
	v_mad_u64_u32 v[88:89], s[16:17], v40, s28, v[36:37]
	v_mul_lo_u32 v32, v40, s29
	v_mul_lo_u32 v41, v41, s28
	s_mov_b64 s[16:17], 0x468
	v_add3_u32 v89, v41, v89, v32
	v_lshl_add_u64 v[40:41], v[34:35], 0, s[16:17]
	v_mad_u64_u32 v[90:91], s[16:17], v40, s28, v[36:37]
	v_mul_lo_u32 v32, v40, s29
	v_mul_lo_u32 v41, v41, s28
	s_mov_b64 s[16:17], 0x470
	v_add3_u32 v91, v41, v91, v32
	v_lshl_add_u64 v[40:41], v[34:35], 0, s[16:17]
	v_mad_u64_u32 v[92:93], s[16:17], v40, s28, v[36:37]
	v_mul_lo_u32 v32, v40, s29
	v_mul_lo_u32 v41, v41, s28
	s_mov_b64 s[16:17], 0x478
	v_add3_u32 v93, v41, v93, v32
	v_lshl_add_u64 v[40:41], v[34:35], 0, s[16:17]
	v_mad_u64_u32 v[94:95], s[16:17], v40, s28, v[36:37]
	v_mul_lo_u32 v32, v40, s29
	v_mul_lo_u32 v41, v41, s28
	s_mov_b64 s[16:17], 0x408
	v_add3_u32 v95, v41, v95, v32
	v_lshl_add_u64 v[40:41], v[34:35], 0, s[16:17]
	v_mad_u64_u32 v[96:97], s[16:17], v40, s28, v[36:37]
	s_mul_i32 s9, s9, s4
	s_mul_hi_u32 s16, s8, s4
	s_add_i32 s9, s16, s9
	s_mul_i32 s8, s8, s4
	s_lshl_b64 s[8:9], s[8:9], 3
	s_lshl_b64 s[16:17], s[26:27], 3
	s_add_u32 s14, s14, s16
	s_addc_u32 s15, s15, s17
	s_add_u32 s8, s14, s8
	v_mul_lo_u32 v32, v40, s29
	v_mul_lo_u32 v36, v41, s28
	s_addc_u32 s9, s15, s9
	v_add3_u32 v97, v36, v97, v32
	v_mov_b64_e32 v[36:37], s[8:9]
	v_mad_u64_u32 v[100:101], s[8:9], v34, s24, v[36:37]
	v_mul_lo_u32 v32, v34, s25
	v_mul_lo_u32 v34, v35, s24
	s_mov_b64 s[8:9], 0x200
	v_add3_u32 v101, v34, v101, v32
	v_mov_b32_e32 v65, v33
	v_lshl_add_u64 v[102:103], v[38:39], 0, s[8:9]
	v_mov_b64_e32 v[98:99], 0
	s_waitcnt vmcnt(0)
	v_mov_b64_e32 v[62:63], v[30:31]
	s_mov_b32 s16, 0
	s_lshl_b64 s[8:9], s[18:19], 3
	s_lshl_b64 s[14:15], s[24:25], 3
	v_mov_b64_e32 v[104:105], v[98:99]
	v_mov_b64_e32 v[60:61], v[28:29]
	;; [unrolled: 1-line block ×16, first 2 shown]
.LBB59_4:                               ; =>This Inner Loop Header: Depth=1
	v_lshl_add_u64 v[114:115], v[102:103], 0, v[64:65]
	v_lshl_add_u64 v[116:117], v[114:115], 0, s[2:3]
	;; [unrolled: 1-line block ×4, first 2 shown]
	global_load_dwordx2 v[112:113], v[114:115], off
	global_load_dwordx2 v[110:111], v[116:117], off
	;; [unrolled: 1-line block ×4, first 2 shown]
	v_lshl_add_u64 v[118:119], v[120:121], 0, s[2:3]
	v_lshl_add_u64 v[120:121], v[118:119], 0, s[2:3]
	global_load_dwordx2 v[116:117], v[118:119], off
	global_load_dwordx2 v[114:115], v[120:121], off
	v_lshl_add_u64 v[120:121], v[120:121], 0, s[2:3]
	v_lshl_add_u64 v[122:123], v[120:121], 0, s[2:3]
	v_lshl_add_u64 v[124:125], v[122:123], 0, s[2:3]
	v_lshl_add_u64 v[126:127], v[124:125], 0, s[2:3]
	v_lshl_add_u64 v[128:129], v[126:127], 0, s[2:3]
	v_lshl_add_u64 v[130:131], v[128:129], 0, s[2:3]
	v_lshl_add_u64 v[132:133], v[130:131], 0, s[2:3]
	v_lshl_add_u64 v[140:141], v[100:101], 0, s[14:15]
	v_lshl_add_u64 v[134:135], v[132:133], 0, s[2:3]
	v_lshl_add_u64 v[142:143], v[140:141], 0, s[14:15]
	v_lshl_add_u64 v[136:137], v[134:135], 0, s[2:3]
	v_lshl_add_u64 v[144:145], v[142:143], 0, s[14:15]
	global_load_dwordx2 v[118:119], v[120:121], off
	v_lshl_add_u64 v[146:147], v[144:145], 0, s[14:15]
	global_load_dwordx2 v[120:121], v[122:123], off
	s_cmp_eq_u32 s23, s16
	global_load_dwordx2 v[122:123], v[124:125], off
	s_nop 0
	global_load_dwordx2 v[124:125], v[126:127], off
	s_nop 0
	;; [unrolled: 2-line block ×6, first 2 shown]
	global_load_dwordx2 v[134:135], v[136:137], off
	v_lshl_add_u64 v[136:137], v[136:137], 0, s[2:3]
	global_load_dwordx2 v[136:137], v[136:137], off
	s_nop 0
	global_load_dwordx2 v[138:139], v[100:101], off
	global_load_dwordx2 v[168:169], v[140:141], off
	;; [unrolled: 1-line block ×3, first 2 shown]
	s_nop 0
	global_load_dwordx2 v[142:143], v[144:145], off
	global_load_dwordx2 v[140:141], v[146:147], off
	v_lshl_add_u64 v[144:145], v[146:147], 0, s[14:15]
	v_lshl_add_u64 v[146:147], v[144:145], 0, s[14:15]
	;; [unrolled: 1-line block ×10, first 2 shown]
	global_load_dwordx2 v[166:167], v[144:145], off
	s_nop 0
	global_load_dwordx2 v[144:145], v[146:147], off
	s_nop 0
	;; [unrolled: 2-line block ×9, first 2 shown]
	global_load_dwordx2 v[160:161], v[162:163], off
	v_lshl_add_u64 v[162:163], v[162:163], 0, s[14:15]
	global_load_dwordx2 v[162:163], v[162:163], off
	s_cbranch_scc1 .LBB59_6
; %bb.5:                                ;   in Loop: Header=BB59_4 Depth=1
	v_lshl_add_u64 v[32:33], v[66:67], 0, v[64:65]
	v_lshl_add_u64 v[34:35], v[96:97], 0, v[64:65]
	;; [unrolled: 1-line block ×16, first 2 shown]
	global_load_dwordx2 v[32:33], v[32:33], off
	s_nop 0
	global_load_dwordx2 v[34:35], v[34:35], off
	s_nop 0
	;; [unrolled: 2-line block ×15, first 2 shown]
	global_load_dwordx2 v[62:63], v[62:63], off
.LBB59_6:                               ;   in Loop: Header=BB59_4 Depth=1
	s_waitcnt vmcnt(15)
	v_fmac_f64_e32 v[104:105], v[0:1], v[138:139]
	v_fmac_f64_e32 v[98:99], v[112:113], v[138:139]
	s_waitcnt vmcnt(14)
	v_fmac_f64_e32 v[104:105], v[2:3], v[168:169]
	v_fmac_f64_e32 v[98:99], v[110:111], v[168:169]
	;; [unrolled: 3-line block ×15, first 2 shown]
	s_add_i32 s16, s16, 1
	s_waitcnt vmcnt(0)
	v_fmac_f64_e32 v[104:105], v[30:31], v[162:163]
	v_fmac_f64_e32 v[98:99], v[136:137], v[162:163]
	v_lshl_add_u64 v[102:103], v[102:103], 0, s[12:13]
	v_lshl_add_u64 v[66:67], v[66:67], 0, s[12:13]
	;; [unrolled: 1-line block ×17, first 2 shown]
	s_cmp_lt_i32 s16, s5
	v_lshl_add_u64 v[100:101], v[100:101], 0, s[8:9]
	s_cbranch_scc0 .LBB59_8
; %bb.7:                                ;   in Loop: Header=BB59_4 Depth=1
	v_mov_b64_e32 v[0:1], v[32:33]
	v_mov_b64_e32 v[2:3], v[34:35]
	;; [unrolled: 1-line block ×16, first 2 shown]
	s_branch .LBB59_4
.LBB59_8:
	v_lshl_or_b32 v0, v172, 10, v64
	v_cmp_eq_u32_e32 vcc, 0, v171
	ds_write2st64_b64 v0, v[104:105], v[98:99] offset1:1
	s_waitcnt lgkmcnt(0)
	s_barrier
	s_and_saveexec_b64 s[2:3], vcc
	s_cbranch_execz .LBB59_10
; %bb.9:
	s_load_dwordx2 s[2:3], s[0:1], 0x70
	s_load_dword s5, s[0:1], 0x68
	v_lshlrev_b32_e32 v14, 3, v170
	ds_read2st64_b64 v[0:3], v14 offset1:2
	ds_read2st64_b64 v[4:7], v14 offset0:4 offset1:6
	s_waitcnt lgkmcnt(0)
	s_mul_i32 s1, s4, s3
	s_mul_hi_u32 s3, s4, s2
	s_mul_i32 s0, s4, s2
	s_add_i32 s1, s3, s1
	ds_read2st64_b64 v[8:11], v14 offset0:8 offset1:10
	s_lshl_b64 s[0:1], s[0:1], 3
	v_add_f64 v[0:1], v[0:1], 0
	s_add_u32 s2, s10, s0
	v_add_f64 v[12:13], v[0:1], v[2:3]
	ds_read2st64_b64 v[0:3], v14 offset0:12 offset1:14
	s_addc_u32 s3, s11, s1
	s_lshl_b64 s[0:1], s[20:21], 3
	v_add_f64 v[4:5], v[12:13], v[4:5]
	s_add_u32 s2, s2, s0
	v_add_f64 v[4:5], v[4:5], v[6:7]
	s_addc_u32 s3, s3, s1
	s_mul_hi_i32 s1, s5, s22
	s_mul_i32 s0, s5, s22
	s_waitcnt lgkmcnt(1)
	v_add_f64 v[4:5], v[4:5], v[8:9]
	s_lshl_b64 s[0:1], s[0:1], 3
	v_add_f64 v[4:5], v[4:5], v[10:11]
	s_add_u32 s0, s2, s0
	s_waitcnt lgkmcnt(0)
	v_add_f64 v[0:1], v[4:5], v[0:1]
	s_addc_u32 s1, s3, s1
	v_add_f64 v[0:1], v[0:1], v[2:3]
	v_mad_i64_i32 v[2:3], s[2:3], s5, v170, 0
	v_lshl_add_u64 v[2:3], v[2:3], 3, s[0:1]
	v_mul_f64 v[0:1], v[0:1], s[6:7]
	global_atomic_add_f64 v[2:3], v[0:1], off
.LBB59_10:
	s_endpgm
	.section	.rodata,"a",@progbits
	.p2align	6, 0x0
	.amdhsa_kernel _ZL36rocblas_gemvn_double_buffered_kernelILi128ELi4ELi16EdddEviiT3_lPKT2_lilS3_lilPT4_lili
		.amdhsa_group_segment_fixed_size 8192
		.amdhsa_private_segment_fixed_size 0
		.amdhsa_kernarg_size 384
		.amdhsa_user_sgpr_count 2
		.amdhsa_user_sgpr_dispatch_ptr 0
		.amdhsa_user_sgpr_queue_ptr 0
		.amdhsa_user_sgpr_kernarg_segment_ptr 1
		.amdhsa_user_sgpr_dispatch_id 0
		.amdhsa_user_sgpr_kernarg_preload_length 0
		.amdhsa_user_sgpr_kernarg_preload_offset 0
		.amdhsa_user_sgpr_private_segment_size 0
		.amdhsa_uses_dynamic_stack 0
		.amdhsa_enable_private_segment 0
		.amdhsa_system_sgpr_workgroup_id_x 1
		.amdhsa_system_sgpr_workgroup_id_y 1
		.amdhsa_system_sgpr_workgroup_id_z 1
		.amdhsa_system_sgpr_workgroup_info 0
		.amdhsa_system_vgpr_workitem_id 1
		.amdhsa_next_free_vgpr 173
		.amdhsa_next_free_sgpr 40
		.amdhsa_accum_offset 176
		.amdhsa_reserve_vcc 1
		.amdhsa_float_round_mode_32 0
		.amdhsa_float_round_mode_16_64 0
		.amdhsa_float_denorm_mode_32 3
		.amdhsa_float_denorm_mode_16_64 3
		.amdhsa_dx10_clamp 1
		.amdhsa_ieee_mode 1
		.amdhsa_fp16_overflow 0
		.amdhsa_tg_split 0
		.amdhsa_exception_fp_ieee_invalid_op 0
		.amdhsa_exception_fp_denorm_src 0
		.amdhsa_exception_fp_ieee_div_zero 0
		.amdhsa_exception_fp_ieee_overflow 0
		.amdhsa_exception_fp_ieee_underflow 0
		.amdhsa_exception_fp_ieee_inexact 0
		.amdhsa_exception_int_div_zero 0
	.end_amdhsa_kernel
	.section	.text._ZL36rocblas_gemvn_double_buffered_kernelILi128ELi4ELi16EdddEviiT3_lPKT2_lilS3_lilPT4_lili,"axG",@progbits,_ZL36rocblas_gemvn_double_buffered_kernelILi128ELi4ELi16EdddEviiT3_lPKT2_lilS3_lilPT4_lili,comdat
.Lfunc_end59:
	.size	_ZL36rocblas_gemvn_double_buffered_kernelILi128ELi4ELi16EdddEviiT3_lPKT2_lilS3_lilPT4_lili, .Lfunc_end59-_ZL36rocblas_gemvn_double_buffered_kernelILi128ELi4ELi16EdddEviiT3_lPKT2_lilS3_lilPT4_lili
                                        ; -- End function
	.section	.AMDGPU.csdata,"",@progbits
; Kernel info:
; codeLenInByte = 3328
; NumSgprs: 46
; NumVgprs: 173
; NumAgprs: 0
; TotalNumVgprs: 173
; ScratchSize: 0
; MemoryBound: 1
; FloatMode: 240
; IeeeMode: 1
; LDSByteSize: 8192 bytes/workgroup (compile time only)
; SGPRBlocks: 5
; VGPRBlocks: 21
; NumSGPRsForWavesPerEU: 46
; NumVGPRsForWavesPerEU: 173
; AccumOffset: 176
; Occupancy: 2
; WaveLimiterHint : 0
; COMPUTE_PGM_RSRC2:SCRATCH_EN: 0
; COMPUTE_PGM_RSRC2:USER_SGPR: 2
; COMPUTE_PGM_RSRC2:TRAP_HANDLER: 0
; COMPUTE_PGM_RSRC2:TGID_X_EN: 1
; COMPUTE_PGM_RSRC2:TGID_Y_EN: 1
; COMPUTE_PGM_RSRC2:TGID_Z_EN: 1
; COMPUTE_PGM_RSRC2:TIDIG_COMP_CNT: 1
; COMPUTE_PGM_RSRC3_GFX90A:ACCUM_OFFSET: 43
; COMPUTE_PGM_RSRC3_GFX90A:TG_SPLIT: 0
	.section	.text._ZL20rocblas_gemvn_kernelILi32ELi16EidPKddEviiT3_lPKT2_lT1_lS5_lS6_lS2_lPT4_lS6_li,"axG",@progbits,_ZL20rocblas_gemvn_kernelILi32ELi16EidPKddEviiT3_lPKT2_lT1_lS5_lS6_lS2_lPT4_lS6_li,comdat
	.globl	_ZL20rocblas_gemvn_kernelILi32ELi16EidPKddEviiT3_lPKT2_lT1_lS5_lS6_lS2_lPT4_lS6_li ; -- Begin function _ZL20rocblas_gemvn_kernelILi32ELi16EidPKddEviiT3_lPKT2_lT1_lS5_lS6_lS2_lPT4_lS6_li
	.p2align	8
	.type	_ZL20rocblas_gemvn_kernelILi32ELi16EidPKddEviiT3_lPKT2_lT1_lS5_lS6_lS2_lPT4_lS6_li,@function
_ZL20rocblas_gemvn_kernelILi32ELi16EidPKddEviiT3_lPKT2_lT1_lS5_lS6_lS2_lPT4_lS6_li: ; @_ZL20rocblas_gemvn_kernelILi32ELi16EidPKddEviiT3_lPKT2_lT1_lS5_lS6_lS2_lPT4_lS6_li
; %bb.0:
	s_load_dwordx2 s[4:5], s[0:1], 0x9c
	s_waitcnt lgkmcnt(0)
	s_lshr_b32 s6, s4, 16
	s_and_b32 s4, s4, 0xffff
	s_and_b32 s5, s5, 0xffff
	s_mul_i32 s4, s6, s4
	s_mul_i32 s4, s4, s5
	s_cmpk_lg_i32 s4, 0x200
	s_cbranch_scc1 .LBB60_50
; %bb.1:
	s_load_dwordx8 s[12:19], s[0:1], 0x8
	s_load_dwordx8 s[4:11], s[0:1], 0x50
	s_waitcnt lgkmcnt(0)
	s_mul_i32 s15, s3, s15
	s_mul_hi_u32 s20, s3, s14
	s_mul_i32 s14, s3, s14
	s_add_i32 s15, s20, s15
	s_lshl_b64 s[14:15], s[14:15], 3
	s_add_u32 s12, s12, s14
	s_addc_u32 s13, s13, s15
	s_mul_i32 s9, s3, s9
	s_load_dwordx2 s[14:15], s[12:13], 0x0
	s_mul_hi_u32 s12, s3, s8
	s_add_i32 s9, s12, s9
	s_mul_i32 s8, s3, s8
	s_lshl_b64 s[8:9], s[8:9], 3
	s_add_u32 s6, s6, s8
	s_addc_u32 s7, s7, s9
	s_load_dwordx2 s[12:13], s[6:7], 0x0
	s_waitcnt lgkmcnt(0)
	v_cmp_eq_f64_e64 s[6:7], s[14:15], 0
	v_cmp_eq_f64_e64 s[8:9], s[12:13], 1.0
	s_and_b64 s[6:7], s[6:7], s[8:9]
	s_and_b64 vcc, exec, s[6:7]
	s_cbranch_vccnz .LBB60_50
; %bb.2:
	s_load_dwordx2 s[6:7], s[0:1], 0x80
	s_load_dword s33, s[0:1], 0x78
	s_load_dwordx2 s[8:9], s[0:1], 0x70
	s_load_dwordx2 s[20:21], s[0:1], 0x0
	v_and_b32_e32 v2, 0x3ff, v0
	s_waitcnt lgkmcnt(0)
	s_mul_i32 s7, s3, s7
	s_mul_hi_u32 s22, s3, s6
	s_add_i32 s7, s22, s7
	s_mul_i32 s6, s3, s6
	s_lshl_b64 s[6:7], s[6:7], 3
	s_add_u32 s10, s10, s6
	s_addc_u32 s11, s11, s7
	s_lshl_b64 s[6:7], s[8:9], 3
	s_add_u32 s8, s10, s6
	s_addc_u32 s9, s11, s7
	v_bfe_u32 v3, v0, 10, 10
	v_cmp_neq_f64_e64 s[6:7], s[14:15], 0
	v_lshl_add_u32 v54, v3, 5, v2
	s_mov_b64 s[10:11], 0
	s_and_b64 vcc, exec, s[6:7]
	s_cbranch_vccnz .LBB60_9
; %bb.3:
	s_movk_i32 s6, 0x80
	v_cmp_gt_u32_e32 vcc, s6, v54
	s_mov_b64 s[6:7], 0
                                        ; implicit-def: $vgpr0_vgpr1
                                        ; implicit-def: $vgpr4_vgpr5
	s_and_saveexec_b64 s[22:23], vcc
	s_cbranch_execz .LBB60_10
; %bb.4:
	v_lshl_or_b32 v6, s2, 7, v54
	v_mov_b32_e32 v7, 0
	s_ashr_i32 s11, s20, 31
	s_mov_b32 s10, s20
	v_cmp_gt_i64_e32 vcc, s[10:11], v[6:7]
	s_mov_b64 s[24:25], 0
                                        ; implicit-def: $vgpr0_vgpr1
                                        ; implicit-def: $vgpr4_vgpr5
	s_and_saveexec_b64 s[10:11], vcc
	s_cbranch_execz .LBB60_8
; %bb.5:
	v_mad_u64_u32 v[4:5], s[26:27], s33, v6, 0
	s_ashr_i32 s28, s33, 31
	v_mov_b32_e32 v8, v5
	v_cmp_eq_f64_e64 s[24:25], s[12:13], 0
	v_mad_u64_u32 v[6:7], s[26:27], s28, v6, v[8:9]
	v_mov_b64_e32 v[0:1], 0
	v_mov_b32_e32 v5, v6
	s_and_b64 vcc, exec, s[24:25]
	s_cbranch_vccnz .LBB60_7
; %bb.6:
	v_lshl_add_u64 v[0:1], v[4:5], 3, s[8:9]
	global_load_dwordx2 v[0:1], v[0:1], off
	s_waitcnt vmcnt(0)
	v_mul_f64 v[0:1], s[12:13], v[0:1]
.LBB60_7:
	s_mov_b64 s[24:25], exec
.LBB60_8:
	s_or_b64 exec, exec, s[10:11]
	s_and_b64 s[10:11], s[24:25], exec
	s_or_b64 exec, exec, s[22:23]
	s_and_b64 vcc, exec, s[6:7]
	s_cbranch_vccnz .LBB60_11
	s_branch .LBB60_48
.LBB60_9:
                                        ; implicit-def: $vgpr0_vgpr1
                                        ; implicit-def: $vgpr4_vgpr5
	s_cbranch_execnz .LBB60_11
	s_branch .LBB60_48
.LBB60_10:
	s_or_b64 exec, exec, s[22:23]
	s_and_b64 vcc, exec, s[6:7]
	s_cbranch_vccz .LBB60_48
.LBB60_11:
	s_load_dwordx4 s[24:27], s[0:1], 0x30
	s_load_dword s35, s[0:1], 0x28
	s_load_dwordx2 s[6:7], s[0:1], 0x40
	s_load_dword s36, s[0:1], 0x48
	v_lshlrev_b32_e32 v56, 2, v3
	s_waitcnt lgkmcnt(0)
	s_mul_i32 s0, s3, s25
	s_mul_hi_u32 s1, s3, s24
	s_add_i32 s1, s1, s0
	s_mul_i32 s0, s3, s24
	s_lshl_b64 s[0:1], s[0:1], 3
	s_add_u32 s16, s16, s0
	s_addc_u32 s17, s17, s1
	s_lshl_b64 s[0:1], s[18:19], 3
	s_add_u32 s16, s16, s0
	s_addc_u32 s17, s17, s1
	s_mul_i32 s0, s3, s5
	s_mul_hi_u32 s1, s3, s4
	s_add_i32 s1, s1, s0
	s_mul_i32 s0, s3, s4
	s_lshl_b64 s[0:1], s[0:1], 3
	s_add_u32 s3, s26, s0
	s_addc_u32 s4, s27, s1
	s_lshl_b64 s[0:1], s[6:7], 3
	s_add_u32 s18, s3, s0
	s_addc_u32 s19, s4, s1
	s_ashr_i32 s0, s21, 31
	s_lshr_b32 s0, s0, 26
	s_add_i32 s37, s21, s0
	s_lshl_b32 s34, s2, 7
	s_andn2_b32 s37, s37, 63
	v_mov_b64_e32 v[0:1], 0
	v_add_u32_e32 v55, s34, v2
	v_cmp_gt_i32_e32 vcc, s37, v56
	v_mov_b64_e32 v[4:5], v[0:1]
	v_mov_b64_e32 v[6:7], v[0:1]
	v_mov_b64_e32 v[8:9], v[0:1]
	s_and_saveexec_b64 s[22:23], vcc
	s_cbranch_execz .LBB60_23
; %bb.12:
	v_add_u32_e32 v0, 32, v55
	v_cmp_gt_i32_e64 s[0:1], s20, v0
	v_add_u32_e32 v0, 64, v55
	v_cmp_gt_i32_e64 s[2:3], s20, v0
	;; [unrolled: 2-line block ×3, first 2 shown]
	v_mul_lo_u32 v0, s35, v56
	v_add3_u32 v57, v0, s35, v2
	v_add_u32_e32 v0, 2, v56
	v_mad_u64_u32 v[10:11], s[6:7], s35, v0, v[2:3]
	v_add_u32_e32 v1, 3, v56
	v_mul_lo_u32 v4, v3, s35
	v_mul_lo_u32 v58, s36, v0
	v_mul_lo_u32 v0, v3, s36
	v_mad_u64_u32 v[12:13], s[6:7], s35, v1, v[2:3]
	v_lshl_add_u32 v11, v4, 2, v2
	v_mul_lo_u32 v4, s36, v56
	v_mul_lo_u32 v59, s36, v1
	v_lshlrev_b32_e32 v60, 2, v0
	v_mov_b64_e32 v[0:1], 0
	v_cmp_gt_i32_e32 vcc, s20, v55
	s_lshl_b32 s38, s35, 6
	v_add_u32_e32 v13, s36, v4
	s_lshl_b32 s39, s36, 6
	s_mov_b64 s[24:25], 0
	s_mov_b32 s40, 0
	v_mov_b64_e32 v[4:5], v[0:1]
	v_mov_b64_e32 v[6:7], v[0:1]
	;; [unrolled: 1-line block ×3, first 2 shown]
	s_branch .LBB60_17
.LBB60_13:                              ;   in Loop: Header=BB60_17 Depth=1
	s_or_b64 exec, exec, s[30:31]
	s_waitcnt vmcnt(3)
	v_fmac_f64_e32 v[6:7], v[20:21], v[52:53]
	s_waitcnt vmcnt(2)
	v_fmac_f64_e32 v[6:7], v[18:19], v[50:51]
	;; [unrolled: 2-line block ×4, first 2 shown]
.LBB60_14:                              ;   in Loop: Header=BB60_17 Depth=1
	s_or_b64 exec, exec, s[28:29]
	s_waitcnt vmcnt(3)
	v_fmac_f64_e32 v[4:5], v[20:21], v[40:41]
	s_waitcnt vmcnt(2)
	v_fmac_f64_e32 v[4:5], v[18:19], v[38:39]
	;; [unrolled: 2-line block ×4, first 2 shown]
.LBB60_15:                              ;   in Loop: Header=BB60_17 Depth=1
	s_or_b64 exec, exec, s[26:27]
	s_waitcnt vmcnt(3)
	v_fmac_f64_e32 v[0:1], v[20:21], v[28:29]
	s_waitcnt vmcnt(2)
	v_fmac_f64_e32 v[0:1], v[18:19], v[26:27]
	;; [unrolled: 2-line block ×4, first 2 shown]
.LBB60_16:                              ;   in Loop: Header=BB60_17 Depth=1
	s_or_b64 exec, exec, s[6:7]
	v_add_u32_e32 v56, 64, v56
	s_add_i32 s40, s40, s39
	v_cmp_le_i32_e64 s[6:7], s37, v56
	v_add_u32_e32 v57, s38, v57
	v_add_u32_e32 v10, s38, v10
	;; [unrolled: 1-line block ×3, first 2 shown]
	s_or_b64 s[24:25], s[6:7], s[24:25]
	v_add_u32_e32 v11, s38, v11
	s_andn2_b64 exec, exec, s[24:25]
	s_cbranch_execz .LBB60_22
.LBB60_17:                              ; =>This Inner Loop Header: Depth=1
	s_and_saveexec_b64 s[6:7], vcc
	s_cbranch_execz .LBB60_16
; %bb.18:                               ;   in Loop: Header=BB60_17 Depth=1
	v_add_u32_e32 v14, s40, v60
	v_ashrrev_i32_e32 v15, 31, v14
	v_lshl_add_u64 v[22:23], v[14:15], 3, s[18:19]
	v_add_u32_e32 v14, s40, v13
	v_ashrrev_i32_e32 v15, 31, v14
	v_lshl_add_u64 v[24:25], v[14:15], 3, s[18:19]
	;; [unrolled: 3-line block ×4, first 2 shown]
	global_load_dwordx2 v[20:21], v[22:23], off
	global_load_dwordx2 v[18:19], v[24:25], off
	;; [unrolled: 1-line block ×4, first 2 shown]
	v_add_u32_e32 v22, s34, v11
	v_ashrrev_i32_e32 v23, 31, v22
	v_lshl_add_u64 v[30:31], v[22:23], 3, s[16:17]
	v_add_u32_e32 v22, s34, v57
	v_ashrrev_i32_e32 v23, 31, v22
	v_lshl_add_u64 v[36:37], v[22:23], 3, s[16:17]
	;; [unrolled: 3-line block ×4, first 2 shown]
	global_load_dwordx2 v[28:29], v[30:31], off
	global_load_dwordx2 v[26:27], v[36:37], off
	;; [unrolled: 1-line block ×4, first 2 shown]
	s_and_saveexec_b64 s[26:27], s[0:1]
	s_cbranch_execz .LBB60_15
; %bb.19:                               ;   in Loop: Header=BB60_17 Depth=1
	global_load_dwordx2 v[40:41], v[30:31], off offset:256
	global_load_dwordx2 v[38:39], v[36:37], off offset:256
	global_load_dwordx2 v[34:35], v[42:43], off offset:256
	global_load_dwordx2 v[32:33], v[44:45], off offset:256
	s_and_saveexec_b64 s[28:29], s[2:3]
	s_cbranch_execz .LBB60_14
; %bb.20:                               ;   in Loop: Header=BB60_17 Depth=1
	global_load_dwordx2 v[52:53], v[30:31], off offset:512
	global_load_dwordx2 v[50:51], v[36:37], off offset:512
	global_load_dwordx2 v[48:49], v[42:43], off offset:512
	global_load_dwordx2 v[46:47], v[44:45], off offset:512
	;; [unrolled: 7-line block ×3, first 2 shown]
	s_waitcnt vmcnt(3)
	v_fmac_f64_e32 v[8:9], v[20:21], v[62:63]
	s_waitcnt vmcnt(2)
	v_fmac_f64_e32 v[8:9], v[18:19], v[64:65]
	;; [unrolled: 2-line block ×4, first 2 shown]
	s_branch .LBB60_13
.LBB60_22:
	s_or_b64 exec, exec, s[24:25]
.LBB60_23:
	s_or_b64 exec, exec, s[22:23]
	s_sub_i32 s0, s21, s37
	s_cmp_lt_i32 s0, 1
	s_cbranch_scc1 .LBB60_41
; %bb.24:
	v_mov_b64_e32 v[10:11], 0
	v_cmp_gt_i32_e32 vcc, s21, v56
	v_or_b32_e32 v20, 1, v56
	v_mov_b64_e32 v[16:17], v[10:11]
	v_mov_b64_e32 v[14:15], v[10:11]
	;; [unrolled: 1-line block ×3, first 2 shown]
	s_and_saveexec_b64 s[2:3], vcc
	s_cbranch_execz .LBB60_32
; %bb.25:
	v_mul_lo_u32 v10, v56, s36
	v_ashrrev_i32_e32 v11, 31, v10
	v_lshl_add_u64 v[10:11], v[10:11], 3, s[18:19]
	global_load_dwordx2 v[12:13], v[10:11], off
	v_mov_b64_e32 v[14:15], 0
	v_cmp_gt_i32_e64 s[0:1], s21, v20
	v_mov_b64_e32 v[16:17], v[14:15]
	v_mov_b64_e32 v[10:11], v[14:15]
	s_and_saveexec_b64 s[4:5], s[0:1]
	s_cbranch_execz .LBB60_31
; %bb.26:
	v_mul_lo_u32 v10, v20, s36
	v_ashrrev_i32_e32 v11, 31, v10
	v_lshl_add_u64 v[10:11], v[10:11], 3, s[18:19]
	global_load_dwordx2 v[14:15], v[10:11], off
	v_or_b32_e32 v18, 2, v56
	v_mov_b64_e32 v[16:17], 0
	v_cmp_gt_i32_e64 s[0:1], s21, v18
	v_mov_b64_e32 v[10:11], v[16:17]
	s_and_saveexec_b64 s[6:7], s[0:1]
	s_cbranch_execz .LBB60_30
; %bb.27:
	v_mul_lo_u32 v10, v18, s36
	v_ashrrev_i32_e32 v11, 31, v10
	v_lshl_add_u64 v[10:11], v[10:11], 3, s[18:19]
	global_load_dwordx2 v[16:17], v[10:11], off
	v_or_b32_e32 v18, 3, v56
	v_cmp_gt_i32_e64 s[0:1], s21, v18
	v_mov_b64_e32 v[10:11], 0
	s_and_saveexec_b64 s[22:23], s[0:1]
	s_cbranch_execz .LBB60_29
; %bb.28:
	v_mul_lo_u32 v10, v18, s36
	v_ashrrev_i32_e32 v11, 31, v10
	v_lshl_add_u64 v[10:11], v[10:11], 3, s[18:19]
	global_load_dwordx2 v[10:11], v[10:11], off
.LBB60_29:
	s_or_b64 exec, exec, s[22:23]
.LBB60_30:
	s_or_b64 exec, exec, s[6:7]
.LBB60_31:
	s_or_b64 exec, exec, s[4:5]
.LBB60_32:
	s_or_b64 exec, exec, s[2:3]
	v_cmp_gt_i32_e64 s[0:1], s20, v55
	s_and_saveexec_b64 s[2:3], s[0:1]
	s_cbranch_execz .LBB60_40
; %bb.33:
	v_mul_lo_u32 v18, v56, s35
	v_cndmask_b32_e32 v18, 0, v18, vcc
	v_mul_lo_u32 v21, v20, s35
	v_cmp_gt_i32_e32 vcc, s21, v20
	v_add_u32_e32 v18, v18, v55
	v_ashrrev_i32_e32 v19, 31, v18
	v_cndmask_b32_e32 v20, 0, v21, vcc
	v_add_u32_e32 v20, v20, v55
	v_ashrrev_i32_e32 v21, 31, v20
	v_lshl_add_u64 v[22:23], v[20:21], 3, s[16:17]
	v_or_b32_e32 v20, 2, v56
	v_mul_lo_u32 v21, v20, s35
	v_cmp_gt_i32_e32 vcc, s21, v20
	v_lshl_add_u64 v[18:19], v[18:19], 3, s[16:17]
	v_add_u32_e32 v34, 32, v55
	v_cndmask_b32_e32 v20, 0, v21, vcc
	v_add_u32_e32 v20, v20, v55
	v_ashrrev_i32_e32 v21, 31, v20
	v_lshl_add_u64 v[24:25], v[20:21], 3, s[16:17]
	v_or_b32_e32 v20, 3, v56
	v_mul_lo_u32 v21, v20, s35
	v_cmp_gt_i32_e32 vcc, s21, v20
	global_load_dwordx2 v[28:29], v[18:19], off
	global_load_dwordx2 v[30:31], v[22:23], off
	;; [unrolled: 1-line block ×3, first 2 shown]
	v_cndmask_b32_e32 v20, 0, v21, vcc
	v_add_u32_e32 v20, v20, v55
	v_ashrrev_i32_e32 v21, 31, v20
	v_lshl_add_u64 v[26:27], v[20:21], 3, s[16:17]
	global_load_dwordx2 v[20:21], v[26:27], off
	v_cmp_gt_i32_e32 vcc, s20, v34
	s_waitcnt vmcnt(3)
	v_fmac_f64_e32 v[0:1], v[12:13], v[28:29]
	s_waitcnt vmcnt(2)
	v_fmac_f64_e32 v[0:1], v[14:15], v[30:31]
	s_waitcnt vmcnt(1)
	v_fmac_f64_e32 v[0:1], v[16:17], v[32:33]
	s_and_saveexec_b64 s[0:1], vcc
	s_cbranch_execz .LBB60_39
; %bb.34:
	global_load_dwordx2 v[30:31], v[18:19], off offset:256
	global_load_dwordx2 v[32:33], v[22:23], off offset:256
	;; [unrolled: 1-line block ×4, first 2 shown]
	v_add_u32_e32 v36, 64, v55
	v_cmp_gt_i32_e32 vcc, s20, v36
	s_waitcnt vmcnt(3)
	v_fmac_f64_e32 v[4:5], v[12:13], v[30:31]
	s_waitcnt vmcnt(2)
	v_fmac_f64_e32 v[4:5], v[14:15], v[32:33]
	;; [unrolled: 2-line block ×3, first 2 shown]
	s_and_saveexec_b64 s[4:5], vcc
	s_cbranch_execz .LBB60_38
; %bb.35:
	global_load_dwordx2 v[32:33], v[18:19], off offset:512
	global_load_dwordx2 v[34:35], v[22:23], off offset:512
	;; [unrolled: 1-line block ×4, first 2 shown]
	v_add_u32_e32 v38, 0x60, v55
	v_cmp_gt_i32_e32 vcc, s20, v38
	s_waitcnt vmcnt(3)
	v_fmac_f64_e32 v[6:7], v[12:13], v[32:33]
	s_waitcnt vmcnt(2)
	v_fmac_f64_e32 v[6:7], v[14:15], v[34:35]
	;; [unrolled: 2-line block ×3, first 2 shown]
	s_and_saveexec_b64 s[6:7], vcc
	s_cbranch_execz .LBB60_37
; %bb.36:
	global_load_dwordx2 v[32:33], v[18:19], off offset:768
	global_load_dwordx2 v[34:35], v[22:23], off offset:768
	;; [unrolled: 1-line block ×4, first 2 shown]
	s_waitcnt vmcnt(3)
	v_fmac_f64_e32 v[8:9], v[12:13], v[32:33]
	s_waitcnt vmcnt(2)
	v_fmac_f64_e32 v[8:9], v[14:15], v[34:35]
	;; [unrolled: 2-line block ×4, first 2 shown]
.LBB60_37:
	s_or_b64 exec, exec, s[6:7]
	s_waitcnt vmcnt(0)
	v_fmac_f64_e32 v[6:7], v[10:11], v[30:31]
.LBB60_38:
	s_or_b64 exec, exec, s[4:5]
	s_waitcnt vmcnt(0)
	v_fmac_f64_e32 v[4:5], v[10:11], v[28:29]
.LBB60_39:
	s_or_b64 exec, exec, s[0:1]
	s_waitcnt vmcnt(0)
	v_fmac_f64_e32 v[0:1], v[10:11], v[20:21]
.LBB60_40:
	s_or_b64 exec, exec, s[2:3]
.LBB60_41:
	v_lshlrev_b32_e32 v3, 7, v3
	s_movk_i32 s0, 0x80
	v_add_lshl_u32 v2, v3, v2, 3
	v_cmp_gt_u32_e32 vcc, s0, v54
	ds_write2_b64 v2, v[0:1], v[4:5] offset1:32
	ds_write2_b64 v2, v[6:7], v[8:9] offset0:64 offset1:96
	s_waitcnt lgkmcnt(0)
	s_barrier
	s_waitcnt lgkmcnt(0)
                                        ; implicit-def: $vgpr0_vgpr1
                                        ; implicit-def: $vgpr4_vgpr5
	s_and_saveexec_b64 s[0:1], vcc
	s_cbranch_execz .LBB60_47
; %bb.42:
	v_lshlrev_b32_e32 v20, 3, v54
	ds_read2st64_b64 v[0:3], v20 offset1:2
	ds_read2st64_b64 v[4:7], v20 offset0:4 offset1:6
	s_waitcnt vmcnt(0)
	ds_read2st64_b64 v[8:11], v20 offset0:8 offset1:10
	ds_read2st64_b64 v[12:15], v20 offset0:12 offset1:14
	;; [unrolled: 1-line block ×3, first 2 shown]
	s_waitcnt lgkmcnt(4)
	v_add_f64 v[0:1], v[0:1], v[2:3]
	s_waitcnt lgkmcnt(3)
	v_add_f64 v[0:1], v[4:5], v[0:1]
	v_add_f64 v[0:1], v[6:7], v[0:1]
	s_waitcnt lgkmcnt(2)
	v_add_f64 v[0:1], v[8:9], v[0:1]
	;; [unrolled: 3-line block ×3, first 2 shown]
	v_add_f64 v[4:5], v[14:15], v[0:1]
	ds_read2st64_b64 v[0:3], v20 offset0:20 offset1:22
	s_waitcnt lgkmcnt(1)
	v_add_f64 v[8:9], v[16:17], v[4:5]
	ds_read2st64_b64 v[4:7], v20 offset0:24 offset1:26
	v_add_f64 v[12:13], v[18:19], v[8:9]
	ds_read2st64_b64 v[8:11], v20 offset0:28 offset1:30
	s_waitcnt lgkmcnt(2)
	v_add_f64 v[0:1], v[0:1], v[12:13]
	v_add_f64 v[0:1], v[2:3], v[0:1]
	s_waitcnt lgkmcnt(1)
	v_add_f64 v[0:1], v[4:5], v[0:1]
	v_add_f64 v[0:1], v[6:7], v[0:1]
	s_waitcnt lgkmcnt(0)
	v_add_f64 v[0:1], v[8:9], v[0:1]
	v_or_b32_e32 v6, s34, v54
	v_add_f64 v[2:3], v[10:11], v[0:1]
	v_cmp_gt_i32_e32 vcc, s20, v6
	s_mov_b64 s[4:5], s[10:11]
	ds_write_b64 v20, v[2:3]
                                        ; implicit-def: $vgpr0_vgpr1
                                        ; implicit-def: $vgpr4_vgpr5
	s_and_saveexec_b64 s[2:3], vcc
	s_cbranch_execz .LBB60_46
; %bb.43:
	v_cmp_eq_f64_e64 s[4:5], s[12:13], 0
	v_mul_lo_u32 v4, v6, s33
	v_mul_f64 v[0:1], s[14:15], v[2:3]
	v_ashrrev_i32_e32 v5, 31, v4
	s_and_b64 vcc, exec, s[4:5]
	s_cbranch_vccnz .LBB60_45
; %bb.44:
	v_lshl_add_u64 v[2:3], v[4:5], 3, s[8:9]
	global_load_dwordx2 v[2:3], v[2:3], off
	s_waitcnt vmcnt(0)
	v_fmac_f64_e32 v[0:1], s[12:13], v[2:3]
.LBB60_45:
	s_or_b64 s[4:5], s[10:11], exec
.LBB60_46:
	s_or_b64 exec, exec, s[2:3]
	s_andn2_b64 s[2:3], s[10:11], exec
	s_and_b64 s[4:5], s[4:5], exec
	s_or_b64 s[10:11], s[2:3], s[4:5]
.LBB60_47:
	s_or_b64 exec, exec, s[0:1]
.LBB60_48:
	s_and_saveexec_b64 s[0:1], s[10:11]
	s_cbranch_execz .LBB60_50
; %bb.49:
	v_lshl_add_u64 v[2:3], v[4:5], 3, s[8:9]
	global_store_dwordx2 v[2:3], v[0:1], off
.LBB60_50:
	s_endpgm
	.section	.rodata,"a",@progbits
	.p2align	6, 0x0
	.amdhsa_kernel _ZL20rocblas_gemvn_kernelILi32ELi16EidPKddEviiT3_lPKT2_lT1_lS5_lS6_lS2_lPT4_lS6_li
		.amdhsa_group_segment_fixed_size 16384
		.amdhsa_private_segment_fixed_size 0
		.amdhsa_kernarg_size 400
		.amdhsa_user_sgpr_count 2
		.amdhsa_user_sgpr_dispatch_ptr 0
		.amdhsa_user_sgpr_queue_ptr 0
		.amdhsa_user_sgpr_kernarg_segment_ptr 1
		.amdhsa_user_sgpr_dispatch_id 0
		.amdhsa_user_sgpr_kernarg_preload_length 0
		.amdhsa_user_sgpr_kernarg_preload_offset 0
		.amdhsa_user_sgpr_private_segment_size 0
		.amdhsa_uses_dynamic_stack 0
		.amdhsa_enable_private_segment 0
		.amdhsa_system_sgpr_workgroup_id_x 1
		.amdhsa_system_sgpr_workgroup_id_y 0
		.amdhsa_system_sgpr_workgroup_id_z 1
		.amdhsa_system_sgpr_workgroup_info 0
		.amdhsa_system_vgpr_workitem_id 1
		.amdhsa_next_free_vgpr 70
		.amdhsa_next_free_sgpr 41
		.amdhsa_accum_offset 72
		.amdhsa_reserve_vcc 1
		.amdhsa_float_round_mode_32 0
		.amdhsa_float_round_mode_16_64 0
		.amdhsa_float_denorm_mode_32 3
		.amdhsa_float_denorm_mode_16_64 3
		.amdhsa_dx10_clamp 1
		.amdhsa_ieee_mode 1
		.amdhsa_fp16_overflow 0
		.amdhsa_tg_split 0
		.amdhsa_exception_fp_ieee_invalid_op 0
		.amdhsa_exception_fp_denorm_src 0
		.amdhsa_exception_fp_ieee_div_zero 0
		.amdhsa_exception_fp_ieee_overflow 0
		.amdhsa_exception_fp_ieee_underflow 0
		.amdhsa_exception_fp_ieee_inexact 0
		.amdhsa_exception_int_div_zero 0
	.end_amdhsa_kernel
	.section	.text._ZL20rocblas_gemvn_kernelILi32ELi16EidPKddEviiT3_lPKT2_lT1_lS5_lS6_lS2_lPT4_lS6_li,"axG",@progbits,_ZL20rocblas_gemvn_kernelILi32ELi16EidPKddEviiT3_lPKT2_lT1_lS5_lS6_lS2_lPT4_lS6_li,comdat
.Lfunc_end60:
	.size	_ZL20rocblas_gemvn_kernelILi32ELi16EidPKddEviiT3_lPKT2_lT1_lS5_lS6_lS2_lPT4_lS6_li, .Lfunc_end60-_ZL20rocblas_gemvn_kernelILi32ELi16EidPKddEviiT3_lPKT2_lT1_lS5_lS6_lS2_lPT4_lS6_li
                                        ; -- End function
	.section	.AMDGPU.csdata,"",@progbits
; Kernel info:
; codeLenInByte = 2484
; NumSgprs: 47
; NumVgprs: 70
; NumAgprs: 0
; TotalNumVgprs: 70
; ScratchSize: 0
; MemoryBound: 0
; FloatMode: 240
; IeeeMode: 1
; LDSByteSize: 16384 bytes/workgroup (compile time only)
; SGPRBlocks: 5
; VGPRBlocks: 8
; NumSGPRsForWavesPerEU: 47
; NumVGPRsForWavesPerEU: 70
; AccumOffset: 72
; Occupancy: 7
; WaveLimiterHint : 1
; COMPUTE_PGM_RSRC2:SCRATCH_EN: 0
; COMPUTE_PGM_RSRC2:USER_SGPR: 2
; COMPUTE_PGM_RSRC2:TRAP_HANDLER: 0
; COMPUTE_PGM_RSRC2:TGID_X_EN: 1
; COMPUTE_PGM_RSRC2:TGID_Y_EN: 0
; COMPUTE_PGM_RSRC2:TGID_Z_EN: 1
; COMPUTE_PGM_RSRC2:TIDIG_COMP_CNT: 1
; COMPUTE_PGM_RSRC3_GFX90A:ACCUM_OFFSET: 17
; COMPUTE_PGM_RSRC3_GFX90A:TG_SPLIT: 0
	.section	.text._ZL20rocblas_gemvn_kernelILi32ELi16EldPKddEviiT3_lPKT2_lT1_lS5_lS6_lS2_lPT4_lS6_li,"axG",@progbits,_ZL20rocblas_gemvn_kernelILi32ELi16EldPKddEviiT3_lPKT2_lT1_lS5_lS6_lS2_lPT4_lS6_li,comdat
	.globl	_ZL20rocblas_gemvn_kernelILi32ELi16EldPKddEviiT3_lPKT2_lT1_lS5_lS6_lS2_lPT4_lS6_li ; -- Begin function _ZL20rocblas_gemvn_kernelILi32ELi16EldPKddEviiT3_lPKT2_lT1_lS5_lS6_lS2_lPT4_lS6_li
	.p2align	8
	.type	_ZL20rocblas_gemvn_kernelILi32ELi16EldPKddEviiT3_lPKT2_lT1_lS5_lS6_lS2_lPT4_lS6_li,@function
_ZL20rocblas_gemvn_kernelILi32ELi16EldPKddEviiT3_lPKT2_lT1_lS5_lS6_lS2_lPT4_lS6_li: ; @_ZL20rocblas_gemvn_kernelILi32ELi16EldPKddEviiT3_lPKT2_lT1_lS5_lS6_lS2_lPT4_lS6_li
; %bb.0:
	s_load_dwordx2 s[4:5], s[0:1], 0x9c
	s_waitcnt lgkmcnt(0)
	s_lshr_b32 s6, s4, 16
	s_and_b32 s4, s4, 0xffff
	s_and_b32 s5, s5, 0xffff
	s_mul_i32 s4, s6, s4
	s_mul_i32 s4, s4, s5
	s_cmpk_lg_i32 s4, 0x200
	s_cbranch_scc1 .LBB61_50
; %bb.1:
	s_load_dwordx16 s[36:51], s[0:1], 0x8
	s_load_dwordx16 s[8:23], s[0:1], 0x48
	s_waitcnt lgkmcnt(0)
	s_mul_i32 s5, s3, s39
	s_mul_hi_u32 s6, s3, s38
	s_mul_i32 s4, s3, s38
	s_add_i32 s5, s6, s5
	s_lshl_b64 s[4:5], s[4:5], 3
	s_add_u32 s4, s36, s4
	s_addc_u32 s5, s37, s5
	s_mul_i32 s7, s3, s15
	s_load_dwordx2 s[24:25], s[4:5], 0x0
	s_mul_hi_u32 s4, s3, s14
	s_add_i32 s5, s4, s7
	s_mul_i32 s4, s3, s14
	s_lshl_b64 s[4:5], s[4:5], 3
	s_add_u32 s4, s12, s4
	s_addc_u32 s5, s13, s5
	s_load_dwordx2 s[14:15], s[4:5], 0x0
	s_waitcnt lgkmcnt(0)
	v_cmp_eq_f64_e64 s[4:5], s[24:25], 0
	v_cmp_eq_f64_e64 s[6:7], s[14:15], 1.0
	s_and_b64 s[4:5], s[4:5], s[6:7]
	s_and_b64 vcc, exec, s[4:5]
	s_cbranch_vccnz .LBB61_50
; %bb.2:
	s_load_dwordx2 s[26:27], s[0:1], 0x0
	s_mul_i32 s0, s3, s23
	s_mul_hi_u32 s1, s3, s22
	s_add_i32 s1, s1, s0
	s_mul_i32 s0, s3, s22
	s_lshl_b64 s[0:1], s[0:1], 3
	s_add_u32 s4, s16, s0
	s_addc_u32 s5, s17, s1
	s_lshl_b64 s[0:1], s[18:19], 3
	s_add_u32 s12, s4, s0
	s_addc_u32 s13, s5, s1
	v_and_b32_e32 v69, 0x3ff, v0
	v_bfe_u32 v70, v0, 10, 10
	v_cmp_neq_f64_e64 s[0:1], s[24:25], 0
	v_lshl_add_u32 v68, v70, 5, v69
	s_mov_b64 s[16:17], 0
	s_and_b64 vcc, exec, s[0:1]
	s_cbranch_vccnz .LBB61_9
; %bb.3:
	s_movk_i32 s0, 0x80
	v_cmp_gt_u32_e32 vcc, s0, v68
	s_mov_b64 s[0:1], 0
                                        ; implicit-def: $vgpr0_vgpr1
                                        ; implicit-def: $vgpr2_vgpr3
	s_and_saveexec_b64 s[4:5], vcc
	s_cbranch_execz .LBB61_10
; %bb.4:
	v_lshl_or_b32 v4, s2, 7, v68
	v_mov_b32_e32 v5, 0
	s_waitcnt lgkmcnt(0)
	s_ashr_i32 s7, s26, 31
	s_mov_b32 s6, s26
	v_cmp_gt_i64_e32 vcc, s[6:7], v[4:5]
                                        ; implicit-def: $vgpr0_vgpr1
                                        ; implicit-def: $vgpr2_vgpr3
	s_and_saveexec_b64 s[6:7], vcc
	s_cbranch_execz .LBB61_8
; %bb.5:
	v_mad_u64_u32 v[2:3], s[18:19], v4, s20, 0
	v_mov_b32_e32 v6, v3
	v_cmp_eq_f64_e64 s[16:17], s[14:15], 0
	v_mad_u64_u32 v[4:5], s[18:19], v4, s21, v[6:7]
	v_mov_b64_e32 v[0:1], 0
	v_mov_b32_e32 v3, v4
	s_and_b64 vcc, exec, s[16:17]
	s_cbranch_vccnz .LBB61_7
; %bb.6:
	v_lshl_add_u64 v[0:1], v[2:3], 3, s[12:13]
	global_load_dwordx2 v[0:1], v[0:1], off
	s_waitcnt vmcnt(0)
	v_mul_f64 v[0:1], s[14:15], v[0:1]
.LBB61_7:
	s_mov_b64 s[16:17], exec
.LBB61_8:
	s_or_b64 exec, exec, s[6:7]
	s_and_b64 s[16:17], s[16:17], exec
	s_or_b64 exec, exec, s[4:5]
	s_and_b64 vcc, exec, s[0:1]
	s_cbranch_vccnz .LBB61_11
	s_branch .LBB61_48
.LBB61_9:
                                        ; implicit-def: $vgpr0_vgpr1
                                        ; implicit-def: $vgpr2_vgpr3
	s_cbranch_execnz .LBB61_11
	s_branch .LBB61_48
.LBB61_10:
	s_or_b64 exec, exec, s[4:5]
	s_and_b64 vcc, exec, s[0:1]
	s_cbranch_vccz .LBB61_48
.LBB61_11:
	s_mul_i32 s0, s3, s47
	s_mul_hi_u32 s1, s3, s46
	s_add_i32 s19, s1, s0
	s_mul_i32 s0, s3, s11
	s_mul_hi_u32 s1, s3, s10
	s_add_i32 s11, s1, s0
	s_waitcnt lgkmcnt(0)
	s_ashr_i32 s0, s27, 31
	s_lshr_b32 s0, s0, 26
	s_add_i32 s54, s27, s0
	s_lshl_b32 s33, s2, 7
	s_andn2_b32 s54, s54, 63
	v_lshlrev_b32_e32 v71, 2, v70
	v_mov_b64_e32 v[2:3], 0
	s_mul_i32 s18, s3, s46
	s_mul_i32 s10, s3, s10
	v_add_u32_e32 v0, s33, v69
	v_cmp_gt_i32_e32 vcc, s54, v71
	v_mov_b64_e32 v[4:5], v[2:3]
	v_mov_b64_e32 v[6:7], v[2:3]
	v_mov_b64_e32 v[8:9], v[2:3]
	s_and_saveexec_b64 s[22:23], vcc
	s_cbranch_execz .LBB61_23
; %bb.12:
	v_add_u32_e32 v2, 32, v0
	v_cmp_gt_i32_e64 s[0:1], s26, v2
	v_add_u32_e32 v2, 64, v0
	v_cmp_gt_i32_e64 s[2:3], s26, v2
	;; [unrolled: 2-line block ×3, first 2 shown]
	v_mad_u64_u32 v[2:3], s[6:7], s8, v70, 0
	v_mov_b32_e32 v4, v3
	v_mad_u64_u32 v[4:5], s[6:7], s9, v70, v[4:5]
	v_ashrrev_i32_e32 v1, 31, v0
	s_lshl_b64 s[28:29], s[50:51], 3
	s_lshl_b64 s[6:7], s[10:11], 3
	v_mov_b32_e32 v3, v4
	s_add_u32 s6, s48, s6
	v_lshlrev_b64 v[12:13], 3, v[0:1]
	v_lshlrev_b32_e32 v1, 2, v70
	v_lshlrev_b64 v[2:3], 5, v[2:3]
	s_addc_u32 s7, s49, s7
	v_or_b32_e32 v6, 3, v1
	v_lshl_add_u64 v[10:11], s[6:7], 0, v[2:3]
	v_mad_u64_u32 v[2:3], s[34:35], s44, v6, 0
	v_mov_b32_e32 v4, v3
	v_mad_u64_u32 v[4:5], s[34:35], s45, v6, v[4:5]
	s_lshl_b64 s[30:31], s[8:9], 9
	s_lshl_b64 s[34:35], s[18:19], 3
	;; [unrolled: 1-line block ×3, first 2 shown]
	s_add_u32 s36, s40, s36
	s_addc_u32 s37, s41, s37
	s_add_u32 s36, s36, s34
	v_mov_b32_e32 v3, v4
	s_addc_u32 s37, s37, s35
	v_lshl_add_u64 v[14:15], v[2:3], 3, s[36:37]
	v_mad_u64_u32 v[2:3], s[38:39], s8, v6, 0
	v_mov_b32_e32 v4, v3
	v_mad_u64_u32 v[4:5], s[38:39], s9, v6, v[4:5]
	v_mov_b32_e32 v3, v4
	v_lshl_add_u64 v[16:17], v[2:3], 3, s[6:7]
	v_mad_u64_u32 v[2:3], s[38:39], s44, v70, 0
	v_mov_b32_e32 v4, v3
	v_mad_u64_u32 v[4:5], s[38:39], s45, v70, v[4:5]
	v_mov_b32_e32 v3, v4
	v_lshlrev_b64 v[2:3], 5, v[2:3]
	v_or_b32_e32 v6, 2, v1
	v_lshl_add_u64 v[18:19], s[36:37], 0, v[2:3]
	v_mad_u64_u32 v[2:3], s[38:39], s44, v6, 0
	v_mov_b32_e32 v4, v3
	v_mad_u64_u32 v[4:5], s[38:39], s45, v6, v[4:5]
	v_mov_b32_e32 v3, v4
	v_lshl_add_u64 v[20:21], v[2:3], 3, s[36:37]
	v_mad_u64_u32 v[2:3], s[38:39], s8, v6, 0
	v_mov_b32_e32 v4, v3
	v_mad_u64_u32 v[4:5], s[38:39], s9, v6, v[4:5]
	v_mov_b32_e32 v3, v4
	v_lshl_add_u64 v[22:23], v[2:3], 3, s[6:7]
	v_mov_b64_e32 v[2:3], s[8:9]
	v_mad_u64_u32 v[2:3], s[38:39], s8, v1, v[2:3]
	v_mov_b32_e32 v4, v3
	v_mad_u64_u32 v[4:5], s[38:39], s9, v1, v[4:5]
	v_mov_b32_e32 v3, v4
	v_lshl_add_u64 v[24:25], v[2:3], 3, s[6:7]
	v_mov_b64_e32 v[2:3], s[44:45]
	;; [unrolled: 6-line block ×3, first 2 shown]
	v_cmp_gt_i32_e32 vcc, s26, v0
	s_lshl_b64 s[34:35], s[44:45], 9
	s_mov_b64 s[36:37], 0
	v_mov_b64_e32 v[4:5], v[2:3]
	v_mov_b64_e32 v[6:7], v[2:3]
	;; [unrolled: 1-line block ×3, first 2 shown]
	s_branch .LBB61_17
.LBB61_13:                              ;   in Loop: Header=BB61_17 Depth=1
	s_or_b64 exec, exec, s[52:53]
	s_waitcnt vmcnt(3)
	v_fmac_f64_e32 v[6:7], v[28:29], v[66:67]
	s_waitcnt vmcnt(2)
	v_fmac_f64_e32 v[6:7], v[30:31], v[64:65]
	;; [unrolled: 2-line block ×4, first 2 shown]
.LBB61_14:                              ;   in Loop: Header=BB61_17 Depth=1
	s_or_b64 exec, exec, s[46:47]
	s_waitcnt vmcnt(3)
	v_fmac_f64_e32 v[4:5], v[28:29], v[50:51]
	s_waitcnt vmcnt(2)
	v_fmac_f64_e32 v[4:5], v[30:31], v[48:49]
	;; [unrolled: 2-line block ×4, first 2 shown]
.LBB61_15:                              ;   in Loop: Header=BB61_17 Depth=1
	s_or_b64 exec, exec, s[38:39]
	s_waitcnt vmcnt(3)
	v_fmac_f64_e32 v[2:3], v[28:29], v[36:37]
	s_waitcnt vmcnt(2)
	v_fmac_f64_e32 v[2:3], v[30:31], v[38:39]
	;; [unrolled: 2-line block ×4, first 2 shown]
.LBB61_16:                              ;   in Loop: Header=BB61_17 Depth=1
	s_or_b64 exec, exec, s[6:7]
	v_add_u32_e32 v71, 64, v71
	v_cmp_le_i32_e64 s[6:7], s54, v71
	v_lshl_add_u64 v[10:11], v[10:11], 0, s[30:31]
	v_lshl_add_u64 v[14:15], v[14:15], 0, s[34:35]
	;; [unrolled: 1-line block ×7, first 2 shown]
	s_or_b64 s[36:37], s[6:7], s[36:37]
	v_lshl_add_u64 v[26:27], v[26:27], 0, s[34:35]
	s_andn2_b64 exec, exec, s[36:37]
	s_cbranch_execz .LBB61_22
.LBB61_17:                              ; =>This Inner Loop Header: Depth=1
	s_and_saveexec_b64 s[6:7], vcc
	s_cbranch_execz .LBB61_16
; %bb.18:                               ;   in Loop: Header=BB61_17 Depth=1
	v_lshl_add_u64 v[28:29], v[10:11], 0, s[28:29]
	v_lshl_add_u64 v[30:31], v[24:25], 0, s[28:29]
	;; [unrolled: 1-line block ×8, first 2 shown]
	global_load_dwordx2 v[28:29], v[28:29], off
	s_nop 0
	global_load_dwordx2 v[30:31], v[30:31], off
	s_nop 0
	;; [unrolled: 2-line block ×4, first 2 shown]
	global_load_dwordx2 v[36:37], v[58:59], off
	global_load_dwordx2 v[38:39], v[56:57], off
	global_load_dwordx2 v[40:41], v[54:55], off
	global_load_dwordx2 v[42:43], v[52:53], off
	s_and_saveexec_b64 s[38:39], s[0:1]
	s_cbranch_execz .LBB61_15
; %bb.19:                               ;   in Loop: Header=BB61_17 Depth=1
	global_load_dwordx2 v[50:51], v[58:59], off offset:256
	global_load_dwordx2 v[48:49], v[56:57], off offset:256
	;; [unrolled: 1-line block ×4, first 2 shown]
	s_and_saveexec_b64 s[46:47], s[2:3]
	s_cbranch_execz .LBB61_14
; %bb.20:                               ;   in Loop: Header=BB61_17 Depth=1
	global_load_dwordx2 v[66:67], v[58:59], off offset:512
	global_load_dwordx2 v[64:65], v[56:57], off offset:512
	;; [unrolled: 1-line block ×4, first 2 shown]
	s_and_saveexec_b64 s[52:53], s[4:5]
	s_cbranch_execz .LBB61_13
; %bb.21:                               ;   in Loop: Header=BB61_17 Depth=1
	global_load_dwordx2 v[58:59], v[58:59], off offset:768
	s_nop 0
	global_load_dwordx2 v[56:57], v[56:57], off offset:768
	s_nop 0
	;; [unrolled: 2-line block ×3, first 2 shown]
	global_load_dwordx2 v[52:53], v[52:53], off offset:768
	s_waitcnt vmcnt(3)
	v_fmac_f64_e32 v[8:9], v[28:29], v[58:59]
	s_waitcnt vmcnt(2)
	v_fmac_f64_e32 v[8:9], v[30:31], v[56:57]
	;; [unrolled: 2-line block ×4, first 2 shown]
	s_branch .LBB61_13
.LBB61_22:
	s_or_b64 exec, exec, s[36:37]
.LBB61_23:
	s_or_b64 exec, exec, s[22:23]
	s_sub_i32 s0, s27, s54
	s_cmp_lt_i32 s0, 1
	s_cbranch_scc1 .LBB61_41
; %bb.24:
	v_mov_b64_e32 v[12:13], 0
	v_cmp_gt_i32_e32 vcc, s27, v71
	v_or_b32_e32 v20, 1, v71
	v_mov_b64_e32 v[16:17], v[12:13]
	v_mov_b64_e32 v[14:15], v[12:13]
	;; [unrolled: 1-line block ×3, first 2 shown]
	s_and_saveexec_b64 s[2:3], vcc
	s_cbranch_execz .LBB61_32
; %bb.25:
	s_lshl_b64 s[0:1], s[10:11], 3
	s_add_u32 s4, s48, s0
	s_addc_u32 s5, s49, s1
	s_lshl_b64 s[0:1], s[50:51], 3
	s_add_u32 s4, s4, s0
	s_addc_u32 s5, s5, s1
	v_mad_u64_u32 v[10:11], s[0:1], v71, s8, 0
	v_mov_b32_e32 v12, v11
	v_mad_u64_u32 v[12:13], s[0:1], v71, s9, v[12:13]
	v_mov_b32_e32 v11, v12
	v_lshl_add_u64 v[10:11], v[10:11], 3, s[4:5]
	global_load_dwordx2 v[10:11], v[10:11], off
	v_mov_b64_e32 v[14:15], 0
	v_cmp_gt_i32_e64 s[0:1], s27, v20
	v_mov_b64_e32 v[16:17], v[14:15]
	v_mov_b64_e32 v[12:13], v[14:15]
	s_and_saveexec_b64 s[6:7], s[0:1]
	s_cbranch_execz .LBB61_31
; %bb.26:
	v_mad_u64_u32 v[12:13], s[0:1], v20, s8, 0
	v_mov_b32_e32 v14, v13
	v_mad_u64_u32 v[14:15], s[0:1], v20, s9, v[14:15]
	v_mov_b32_e32 v13, v14
	v_lshl_add_u64 v[12:13], v[12:13], 3, s[4:5]
	global_load_dwordx2 v[14:15], v[12:13], off
	v_or_b32_e32 v1, 2, v71
	v_mov_b64_e32 v[16:17], 0
	v_cmp_gt_i32_e64 s[0:1], s27, v1
	v_mov_b64_e32 v[12:13], v[16:17]
	s_and_saveexec_b64 s[10:11], s[0:1]
	s_cbranch_execz .LBB61_30
; %bb.27:
	v_mad_u64_u32 v[12:13], s[0:1], v1, s8, 0
	v_mov_b32_e32 v16, v13
	v_mad_u64_u32 v[16:17], s[0:1], v1, s9, v[16:17]
	v_mov_b32_e32 v13, v16
	v_lshl_add_u64 v[12:13], v[12:13], 3, s[4:5]
	global_load_dwordx2 v[16:17], v[12:13], off
	v_or_b32_e32 v1, 3, v71
	v_cmp_gt_i32_e64 s[0:1], s27, v1
	v_mov_b64_e32 v[12:13], 0
	s_and_saveexec_b64 s[22:23], s[0:1]
	s_cbranch_execz .LBB61_29
; %bb.28:
	v_mad_u64_u32 v[12:13], s[0:1], v1, s8, 0
	v_mov_b32_e32 v18, v13
	v_mad_u64_u32 v[18:19], s[0:1], v1, s9, v[18:19]
	v_mov_b32_e32 v13, v18
	v_lshl_add_u64 v[12:13], v[12:13], 3, s[4:5]
	global_load_dwordx2 v[12:13], v[12:13], off
.LBB61_29:
	s_or_b64 exec, exec, s[22:23]
.LBB61_30:
	s_or_b64 exec, exec, s[10:11]
.LBB61_31:
	s_or_b64 exec, exec, s[6:7]
.LBB61_32:
	s_or_b64 exec, exec, s[2:3]
	v_cmp_gt_i32_e64 s[0:1], s26, v0
	s_and_saveexec_b64 s[2:3], s[0:1]
	s_cbranch_execz .LBB61_40
; %bb.33:
	s_lshl_b64 s[0:1], s[18:19], 3
	s_add_u32 s4, s40, s0
	s_addc_u32 s5, s41, s1
	s_lshl_b64 s[0:1], s[42:43], 3
	s_add_u32 s0, s4, s0
	s_addc_u32 s1, s5, s1
	v_mad_u64_u32 v[18:19], s[4:5], v71, s44, 0
	v_mov_b32_e32 v22, v19
	v_ashrrev_i32_e32 v1, 31, v0
	v_mad_u64_u32 v[22:23], s[4:5], v71, s45, v[22:23]
	v_mad_u64_u32 v[24:25], s[4:5], v20, s44, 0
	v_cndmask_b32_e32 v18, 0, v18, vcc
	v_cndmask_b32_e32 v19, 0, v22, vcc
	v_lshlrev_b64 v[22:23], 3, v[0:1]
	v_mov_b32_e32 v26, v25
	v_cmp_gt_i32_e32 vcc, s27, v20
	v_or_b32_e32 v1, 2, v71
	v_mad_u64_u32 v[26:27], s[4:5], v20, s45, v[26:27]
	v_cndmask_b32_e32 v20, 0, v24, vcc
	v_mad_u64_u32 v[24:25], s[4:5], v1, s44, 0
	v_cndmask_b32_e32 v21, 0, v26, vcc
	v_mov_b32_e32 v26, v25
	v_mad_u64_u32 v[26:27], s[4:5], v1, s45, v[26:27]
	v_cmp_gt_i32_e32 vcc, s27, v1
	v_or_b32_e32 v1, 3, v71
	v_lshl_add_u64 v[18:19], v[18:19], 3, s[0:1]
	v_cndmask_b32_e32 v25, 0, v26, vcc
	v_mad_u64_u32 v[26:27], s[4:5], v1, s44, 0
	v_mov_b32_e32 v28, v27
	v_cndmask_b32_e32 v24, 0, v24, vcc
	v_mad_u64_u32 v[28:29], s[4:5], v1, s45, v[28:29]
	v_cmp_gt_i32_e32 vcc, s27, v1
	v_lshl_add_u64 v[18:19], v[18:19], 0, v[22:23]
	v_lshl_add_u64 v[20:21], v[20:21], 3, s[0:1]
	v_cndmask_b32_e32 v26, 0, v26, vcc
	v_cndmask_b32_e32 v27, 0, v28, vcc
	v_lshl_add_u64 v[24:25], v[24:25], 3, s[0:1]
	v_lshl_add_u64 v[26:27], v[26:27], 3, s[0:1]
	;; [unrolled: 1-line block ×4, first 2 shown]
	global_load_dwordx2 v[28:29], v[18:19], off
	global_load_dwordx2 v[30:31], v[20:21], off
	;; [unrolled: 1-line block ×3, first 2 shown]
	v_lshl_add_u64 v[26:27], v[26:27], 0, v[22:23]
	global_load_dwordx2 v[22:23], v[26:27], off
	v_add_u32_e32 v1, 32, v0
	v_cmp_gt_i32_e32 vcc, s26, v1
	s_waitcnt vmcnt(3)
	v_fmac_f64_e32 v[2:3], v[10:11], v[28:29]
	s_waitcnt vmcnt(2)
	v_fmac_f64_e32 v[2:3], v[14:15], v[30:31]
	s_waitcnt vmcnt(1)
	v_fmac_f64_e32 v[2:3], v[16:17], v[32:33]
	s_and_saveexec_b64 s[0:1], vcc
	s_cbranch_execz .LBB61_39
; %bb.34:
	global_load_dwordx2 v[30:31], v[18:19], off offset:256
	global_load_dwordx2 v[32:33], v[20:21], off offset:256
	global_load_dwordx2 v[34:35], v[24:25], off offset:256
	global_load_dwordx2 v[28:29], v[26:27], off offset:256
	v_add_u32_e32 v1, 64, v0
	v_cmp_gt_i32_e32 vcc, s26, v1
	s_waitcnt vmcnt(3)
	v_fmac_f64_e32 v[4:5], v[10:11], v[30:31]
	s_waitcnt vmcnt(2)
	v_fmac_f64_e32 v[4:5], v[14:15], v[32:33]
	s_waitcnt vmcnt(1)
	v_fmac_f64_e32 v[4:5], v[16:17], v[34:35]
	s_and_saveexec_b64 s[4:5], vcc
	s_cbranch_execz .LBB61_38
; %bb.35:
	global_load_dwordx2 v[32:33], v[18:19], off offset:512
	global_load_dwordx2 v[34:35], v[20:21], off offset:512
	global_load_dwordx2 v[36:37], v[24:25], off offset:512
	global_load_dwordx2 v[30:31], v[26:27], off offset:512
	;; [unrolled: 15-line block ×3, first 2 shown]
	s_waitcnt vmcnt(3)
	v_fmac_f64_e32 v[8:9], v[10:11], v[0:1]
	s_waitcnt vmcnt(2)
	v_fmac_f64_e32 v[8:9], v[14:15], v[32:33]
	;; [unrolled: 2-line block ×4, first 2 shown]
.LBB61_37:
	s_or_b64 exec, exec, s[6:7]
	s_waitcnt vmcnt(0)
	v_fmac_f64_e32 v[6:7], v[12:13], v[30:31]
.LBB61_38:
	s_or_b64 exec, exec, s[4:5]
	s_waitcnt vmcnt(0)
	v_fmac_f64_e32 v[4:5], v[12:13], v[28:29]
.LBB61_39:
	s_or_b64 exec, exec, s[0:1]
	s_waitcnt vmcnt(0)
	v_fmac_f64_e32 v[2:3], v[12:13], v[22:23]
.LBB61_40:
	s_or_b64 exec, exec, s[2:3]
.LBB61_41:
	v_lshlrev_b32_e32 v0, 7, v70
	s_movk_i32 s0, 0x80
	v_add_lshl_u32 v0, v0, v69, 3
	v_cmp_gt_u32_e32 vcc, s0, v68
	ds_write2_b64 v0, v[2:3], v[4:5] offset1:32
	ds_write2_b64 v0, v[6:7], v[8:9] offset0:64 offset1:96
	s_waitcnt lgkmcnt(0)
	s_barrier
	s_waitcnt lgkmcnt(0)
                                        ; implicit-def: $vgpr0_vgpr1
                                        ; implicit-def: $vgpr2_vgpr3
	s_and_saveexec_b64 s[0:1], vcc
	s_cbranch_execz .LBB61_47
; %bb.42:
	v_lshlrev_b32_e32 v20, 3, v68
	ds_read2st64_b64 v[0:3], v20 offset1:2
	ds_read2st64_b64 v[4:7], v20 offset0:4 offset1:6
	s_waitcnt vmcnt(0)
	ds_read2st64_b64 v[8:11], v20 offset0:8 offset1:10
	ds_read2st64_b64 v[12:15], v20 offset0:12 offset1:14
	ds_read2st64_b64 v[16:19], v20 offset0:16 offset1:18
	s_waitcnt lgkmcnt(4)
	v_add_f64 v[0:1], v[0:1], v[2:3]
	s_waitcnt lgkmcnt(3)
	v_add_f64 v[0:1], v[4:5], v[0:1]
	v_add_f64 v[0:1], v[6:7], v[0:1]
	s_waitcnt lgkmcnt(2)
	v_add_f64 v[0:1], v[8:9], v[0:1]
	;; [unrolled: 3-line block ×3, first 2 shown]
	v_add_f64 v[4:5], v[14:15], v[0:1]
	ds_read2st64_b64 v[0:3], v20 offset0:20 offset1:22
	s_waitcnt lgkmcnt(1)
	v_add_f64 v[8:9], v[16:17], v[4:5]
	ds_read2st64_b64 v[4:7], v20 offset0:24 offset1:26
	v_add_f64 v[12:13], v[18:19], v[8:9]
	ds_read2st64_b64 v[8:11], v20 offset0:28 offset1:30
	s_waitcnt lgkmcnt(2)
	v_add_f64 v[0:1], v[0:1], v[12:13]
	v_add_f64 v[0:1], v[2:3], v[0:1]
	s_waitcnt lgkmcnt(1)
	v_add_f64 v[0:1], v[4:5], v[0:1]
	v_add_f64 v[0:1], v[6:7], v[0:1]
	s_waitcnt lgkmcnt(0)
	v_add_f64 v[0:1], v[8:9], v[0:1]
	v_or_b32_e32 v6, s33, v68
	v_add_f64 v[4:5], v[10:11], v[0:1]
	v_cmp_gt_i32_e32 vcc, s26, v6
	s_mov_b64 s[4:5], s[16:17]
	ds_write_b64 v20, v[4:5]
                                        ; implicit-def: $vgpr0_vgpr1
                                        ; implicit-def: $vgpr2_vgpr3
	s_and_saveexec_b64 s[2:3], vcc
	s_cbranch_execz .LBB61_46
; %bb.43:
	v_ashrrev_i32_e32 v2, 31, v6
	v_cmp_eq_f64_e64 s[4:5], s[14:15], 0
	v_mul_f64 v[0:1], s[24:25], v[4:5]
	v_mul_lo_u32 v4, v6, s21
	v_mul_lo_u32 v5, v2, s20
	v_mad_u64_u32 v[2:3], s[6:7], v6, s20, 0
	v_add3_u32 v3, v3, v4, v5
	s_and_b64 vcc, exec, s[4:5]
	s_cbranch_vccnz .LBB61_45
; %bb.44:
	v_lshl_add_u64 v[4:5], v[2:3], 3, s[12:13]
	global_load_dwordx2 v[4:5], v[4:5], off
	s_waitcnt vmcnt(0)
	v_fmac_f64_e32 v[0:1], s[14:15], v[4:5]
.LBB61_45:
	s_or_b64 s[4:5], s[16:17], exec
.LBB61_46:
	s_or_b64 exec, exec, s[2:3]
	s_andn2_b64 s[2:3], s[16:17], exec
	s_and_b64 s[4:5], s[4:5], exec
	s_or_b64 s[16:17], s[2:3], s[4:5]
.LBB61_47:
	s_or_b64 exec, exec, s[0:1]
.LBB61_48:
	s_and_saveexec_b64 s[0:1], s[16:17]
	s_cbranch_execz .LBB61_50
; %bb.49:
	v_lshl_add_u64 v[2:3], v[2:3], 3, s[12:13]
	global_store_dwordx2 v[2:3], v[0:1], off
.LBB61_50:
	s_endpgm
	.section	.rodata,"a",@progbits
	.p2align	6, 0x0
	.amdhsa_kernel _ZL20rocblas_gemvn_kernelILi32ELi16EldPKddEviiT3_lPKT2_lT1_lS5_lS6_lS2_lPT4_lS6_li
		.amdhsa_group_segment_fixed_size 16384
		.amdhsa_private_segment_fixed_size 0
		.amdhsa_kernarg_size 400
		.amdhsa_user_sgpr_count 2
		.amdhsa_user_sgpr_dispatch_ptr 0
		.amdhsa_user_sgpr_queue_ptr 0
		.amdhsa_user_sgpr_kernarg_segment_ptr 1
		.amdhsa_user_sgpr_dispatch_id 0
		.amdhsa_user_sgpr_kernarg_preload_length 0
		.amdhsa_user_sgpr_kernarg_preload_offset 0
		.amdhsa_user_sgpr_private_segment_size 0
		.amdhsa_uses_dynamic_stack 0
		.amdhsa_enable_private_segment 0
		.amdhsa_system_sgpr_workgroup_id_x 1
		.amdhsa_system_sgpr_workgroup_id_y 0
		.amdhsa_system_sgpr_workgroup_id_z 1
		.amdhsa_system_sgpr_workgroup_info 0
		.amdhsa_system_vgpr_workitem_id 1
		.amdhsa_next_free_vgpr 72
		.amdhsa_next_free_sgpr 55
		.amdhsa_accum_offset 72
		.amdhsa_reserve_vcc 1
		.amdhsa_float_round_mode_32 0
		.amdhsa_float_round_mode_16_64 0
		.amdhsa_float_denorm_mode_32 3
		.amdhsa_float_denorm_mode_16_64 3
		.amdhsa_dx10_clamp 1
		.amdhsa_ieee_mode 1
		.amdhsa_fp16_overflow 0
		.amdhsa_tg_split 0
		.amdhsa_exception_fp_ieee_invalid_op 0
		.amdhsa_exception_fp_denorm_src 0
		.amdhsa_exception_fp_ieee_div_zero 0
		.amdhsa_exception_fp_ieee_overflow 0
		.amdhsa_exception_fp_ieee_underflow 0
		.amdhsa_exception_fp_ieee_inexact 0
		.amdhsa_exception_int_div_zero 0
	.end_amdhsa_kernel
	.section	.text._ZL20rocblas_gemvn_kernelILi32ELi16EldPKddEviiT3_lPKT2_lT1_lS5_lS6_lS2_lPT4_lS6_li,"axG",@progbits,_ZL20rocblas_gemvn_kernelILi32ELi16EldPKddEviiT3_lPKT2_lT1_lS5_lS6_lS2_lPT4_lS6_li,comdat
.Lfunc_end61:
	.size	_ZL20rocblas_gemvn_kernelILi32ELi16EldPKddEviiT3_lPKT2_lT1_lS5_lS6_lS2_lPT4_lS6_li, .Lfunc_end61-_ZL20rocblas_gemvn_kernelILi32ELi16EldPKddEviiT3_lPKT2_lT1_lS5_lS6_lS2_lPT4_lS6_li
                                        ; -- End function
	.section	.AMDGPU.csdata,"",@progbits
; Kernel info:
; codeLenInByte = 2820
; NumSgprs: 61
; NumVgprs: 72
; NumAgprs: 0
; TotalNumVgprs: 72
; ScratchSize: 0
; MemoryBound: 1
; FloatMode: 240
; IeeeMode: 1
; LDSByteSize: 16384 bytes/workgroup (compile time only)
; SGPRBlocks: 7
; VGPRBlocks: 8
; NumSGPRsForWavesPerEU: 61
; NumVGPRsForWavesPerEU: 72
; AccumOffset: 72
; Occupancy: 7
; WaveLimiterHint : 0
; COMPUTE_PGM_RSRC2:SCRATCH_EN: 0
; COMPUTE_PGM_RSRC2:USER_SGPR: 2
; COMPUTE_PGM_RSRC2:TRAP_HANDLER: 0
; COMPUTE_PGM_RSRC2:TGID_X_EN: 1
; COMPUTE_PGM_RSRC2:TGID_Y_EN: 0
; COMPUTE_PGM_RSRC2:TGID_Z_EN: 1
; COMPUTE_PGM_RSRC2:TIDIG_COMP_CNT: 1
; COMPUTE_PGM_RSRC3_GFX90A:ACCUM_OFFSET: 17
; COMPUTE_PGM_RSRC3_GFX90A:TG_SPLIT: 0
	.section	.text._ZL20rocblas_gemvn_kernelILi32ELi16EidddEviiT3_lPKT2_lT1_lS3_lS4_lS0_lPT4_lS4_li,"axG",@progbits,_ZL20rocblas_gemvn_kernelILi32ELi16EidddEviiT3_lPKT2_lT1_lS3_lS4_lS0_lPT4_lS4_li,comdat
	.globl	_ZL20rocblas_gemvn_kernelILi32ELi16EidddEviiT3_lPKT2_lT1_lS3_lS4_lS0_lPT4_lS4_li ; -- Begin function _ZL20rocblas_gemvn_kernelILi32ELi16EidddEviiT3_lPKT2_lT1_lS3_lS4_lS0_lPT4_lS4_li
	.p2align	8
	.type	_ZL20rocblas_gemvn_kernelILi32ELi16EidddEviiT3_lPKT2_lT1_lS3_lS4_lS0_lPT4_lS4_li,@function
_ZL20rocblas_gemvn_kernelILi32ELi16EidddEviiT3_lPKT2_lT1_lS3_lS4_lS0_lPT4_lS4_li: ; @_ZL20rocblas_gemvn_kernelILi32ELi16EidddEviiT3_lPKT2_lT1_lS3_lS4_lS0_lPT4_lS4_li
; %bb.0:
	s_load_dwordx2 s[4:5], s[0:1], 0x9c
	s_waitcnt lgkmcnt(0)
	s_lshr_b32 s6, s4, 16
	s_and_b32 s4, s4, 0xffff
	s_and_b32 s5, s5, 0xffff
	s_mul_i32 s4, s6, s4
	s_mul_i32 s4, s4, s5
	s_cmpk_lg_i32 s4, 0x200
	s_cbranch_scc1 .LBB62_50
; %bb.1:
	s_load_dwordx2 s[14:15], s[0:1], 0x8
	s_load_dwordx4 s[8:11], s[0:1], 0x50
	s_waitcnt lgkmcnt(0)
	v_cmp_eq_f64_e64 s[4:5], s[14:15], 0
	v_cmp_eq_f64_e64 s[6:7], s[10:11], 1.0
	s_and_b64 s[4:5], s[4:5], s[6:7]
	s_and_b64 vcc, exec, s[4:5]
	s_cbranch_vccnz .LBB62_50
; %bb.2:
	s_load_dwordx2 s[12:13], s[0:1], 0x80
	s_load_dword s33, s[0:1], 0x78
	s_load_dwordx2 s[16:17], s[0:1], 0x0
	s_load_dwordx4 s[4:7], s[0:1], 0x68
	v_and_b32_e32 v2, 0x3ff, v0
	s_waitcnt lgkmcnt(0)
	s_mul_i32 s13, s3, s13
	s_mul_hi_u32 s18, s3, s12
	s_add_i32 s13, s18, s13
	s_mul_i32 s12, s3, s12
	s_lshl_b64 s[12:13], s[12:13], 3
	s_add_u32 s12, s4, s12
	s_addc_u32 s13, s5, s13
	s_lshl_b64 s[4:5], s[6:7], 3
	s_add_u32 s12, s12, s4
	s_addc_u32 s13, s13, s5
	v_bfe_u32 v3, v0, 10, 10
	v_cmp_neq_f64_e64 s[4:5], s[14:15], 0
	v_lshl_add_u32 v54, v3, 5, v2
	s_mov_b64 s[18:19], 0
	s_and_b64 vcc, exec, s[4:5]
	s_cbranch_vccnz .LBB62_9
; %bb.3:
	s_movk_i32 s4, 0x80
	v_cmp_gt_u32_e32 vcc, s4, v54
	s_mov_b64 s[4:5], 0
                                        ; implicit-def: $vgpr0_vgpr1
                                        ; implicit-def: $vgpr4_vgpr5
	s_and_saveexec_b64 s[6:7], vcc
	s_cbranch_execz .LBB62_10
; %bb.4:
	v_lshl_or_b32 v6, s2, 7, v54
	v_mov_b32_e32 v7, 0
	s_ashr_i32 s19, s16, 31
	s_mov_b32 s18, s16
	v_cmp_gt_i64_e32 vcc, s[18:19], v[6:7]
	s_mov_b64 s[20:21], 0
                                        ; implicit-def: $vgpr0_vgpr1
                                        ; implicit-def: $vgpr4_vgpr5
	s_and_saveexec_b64 s[18:19], vcc
	s_cbranch_execz .LBB62_8
; %bb.5:
	v_mad_u64_u32 v[4:5], s[22:23], s33, v6, 0
	s_ashr_i32 s24, s33, 31
	v_mov_b32_e32 v8, v5
	v_cmp_eq_f64_e64 s[20:21], s[10:11], 0
	v_mad_u64_u32 v[6:7], s[22:23], s24, v6, v[8:9]
	v_mov_b64_e32 v[0:1], 0
	v_mov_b32_e32 v5, v6
	s_and_b64 vcc, exec, s[20:21]
	s_cbranch_vccnz .LBB62_7
; %bb.6:
	v_lshl_add_u64 v[0:1], v[4:5], 3, s[12:13]
	global_load_dwordx2 v[0:1], v[0:1], off
	s_waitcnt vmcnt(0)
	v_mul_f64 v[0:1], v[0:1], s[10:11]
.LBB62_7:
	s_mov_b64 s[20:21], exec
.LBB62_8:
	s_or_b64 exec, exec, s[18:19]
	s_and_b64 s[18:19], s[20:21], exec
	s_or_b64 exec, exec, s[6:7]
	s_and_b64 vcc, exec, s[4:5]
	s_cbranch_vccnz .LBB62_11
	s_branch .LBB62_48
.LBB62_9:
                                        ; implicit-def: $vgpr0_vgpr1
                                        ; implicit-def: $vgpr4_vgpr5
	s_cbranch_execnz .LBB62_11
	s_branch .LBB62_48
.LBB62_10:
	s_or_b64 exec, exec, s[6:7]
	s_and_b64 vcc, exec, s[4:5]
	s_cbranch_vccz .LBB62_48
.LBB62_11:
	s_load_dwordx4 s[4:7], s[0:1], 0x30
	s_load_dwordx4 s[20:23], s[0:1], 0x18
	s_load_dword s35, s[0:1], 0x28
	s_load_dwordx2 s[24:25], s[0:1], 0x40
	s_load_dword s36, s[0:1], 0x48
	s_waitcnt lgkmcnt(0)
	s_mul_i32 s0, s3, s5
	s_mul_hi_u32 s1, s3, s4
	s_add_i32 s1, s1, s0
	s_mul_i32 s0, s3, s4
	s_lshl_b64 s[0:1], s[0:1], 3
	s_add_u32 s4, s20, s0
	s_addc_u32 s5, s21, s1
	s_lshl_b64 s[0:1], s[22:23], 3
	s_add_u32 s20, s4, s0
	s_addc_u32 s21, s5, s1
	s_mul_i32 s0, s3, s9
	s_mul_hi_u32 s1, s3, s8
	s_add_i32 s1, s1, s0
	s_mul_i32 s0, s3, s8
	s_lshl_b64 s[0:1], s[0:1], 3
	s_add_u32 s3, s6, s0
	s_addc_u32 s4, s7, s1
	s_lshl_b64 s[0:1], s[24:25], 3
	s_add_u32 s8, s3, s0
	s_addc_u32 s9, s4, s1
	s_ashr_i32 s0, s17, 31
	s_lshr_b32 s0, s0, 26
	s_add_i32 s38, s17, s0
	s_lshl_b32 s34, s2, 7
	s_andn2_b32 s38, s38, 63
	v_lshlrev_b32_e32 v56, 2, v3
	v_mov_b64_e32 v[0:1], 0
	s_mov_b32 s37, 0
	v_add_u32_e32 v55, s34, v2
	v_cmp_gt_i32_e32 vcc, s38, v56
	v_mov_b64_e32 v[4:5], v[0:1]
	v_mov_b64_e32 v[6:7], v[0:1]
	;; [unrolled: 1-line block ×3, first 2 shown]
	s_and_saveexec_b64 s[22:23], vcc
	s_cbranch_execz .LBB62_23
; %bb.12:
	v_add_u32_e32 v0, 32, v55
	v_cmp_gt_i32_e64 s[0:1], s16, v0
	v_add_u32_e32 v0, 64, v55
	v_cmp_gt_i32_e64 s[2:3], s16, v0
	;; [unrolled: 2-line block ×3, first 2 shown]
	v_mul_lo_u32 v0, s35, v56
	v_add3_u32 v57, v0, s35, v2
	v_add_u32_e32 v0, 2, v56
	v_mad_u64_u32 v[10:11], s[6:7], s35, v0, v[2:3]
	v_add_u32_e32 v1, 3, v56
	v_mul_lo_u32 v4, v3, s35
	v_mul_lo_u32 v58, s36, v0
	;; [unrolled: 1-line block ×3, first 2 shown]
	v_mad_u64_u32 v[12:13], s[6:7], s35, v1, v[2:3]
	v_lshl_add_u32 v11, v4, 2, v2
	v_mul_lo_u32 v4, s36, v56
	v_mul_lo_u32 v59, s36, v1
	v_lshlrev_b32_e32 v60, 2, v0
	v_mov_b64_e32 v[0:1], 0
	v_cmp_gt_i32_e32 vcc, s16, v55
	s_lshl_b32 s39, s35, 6
	v_add_u32_e32 v13, s36, v4
	s_lshl_b32 s40, s36, 6
	s_mov_b64 s[24:25], 0
	v_mov_b64_e32 v[4:5], v[0:1]
	v_mov_b64_e32 v[6:7], v[0:1]
	;; [unrolled: 1-line block ×3, first 2 shown]
	s_branch .LBB62_17
.LBB62_13:                              ;   in Loop: Header=BB62_17 Depth=1
	s_or_b64 exec, exec, s[30:31]
	s_waitcnt vmcnt(3)
	v_fmac_f64_e32 v[6:7], v[20:21], v[52:53]
	s_waitcnt vmcnt(2)
	v_fmac_f64_e32 v[6:7], v[18:19], v[50:51]
	;; [unrolled: 2-line block ×4, first 2 shown]
.LBB62_14:                              ;   in Loop: Header=BB62_17 Depth=1
	s_or_b64 exec, exec, s[28:29]
	s_waitcnt vmcnt(3)
	v_fmac_f64_e32 v[4:5], v[20:21], v[38:39]
	s_waitcnt vmcnt(2)
	v_fmac_f64_e32 v[4:5], v[18:19], v[36:37]
	;; [unrolled: 2-line block ×4, first 2 shown]
.LBB62_15:                              ;   in Loop: Header=BB62_17 Depth=1
	s_or_b64 exec, exec, s[26:27]
	s_waitcnt vmcnt(3)
	v_fmac_f64_e32 v[0:1], v[20:21], v[28:29]
	s_waitcnt vmcnt(2)
	v_fmac_f64_e32 v[0:1], v[18:19], v[26:27]
	;; [unrolled: 2-line block ×4, first 2 shown]
.LBB62_16:                              ;   in Loop: Header=BB62_17 Depth=1
	s_or_b64 exec, exec, s[6:7]
	v_add_u32_e32 v56, 64, v56
	s_add_i32 s37, s37, s40
	v_cmp_le_i32_e64 s[6:7], s38, v56
	v_add_u32_e32 v57, s39, v57
	v_add_u32_e32 v10, s39, v10
	;; [unrolled: 1-line block ×3, first 2 shown]
	s_or_b64 s[24:25], s[6:7], s[24:25]
	v_add_u32_e32 v11, s39, v11
	s_andn2_b64 exec, exec, s[24:25]
	s_cbranch_execz .LBB62_22
.LBB62_17:                              ; =>This Inner Loop Header: Depth=1
	s_and_saveexec_b64 s[6:7], vcc
	s_cbranch_execz .LBB62_16
; %bb.18:                               ;   in Loop: Header=BB62_17 Depth=1
	v_add_u32_e32 v14, s37, v60
	v_ashrrev_i32_e32 v15, 31, v14
	v_lshl_add_u64 v[22:23], v[14:15], 3, s[8:9]
	v_add_u32_e32 v14, s37, v13
	v_ashrrev_i32_e32 v15, 31, v14
	v_lshl_add_u64 v[24:25], v[14:15], 3, s[8:9]
	;; [unrolled: 3-line block ×4, first 2 shown]
	global_load_dwordx2 v[20:21], v[22:23], off
	global_load_dwordx2 v[18:19], v[24:25], off
	;; [unrolled: 1-line block ×4, first 2 shown]
	v_add_u32_e32 v22, s34, v11
	v_ashrrev_i32_e32 v23, 31, v22
	v_lshl_add_u64 v[30:31], v[22:23], 3, s[20:21]
	v_add_u32_e32 v22, s34, v57
	v_ashrrev_i32_e32 v23, 31, v22
	v_lshl_add_u64 v[40:41], v[22:23], 3, s[20:21]
	;; [unrolled: 3-line block ×4, first 2 shown]
	global_load_dwordx2 v[28:29], v[30:31], off
	global_load_dwordx2 v[26:27], v[40:41], off
	;; [unrolled: 1-line block ×4, first 2 shown]
	s_and_saveexec_b64 s[26:27], s[0:1]
	s_cbranch_execz .LBB62_15
; %bb.19:                               ;   in Loop: Header=BB62_17 Depth=1
	global_load_dwordx2 v[38:39], v[30:31], off offset:256
	global_load_dwordx2 v[36:37], v[40:41], off offset:256
	global_load_dwordx2 v[34:35], v[42:43], off offset:256
	global_load_dwordx2 v[32:33], v[44:45], off offset:256
	s_and_saveexec_b64 s[28:29], s[2:3]
	s_cbranch_execz .LBB62_14
; %bb.20:                               ;   in Loop: Header=BB62_17 Depth=1
	global_load_dwordx2 v[52:53], v[30:31], off offset:512
	global_load_dwordx2 v[50:51], v[40:41], off offset:512
	global_load_dwordx2 v[48:49], v[42:43], off offset:512
	global_load_dwordx2 v[46:47], v[44:45], off offset:512
	;; [unrolled: 7-line block ×3, first 2 shown]
	s_waitcnt vmcnt(3)
	v_fmac_f64_e32 v[8:9], v[20:21], v[62:63]
	s_waitcnt vmcnt(2)
	v_fmac_f64_e32 v[8:9], v[18:19], v[64:65]
	;; [unrolled: 2-line block ×4, first 2 shown]
	s_branch .LBB62_13
.LBB62_22:
	s_or_b64 exec, exec, s[24:25]
.LBB62_23:
	s_or_b64 exec, exec, s[22:23]
	s_sub_i32 s0, s17, s38
	s_cmp_lt_i32 s0, 1
	s_cbranch_scc1 .LBB62_41
; %bb.24:
	v_mov_b64_e32 v[10:11], 0
	v_cmp_gt_i32_e32 vcc, s17, v56
	v_or_b32_e32 v20, 1, v56
	v_mov_b64_e32 v[16:17], v[10:11]
	v_mov_b64_e32 v[14:15], v[10:11]
	;; [unrolled: 1-line block ×3, first 2 shown]
	s_and_saveexec_b64 s[2:3], vcc
	s_cbranch_execz .LBB62_32
; %bb.25:
	v_mul_lo_u32 v10, v56, s36
	v_ashrrev_i32_e32 v11, 31, v10
	v_lshl_add_u64 v[10:11], v[10:11], 3, s[8:9]
	global_load_dwordx2 v[12:13], v[10:11], off
	v_mov_b64_e32 v[14:15], 0
	v_cmp_gt_i32_e64 s[0:1], s17, v20
	v_mov_b64_e32 v[16:17], v[14:15]
	v_mov_b64_e32 v[10:11], v[14:15]
	s_and_saveexec_b64 s[4:5], s[0:1]
	s_cbranch_execz .LBB62_31
; %bb.26:
	v_mul_lo_u32 v10, v20, s36
	v_ashrrev_i32_e32 v11, 31, v10
	v_lshl_add_u64 v[10:11], v[10:11], 3, s[8:9]
	global_load_dwordx2 v[14:15], v[10:11], off
	v_or_b32_e32 v18, 2, v56
	v_mov_b64_e32 v[16:17], 0
	v_cmp_gt_i32_e64 s[0:1], s17, v18
	v_mov_b64_e32 v[10:11], v[16:17]
	s_and_saveexec_b64 s[6:7], s[0:1]
	s_cbranch_execz .LBB62_30
; %bb.27:
	v_mul_lo_u32 v10, v18, s36
	v_ashrrev_i32_e32 v11, 31, v10
	v_lshl_add_u64 v[10:11], v[10:11], 3, s[8:9]
	global_load_dwordx2 v[16:17], v[10:11], off
	v_or_b32_e32 v18, 3, v56
	v_cmp_gt_i32_e64 s[0:1], s17, v18
	v_mov_b64_e32 v[10:11], 0
	s_and_saveexec_b64 s[22:23], s[0:1]
	s_cbranch_execz .LBB62_29
; %bb.28:
	v_mul_lo_u32 v10, v18, s36
	v_ashrrev_i32_e32 v11, 31, v10
	v_lshl_add_u64 v[10:11], v[10:11], 3, s[8:9]
	global_load_dwordx2 v[10:11], v[10:11], off
.LBB62_29:
	s_or_b64 exec, exec, s[22:23]
.LBB62_30:
	s_or_b64 exec, exec, s[6:7]
.LBB62_31:
	s_or_b64 exec, exec, s[4:5]
.LBB62_32:
	s_or_b64 exec, exec, s[2:3]
	v_cmp_gt_i32_e64 s[0:1], s16, v55
	s_and_saveexec_b64 s[2:3], s[0:1]
	s_cbranch_execz .LBB62_40
; %bb.33:
	v_mul_lo_u32 v18, v56, s35
	v_cndmask_b32_e32 v18, 0, v18, vcc
	v_mul_lo_u32 v21, v20, s35
	v_cmp_gt_i32_e32 vcc, s17, v20
	v_add_u32_e32 v18, v18, v55
	v_ashrrev_i32_e32 v19, 31, v18
	v_cndmask_b32_e32 v20, 0, v21, vcc
	v_add_u32_e32 v20, v20, v55
	v_ashrrev_i32_e32 v21, 31, v20
	v_lshl_add_u64 v[22:23], v[20:21], 3, s[20:21]
	v_or_b32_e32 v20, 2, v56
	v_mul_lo_u32 v21, v20, s35
	v_cmp_gt_i32_e32 vcc, s17, v20
	v_lshl_add_u64 v[18:19], v[18:19], 3, s[20:21]
	v_add_u32_e32 v34, 32, v55
	v_cndmask_b32_e32 v20, 0, v21, vcc
	v_add_u32_e32 v20, v20, v55
	v_ashrrev_i32_e32 v21, 31, v20
	v_lshl_add_u64 v[24:25], v[20:21], 3, s[20:21]
	v_or_b32_e32 v20, 3, v56
	v_mul_lo_u32 v21, v20, s35
	v_cmp_gt_i32_e32 vcc, s17, v20
	global_load_dwordx2 v[28:29], v[18:19], off
	global_load_dwordx2 v[30:31], v[22:23], off
	;; [unrolled: 1-line block ×3, first 2 shown]
	v_cndmask_b32_e32 v20, 0, v21, vcc
	v_add_u32_e32 v20, v20, v55
	v_ashrrev_i32_e32 v21, 31, v20
	v_lshl_add_u64 v[26:27], v[20:21], 3, s[20:21]
	global_load_dwordx2 v[20:21], v[26:27], off
	v_cmp_gt_i32_e32 vcc, s16, v34
	s_waitcnt vmcnt(3)
	v_fmac_f64_e32 v[0:1], v[12:13], v[28:29]
	s_waitcnt vmcnt(2)
	v_fmac_f64_e32 v[0:1], v[14:15], v[30:31]
	;; [unrolled: 2-line block ×3, first 2 shown]
	s_and_saveexec_b64 s[0:1], vcc
	s_cbranch_execz .LBB62_39
; %bb.34:
	global_load_dwordx2 v[30:31], v[18:19], off offset:256
	global_load_dwordx2 v[32:33], v[22:23], off offset:256
	;; [unrolled: 1-line block ×4, first 2 shown]
	v_add_u32_e32 v36, 64, v55
	v_cmp_gt_i32_e32 vcc, s16, v36
	s_waitcnt vmcnt(3)
	v_fmac_f64_e32 v[4:5], v[12:13], v[30:31]
	s_waitcnt vmcnt(2)
	v_fmac_f64_e32 v[4:5], v[14:15], v[32:33]
	;; [unrolled: 2-line block ×3, first 2 shown]
	s_and_saveexec_b64 s[4:5], vcc
	s_cbranch_execz .LBB62_38
; %bb.35:
	global_load_dwordx2 v[32:33], v[18:19], off offset:512
	global_load_dwordx2 v[34:35], v[22:23], off offset:512
	;; [unrolled: 1-line block ×4, first 2 shown]
	v_add_u32_e32 v38, 0x60, v55
	v_cmp_gt_i32_e32 vcc, s16, v38
	s_waitcnt vmcnt(3)
	v_fmac_f64_e32 v[6:7], v[12:13], v[32:33]
	s_waitcnt vmcnt(2)
	v_fmac_f64_e32 v[6:7], v[14:15], v[34:35]
	;; [unrolled: 2-line block ×3, first 2 shown]
	s_and_saveexec_b64 s[6:7], vcc
	s_cbranch_execz .LBB62_37
; %bb.36:
	global_load_dwordx2 v[32:33], v[18:19], off offset:768
	global_load_dwordx2 v[34:35], v[22:23], off offset:768
	;; [unrolled: 1-line block ×4, first 2 shown]
	s_waitcnt vmcnt(3)
	v_fmac_f64_e32 v[8:9], v[12:13], v[32:33]
	s_waitcnt vmcnt(2)
	v_fmac_f64_e32 v[8:9], v[14:15], v[34:35]
	;; [unrolled: 2-line block ×4, first 2 shown]
.LBB62_37:
	s_or_b64 exec, exec, s[6:7]
	s_waitcnt vmcnt(0)
	v_fmac_f64_e32 v[6:7], v[10:11], v[30:31]
.LBB62_38:
	s_or_b64 exec, exec, s[4:5]
	s_waitcnt vmcnt(0)
	v_fmac_f64_e32 v[4:5], v[10:11], v[28:29]
.LBB62_39:
	s_or_b64 exec, exec, s[0:1]
	s_waitcnt vmcnt(0)
	v_fmac_f64_e32 v[0:1], v[10:11], v[20:21]
.LBB62_40:
	s_or_b64 exec, exec, s[2:3]
.LBB62_41:
	v_lshlrev_b32_e32 v3, 7, v3
	s_movk_i32 s0, 0x80
	v_add_lshl_u32 v2, v3, v2, 3
	v_cmp_gt_u32_e32 vcc, s0, v54
	ds_write2_b64 v2, v[0:1], v[4:5] offset1:32
	ds_write2_b64 v2, v[6:7], v[8:9] offset0:64 offset1:96
	s_waitcnt lgkmcnt(0)
	s_barrier
	s_waitcnt lgkmcnt(0)
                                        ; implicit-def: $vgpr0_vgpr1
                                        ; implicit-def: $vgpr4_vgpr5
	s_and_saveexec_b64 s[0:1], vcc
	s_cbranch_execz .LBB62_47
; %bb.42:
	v_lshlrev_b32_e32 v20, 3, v54
	ds_read2st64_b64 v[0:3], v20 offset1:2
	ds_read2st64_b64 v[4:7], v20 offset0:4 offset1:6
	s_waitcnt vmcnt(0)
	ds_read2st64_b64 v[8:11], v20 offset0:8 offset1:10
	ds_read2st64_b64 v[12:15], v20 offset0:12 offset1:14
	;; [unrolled: 1-line block ×3, first 2 shown]
	s_waitcnt lgkmcnt(4)
	v_add_f64 v[0:1], v[0:1], v[2:3]
	s_waitcnt lgkmcnt(3)
	v_add_f64 v[0:1], v[4:5], v[0:1]
	v_add_f64 v[0:1], v[6:7], v[0:1]
	s_waitcnt lgkmcnt(2)
	v_add_f64 v[0:1], v[8:9], v[0:1]
	;; [unrolled: 3-line block ×3, first 2 shown]
	v_add_f64 v[4:5], v[14:15], v[0:1]
	ds_read2st64_b64 v[0:3], v20 offset0:20 offset1:22
	s_waitcnt lgkmcnt(1)
	v_add_f64 v[8:9], v[16:17], v[4:5]
	ds_read2st64_b64 v[4:7], v20 offset0:24 offset1:26
	v_add_f64 v[12:13], v[18:19], v[8:9]
	ds_read2st64_b64 v[8:11], v20 offset0:28 offset1:30
	s_waitcnt lgkmcnt(2)
	v_add_f64 v[0:1], v[0:1], v[12:13]
	v_add_f64 v[0:1], v[2:3], v[0:1]
	s_waitcnt lgkmcnt(1)
	v_add_f64 v[0:1], v[4:5], v[0:1]
	v_add_f64 v[0:1], v[6:7], v[0:1]
	s_waitcnt lgkmcnt(0)
	v_add_f64 v[0:1], v[8:9], v[0:1]
	v_or_b32_e32 v6, s34, v54
	v_add_f64 v[2:3], v[10:11], v[0:1]
	v_cmp_gt_i32_e32 vcc, s16, v6
	s_mov_b64 s[4:5], s[18:19]
	ds_write_b64 v20, v[2:3]
                                        ; implicit-def: $vgpr0_vgpr1
                                        ; implicit-def: $vgpr4_vgpr5
	s_and_saveexec_b64 s[2:3], vcc
	s_cbranch_execz .LBB62_46
; %bb.43:
	v_cmp_eq_f64_e64 s[4:5], s[10:11], 0
	v_mul_lo_u32 v4, v6, s33
	v_mul_f64 v[0:1], v[2:3], s[14:15]
	v_ashrrev_i32_e32 v5, 31, v4
	s_and_b64 vcc, exec, s[4:5]
	s_cbranch_vccnz .LBB62_45
; %bb.44:
	v_lshl_add_u64 v[2:3], v[4:5], 3, s[12:13]
	global_load_dwordx2 v[2:3], v[2:3], off
	s_waitcnt vmcnt(0)
	v_fmac_f64_e32 v[0:1], s[10:11], v[2:3]
.LBB62_45:
	s_or_b64 s[4:5], s[18:19], exec
.LBB62_46:
	s_or_b64 exec, exec, s[2:3]
	s_andn2_b64 s[2:3], s[18:19], exec
	s_and_b64 s[4:5], s[4:5], exec
	s_or_b64 s[18:19], s[2:3], s[4:5]
.LBB62_47:
	s_or_b64 exec, exec, s[0:1]
.LBB62_48:
	s_and_saveexec_b64 s[0:1], s[18:19]
	s_cbranch_execz .LBB62_50
; %bb.49:
	v_lshl_add_u64 v[2:3], v[4:5], 3, s[12:13]
	global_store_dwordx2 v[2:3], v[0:1], off
.LBB62_50:
	s_endpgm
	.section	.rodata,"a",@progbits
	.p2align	6, 0x0
	.amdhsa_kernel _ZL20rocblas_gemvn_kernelILi32ELi16EidddEviiT3_lPKT2_lT1_lS3_lS4_lS0_lPT4_lS4_li
		.amdhsa_group_segment_fixed_size 16384
		.amdhsa_private_segment_fixed_size 0
		.amdhsa_kernarg_size 400
		.amdhsa_user_sgpr_count 2
		.amdhsa_user_sgpr_dispatch_ptr 0
		.amdhsa_user_sgpr_queue_ptr 0
		.amdhsa_user_sgpr_kernarg_segment_ptr 1
		.amdhsa_user_sgpr_dispatch_id 0
		.amdhsa_user_sgpr_kernarg_preload_length 0
		.amdhsa_user_sgpr_kernarg_preload_offset 0
		.amdhsa_user_sgpr_private_segment_size 0
		.amdhsa_uses_dynamic_stack 0
		.amdhsa_enable_private_segment 0
		.amdhsa_system_sgpr_workgroup_id_x 1
		.amdhsa_system_sgpr_workgroup_id_y 0
		.amdhsa_system_sgpr_workgroup_id_z 1
		.amdhsa_system_sgpr_workgroup_info 0
		.amdhsa_system_vgpr_workitem_id 1
		.amdhsa_next_free_vgpr 70
		.amdhsa_next_free_sgpr 41
		.amdhsa_accum_offset 72
		.amdhsa_reserve_vcc 1
		.amdhsa_float_round_mode_32 0
		.amdhsa_float_round_mode_16_64 0
		.amdhsa_float_denorm_mode_32 3
		.amdhsa_float_denorm_mode_16_64 3
		.amdhsa_dx10_clamp 1
		.amdhsa_ieee_mode 1
		.amdhsa_fp16_overflow 0
		.amdhsa_tg_split 0
		.amdhsa_exception_fp_ieee_invalid_op 0
		.amdhsa_exception_fp_denorm_src 0
		.amdhsa_exception_fp_ieee_div_zero 0
		.amdhsa_exception_fp_ieee_overflow 0
		.amdhsa_exception_fp_ieee_underflow 0
		.amdhsa_exception_fp_ieee_inexact 0
		.amdhsa_exception_int_div_zero 0
	.end_amdhsa_kernel
	.section	.text._ZL20rocblas_gemvn_kernelILi32ELi16EidddEviiT3_lPKT2_lT1_lS3_lS4_lS0_lPT4_lS4_li,"axG",@progbits,_ZL20rocblas_gemvn_kernelILi32ELi16EidddEviiT3_lPKT2_lT1_lS3_lS4_lS0_lPT4_lS4_li,comdat
.Lfunc_end62:
	.size	_ZL20rocblas_gemvn_kernelILi32ELi16EidddEviiT3_lPKT2_lT1_lS3_lS4_lS0_lPT4_lS4_li, .Lfunc_end62-_ZL20rocblas_gemvn_kernelILi32ELi16EidddEviiT3_lPKT2_lT1_lS3_lS4_lS0_lPT4_lS4_li
                                        ; -- End function
	.section	.AMDGPU.csdata,"",@progbits
; Kernel info:
; codeLenInByte = 2416
; NumSgprs: 47
; NumVgprs: 70
; NumAgprs: 0
; TotalNumVgprs: 70
; ScratchSize: 0
; MemoryBound: 0
; FloatMode: 240
; IeeeMode: 1
; LDSByteSize: 16384 bytes/workgroup (compile time only)
; SGPRBlocks: 5
; VGPRBlocks: 8
; NumSGPRsForWavesPerEU: 47
; NumVGPRsForWavesPerEU: 70
; AccumOffset: 72
; Occupancy: 7
; WaveLimiterHint : 1
; COMPUTE_PGM_RSRC2:SCRATCH_EN: 0
; COMPUTE_PGM_RSRC2:USER_SGPR: 2
; COMPUTE_PGM_RSRC2:TRAP_HANDLER: 0
; COMPUTE_PGM_RSRC2:TGID_X_EN: 1
; COMPUTE_PGM_RSRC2:TGID_Y_EN: 0
; COMPUTE_PGM_RSRC2:TGID_Z_EN: 1
; COMPUTE_PGM_RSRC2:TIDIG_COMP_CNT: 1
; COMPUTE_PGM_RSRC3_GFX90A:ACCUM_OFFSET: 17
; COMPUTE_PGM_RSRC3_GFX90A:TG_SPLIT: 0
	.section	.text._ZL20rocblas_gemvn_kernelILi32ELi16EldddEviiT3_lPKT2_lT1_lS3_lS4_lS0_lPT4_lS4_li,"axG",@progbits,_ZL20rocblas_gemvn_kernelILi32ELi16EldddEviiT3_lPKT2_lT1_lS3_lS4_lS0_lPT4_lS4_li,comdat
	.globl	_ZL20rocblas_gemvn_kernelILi32ELi16EldddEviiT3_lPKT2_lT1_lS3_lS4_lS0_lPT4_lS4_li ; -- Begin function _ZL20rocblas_gemvn_kernelILi32ELi16EldddEviiT3_lPKT2_lT1_lS3_lS4_lS0_lPT4_lS4_li
	.p2align	8
	.type	_ZL20rocblas_gemvn_kernelILi32ELi16EldddEviiT3_lPKT2_lT1_lS3_lS4_lS0_lPT4_lS4_li,@function
_ZL20rocblas_gemvn_kernelILi32ELi16EldddEviiT3_lPKT2_lT1_lS3_lS4_lS0_lPT4_lS4_li: ; @_ZL20rocblas_gemvn_kernelILi32ELi16EldddEviiT3_lPKT2_lT1_lS3_lS4_lS0_lPT4_lS4_li
; %bb.0:
	s_load_dwordx2 s[4:5], s[0:1], 0x9c
	s_waitcnt lgkmcnt(0)
	s_lshr_b32 s6, s4, 16
	s_and_b32 s4, s4, 0xffff
	s_and_b32 s5, s5, 0xffff
	s_mul_i32 s4, s6, s4
	s_mul_i32 s4, s4, s5
	s_cmpk_lg_i32 s4, 0x200
	s_cbranch_scc1 .LBB63_50
; %bb.1:
	s_load_dwordx2 s[30:31], s[0:1], 0x8
	s_load_dwordx2 s[28:29], s[0:1], 0x58
	s_waitcnt lgkmcnt(0)
	v_cmp_eq_f64_e64 s[4:5], s[30:31], 0
	v_cmp_eq_f64_e64 s[6:7], s[28:29], 1.0
	s_and_b64 s[4:5], s[4:5], s[6:7]
	s_and_b64 vcc, exec, s[4:5]
	s_cbranch_vccnz .LBB63_50
; %bb.2:
	s_load_dwordx8 s[20:27], s[0:1], 0x68
	s_load_dwordx2 s[34:35], s[0:1], 0x0
	v_and_b32_e32 v69, 0x3ff, v0
	v_bfe_u32 v70, v0, 10, 10
	v_lshl_add_u32 v68, v70, 5, v69
	s_waitcnt lgkmcnt(0)
	s_mul_i32 s5, s3, s27
	s_mul_hi_u32 s6, s3, s26
	s_mul_i32 s4, s3, s26
	s_add_i32 s5, s6, s5
	s_lshl_b64 s[4:5], s[4:5], 3
	s_add_u32 s6, s20, s4
	s_addc_u32 s7, s21, s5
	s_lshl_b64 s[4:5], s[22:23], 3
	s_add_u32 s26, s6, s4
	s_addc_u32 s27, s7, s5
	v_cmp_neq_f64_e64 s[4:5], s[30:31], 0
	s_mov_b64 s[36:37], 0
	s_and_b64 vcc, exec, s[4:5]
	s_cbranch_vccnz .LBB63_9
; %bb.3:
	s_movk_i32 s4, 0x80
	v_cmp_gt_u32_e32 vcc, s4, v68
	s_mov_b64 s[4:5], 0
                                        ; implicit-def: $vgpr0_vgpr1
                                        ; implicit-def: $vgpr2_vgpr3
	s_and_saveexec_b64 s[6:7], vcc
	s_cbranch_execz .LBB63_10
; %bb.4:
	v_lshl_or_b32 v4, s2, 7, v68
	v_mov_b32_e32 v5, 0
	s_ashr_i32 s9, s34, 31
	s_mov_b32 s8, s34
	v_cmp_gt_i64_e32 vcc, s[8:9], v[4:5]
	s_mov_b64 s[10:11], 0
                                        ; implicit-def: $vgpr0_vgpr1
                                        ; implicit-def: $vgpr2_vgpr3
	s_and_saveexec_b64 s[8:9], vcc
	s_cbranch_execz .LBB63_8
; %bb.5:
	v_mad_u64_u32 v[2:3], s[12:13], v4, s24, 0
	v_mov_b32_e32 v6, v3
	v_cmp_eq_f64_e64 s[10:11], s[28:29], 0
	v_mad_u64_u32 v[4:5], s[12:13], v4, s25, v[6:7]
	v_mov_b64_e32 v[0:1], 0
	v_mov_b32_e32 v3, v4
	s_and_b64 vcc, exec, s[10:11]
	s_cbranch_vccnz .LBB63_7
; %bb.6:
	v_lshl_add_u64 v[0:1], v[2:3], 3, s[26:27]
	global_load_dwordx2 v[0:1], v[0:1], off
	s_waitcnt vmcnt(0)
	v_mul_f64 v[0:1], v[0:1], s[28:29]
.LBB63_7:
	s_mov_b64 s[10:11], exec
.LBB63_8:
	s_or_b64 exec, exec, s[8:9]
	s_and_b64 s[36:37], s[10:11], exec
	s_or_b64 exec, exec, s[6:7]
	s_and_b64 vcc, exec, s[4:5]
	s_cbranch_vccnz .LBB63_11
	s_branch .LBB63_48
.LBB63_9:
                                        ; implicit-def: $vgpr0_vgpr1
                                        ; implicit-def: $vgpr2_vgpr3
	s_cbranch_execnz .LBB63_11
	s_branch .LBB63_48
.LBB63_10:
	s_or_b64 exec, exec, s[6:7]
	s_and_b64 vcc, exec, s[4:5]
	s_cbranch_vccz .LBB63_48
.LBB63_11:
	s_load_dwordx16 s[8:23], s[0:1], 0x18
	s_lshl_b32 s33, s2, 7
	v_lshlrev_b32_e32 v71, 2, v70
	v_mov_b64_e32 v[2:3], 0
	v_add_u32_e32 v0, s33, v69
	s_waitcnt lgkmcnt(0)
	s_mul_i32 s0, s3, s15
	s_mul_hi_u32 s1, s3, s14
	s_add_i32 s15, s1, s0
	s_ashr_i32 s0, s35, 31
	s_lshr_b32 s0, s0, 26
	s_add_i32 s54, s35, s0
	s_mul_i32 s4, s3, s23
	s_mul_hi_u32 s5, s3, s22
	s_andn2_b32 s54, s54, 63
	s_mul_i32 s14, s3, s14
	s_add_i32 s23, s5, s4
	s_mul_i32 s22, s3, s22
	v_cmp_gt_i32_e32 vcc, s54, v71
	v_mov_b64_e32 v[4:5], v[2:3]
	v_mov_b64_e32 v[6:7], v[2:3]
	;; [unrolled: 1-line block ×3, first 2 shown]
	s_and_saveexec_b64 s[38:39], vcc
	s_cbranch_execz .LBB63_23
; %bb.12:
	v_add_u32_e32 v2, 32, v0
	v_cmp_gt_i32_e64 s[0:1], s34, v2
	v_add_u32_e32 v2, 64, v0
	v_cmp_gt_i32_e64 s[2:3], s34, v2
	;; [unrolled: 2-line block ×3, first 2 shown]
	v_mad_u64_u32 v[2:3], s[6:7], s20, v70, 0
	v_mov_b32_e32 v4, v3
	v_mad_u64_u32 v[4:5], s[6:7], s21, v70, v[4:5]
	v_ashrrev_i32_e32 v1, 31, v0
	s_lshl_b64 s[40:41], s[18:19], 3
	s_lshl_b64 s[6:7], s[22:23], 3
	v_mov_b32_e32 v3, v4
	s_add_u32 s6, s16, s6
	v_lshlrev_b64 v[12:13], 3, v[0:1]
	v_lshlrev_b32_e32 v1, 2, v70
	v_lshlrev_b64 v[2:3], 5, v[2:3]
	s_addc_u32 s7, s17, s7
	v_or_b32_e32 v6, 3, v1
	v_lshl_add_u64 v[10:11], s[6:7], 0, v[2:3]
	v_mad_u64_u32 v[2:3], s[44:45], s12, v6, 0
	v_mov_b32_e32 v4, v3
	v_mad_u64_u32 v[4:5], s[44:45], s13, v6, v[4:5]
	s_lshl_b64 s[42:43], s[20:21], 9
	s_lshl_b64 s[44:45], s[14:15], 3
	;; [unrolled: 1-line block ×3, first 2 shown]
	s_add_u32 s46, s8, s46
	s_addc_u32 s47, s9, s47
	s_add_u32 s46, s46, s44
	v_mov_b32_e32 v3, v4
	s_addc_u32 s47, s47, s45
	v_lshl_add_u64 v[14:15], v[2:3], 3, s[46:47]
	v_mad_u64_u32 v[2:3], s[48:49], s20, v6, 0
	v_mov_b32_e32 v4, v3
	v_mad_u64_u32 v[4:5], s[48:49], s21, v6, v[4:5]
	v_mov_b32_e32 v3, v4
	v_lshl_add_u64 v[16:17], v[2:3], 3, s[6:7]
	v_mad_u64_u32 v[2:3], s[48:49], s12, v70, 0
	v_mov_b32_e32 v4, v3
	v_mad_u64_u32 v[4:5], s[48:49], s13, v70, v[4:5]
	v_mov_b32_e32 v3, v4
	v_lshlrev_b64 v[2:3], 5, v[2:3]
	v_or_b32_e32 v6, 2, v1
	v_lshl_add_u64 v[18:19], s[46:47], 0, v[2:3]
	v_mad_u64_u32 v[2:3], s[48:49], s12, v6, 0
	v_mov_b32_e32 v4, v3
	v_mad_u64_u32 v[4:5], s[48:49], s13, v6, v[4:5]
	v_mov_b32_e32 v3, v4
	v_lshl_add_u64 v[20:21], v[2:3], 3, s[46:47]
	v_mad_u64_u32 v[2:3], s[48:49], s20, v6, 0
	v_mov_b32_e32 v4, v3
	v_mad_u64_u32 v[4:5], s[48:49], s21, v6, v[4:5]
	v_mov_b32_e32 v3, v4
	v_lshl_add_u64 v[22:23], v[2:3], 3, s[6:7]
	v_mov_b64_e32 v[2:3], s[20:21]
	v_mad_u64_u32 v[2:3], s[48:49], s20, v1, v[2:3]
	v_mov_b32_e32 v4, v3
	v_mad_u64_u32 v[4:5], s[48:49], s21, v1, v[4:5]
	v_mov_b32_e32 v3, v4
	v_lshl_add_u64 v[24:25], v[2:3], 3, s[6:7]
	v_mov_b64_e32 v[2:3], s[12:13]
	v_mad_u64_u32 v[2:3], s[6:7], s12, v1, v[2:3]
	v_mov_b32_e32 v4, v3
	v_mad_u64_u32 v[4:5], s[6:7], s13, v1, v[4:5]
	v_mov_b32_e32 v3, v4
	v_lshl_add_u64 v[26:27], v[2:3], 3, s[46:47]
	v_mov_b64_e32 v[2:3], 0
	v_cmp_gt_i32_e32 vcc, s34, v0
	s_lshl_b64 s[44:45], s[12:13], 9
	s_mov_b64 s[46:47], 0
	v_mov_b64_e32 v[4:5], v[2:3]
	v_mov_b64_e32 v[6:7], v[2:3]
	;; [unrolled: 1-line block ×3, first 2 shown]
	s_branch .LBB63_17
.LBB63_13:                              ;   in Loop: Header=BB63_17 Depth=1
	s_or_b64 exec, exec, s[52:53]
	s_waitcnt vmcnt(3)
	v_fmac_f64_e32 v[6:7], v[28:29], v[66:67]
	s_waitcnt vmcnt(2)
	v_fmac_f64_e32 v[6:7], v[30:31], v[64:65]
	;; [unrolled: 2-line block ×4, first 2 shown]
.LBB63_14:                              ;   in Loop: Header=BB63_17 Depth=1
	s_or_b64 exec, exec, s[50:51]
	s_waitcnt vmcnt(3)
	v_fmac_f64_e32 v[4:5], v[28:29], v[50:51]
	s_waitcnt vmcnt(2)
	v_fmac_f64_e32 v[4:5], v[30:31], v[48:49]
	;; [unrolled: 2-line block ×4, first 2 shown]
.LBB63_15:                              ;   in Loop: Header=BB63_17 Depth=1
	s_or_b64 exec, exec, s[48:49]
	s_waitcnt vmcnt(3)
	v_fmac_f64_e32 v[2:3], v[28:29], v[36:37]
	s_waitcnt vmcnt(2)
	v_fmac_f64_e32 v[2:3], v[30:31], v[38:39]
	;; [unrolled: 2-line block ×4, first 2 shown]
.LBB63_16:                              ;   in Loop: Header=BB63_17 Depth=1
	s_or_b64 exec, exec, s[6:7]
	v_add_u32_e32 v71, 64, v71
	v_cmp_le_i32_e64 s[6:7], s54, v71
	v_lshl_add_u64 v[10:11], v[10:11], 0, s[42:43]
	v_lshl_add_u64 v[14:15], v[14:15], 0, s[44:45]
	;; [unrolled: 1-line block ×7, first 2 shown]
	s_or_b64 s[46:47], s[6:7], s[46:47]
	v_lshl_add_u64 v[26:27], v[26:27], 0, s[44:45]
	s_andn2_b64 exec, exec, s[46:47]
	s_cbranch_execz .LBB63_22
.LBB63_17:                              ; =>This Inner Loop Header: Depth=1
	s_and_saveexec_b64 s[6:7], vcc
	s_cbranch_execz .LBB63_16
; %bb.18:                               ;   in Loop: Header=BB63_17 Depth=1
	v_lshl_add_u64 v[28:29], v[10:11], 0, s[40:41]
	v_lshl_add_u64 v[30:31], v[24:25], 0, s[40:41]
	v_lshl_add_u64 v[32:33], v[22:23], 0, s[40:41]
	v_lshl_add_u64 v[34:35], v[16:17], 0, s[40:41]
	v_lshl_add_u64 v[58:59], v[18:19], 0, v[12:13]
	v_lshl_add_u64 v[56:57], v[26:27], 0, v[12:13]
	v_lshl_add_u64 v[54:55], v[20:21], 0, v[12:13]
	v_lshl_add_u64 v[52:53], v[14:15], 0, v[12:13]
	global_load_dwordx2 v[28:29], v[28:29], off
	s_nop 0
	global_load_dwordx2 v[30:31], v[30:31], off
	s_nop 0
	;; [unrolled: 2-line block ×4, first 2 shown]
	global_load_dwordx2 v[36:37], v[58:59], off
	global_load_dwordx2 v[38:39], v[56:57], off
	;; [unrolled: 1-line block ×4, first 2 shown]
	s_and_saveexec_b64 s[48:49], s[0:1]
	s_cbranch_execz .LBB63_15
; %bb.19:                               ;   in Loop: Header=BB63_17 Depth=1
	global_load_dwordx2 v[50:51], v[58:59], off offset:256
	global_load_dwordx2 v[48:49], v[56:57], off offset:256
	;; [unrolled: 1-line block ×4, first 2 shown]
	s_and_saveexec_b64 s[50:51], s[2:3]
	s_cbranch_execz .LBB63_14
; %bb.20:                               ;   in Loop: Header=BB63_17 Depth=1
	global_load_dwordx2 v[66:67], v[58:59], off offset:512
	global_load_dwordx2 v[64:65], v[56:57], off offset:512
	;; [unrolled: 1-line block ×4, first 2 shown]
	s_and_saveexec_b64 s[52:53], s[4:5]
	s_cbranch_execz .LBB63_13
; %bb.21:                               ;   in Loop: Header=BB63_17 Depth=1
	global_load_dwordx2 v[58:59], v[58:59], off offset:768
	s_nop 0
	global_load_dwordx2 v[56:57], v[56:57], off offset:768
	s_nop 0
	;; [unrolled: 2-line block ×3, first 2 shown]
	global_load_dwordx2 v[52:53], v[52:53], off offset:768
	s_waitcnt vmcnt(3)
	v_fmac_f64_e32 v[8:9], v[28:29], v[58:59]
	s_waitcnt vmcnt(2)
	v_fmac_f64_e32 v[8:9], v[30:31], v[56:57]
	;; [unrolled: 2-line block ×4, first 2 shown]
	s_branch .LBB63_13
.LBB63_22:
	s_or_b64 exec, exec, s[46:47]
.LBB63_23:
	s_or_b64 exec, exec, s[38:39]
	s_sub_i32 s0, s35, s54
	s_cmp_lt_i32 s0, 1
	s_cbranch_scc1 .LBB63_41
; %bb.24:
	v_mov_b64_e32 v[12:13], 0
	v_cmp_gt_i32_e32 vcc, s35, v71
	v_or_b32_e32 v20, 1, v71
	v_mov_b64_e32 v[16:17], v[12:13]
	v_mov_b64_e32 v[14:15], v[12:13]
	;; [unrolled: 1-line block ×3, first 2 shown]
	s_and_saveexec_b64 s[2:3], vcc
	s_cbranch_execz .LBB63_32
; %bb.25:
	s_lshl_b64 s[0:1], s[22:23], 3
	s_add_u32 s4, s16, s0
	s_addc_u32 s5, s17, s1
	s_lshl_b64 s[0:1], s[18:19], 3
	s_add_u32 s4, s4, s0
	s_addc_u32 s5, s5, s1
	v_mad_u64_u32 v[10:11], s[0:1], v71, s20, 0
	v_mov_b32_e32 v12, v11
	v_mad_u64_u32 v[12:13], s[0:1], v71, s21, v[12:13]
	v_mov_b32_e32 v11, v12
	v_lshl_add_u64 v[10:11], v[10:11], 3, s[4:5]
	global_load_dwordx2 v[10:11], v[10:11], off
	v_mov_b64_e32 v[14:15], 0
	v_cmp_gt_i32_e64 s[0:1], s35, v20
	v_mov_b64_e32 v[16:17], v[14:15]
	v_mov_b64_e32 v[12:13], v[14:15]
	s_and_saveexec_b64 s[6:7], s[0:1]
	s_cbranch_execz .LBB63_31
; %bb.26:
	v_mad_u64_u32 v[12:13], s[0:1], v20, s20, 0
	v_mov_b32_e32 v14, v13
	v_mad_u64_u32 v[14:15], s[0:1], v20, s21, v[14:15]
	v_mov_b32_e32 v13, v14
	v_lshl_add_u64 v[12:13], v[12:13], 3, s[4:5]
	global_load_dwordx2 v[14:15], v[12:13], off
	v_or_b32_e32 v1, 2, v71
	v_mov_b64_e32 v[16:17], 0
	v_cmp_gt_i32_e64 s[0:1], s35, v1
	v_mov_b64_e32 v[12:13], v[16:17]
	s_and_saveexec_b64 s[16:17], s[0:1]
	s_cbranch_execz .LBB63_30
; %bb.27:
	v_mad_u64_u32 v[12:13], s[0:1], v1, s20, 0
	v_mov_b32_e32 v16, v13
	v_mad_u64_u32 v[16:17], s[0:1], v1, s21, v[16:17]
	v_mov_b32_e32 v13, v16
	v_lshl_add_u64 v[12:13], v[12:13], 3, s[4:5]
	global_load_dwordx2 v[16:17], v[12:13], off
	v_or_b32_e32 v1, 3, v71
	v_cmp_gt_i32_e64 s[0:1], s35, v1
	v_mov_b64_e32 v[12:13], 0
	s_and_saveexec_b64 s[18:19], s[0:1]
	s_cbranch_execz .LBB63_29
; %bb.28:
	v_mad_u64_u32 v[12:13], s[0:1], v1, s20, 0
	v_mov_b32_e32 v18, v13
	v_mad_u64_u32 v[18:19], s[0:1], v1, s21, v[18:19]
	v_mov_b32_e32 v13, v18
	v_lshl_add_u64 v[12:13], v[12:13], 3, s[4:5]
	global_load_dwordx2 v[12:13], v[12:13], off
.LBB63_29:
	s_or_b64 exec, exec, s[18:19]
.LBB63_30:
	s_or_b64 exec, exec, s[16:17]
.LBB63_31:
	s_or_b64 exec, exec, s[6:7]
.LBB63_32:
	s_or_b64 exec, exec, s[2:3]
	v_cmp_gt_i32_e64 s[0:1], s34, v0
	s_and_saveexec_b64 s[2:3], s[0:1]
	s_cbranch_execz .LBB63_40
; %bb.33:
	s_lshl_b64 s[0:1], s[14:15], 3
	s_add_u32 s4, s8, s0
	s_addc_u32 s5, s9, s1
	s_lshl_b64 s[0:1], s[10:11], 3
	s_add_u32 s0, s4, s0
	s_addc_u32 s1, s5, s1
	v_mad_u64_u32 v[18:19], s[4:5], v71, s12, 0
	v_mov_b32_e32 v22, v19
	v_ashrrev_i32_e32 v1, 31, v0
	v_mad_u64_u32 v[22:23], s[4:5], v71, s13, v[22:23]
	v_mad_u64_u32 v[24:25], s[4:5], v20, s12, 0
	v_cndmask_b32_e32 v18, 0, v18, vcc
	v_cndmask_b32_e32 v19, 0, v22, vcc
	v_lshlrev_b64 v[22:23], 3, v[0:1]
	v_mov_b32_e32 v26, v25
	v_cmp_gt_i32_e32 vcc, s35, v20
	v_or_b32_e32 v1, 2, v71
	v_mad_u64_u32 v[26:27], s[4:5], v20, s13, v[26:27]
	v_cndmask_b32_e32 v20, 0, v24, vcc
	v_mad_u64_u32 v[24:25], s[4:5], v1, s12, 0
	v_cndmask_b32_e32 v21, 0, v26, vcc
	v_mov_b32_e32 v26, v25
	v_mad_u64_u32 v[26:27], s[4:5], v1, s13, v[26:27]
	v_cmp_gt_i32_e32 vcc, s35, v1
	v_or_b32_e32 v1, 3, v71
	v_lshl_add_u64 v[18:19], v[18:19], 3, s[0:1]
	v_cndmask_b32_e32 v25, 0, v26, vcc
	v_mad_u64_u32 v[26:27], s[4:5], v1, s12, 0
	v_mov_b32_e32 v28, v27
	v_cndmask_b32_e32 v24, 0, v24, vcc
	v_mad_u64_u32 v[28:29], s[4:5], v1, s13, v[28:29]
	v_cmp_gt_i32_e32 vcc, s35, v1
	v_lshl_add_u64 v[18:19], v[18:19], 0, v[22:23]
	v_lshl_add_u64 v[20:21], v[20:21], 3, s[0:1]
	v_cndmask_b32_e32 v26, 0, v26, vcc
	v_cndmask_b32_e32 v27, 0, v28, vcc
	v_lshl_add_u64 v[24:25], v[24:25], 3, s[0:1]
	v_lshl_add_u64 v[26:27], v[26:27], 3, s[0:1]
	;; [unrolled: 1-line block ×4, first 2 shown]
	global_load_dwordx2 v[28:29], v[18:19], off
	global_load_dwordx2 v[30:31], v[20:21], off
	;; [unrolled: 1-line block ×3, first 2 shown]
	v_lshl_add_u64 v[26:27], v[26:27], 0, v[22:23]
	global_load_dwordx2 v[22:23], v[26:27], off
	v_add_u32_e32 v1, 32, v0
	v_cmp_gt_i32_e32 vcc, s34, v1
	s_waitcnt vmcnt(3)
	v_fmac_f64_e32 v[2:3], v[10:11], v[28:29]
	s_waitcnt vmcnt(2)
	v_fmac_f64_e32 v[2:3], v[14:15], v[30:31]
	s_waitcnt vmcnt(1)
	v_fmac_f64_e32 v[2:3], v[16:17], v[32:33]
	s_and_saveexec_b64 s[0:1], vcc
	s_cbranch_execz .LBB63_39
; %bb.34:
	global_load_dwordx2 v[30:31], v[18:19], off offset:256
	global_load_dwordx2 v[32:33], v[20:21], off offset:256
	global_load_dwordx2 v[34:35], v[24:25], off offset:256
	global_load_dwordx2 v[28:29], v[26:27], off offset:256
	v_add_u32_e32 v1, 64, v0
	v_cmp_gt_i32_e32 vcc, s34, v1
	s_waitcnt vmcnt(3)
	v_fmac_f64_e32 v[4:5], v[10:11], v[30:31]
	s_waitcnt vmcnt(2)
	v_fmac_f64_e32 v[4:5], v[14:15], v[32:33]
	s_waitcnt vmcnt(1)
	v_fmac_f64_e32 v[4:5], v[16:17], v[34:35]
	s_and_saveexec_b64 s[4:5], vcc
	s_cbranch_execz .LBB63_38
; %bb.35:
	global_load_dwordx2 v[32:33], v[18:19], off offset:512
	global_load_dwordx2 v[34:35], v[20:21], off offset:512
	global_load_dwordx2 v[36:37], v[24:25], off offset:512
	global_load_dwordx2 v[30:31], v[26:27], off offset:512
	v_add_u32_e32 v0, 0x60, v0
	v_cmp_gt_i32_e32 vcc, s34, v0
	s_waitcnt vmcnt(3)
	v_fmac_f64_e32 v[6:7], v[10:11], v[32:33]
	s_waitcnt vmcnt(2)
	v_fmac_f64_e32 v[6:7], v[14:15], v[34:35]
	s_waitcnt vmcnt(1)
	v_fmac_f64_e32 v[6:7], v[16:17], v[36:37]
	s_and_saveexec_b64 s[6:7], vcc
	s_cbranch_execz .LBB63_37
; %bb.36:
	global_load_dwordx2 v[0:1], v[18:19], off offset:768
	global_load_dwordx2 v[32:33], v[20:21], off offset:768
	global_load_dwordx2 v[34:35], v[24:25], off offset:768
	global_load_dwordx2 v[36:37], v[26:27], off offset:768
	s_waitcnt vmcnt(3)
	v_fmac_f64_e32 v[8:9], v[10:11], v[0:1]
	s_waitcnt vmcnt(2)
	v_fmac_f64_e32 v[8:9], v[14:15], v[32:33]
	;; [unrolled: 2-line block ×4, first 2 shown]
.LBB63_37:
	s_or_b64 exec, exec, s[6:7]
	s_waitcnt vmcnt(0)
	v_fmac_f64_e32 v[6:7], v[12:13], v[30:31]
.LBB63_38:
	s_or_b64 exec, exec, s[4:5]
	s_waitcnt vmcnt(0)
	v_fmac_f64_e32 v[4:5], v[12:13], v[28:29]
.LBB63_39:
	s_or_b64 exec, exec, s[0:1]
	s_waitcnt vmcnt(0)
	v_fmac_f64_e32 v[2:3], v[12:13], v[22:23]
.LBB63_40:
	s_or_b64 exec, exec, s[2:3]
.LBB63_41:
	v_lshlrev_b32_e32 v0, 7, v70
	s_movk_i32 s0, 0x80
	v_add_lshl_u32 v0, v0, v69, 3
	v_cmp_gt_u32_e32 vcc, s0, v68
	ds_write2_b64 v0, v[2:3], v[4:5] offset1:32
	ds_write2_b64 v0, v[6:7], v[8:9] offset0:64 offset1:96
	s_waitcnt lgkmcnt(0)
	s_barrier
	s_waitcnt lgkmcnt(0)
                                        ; implicit-def: $vgpr0_vgpr1
                                        ; implicit-def: $vgpr2_vgpr3
	s_and_saveexec_b64 s[0:1], vcc
	s_cbranch_execz .LBB63_47
; %bb.42:
	v_lshlrev_b32_e32 v20, 3, v68
	ds_read2st64_b64 v[0:3], v20 offset1:2
	ds_read2st64_b64 v[4:7], v20 offset0:4 offset1:6
	s_waitcnt vmcnt(0)
	ds_read2st64_b64 v[8:11], v20 offset0:8 offset1:10
	ds_read2st64_b64 v[12:15], v20 offset0:12 offset1:14
	;; [unrolled: 1-line block ×3, first 2 shown]
	s_waitcnt lgkmcnt(4)
	v_add_f64 v[0:1], v[0:1], v[2:3]
	s_waitcnt lgkmcnt(3)
	v_add_f64 v[0:1], v[4:5], v[0:1]
	v_add_f64 v[0:1], v[6:7], v[0:1]
	s_waitcnt lgkmcnt(2)
	v_add_f64 v[0:1], v[8:9], v[0:1]
	;; [unrolled: 3-line block ×3, first 2 shown]
	v_add_f64 v[4:5], v[14:15], v[0:1]
	ds_read2st64_b64 v[0:3], v20 offset0:20 offset1:22
	s_waitcnt lgkmcnt(1)
	v_add_f64 v[8:9], v[16:17], v[4:5]
	ds_read2st64_b64 v[4:7], v20 offset0:24 offset1:26
	v_add_f64 v[12:13], v[18:19], v[8:9]
	ds_read2st64_b64 v[8:11], v20 offset0:28 offset1:30
	s_waitcnt lgkmcnt(2)
	v_add_f64 v[0:1], v[0:1], v[12:13]
	v_add_f64 v[0:1], v[2:3], v[0:1]
	s_waitcnt lgkmcnt(1)
	v_add_f64 v[0:1], v[4:5], v[0:1]
	v_add_f64 v[0:1], v[6:7], v[0:1]
	s_waitcnt lgkmcnt(0)
	v_add_f64 v[0:1], v[8:9], v[0:1]
	v_or_b32_e32 v6, s33, v68
	v_add_f64 v[4:5], v[10:11], v[0:1]
	v_cmp_gt_i32_e32 vcc, s34, v6
	s_mov_b64 s[4:5], s[36:37]
	ds_write_b64 v20, v[4:5]
                                        ; implicit-def: $vgpr0_vgpr1
                                        ; implicit-def: $vgpr2_vgpr3
	s_and_saveexec_b64 s[2:3], vcc
	s_cbranch_execz .LBB63_46
; %bb.43:
	v_ashrrev_i32_e32 v2, 31, v6
	v_cmp_eq_f64_e64 s[4:5], s[28:29], 0
	v_mul_f64 v[0:1], v[4:5], s[30:31]
	v_mul_lo_u32 v4, v6, s25
	v_mul_lo_u32 v5, v2, s24
	v_mad_u64_u32 v[2:3], s[6:7], v6, s24, 0
	v_add3_u32 v3, v3, v4, v5
	s_and_b64 vcc, exec, s[4:5]
	s_cbranch_vccnz .LBB63_45
; %bb.44:
	v_lshl_add_u64 v[4:5], v[2:3], 3, s[26:27]
	global_load_dwordx2 v[4:5], v[4:5], off
	s_waitcnt vmcnt(0)
	v_fmac_f64_e32 v[0:1], s[28:29], v[4:5]
.LBB63_45:
	s_or_b64 s[4:5], s[36:37], exec
.LBB63_46:
	s_or_b64 exec, exec, s[2:3]
	s_andn2_b64 s[2:3], s[36:37], exec
	s_and_b64 s[4:5], s[4:5], exec
	s_or_b64 s[36:37], s[2:3], s[4:5]
.LBB63_47:
	s_or_b64 exec, exec, s[0:1]
.LBB63_48:
	s_and_saveexec_b64 s[0:1], s[36:37]
	s_cbranch_execz .LBB63_50
; %bb.49:
	v_lshl_add_u64 v[2:3], v[2:3], 3, s[26:27]
	global_store_dwordx2 v[2:3], v[0:1], off
.LBB63_50:
	s_endpgm
	.section	.rodata,"a",@progbits
	.p2align	6, 0x0
	.amdhsa_kernel _ZL20rocblas_gemvn_kernelILi32ELi16EldddEviiT3_lPKT2_lT1_lS3_lS4_lS0_lPT4_lS4_li
		.amdhsa_group_segment_fixed_size 16384
		.amdhsa_private_segment_fixed_size 0
		.amdhsa_kernarg_size 400
		.amdhsa_user_sgpr_count 2
		.amdhsa_user_sgpr_dispatch_ptr 0
		.amdhsa_user_sgpr_queue_ptr 0
		.amdhsa_user_sgpr_kernarg_segment_ptr 1
		.amdhsa_user_sgpr_dispatch_id 0
		.amdhsa_user_sgpr_kernarg_preload_length 0
		.amdhsa_user_sgpr_kernarg_preload_offset 0
		.amdhsa_user_sgpr_private_segment_size 0
		.amdhsa_uses_dynamic_stack 0
		.amdhsa_enable_private_segment 0
		.amdhsa_system_sgpr_workgroup_id_x 1
		.amdhsa_system_sgpr_workgroup_id_y 0
		.amdhsa_system_sgpr_workgroup_id_z 1
		.amdhsa_system_sgpr_workgroup_info 0
		.amdhsa_system_vgpr_workitem_id 1
		.amdhsa_next_free_vgpr 72
		.amdhsa_next_free_sgpr 55
		.amdhsa_accum_offset 72
		.amdhsa_reserve_vcc 1
		.amdhsa_float_round_mode_32 0
		.amdhsa_float_round_mode_16_64 0
		.amdhsa_float_denorm_mode_32 3
		.amdhsa_float_denorm_mode_16_64 3
		.amdhsa_dx10_clamp 1
		.amdhsa_ieee_mode 1
		.amdhsa_fp16_overflow 0
		.amdhsa_tg_split 0
		.amdhsa_exception_fp_ieee_invalid_op 0
		.amdhsa_exception_fp_denorm_src 0
		.amdhsa_exception_fp_ieee_div_zero 0
		.amdhsa_exception_fp_ieee_overflow 0
		.amdhsa_exception_fp_ieee_underflow 0
		.amdhsa_exception_fp_ieee_inexact 0
		.amdhsa_exception_int_div_zero 0
	.end_amdhsa_kernel
	.section	.text._ZL20rocblas_gemvn_kernelILi32ELi16EldddEviiT3_lPKT2_lT1_lS3_lS4_lS0_lPT4_lS4_li,"axG",@progbits,_ZL20rocblas_gemvn_kernelILi32ELi16EldddEviiT3_lPKT2_lT1_lS3_lS4_lS0_lPT4_lS4_li,comdat
.Lfunc_end63:
	.size	_ZL20rocblas_gemvn_kernelILi32ELi16EldddEviiT3_lPKT2_lT1_lS3_lS4_lS0_lPT4_lS4_li, .Lfunc_end63-_ZL20rocblas_gemvn_kernelILi32ELi16EldddEviiT3_lPKT2_lT1_lS3_lS4_lS0_lPT4_lS4_li
                                        ; -- End function
	.section	.AMDGPU.csdata,"",@progbits
; Kernel info:
; codeLenInByte = 2764
; NumSgprs: 61
; NumVgprs: 72
; NumAgprs: 0
; TotalNumVgprs: 72
; ScratchSize: 0
; MemoryBound: 1
; FloatMode: 240
; IeeeMode: 1
; LDSByteSize: 16384 bytes/workgroup (compile time only)
; SGPRBlocks: 7
; VGPRBlocks: 8
; NumSGPRsForWavesPerEU: 61
; NumVGPRsForWavesPerEU: 72
; AccumOffset: 72
; Occupancy: 7
; WaveLimiterHint : 1
; COMPUTE_PGM_RSRC2:SCRATCH_EN: 0
; COMPUTE_PGM_RSRC2:USER_SGPR: 2
; COMPUTE_PGM_RSRC2:TRAP_HANDLER: 0
; COMPUTE_PGM_RSRC2:TGID_X_EN: 1
; COMPUTE_PGM_RSRC2:TGID_Y_EN: 0
; COMPUTE_PGM_RSRC2:TGID_Z_EN: 1
; COMPUTE_PGM_RSRC2:TIDIG_COMP_CNT: 1
; COMPUTE_PGM_RSRC3_GFX90A:ACCUM_OFFSET: 17
; COMPUTE_PGM_RSRC3_GFX90A:TG_SPLIT: 0
	.section	.text._ZL20rocblas_gemvn_kernelILi64ELi16EidPKddEviiT3_lPKT2_lT1_lS5_lS6_lS2_lPT4_lS6_li,"axG",@progbits,_ZL20rocblas_gemvn_kernelILi64ELi16EidPKddEviiT3_lPKT2_lT1_lS5_lS6_lS2_lPT4_lS6_li,comdat
	.globl	_ZL20rocblas_gemvn_kernelILi64ELi16EidPKddEviiT3_lPKT2_lT1_lS5_lS6_lS2_lPT4_lS6_li ; -- Begin function _ZL20rocblas_gemvn_kernelILi64ELi16EidPKddEviiT3_lPKT2_lT1_lS5_lS6_lS2_lPT4_lS6_li
	.p2align	8
	.type	_ZL20rocblas_gemvn_kernelILi64ELi16EidPKddEviiT3_lPKT2_lT1_lS5_lS6_lS2_lPT4_lS6_li,@function
_ZL20rocblas_gemvn_kernelILi64ELi16EidPKddEviiT3_lPKT2_lT1_lS5_lS6_lS2_lPT4_lS6_li: ; @_ZL20rocblas_gemvn_kernelILi64ELi16EidPKddEviiT3_lPKT2_lT1_lS5_lS6_lS2_lPT4_lS6_li
; %bb.0:
	s_load_dwordx2 s[4:5], s[0:1], 0x9c
	s_waitcnt lgkmcnt(0)
	s_lshr_b32 s6, s4, 16
	s_and_b32 s4, s4, 0xffff
	s_and_b32 s5, s5, 0xffff
	s_mul_i32 s4, s6, s4
	s_mul_i32 s4, s4, s5
	s_cmpk_lg_i32 s4, 0x400
	s_cbranch_scc1 .LBB64_50
; %bb.1:
	s_load_dwordx8 s[12:19], s[0:1], 0x8
	s_load_dwordx8 s[4:11], s[0:1], 0x50
	s_waitcnt lgkmcnt(0)
	s_mul_i32 s15, s3, s15
	s_mul_hi_u32 s20, s3, s14
	s_mul_i32 s14, s3, s14
	s_add_i32 s15, s20, s15
	s_lshl_b64 s[14:15], s[14:15], 3
	s_add_u32 s12, s12, s14
	s_addc_u32 s13, s13, s15
	s_mul_i32 s9, s3, s9
	s_load_dwordx2 s[14:15], s[12:13], 0x0
	s_mul_hi_u32 s12, s3, s8
	s_add_i32 s9, s12, s9
	s_mul_i32 s8, s3, s8
	s_lshl_b64 s[8:9], s[8:9], 3
	s_add_u32 s6, s6, s8
	s_addc_u32 s7, s7, s9
	s_load_dwordx2 s[12:13], s[6:7], 0x0
	s_waitcnt lgkmcnt(0)
	v_cmp_eq_f64_e64 s[6:7], s[14:15], 0
	v_cmp_eq_f64_e64 s[8:9], s[12:13], 1.0
	s_and_b64 s[6:7], s[6:7], s[8:9]
	s_and_b64 vcc, exec, s[6:7]
	s_cbranch_vccnz .LBB64_50
; %bb.2:
	s_load_dwordx2 s[6:7], s[0:1], 0x80
	s_load_dword s33, s[0:1], 0x78
	s_load_dwordx2 s[8:9], s[0:1], 0x70
	s_load_dwordx2 s[20:21], s[0:1], 0x0
	v_and_b32_e32 v2, 0x3ff, v0
	s_waitcnt lgkmcnt(0)
	s_mul_i32 s7, s3, s7
	s_mul_hi_u32 s22, s3, s6
	s_add_i32 s7, s22, s7
	s_mul_i32 s6, s3, s6
	s_lshl_b64 s[6:7], s[6:7], 3
	s_add_u32 s10, s10, s6
	s_addc_u32 s11, s11, s7
	s_lshl_b64 s[6:7], s[8:9], 3
	s_add_u32 s8, s10, s6
	s_addc_u32 s9, s11, s7
	v_bfe_u32 v3, v0, 10, 10
	v_cmp_neq_f64_e64 s[6:7], s[14:15], 0
	v_lshl_add_u32 v54, v3, 6, v2
	s_mov_b64 s[10:11], 0
	s_and_b64 vcc, exec, s[6:7]
	s_cbranch_vccnz .LBB64_9
; %bb.3:
	s_movk_i32 s6, 0x100
	v_cmp_gt_u32_e32 vcc, s6, v54
	s_mov_b64 s[6:7], 0
                                        ; implicit-def: $vgpr0_vgpr1
                                        ; implicit-def: $vgpr4_vgpr5
	s_and_saveexec_b64 s[22:23], vcc
	s_cbranch_execz .LBB64_10
; %bb.4:
	v_lshl_or_b32 v6, s2, 8, v54
	v_mov_b32_e32 v7, 0
	s_ashr_i32 s11, s20, 31
	s_mov_b32 s10, s20
	v_cmp_gt_i64_e32 vcc, s[10:11], v[6:7]
	s_mov_b64 s[24:25], 0
                                        ; implicit-def: $vgpr0_vgpr1
                                        ; implicit-def: $vgpr4_vgpr5
	s_and_saveexec_b64 s[10:11], vcc
	s_cbranch_execz .LBB64_8
; %bb.5:
	v_mad_u64_u32 v[4:5], s[26:27], s33, v6, 0
	s_ashr_i32 s28, s33, 31
	v_mov_b32_e32 v8, v5
	v_cmp_eq_f64_e64 s[24:25], s[12:13], 0
	v_mad_u64_u32 v[6:7], s[26:27], s28, v6, v[8:9]
	v_mov_b64_e32 v[0:1], 0
	v_mov_b32_e32 v5, v6
	s_and_b64 vcc, exec, s[24:25]
	s_cbranch_vccnz .LBB64_7
; %bb.6:
	v_lshl_add_u64 v[0:1], v[4:5], 3, s[8:9]
	global_load_dwordx2 v[0:1], v[0:1], off
	s_waitcnt vmcnt(0)
	v_mul_f64 v[0:1], s[12:13], v[0:1]
.LBB64_7:
	s_mov_b64 s[24:25], exec
.LBB64_8:
	s_or_b64 exec, exec, s[10:11]
	s_and_b64 s[10:11], s[24:25], exec
	s_or_b64 exec, exec, s[22:23]
	s_and_b64 vcc, exec, s[6:7]
	s_cbranch_vccnz .LBB64_11
	s_branch .LBB64_48
.LBB64_9:
                                        ; implicit-def: $vgpr0_vgpr1
                                        ; implicit-def: $vgpr4_vgpr5
	s_cbranch_execnz .LBB64_11
	s_branch .LBB64_48
.LBB64_10:
	s_or_b64 exec, exec, s[22:23]
	s_and_b64 vcc, exec, s[6:7]
	s_cbranch_vccz .LBB64_48
.LBB64_11:
	s_load_dwordx4 s[24:27], s[0:1], 0x30
	s_load_dword s35, s[0:1], 0x28
	s_load_dwordx2 s[6:7], s[0:1], 0x40
	s_load_dword s36, s[0:1], 0x48
	v_lshlrev_b32_e32 v56, 2, v3
	s_waitcnt lgkmcnt(0)
	s_mul_i32 s0, s3, s25
	s_mul_hi_u32 s1, s3, s24
	s_add_i32 s1, s1, s0
	s_mul_i32 s0, s3, s24
	s_lshl_b64 s[0:1], s[0:1], 3
	s_add_u32 s16, s16, s0
	s_addc_u32 s17, s17, s1
	s_lshl_b64 s[0:1], s[18:19], 3
	s_add_u32 s16, s16, s0
	s_addc_u32 s17, s17, s1
	s_mul_i32 s0, s3, s5
	s_mul_hi_u32 s1, s3, s4
	s_add_i32 s1, s1, s0
	s_mul_i32 s0, s3, s4
	s_lshl_b64 s[0:1], s[0:1], 3
	s_add_u32 s3, s26, s0
	s_addc_u32 s4, s27, s1
	s_lshl_b64 s[0:1], s[6:7], 3
	s_add_u32 s18, s3, s0
	s_addc_u32 s19, s4, s1
	s_ashr_i32 s0, s21, 31
	s_lshr_b32 s0, s0, 26
	s_add_i32 s37, s21, s0
	s_lshl_b32 s34, s2, 8
	s_andn2_b32 s37, s37, 63
	v_mov_b64_e32 v[0:1], 0
	v_add_u32_e32 v55, s34, v2
	v_cmp_gt_i32_e32 vcc, s37, v56
	v_mov_b64_e32 v[4:5], v[0:1]
	v_mov_b64_e32 v[6:7], v[0:1]
	;; [unrolled: 1-line block ×3, first 2 shown]
	s_and_saveexec_b64 s[22:23], vcc
	s_cbranch_execz .LBB64_23
; %bb.12:
	v_add_u32_e32 v0, 64, v55
	v_cmp_gt_i32_e64 s[0:1], s20, v0
	v_add_u32_e32 v0, 0x80, v55
	v_cmp_gt_i32_e64 s[2:3], s20, v0
	;; [unrolled: 2-line block ×3, first 2 shown]
	v_mul_lo_u32 v0, s35, v56
	v_add3_u32 v57, v0, s35, v2
	v_add_u32_e32 v0, 2, v56
	v_mad_u64_u32 v[10:11], s[6:7], s35, v0, v[2:3]
	v_add_u32_e32 v1, 3, v56
	v_mul_lo_u32 v4, v3, s35
	v_mul_lo_u32 v58, s36, v0
	;; [unrolled: 1-line block ×3, first 2 shown]
	v_mad_u64_u32 v[12:13], s[6:7], s35, v1, v[2:3]
	v_lshl_add_u32 v11, v4, 2, v2
	v_mul_lo_u32 v4, s36, v56
	v_mul_lo_u32 v59, s36, v1
	v_lshlrev_b32_e32 v60, 2, v0
	v_mov_b64_e32 v[0:1], 0
	v_cmp_gt_i32_e32 vcc, s20, v55
	s_lshl_b32 s38, s35, 6
	v_add_u32_e32 v13, s36, v4
	s_lshl_b32 s39, s36, 6
	s_mov_b64 s[24:25], 0
	s_mov_b32 s40, 0
	v_mov_b64_e32 v[4:5], v[0:1]
	v_mov_b64_e32 v[6:7], v[0:1]
	;; [unrolled: 1-line block ×3, first 2 shown]
	s_branch .LBB64_17
.LBB64_13:                              ;   in Loop: Header=BB64_17 Depth=1
	s_or_b64 exec, exec, s[30:31]
	s_waitcnt vmcnt(3)
	v_fmac_f64_e32 v[6:7], v[20:21], v[52:53]
	s_waitcnt vmcnt(2)
	v_fmac_f64_e32 v[6:7], v[18:19], v[50:51]
	;; [unrolled: 2-line block ×4, first 2 shown]
.LBB64_14:                              ;   in Loop: Header=BB64_17 Depth=1
	s_or_b64 exec, exec, s[28:29]
	s_waitcnt vmcnt(3)
	v_fmac_f64_e32 v[4:5], v[20:21], v[36:37]
	s_waitcnt vmcnt(2)
	v_fmac_f64_e32 v[4:5], v[18:19], v[34:35]
	;; [unrolled: 2-line block ×4, first 2 shown]
.LBB64_15:                              ;   in Loop: Header=BB64_17 Depth=1
	s_or_b64 exec, exec, s[26:27]
	s_waitcnt vmcnt(3)
	v_fmac_f64_e32 v[0:1], v[20:21], v[28:29]
	s_waitcnt vmcnt(2)
	v_fmac_f64_e32 v[0:1], v[18:19], v[26:27]
	s_waitcnt vmcnt(1)
	v_fmac_f64_e32 v[0:1], v[16:17], v[24:25]
	s_waitcnt vmcnt(0)
	v_fmac_f64_e32 v[0:1], v[14:15], v[22:23]
.LBB64_16:                              ;   in Loop: Header=BB64_17 Depth=1
	s_or_b64 exec, exec, s[6:7]
	v_add_u32_e32 v56, 64, v56
	s_add_i32 s40, s40, s39
	v_cmp_le_i32_e64 s[6:7], s37, v56
	v_add_u32_e32 v57, s38, v57
	v_add_u32_e32 v10, s38, v10
	;; [unrolled: 1-line block ×3, first 2 shown]
	s_or_b64 s[24:25], s[6:7], s[24:25]
	v_add_u32_e32 v11, s38, v11
	s_andn2_b64 exec, exec, s[24:25]
	s_cbranch_execz .LBB64_22
.LBB64_17:                              ; =>This Inner Loop Header: Depth=1
	s_and_saveexec_b64 s[6:7], vcc
	s_cbranch_execz .LBB64_16
; %bb.18:                               ;   in Loop: Header=BB64_17 Depth=1
	v_add_u32_e32 v14, s40, v60
	v_ashrrev_i32_e32 v15, 31, v14
	v_lshl_add_u64 v[22:23], v[14:15], 3, s[18:19]
	v_add_u32_e32 v14, s40, v13
	v_ashrrev_i32_e32 v15, 31, v14
	v_lshl_add_u64 v[24:25], v[14:15], 3, s[18:19]
	;; [unrolled: 3-line block ×4, first 2 shown]
	global_load_dwordx2 v[20:21], v[22:23], off
	global_load_dwordx2 v[18:19], v[24:25], off
	;; [unrolled: 1-line block ×4, first 2 shown]
	v_add_u32_e32 v22, s34, v11
	v_ashrrev_i32_e32 v23, 31, v22
	v_lshl_add_u64 v[38:39], v[22:23], 3, s[16:17]
	v_add_u32_e32 v22, s34, v57
	v_ashrrev_i32_e32 v23, 31, v22
	v_lshl_add_u64 v[40:41], v[22:23], 3, s[16:17]
	;; [unrolled: 3-line block ×4, first 2 shown]
	global_load_dwordx2 v[28:29], v[38:39], off
	global_load_dwordx2 v[26:27], v[40:41], off
	;; [unrolled: 1-line block ×4, first 2 shown]
	s_and_saveexec_b64 s[26:27], s[0:1]
	s_cbranch_execz .LBB64_15
; %bb.19:                               ;   in Loop: Header=BB64_17 Depth=1
	global_load_dwordx2 v[36:37], v[38:39], off offset:512
	global_load_dwordx2 v[34:35], v[40:41], off offset:512
	;; [unrolled: 1-line block ×4, first 2 shown]
	s_and_saveexec_b64 s[28:29], s[2:3]
	s_cbranch_execz .LBB64_14
; %bb.20:                               ;   in Loop: Header=BB64_17 Depth=1
	global_load_dwordx2 v[52:53], v[38:39], off offset:1024
	global_load_dwordx2 v[50:51], v[40:41], off offset:1024
	;; [unrolled: 1-line block ×4, first 2 shown]
	s_and_saveexec_b64 s[30:31], s[4:5]
	s_cbranch_execz .LBB64_13
; %bb.21:                               ;   in Loop: Header=BB64_17 Depth=1
	global_load_dwordx2 v[38:39], v[38:39], off offset:1536
	s_nop 0
	global_load_dwordx2 v[40:41], v[40:41], off offset:1536
	s_nop 0
	;; [unrolled: 2-line block ×3, first 2 shown]
	global_load_dwordx2 v[44:45], v[44:45], off offset:1536
	s_waitcnt vmcnt(3)
	v_fmac_f64_e32 v[8:9], v[20:21], v[38:39]
	s_waitcnt vmcnt(2)
	v_fmac_f64_e32 v[8:9], v[18:19], v[40:41]
	;; [unrolled: 2-line block ×4, first 2 shown]
	s_branch .LBB64_13
.LBB64_22:
	s_or_b64 exec, exec, s[24:25]
.LBB64_23:
	s_or_b64 exec, exec, s[22:23]
	s_sub_i32 s0, s21, s37
	s_cmp_lt_i32 s0, 1
	s_cbranch_scc1 .LBB64_41
; %bb.24:
	v_mov_b64_e32 v[10:11], 0
	v_cmp_gt_i32_e32 vcc, s21, v56
	v_or_b32_e32 v20, 1, v56
	v_mov_b64_e32 v[16:17], v[10:11]
	v_mov_b64_e32 v[14:15], v[10:11]
	;; [unrolled: 1-line block ×3, first 2 shown]
	s_and_saveexec_b64 s[2:3], vcc
	s_cbranch_execz .LBB64_32
; %bb.25:
	v_mul_lo_u32 v10, v56, s36
	v_ashrrev_i32_e32 v11, 31, v10
	v_lshl_add_u64 v[10:11], v[10:11], 3, s[18:19]
	global_load_dwordx2 v[12:13], v[10:11], off
	v_mov_b64_e32 v[14:15], 0
	v_cmp_gt_i32_e64 s[0:1], s21, v20
	v_mov_b64_e32 v[16:17], v[14:15]
	v_mov_b64_e32 v[10:11], v[14:15]
	s_and_saveexec_b64 s[4:5], s[0:1]
	s_cbranch_execz .LBB64_31
; %bb.26:
	v_mul_lo_u32 v10, v20, s36
	v_ashrrev_i32_e32 v11, 31, v10
	v_lshl_add_u64 v[10:11], v[10:11], 3, s[18:19]
	global_load_dwordx2 v[14:15], v[10:11], off
	v_or_b32_e32 v18, 2, v56
	v_mov_b64_e32 v[16:17], 0
	v_cmp_gt_i32_e64 s[0:1], s21, v18
	v_mov_b64_e32 v[10:11], v[16:17]
	s_and_saveexec_b64 s[6:7], s[0:1]
	s_cbranch_execz .LBB64_30
; %bb.27:
	v_mul_lo_u32 v10, v18, s36
	v_ashrrev_i32_e32 v11, 31, v10
	v_lshl_add_u64 v[10:11], v[10:11], 3, s[18:19]
	global_load_dwordx2 v[16:17], v[10:11], off
	v_or_b32_e32 v18, 3, v56
	v_cmp_gt_i32_e64 s[0:1], s21, v18
	v_mov_b64_e32 v[10:11], 0
	s_and_saveexec_b64 s[22:23], s[0:1]
	s_cbranch_execz .LBB64_29
; %bb.28:
	v_mul_lo_u32 v10, v18, s36
	v_ashrrev_i32_e32 v11, 31, v10
	v_lshl_add_u64 v[10:11], v[10:11], 3, s[18:19]
	global_load_dwordx2 v[10:11], v[10:11], off
.LBB64_29:
	s_or_b64 exec, exec, s[22:23]
.LBB64_30:
	s_or_b64 exec, exec, s[6:7]
.LBB64_31:
	s_or_b64 exec, exec, s[4:5]
.LBB64_32:
	s_or_b64 exec, exec, s[2:3]
	v_cmp_gt_i32_e64 s[0:1], s20, v55
	s_and_saveexec_b64 s[2:3], s[0:1]
	s_cbranch_execz .LBB64_40
; %bb.33:
	v_mul_lo_u32 v18, v56, s35
	v_cndmask_b32_e32 v18, 0, v18, vcc
	v_mul_lo_u32 v21, v20, s35
	v_cmp_gt_i32_e32 vcc, s21, v20
	v_add_u32_e32 v18, v18, v55
	v_ashrrev_i32_e32 v19, 31, v18
	v_cndmask_b32_e32 v20, 0, v21, vcc
	v_add_u32_e32 v20, v20, v55
	v_ashrrev_i32_e32 v21, 31, v20
	v_lshl_add_u64 v[22:23], v[20:21], 3, s[16:17]
	v_or_b32_e32 v20, 2, v56
	v_mul_lo_u32 v21, v20, s35
	v_cmp_gt_i32_e32 vcc, s21, v20
	v_lshl_add_u64 v[18:19], v[18:19], 3, s[16:17]
	v_add_u32_e32 v34, 64, v55
	v_cndmask_b32_e32 v20, 0, v21, vcc
	v_add_u32_e32 v20, v20, v55
	v_ashrrev_i32_e32 v21, 31, v20
	v_lshl_add_u64 v[24:25], v[20:21], 3, s[16:17]
	v_or_b32_e32 v20, 3, v56
	v_mul_lo_u32 v21, v20, s35
	v_cmp_gt_i32_e32 vcc, s21, v20
	global_load_dwordx2 v[28:29], v[18:19], off
	global_load_dwordx2 v[30:31], v[22:23], off
	;; [unrolled: 1-line block ×3, first 2 shown]
	v_cndmask_b32_e32 v20, 0, v21, vcc
	v_add_u32_e32 v20, v20, v55
	v_ashrrev_i32_e32 v21, 31, v20
	v_lshl_add_u64 v[26:27], v[20:21], 3, s[16:17]
	global_load_dwordx2 v[20:21], v[26:27], off
	v_cmp_gt_i32_e32 vcc, s20, v34
	s_waitcnt vmcnt(3)
	v_fmac_f64_e32 v[0:1], v[12:13], v[28:29]
	s_waitcnt vmcnt(2)
	v_fmac_f64_e32 v[0:1], v[14:15], v[30:31]
	s_waitcnt vmcnt(1)
	v_fmac_f64_e32 v[0:1], v[16:17], v[32:33]
	s_and_saveexec_b64 s[0:1], vcc
	s_cbranch_execz .LBB64_39
; %bb.34:
	global_load_dwordx2 v[30:31], v[18:19], off offset:512
	global_load_dwordx2 v[32:33], v[22:23], off offset:512
	global_load_dwordx2 v[34:35], v[24:25], off offset:512
	global_load_dwordx2 v[28:29], v[26:27], off offset:512
	v_add_u32_e32 v36, 0x80, v55
	v_cmp_gt_i32_e32 vcc, s20, v36
	s_waitcnt vmcnt(3)
	v_fmac_f64_e32 v[4:5], v[12:13], v[30:31]
	s_waitcnt vmcnt(2)
	v_fmac_f64_e32 v[4:5], v[14:15], v[32:33]
	;; [unrolled: 2-line block ×3, first 2 shown]
	s_and_saveexec_b64 s[4:5], vcc
	s_cbranch_execz .LBB64_38
; %bb.35:
	global_load_dwordx2 v[32:33], v[18:19], off offset:1024
	global_load_dwordx2 v[34:35], v[22:23], off offset:1024
	;; [unrolled: 1-line block ×4, first 2 shown]
	v_add_u32_e32 v38, 0xc0, v55
	v_cmp_gt_i32_e32 vcc, s20, v38
	s_waitcnt vmcnt(3)
	v_fmac_f64_e32 v[6:7], v[12:13], v[32:33]
	s_waitcnt vmcnt(2)
	v_fmac_f64_e32 v[6:7], v[14:15], v[34:35]
	;; [unrolled: 2-line block ×3, first 2 shown]
	s_and_saveexec_b64 s[6:7], vcc
	s_cbranch_execz .LBB64_37
; %bb.36:
	global_load_dwordx2 v[32:33], v[18:19], off offset:1536
	global_load_dwordx2 v[34:35], v[22:23], off offset:1536
	;; [unrolled: 1-line block ×4, first 2 shown]
	s_waitcnt vmcnt(3)
	v_fmac_f64_e32 v[8:9], v[12:13], v[32:33]
	s_waitcnt vmcnt(2)
	v_fmac_f64_e32 v[8:9], v[14:15], v[34:35]
	;; [unrolled: 2-line block ×4, first 2 shown]
.LBB64_37:
	s_or_b64 exec, exec, s[6:7]
	s_waitcnt vmcnt(0)
	v_fmac_f64_e32 v[6:7], v[10:11], v[30:31]
.LBB64_38:
	s_or_b64 exec, exec, s[4:5]
	s_waitcnt vmcnt(0)
	v_fmac_f64_e32 v[4:5], v[10:11], v[28:29]
.LBB64_39:
	s_or_b64 exec, exec, s[0:1]
	s_waitcnt vmcnt(0)
	v_fmac_f64_e32 v[0:1], v[10:11], v[20:21]
.LBB64_40:
	s_or_b64 exec, exec, s[2:3]
.LBB64_41:
	v_lshlrev_b32_e32 v3, 8, v3
	s_movk_i32 s0, 0x100
	v_add_lshl_u32 v2, v3, v2, 3
	v_cmp_gt_u32_e32 vcc, s0, v54
	ds_write2st64_b64 v2, v[0:1], v[4:5] offset1:1
	ds_write2st64_b64 v2, v[6:7], v[8:9] offset0:2 offset1:3
	s_waitcnt lgkmcnt(0)
	s_barrier
	s_waitcnt lgkmcnt(0)
                                        ; implicit-def: $vgpr0_vgpr1
                                        ; implicit-def: $vgpr4_vgpr5
	s_and_saveexec_b64 s[0:1], vcc
	s_cbranch_execz .LBB64_47
; %bb.42:
	v_lshlrev_b32_e32 v20, 3, v54
	ds_read2st64_b64 v[0:3], v20 offset1:4
	ds_read2st64_b64 v[4:7], v20 offset0:8 offset1:12
	s_waitcnt vmcnt(0)
	ds_read2st64_b64 v[8:11], v20 offset0:16 offset1:20
	ds_read2st64_b64 v[12:15], v20 offset0:24 offset1:28
	;; [unrolled: 1-line block ×3, first 2 shown]
	s_waitcnt lgkmcnt(4)
	v_add_f64 v[0:1], v[0:1], v[2:3]
	s_waitcnt lgkmcnt(3)
	v_add_f64 v[0:1], v[4:5], v[0:1]
	v_add_f64 v[0:1], v[6:7], v[0:1]
	s_waitcnt lgkmcnt(2)
	v_add_f64 v[0:1], v[8:9], v[0:1]
	;; [unrolled: 3-line block ×3, first 2 shown]
	v_add_f64 v[4:5], v[14:15], v[0:1]
	ds_read2st64_b64 v[0:3], v20 offset0:40 offset1:44
	s_waitcnt lgkmcnt(1)
	v_add_f64 v[8:9], v[16:17], v[4:5]
	ds_read2st64_b64 v[4:7], v20 offset0:48 offset1:52
	v_add_f64 v[12:13], v[18:19], v[8:9]
	ds_read2st64_b64 v[8:11], v20 offset0:56 offset1:60
	s_waitcnt lgkmcnt(2)
	v_add_f64 v[0:1], v[0:1], v[12:13]
	v_add_f64 v[0:1], v[2:3], v[0:1]
	s_waitcnt lgkmcnt(1)
	v_add_f64 v[0:1], v[4:5], v[0:1]
	v_add_f64 v[0:1], v[6:7], v[0:1]
	s_waitcnt lgkmcnt(0)
	v_add_f64 v[0:1], v[8:9], v[0:1]
	v_or_b32_e32 v6, s34, v54
	v_add_f64 v[2:3], v[10:11], v[0:1]
	v_cmp_gt_i32_e32 vcc, s20, v6
	s_mov_b64 s[4:5], s[10:11]
	ds_write_b64 v20, v[2:3]
                                        ; implicit-def: $vgpr0_vgpr1
                                        ; implicit-def: $vgpr4_vgpr5
	s_and_saveexec_b64 s[2:3], vcc
	s_cbranch_execz .LBB64_46
; %bb.43:
	v_cmp_eq_f64_e64 s[4:5], s[12:13], 0
	v_mul_lo_u32 v4, v6, s33
	v_mul_f64 v[0:1], s[14:15], v[2:3]
	v_ashrrev_i32_e32 v5, 31, v4
	s_and_b64 vcc, exec, s[4:5]
	s_cbranch_vccnz .LBB64_45
; %bb.44:
	v_lshl_add_u64 v[2:3], v[4:5], 3, s[8:9]
	global_load_dwordx2 v[2:3], v[2:3], off
	s_waitcnt vmcnt(0)
	v_fmac_f64_e32 v[0:1], s[12:13], v[2:3]
.LBB64_45:
	s_or_b64 s[4:5], s[10:11], exec
.LBB64_46:
	s_or_b64 exec, exec, s[2:3]
	s_andn2_b64 s[2:3], s[10:11], exec
	s_and_b64 s[4:5], s[4:5], exec
	s_or_b64 s[10:11], s[2:3], s[4:5]
.LBB64_47:
	s_or_b64 exec, exec, s[0:1]
.LBB64_48:
	s_and_saveexec_b64 s[0:1], s[10:11]
	s_cbranch_execz .LBB64_50
; %bb.49:
	v_lshl_add_u64 v[2:3], v[4:5], 3, s[8:9]
	global_store_dwordx2 v[2:3], v[0:1], off
.LBB64_50:
	s_endpgm
	.section	.rodata,"a",@progbits
	.p2align	6, 0x0
	.amdhsa_kernel _ZL20rocblas_gemvn_kernelILi64ELi16EidPKddEviiT3_lPKT2_lT1_lS5_lS6_lS2_lPT4_lS6_li
		.amdhsa_group_segment_fixed_size 32768
		.amdhsa_private_segment_fixed_size 0
		.amdhsa_kernarg_size 400
		.amdhsa_user_sgpr_count 2
		.amdhsa_user_sgpr_dispatch_ptr 0
		.amdhsa_user_sgpr_queue_ptr 0
		.amdhsa_user_sgpr_kernarg_segment_ptr 1
		.amdhsa_user_sgpr_dispatch_id 0
		.amdhsa_user_sgpr_kernarg_preload_length 0
		.amdhsa_user_sgpr_kernarg_preload_offset 0
		.amdhsa_user_sgpr_private_segment_size 0
		.amdhsa_uses_dynamic_stack 0
		.amdhsa_enable_private_segment 0
		.amdhsa_system_sgpr_workgroup_id_x 1
		.amdhsa_system_sgpr_workgroup_id_y 0
		.amdhsa_system_sgpr_workgroup_id_z 1
		.amdhsa_system_sgpr_workgroup_info 0
		.amdhsa_system_vgpr_workitem_id 1
		.amdhsa_next_free_vgpr 61
		.amdhsa_next_free_sgpr 41
		.amdhsa_accum_offset 64
		.amdhsa_reserve_vcc 1
		.amdhsa_float_round_mode_32 0
		.amdhsa_float_round_mode_16_64 0
		.amdhsa_float_denorm_mode_32 3
		.amdhsa_float_denorm_mode_16_64 3
		.amdhsa_dx10_clamp 1
		.amdhsa_ieee_mode 1
		.amdhsa_fp16_overflow 0
		.amdhsa_tg_split 0
		.amdhsa_exception_fp_ieee_invalid_op 0
		.amdhsa_exception_fp_denorm_src 0
		.amdhsa_exception_fp_ieee_div_zero 0
		.amdhsa_exception_fp_ieee_overflow 0
		.amdhsa_exception_fp_ieee_underflow 0
		.amdhsa_exception_fp_ieee_inexact 0
		.amdhsa_exception_int_div_zero 0
	.end_amdhsa_kernel
	.section	.text._ZL20rocblas_gemvn_kernelILi64ELi16EidPKddEviiT3_lPKT2_lT1_lS5_lS6_lS2_lPT4_lS6_li,"axG",@progbits,_ZL20rocblas_gemvn_kernelILi64ELi16EidPKddEviiT3_lPKT2_lT1_lS5_lS6_lS2_lPT4_lS6_li,comdat
.Lfunc_end64:
	.size	_ZL20rocblas_gemvn_kernelILi64ELi16EidPKddEviiT3_lPKT2_lT1_lS5_lS6_lS2_lPT4_lS6_li, .Lfunc_end64-_ZL20rocblas_gemvn_kernelILi64ELi16EidPKddEviiT3_lPKT2_lT1_lS5_lS6_lS2_lPT4_lS6_li
                                        ; -- End function
	.section	.AMDGPU.csdata,"",@progbits
; Kernel info:
; codeLenInByte = 2504
; NumSgprs: 47
; NumVgprs: 61
; NumAgprs: 0
; TotalNumVgprs: 61
; ScratchSize: 0
; MemoryBound: 0
; FloatMode: 240
; IeeeMode: 1
; LDSByteSize: 32768 bytes/workgroup (compile time only)
; SGPRBlocks: 5
; VGPRBlocks: 7
; NumSGPRsForWavesPerEU: 47
; NumVGPRsForWavesPerEU: 61
; AccumOffset: 64
; Occupancy: 8
; WaveLimiterHint : 1
; COMPUTE_PGM_RSRC2:SCRATCH_EN: 0
; COMPUTE_PGM_RSRC2:USER_SGPR: 2
; COMPUTE_PGM_RSRC2:TRAP_HANDLER: 0
; COMPUTE_PGM_RSRC2:TGID_X_EN: 1
; COMPUTE_PGM_RSRC2:TGID_Y_EN: 0
; COMPUTE_PGM_RSRC2:TGID_Z_EN: 1
; COMPUTE_PGM_RSRC2:TIDIG_COMP_CNT: 1
; COMPUTE_PGM_RSRC3_GFX90A:ACCUM_OFFSET: 15
; COMPUTE_PGM_RSRC3_GFX90A:TG_SPLIT: 0
	.section	.text._ZL20rocblas_gemvn_kernelILi64ELi16EldPKddEviiT3_lPKT2_lT1_lS5_lS6_lS2_lPT4_lS6_li,"axG",@progbits,_ZL20rocblas_gemvn_kernelILi64ELi16EldPKddEviiT3_lPKT2_lT1_lS5_lS6_lS2_lPT4_lS6_li,comdat
	.globl	_ZL20rocblas_gemvn_kernelILi64ELi16EldPKddEviiT3_lPKT2_lT1_lS5_lS6_lS2_lPT4_lS6_li ; -- Begin function _ZL20rocblas_gemvn_kernelILi64ELi16EldPKddEviiT3_lPKT2_lT1_lS5_lS6_lS2_lPT4_lS6_li
	.p2align	8
	.type	_ZL20rocblas_gemvn_kernelILi64ELi16EldPKddEviiT3_lPKT2_lT1_lS5_lS6_lS2_lPT4_lS6_li,@function
_ZL20rocblas_gemvn_kernelILi64ELi16EldPKddEviiT3_lPKT2_lT1_lS5_lS6_lS2_lPT4_lS6_li: ; @_ZL20rocblas_gemvn_kernelILi64ELi16EldPKddEviiT3_lPKT2_lT1_lS5_lS6_lS2_lPT4_lS6_li
; %bb.0:
	s_load_dwordx2 s[4:5], s[0:1], 0x9c
	s_waitcnt lgkmcnt(0)
	s_lshr_b32 s6, s4, 16
	s_and_b32 s4, s4, 0xffff
	s_and_b32 s5, s5, 0xffff
	s_mul_i32 s4, s6, s4
	s_mul_i32 s4, s4, s5
	s_cmpk_lg_i32 s4, 0x400
	s_cbranch_scc1 .LBB65_50
; %bb.1:
	s_load_dwordx16 s[36:51], s[0:1], 0x8
	s_load_dwordx16 s[8:23], s[0:1], 0x48
	s_waitcnt lgkmcnt(0)
	s_mul_i32 s5, s3, s39
	s_mul_hi_u32 s6, s3, s38
	s_mul_i32 s4, s3, s38
	s_add_i32 s5, s6, s5
	s_lshl_b64 s[4:5], s[4:5], 3
	s_add_u32 s4, s36, s4
	s_addc_u32 s5, s37, s5
	s_mul_i32 s7, s3, s15
	s_load_dwordx2 s[24:25], s[4:5], 0x0
	s_mul_hi_u32 s4, s3, s14
	s_add_i32 s5, s4, s7
	s_mul_i32 s4, s3, s14
	s_lshl_b64 s[4:5], s[4:5], 3
	s_add_u32 s4, s12, s4
	s_addc_u32 s5, s13, s5
	s_load_dwordx2 s[14:15], s[4:5], 0x0
	s_waitcnt lgkmcnt(0)
	v_cmp_eq_f64_e64 s[4:5], s[24:25], 0
	v_cmp_eq_f64_e64 s[6:7], s[14:15], 1.0
	s_and_b64 s[4:5], s[4:5], s[6:7]
	s_and_b64 vcc, exec, s[4:5]
	s_cbranch_vccnz .LBB65_50
; %bb.2:
	s_load_dwordx2 s[26:27], s[0:1], 0x0
	s_mul_i32 s0, s3, s23
	s_mul_hi_u32 s1, s3, s22
	s_add_i32 s1, s1, s0
	s_mul_i32 s0, s3, s22
	s_lshl_b64 s[0:1], s[0:1], 3
	s_add_u32 s4, s16, s0
	s_addc_u32 s5, s17, s1
	s_lshl_b64 s[0:1], s[18:19], 3
	s_add_u32 s12, s4, s0
	s_addc_u32 s13, s5, s1
	v_and_b32_e32 v69, 0x3ff, v0
	v_bfe_u32 v70, v0, 10, 10
	v_cmp_neq_f64_e64 s[0:1], s[24:25], 0
	v_lshl_add_u32 v68, v70, 6, v69
	s_mov_b64 s[16:17], 0
	s_and_b64 vcc, exec, s[0:1]
	s_cbranch_vccnz .LBB65_9
; %bb.3:
	s_movk_i32 s0, 0x100
	v_cmp_gt_u32_e32 vcc, s0, v68
	s_mov_b64 s[0:1], 0
                                        ; implicit-def: $vgpr0_vgpr1
                                        ; implicit-def: $vgpr2_vgpr3
	s_and_saveexec_b64 s[4:5], vcc
	s_cbranch_execz .LBB65_10
; %bb.4:
	v_lshl_or_b32 v4, s2, 8, v68
	v_mov_b32_e32 v5, 0
	s_waitcnt lgkmcnt(0)
	s_ashr_i32 s7, s26, 31
	s_mov_b32 s6, s26
	v_cmp_gt_i64_e32 vcc, s[6:7], v[4:5]
                                        ; implicit-def: $vgpr0_vgpr1
                                        ; implicit-def: $vgpr2_vgpr3
	s_and_saveexec_b64 s[6:7], vcc
	s_cbranch_execz .LBB65_8
; %bb.5:
	v_mad_u64_u32 v[2:3], s[18:19], v4, s20, 0
	v_mov_b32_e32 v6, v3
	v_cmp_eq_f64_e64 s[16:17], s[14:15], 0
	v_mad_u64_u32 v[4:5], s[18:19], v4, s21, v[6:7]
	v_mov_b64_e32 v[0:1], 0
	v_mov_b32_e32 v3, v4
	s_and_b64 vcc, exec, s[16:17]
	s_cbranch_vccnz .LBB65_7
; %bb.6:
	v_lshl_add_u64 v[0:1], v[2:3], 3, s[12:13]
	global_load_dwordx2 v[0:1], v[0:1], off
	s_waitcnt vmcnt(0)
	v_mul_f64 v[0:1], s[14:15], v[0:1]
.LBB65_7:
	s_mov_b64 s[16:17], exec
.LBB65_8:
	s_or_b64 exec, exec, s[6:7]
	s_and_b64 s[16:17], s[16:17], exec
	s_or_b64 exec, exec, s[4:5]
	s_and_b64 vcc, exec, s[0:1]
	s_cbranch_vccnz .LBB65_11
	s_branch .LBB65_48
.LBB65_9:
                                        ; implicit-def: $vgpr0_vgpr1
                                        ; implicit-def: $vgpr2_vgpr3
	s_cbranch_execnz .LBB65_11
	s_branch .LBB65_48
.LBB65_10:
	s_or_b64 exec, exec, s[4:5]
	s_and_b64 vcc, exec, s[0:1]
	s_cbranch_vccz .LBB65_48
.LBB65_11:
	s_mul_i32 s0, s3, s47
	s_mul_hi_u32 s1, s3, s46
	s_add_i32 s19, s1, s0
	s_mul_i32 s0, s3, s11
	s_mul_hi_u32 s1, s3, s10
	s_add_i32 s11, s1, s0
	s_waitcnt lgkmcnt(0)
	s_ashr_i32 s0, s27, 31
	s_lshr_b32 s0, s0, 26
	s_add_i32 s54, s27, s0
	s_lshl_b32 s33, s2, 8
	s_andn2_b32 s54, s54, 63
	v_lshlrev_b32_e32 v71, 2, v70
	v_mov_b64_e32 v[2:3], 0
	s_mul_i32 s18, s3, s46
	s_mul_i32 s10, s3, s10
	v_add_u32_e32 v0, s33, v69
	v_cmp_gt_i32_e32 vcc, s54, v71
	v_mov_b64_e32 v[4:5], v[2:3]
	v_mov_b64_e32 v[6:7], v[2:3]
	;; [unrolled: 1-line block ×3, first 2 shown]
	s_and_saveexec_b64 s[22:23], vcc
	s_cbranch_execz .LBB65_23
; %bb.12:
	v_add_u32_e32 v2, 64, v0
	v_cmp_gt_i32_e64 s[0:1], s26, v2
	v_add_u32_e32 v2, 0x80, v0
	v_cmp_gt_i32_e64 s[2:3], s26, v2
	;; [unrolled: 2-line block ×3, first 2 shown]
	v_mad_u64_u32 v[2:3], s[6:7], s8, v70, 0
	v_mov_b32_e32 v4, v3
	v_mad_u64_u32 v[4:5], s[6:7], s9, v70, v[4:5]
	v_ashrrev_i32_e32 v1, 31, v0
	s_lshl_b64 s[28:29], s[50:51], 3
	s_lshl_b64 s[6:7], s[10:11], 3
	v_mov_b32_e32 v3, v4
	s_add_u32 s6, s48, s6
	v_lshlrev_b64 v[12:13], 3, v[0:1]
	v_lshlrev_b32_e32 v1, 2, v70
	v_lshlrev_b64 v[2:3], 5, v[2:3]
	s_addc_u32 s7, s49, s7
	v_or_b32_e32 v6, 3, v1
	v_lshl_add_u64 v[10:11], s[6:7], 0, v[2:3]
	v_mad_u64_u32 v[2:3], s[34:35], s44, v6, 0
	v_mov_b32_e32 v4, v3
	v_mad_u64_u32 v[4:5], s[34:35], s45, v6, v[4:5]
	s_lshl_b64 s[30:31], s[8:9], 9
	s_lshl_b64 s[34:35], s[18:19], 3
	;; [unrolled: 1-line block ×3, first 2 shown]
	s_add_u32 s36, s40, s36
	s_addc_u32 s37, s41, s37
	s_add_u32 s36, s36, s34
	v_mov_b32_e32 v3, v4
	s_addc_u32 s37, s37, s35
	v_lshl_add_u64 v[14:15], v[2:3], 3, s[36:37]
	v_mad_u64_u32 v[2:3], s[38:39], s8, v6, 0
	v_mov_b32_e32 v4, v3
	v_mad_u64_u32 v[4:5], s[38:39], s9, v6, v[4:5]
	v_mov_b32_e32 v3, v4
	v_lshl_add_u64 v[16:17], v[2:3], 3, s[6:7]
	v_mad_u64_u32 v[2:3], s[38:39], s44, v70, 0
	v_mov_b32_e32 v4, v3
	v_mad_u64_u32 v[4:5], s[38:39], s45, v70, v[4:5]
	v_mov_b32_e32 v3, v4
	v_lshlrev_b64 v[2:3], 5, v[2:3]
	v_or_b32_e32 v6, 2, v1
	v_lshl_add_u64 v[18:19], s[36:37], 0, v[2:3]
	v_mad_u64_u32 v[2:3], s[38:39], s44, v6, 0
	v_mov_b32_e32 v4, v3
	v_mad_u64_u32 v[4:5], s[38:39], s45, v6, v[4:5]
	v_mov_b32_e32 v3, v4
	v_lshl_add_u64 v[20:21], v[2:3], 3, s[36:37]
	v_mad_u64_u32 v[2:3], s[38:39], s8, v6, 0
	v_mov_b32_e32 v4, v3
	v_mad_u64_u32 v[4:5], s[38:39], s9, v6, v[4:5]
	v_mov_b32_e32 v3, v4
	v_lshl_add_u64 v[22:23], v[2:3], 3, s[6:7]
	v_mov_b64_e32 v[2:3], s[8:9]
	v_mad_u64_u32 v[2:3], s[38:39], s8, v1, v[2:3]
	v_mov_b32_e32 v4, v3
	v_mad_u64_u32 v[4:5], s[38:39], s9, v1, v[4:5]
	v_mov_b32_e32 v3, v4
	v_lshl_add_u64 v[24:25], v[2:3], 3, s[6:7]
	v_mov_b64_e32 v[2:3], s[44:45]
	;; [unrolled: 6-line block ×3, first 2 shown]
	v_cmp_gt_i32_e32 vcc, s26, v0
	s_lshl_b64 s[34:35], s[44:45], 9
	s_mov_b64 s[36:37], 0
	v_mov_b64_e32 v[4:5], v[2:3]
	v_mov_b64_e32 v[6:7], v[2:3]
	;; [unrolled: 1-line block ×3, first 2 shown]
	s_branch .LBB65_17
.LBB65_13:                              ;   in Loop: Header=BB65_17 Depth=1
	s_or_b64 exec, exec, s[52:53]
	s_waitcnt vmcnt(3)
	v_fmac_f64_e32 v[6:7], v[28:29], v[66:67]
	s_waitcnt vmcnt(2)
	v_fmac_f64_e32 v[6:7], v[30:31], v[64:65]
	;; [unrolled: 2-line block ×4, first 2 shown]
.LBB65_14:                              ;   in Loop: Header=BB65_17 Depth=1
	s_or_b64 exec, exec, s[46:47]
	s_waitcnt vmcnt(3)
	v_fmac_f64_e32 v[4:5], v[28:29], v[50:51]
	s_waitcnt vmcnt(2)
	v_fmac_f64_e32 v[4:5], v[30:31], v[48:49]
	;; [unrolled: 2-line block ×4, first 2 shown]
.LBB65_15:                              ;   in Loop: Header=BB65_17 Depth=1
	s_or_b64 exec, exec, s[38:39]
	s_waitcnt vmcnt(3)
	v_fmac_f64_e32 v[2:3], v[28:29], v[36:37]
	s_waitcnt vmcnt(2)
	v_fmac_f64_e32 v[2:3], v[30:31], v[38:39]
	;; [unrolled: 2-line block ×4, first 2 shown]
.LBB65_16:                              ;   in Loop: Header=BB65_17 Depth=1
	s_or_b64 exec, exec, s[6:7]
	v_add_u32_e32 v71, 64, v71
	v_cmp_le_i32_e64 s[6:7], s54, v71
	v_lshl_add_u64 v[10:11], v[10:11], 0, s[30:31]
	v_lshl_add_u64 v[14:15], v[14:15], 0, s[34:35]
	;; [unrolled: 1-line block ×7, first 2 shown]
	s_or_b64 s[36:37], s[6:7], s[36:37]
	v_lshl_add_u64 v[26:27], v[26:27], 0, s[34:35]
	s_andn2_b64 exec, exec, s[36:37]
	s_cbranch_execz .LBB65_22
.LBB65_17:                              ; =>This Inner Loop Header: Depth=1
	s_and_saveexec_b64 s[6:7], vcc
	s_cbranch_execz .LBB65_16
; %bb.18:                               ;   in Loop: Header=BB65_17 Depth=1
	v_lshl_add_u64 v[28:29], v[10:11], 0, s[28:29]
	v_lshl_add_u64 v[30:31], v[24:25], 0, s[28:29]
	;; [unrolled: 1-line block ×8, first 2 shown]
	global_load_dwordx2 v[28:29], v[28:29], off
	s_nop 0
	global_load_dwordx2 v[30:31], v[30:31], off
	s_nop 0
	;; [unrolled: 2-line block ×4, first 2 shown]
	global_load_dwordx2 v[36:37], v[58:59], off
	global_load_dwordx2 v[38:39], v[56:57], off
	;; [unrolled: 1-line block ×4, first 2 shown]
	s_and_saveexec_b64 s[38:39], s[0:1]
	s_cbranch_execz .LBB65_15
; %bb.19:                               ;   in Loop: Header=BB65_17 Depth=1
	global_load_dwordx2 v[50:51], v[58:59], off offset:512
	global_load_dwordx2 v[48:49], v[56:57], off offset:512
	;; [unrolled: 1-line block ×4, first 2 shown]
	s_and_saveexec_b64 s[46:47], s[2:3]
	s_cbranch_execz .LBB65_14
; %bb.20:                               ;   in Loop: Header=BB65_17 Depth=1
	global_load_dwordx2 v[66:67], v[58:59], off offset:1024
	global_load_dwordx2 v[64:65], v[56:57], off offset:1024
	global_load_dwordx2 v[62:63], v[54:55], off offset:1024
	global_load_dwordx2 v[60:61], v[52:53], off offset:1024
	s_and_saveexec_b64 s[52:53], s[4:5]
	s_cbranch_execz .LBB65_13
; %bb.21:                               ;   in Loop: Header=BB65_17 Depth=1
	global_load_dwordx2 v[58:59], v[58:59], off offset:1536
	s_nop 0
	global_load_dwordx2 v[56:57], v[56:57], off offset:1536
	s_nop 0
	;; [unrolled: 2-line block ×3, first 2 shown]
	global_load_dwordx2 v[52:53], v[52:53], off offset:1536
	s_waitcnt vmcnt(3)
	v_fmac_f64_e32 v[8:9], v[28:29], v[58:59]
	s_waitcnt vmcnt(2)
	v_fmac_f64_e32 v[8:9], v[30:31], v[56:57]
	s_waitcnt vmcnt(1)
	v_fmac_f64_e32 v[8:9], v[32:33], v[54:55]
	s_waitcnt vmcnt(0)
	v_fmac_f64_e32 v[8:9], v[34:35], v[52:53]
	s_branch .LBB65_13
.LBB65_22:
	s_or_b64 exec, exec, s[36:37]
.LBB65_23:
	s_or_b64 exec, exec, s[22:23]
	s_sub_i32 s0, s27, s54
	s_cmp_lt_i32 s0, 1
	s_cbranch_scc1 .LBB65_41
; %bb.24:
	v_mov_b64_e32 v[12:13], 0
	v_cmp_gt_i32_e32 vcc, s27, v71
	v_or_b32_e32 v20, 1, v71
	v_mov_b64_e32 v[16:17], v[12:13]
	v_mov_b64_e32 v[14:15], v[12:13]
	;; [unrolled: 1-line block ×3, first 2 shown]
	s_and_saveexec_b64 s[2:3], vcc
	s_cbranch_execz .LBB65_32
; %bb.25:
	s_lshl_b64 s[0:1], s[10:11], 3
	s_add_u32 s4, s48, s0
	s_addc_u32 s5, s49, s1
	s_lshl_b64 s[0:1], s[50:51], 3
	s_add_u32 s4, s4, s0
	s_addc_u32 s5, s5, s1
	v_mad_u64_u32 v[10:11], s[0:1], v71, s8, 0
	v_mov_b32_e32 v12, v11
	v_mad_u64_u32 v[12:13], s[0:1], v71, s9, v[12:13]
	v_mov_b32_e32 v11, v12
	v_lshl_add_u64 v[10:11], v[10:11], 3, s[4:5]
	global_load_dwordx2 v[10:11], v[10:11], off
	v_mov_b64_e32 v[14:15], 0
	v_cmp_gt_i32_e64 s[0:1], s27, v20
	v_mov_b64_e32 v[16:17], v[14:15]
	v_mov_b64_e32 v[12:13], v[14:15]
	s_and_saveexec_b64 s[6:7], s[0:1]
	s_cbranch_execz .LBB65_31
; %bb.26:
	v_mad_u64_u32 v[12:13], s[0:1], v20, s8, 0
	v_mov_b32_e32 v14, v13
	v_mad_u64_u32 v[14:15], s[0:1], v20, s9, v[14:15]
	v_mov_b32_e32 v13, v14
	v_lshl_add_u64 v[12:13], v[12:13], 3, s[4:5]
	global_load_dwordx2 v[14:15], v[12:13], off
	v_or_b32_e32 v1, 2, v71
	v_mov_b64_e32 v[16:17], 0
	v_cmp_gt_i32_e64 s[0:1], s27, v1
	v_mov_b64_e32 v[12:13], v[16:17]
	s_and_saveexec_b64 s[10:11], s[0:1]
	s_cbranch_execz .LBB65_30
; %bb.27:
	v_mad_u64_u32 v[12:13], s[0:1], v1, s8, 0
	v_mov_b32_e32 v16, v13
	v_mad_u64_u32 v[16:17], s[0:1], v1, s9, v[16:17]
	v_mov_b32_e32 v13, v16
	v_lshl_add_u64 v[12:13], v[12:13], 3, s[4:5]
	global_load_dwordx2 v[16:17], v[12:13], off
	v_or_b32_e32 v1, 3, v71
	v_cmp_gt_i32_e64 s[0:1], s27, v1
	v_mov_b64_e32 v[12:13], 0
	s_and_saveexec_b64 s[22:23], s[0:1]
	s_cbranch_execz .LBB65_29
; %bb.28:
	v_mad_u64_u32 v[12:13], s[0:1], v1, s8, 0
	v_mov_b32_e32 v18, v13
	v_mad_u64_u32 v[18:19], s[0:1], v1, s9, v[18:19]
	v_mov_b32_e32 v13, v18
	v_lshl_add_u64 v[12:13], v[12:13], 3, s[4:5]
	global_load_dwordx2 v[12:13], v[12:13], off
.LBB65_29:
	s_or_b64 exec, exec, s[22:23]
.LBB65_30:
	s_or_b64 exec, exec, s[10:11]
.LBB65_31:
	s_or_b64 exec, exec, s[6:7]
.LBB65_32:
	s_or_b64 exec, exec, s[2:3]
	v_cmp_gt_i32_e64 s[0:1], s26, v0
	s_and_saveexec_b64 s[2:3], s[0:1]
	s_cbranch_execz .LBB65_40
; %bb.33:
	s_lshl_b64 s[0:1], s[18:19], 3
	s_add_u32 s4, s40, s0
	s_addc_u32 s5, s41, s1
	s_lshl_b64 s[0:1], s[42:43], 3
	s_add_u32 s0, s4, s0
	s_addc_u32 s1, s5, s1
	v_mad_u64_u32 v[18:19], s[4:5], v71, s44, 0
	v_mov_b32_e32 v22, v19
	v_ashrrev_i32_e32 v1, 31, v0
	v_mad_u64_u32 v[22:23], s[4:5], v71, s45, v[22:23]
	v_mad_u64_u32 v[24:25], s[4:5], v20, s44, 0
	v_cndmask_b32_e32 v18, 0, v18, vcc
	v_cndmask_b32_e32 v19, 0, v22, vcc
	v_lshlrev_b64 v[22:23], 3, v[0:1]
	v_mov_b32_e32 v26, v25
	v_cmp_gt_i32_e32 vcc, s27, v20
	v_or_b32_e32 v1, 2, v71
	v_mad_u64_u32 v[26:27], s[4:5], v20, s45, v[26:27]
	v_cndmask_b32_e32 v20, 0, v24, vcc
	v_mad_u64_u32 v[24:25], s[4:5], v1, s44, 0
	v_cndmask_b32_e32 v21, 0, v26, vcc
	v_mov_b32_e32 v26, v25
	v_mad_u64_u32 v[26:27], s[4:5], v1, s45, v[26:27]
	v_cmp_gt_i32_e32 vcc, s27, v1
	v_or_b32_e32 v1, 3, v71
	v_lshl_add_u64 v[18:19], v[18:19], 3, s[0:1]
	v_cndmask_b32_e32 v25, 0, v26, vcc
	v_mad_u64_u32 v[26:27], s[4:5], v1, s44, 0
	v_mov_b32_e32 v28, v27
	v_cndmask_b32_e32 v24, 0, v24, vcc
	v_mad_u64_u32 v[28:29], s[4:5], v1, s45, v[28:29]
	v_cmp_gt_i32_e32 vcc, s27, v1
	v_lshl_add_u64 v[18:19], v[18:19], 0, v[22:23]
	v_lshl_add_u64 v[20:21], v[20:21], 3, s[0:1]
	v_cndmask_b32_e32 v26, 0, v26, vcc
	v_cndmask_b32_e32 v27, 0, v28, vcc
	v_lshl_add_u64 v[24:25], v[24:25], 3, s[0:1]
	v_lshl_add_u64 v[26:27], v[26:27], 3, s[0:1]
	;; [unrolled: 1-line block ×4, first 2 shown]
	global_load_dwordx2 v[28:29], v[18:19], off
	global_load_dwordx2 v[30:31], v[20:21], off
	;; [unrolled: 1-line block ×3, first 2 shown]
	v_lshl_add_u64 v[26:27], v[26:27], 0, v[22:23]
	global_load_dwordx2 v[22:23], v[26:27], off
	v_add_u32_e32 v1, 64, v0
	v_cmp_gt_i32_e32 vcc, s26, v1
	s_waitcnt vmcnt(3)
	v_fmac_f64_e32 v[2:3], v[10:11], v[28:29]
	s_waitcnt vmcnt(2)
	v_fmac_f64_e32 v[2:3], v[14:15], v[30:31]
	s_waitcnt vmcnt(1)
	v_fmac_f64_e32 v[2:3], v[16:17], v[32:33]
	s_and_saveexec_b64 s[0:1], vcc
	s_cbranch_execz .LBB65_39
; %bb.34:
	global_load_dwordx2 v[30:31], v[18:19], off offset:512
	global_load_dwordx2 v[32:33], v[20:21], off offset:512
	global_load_dwordx2 v[34:35], v[24:25], off offset:512
	global_load_dwordx2 v[28:29], v[26:27], off offset:512
	v_add_u32_e32 v1, 0x80, v0
	v_cmp_gt_i32_e32 vcc, s26, v1
	s_waitcnt vmcnt(3)
	v_fmac_f64_e32 v[4:5], v[10:11], v[30:31]
	s_waitcnt vmcnt(2)
	v_fmac_f64_e32 v[4:5], v[14:15], v[32:33]
	s_waitcnt vmcnt(1)
	v_fmac_f64_e32 v[4:5], v[16:17], v[34:35]
	s_and_saveexec_b64 s[4:5], vcc
	s_cbranch_execz .LBB65_38
; %bb.35:
	global_load_dwordx2 v[32:33], v[18:19], off offset:1024
	global_load_dwordx2 v[34:35], v[20:21], off offset:1024
	global_load_dwordx2 v[36:37], v[24:25], off offset:1024
	global_load_dwordx2 v[30:31], v[26:27], off offset:1024
	;; [unrolled: 15-line block ×3, first 2 shown]
	s_waitcnt vmcnt(3)
	v_fmac_f64_e32 v[8:9], v[10:11], v[0:1]
	s_waitcnt vmcnt(2)
	v_fmac_f64_e32 v[8:9], v[14:15], v[32:33]
	;; [unrolled: 2-line block ×4, first 2 shown]
.LBB65_37:
	s_or_b64 exec, exec, s[6:7]
	s_waitcnt vmcnt(0)
	v_fmac_f64_e32 v[6:7], v[12:13], v[30:31]
.LBB65_38:
	s_or_b64 exec, exec, s[4:5]
	s_waitcnt vmcnt(0)
	v_fmac_f64_e32 v[4:5], v[12:13], v[28:29]
.LBB65_39:
	s_or_b64 exec, exec, s[0:1]
	s_waitcnt vmcnt(0)
	v_fmac_f64_e32 v[2:3], v[12:13], v[22:23]
.LBB65_40:
	s_or_b64 exec, exec, s[2:3]
.LBB65_41:
	v_lshlrev_b32_e32 v0, 8, v70
	s_movk_i32 s0, 0x100
	v_add_lshl_u32 v0, v0, v69, 3
	v_cmp_gt_u32_e32 vcc, s0, v68
	ds_write2st64_b64 v0, v[2:3], v[4:5] offset1:1
	ds_write2st64_b64 v0, v[6:7], v[8:9] offset0:2 offset1:3
	s_waitcnt lgkmcnt(0)
	s_barrier
	s_waitcnt lgkmcnt(0)
                                        ; implicit-def: $vgpr0_vgpr1
                                        ; implicit-def: $vgpr2_vgpr3
	s_and_saveexec_b64 s[0:1], vcc
	s_cbranch_execz .LBB65_47
; %bb.42:
	v_lshlrev_b32_e32 v20, 3, v68
	ds_read2st64_b64 v[0:3], v20 offset1:4
	ds_read2st64_b64 v[4:7], v20 offset0:8 offset1:12
	s_waitcnt vmcnt(0)
	ds_read2st64_b64 v[8:11], v20 offset0:16 offset1:20
	ds_read2st64_b64 v[12:15], v20 offset0:24 offset1:28
	;; [unrolled: 1-line block ×3, first 2 shown]
	s_waitcnt lgkmcnt(4)
	v_add_f64 v[0:1], v[0:1], v[2:3]
	s_waitcnt lgkmcnt(3)
	v_add_f64 v[0:1], v[4:5], v[0:1]
	v_add_f64 v[0:1], v[6:7], v[0:1]
	s_waitcnt lgkmcnt(2)
	v_add_f64 v[0:1], v[8:9], v[0:1]
	;; [unrolled: 3-line block ×3, first 2 shown]
	v_add_f64 v[4:5], v[14:15], v[0:1]
	ds_read2st64_b64 v[0:3], v20 offset0:40 offset1:44
	s_waitcnt lgkmcnt(1)
	v_add_f64 v[8:9], v[16:17], v[4:5]
	ds_read2st64_b64 v[4:7], v20 offset0:48 offset1:52
	v_add_f64 v[12:13], v[18:19], v[8:9]
	ds_read2st64_b64 v[8:11], v20 offset0:56 offset1:60
	s_waitcnt lgkmcnt(2)
	v_add_f64 v[0:1], v[0:1], v[12:13]
	v_add_f64 v[0:1], v[2:3], v[0:1]
	s_waitcnt lgkmcnt(1)
	v_add_f64 v[0:1], v[4:5], v[0:1]
	v_add_f64 v[0:1], v[6:7], v[0:1]
	s_waitcnt lgkmcnt(0)
	v_add_f64 v[0:1], v[8:9], v[0:1]
	v_or_b32_e32 v6, s33, v68
	v_add_f64 v[4:5], v[10:11], v[0:1]
	v_cmp_gt_i32_e32 vcc, s26, v6
	s_mov_b64 s[4:5], s[16:17]
	ds_write_b64 v20, v[4:5]
                                        ; implicit-def: $vgpr0_vgpr1
                                        ; implicit-def: $vgpr2_vgpr3
	s_and_saveexec_b64 s[2:3], vcc
	s_cbranch_execz .LBB65_46
; %bb.43:
	v_ashrrev_i32_e32 v2, 31, v6
	v_cmp_eq_f64_e64 s[4:5], s[14:15], 0
	v_mul_f64 v[0:1], s[24:25], v[4:5]
	v_mul_lo_u32 v4, v6, s21
	v_mul_lo_u32 v5, v2, s20
	v_mad_u64_u32 v[2:3], s[6:7], v6, s20, 0
	v_add3_u32 v3, v3, v4, v5
	s_and_b64 vcc, exec, s[4:5]
	s_cbranch_vccnz .LBB65_45
; %bb.44:
	v_lshl_add_u64 v[4:5], v[2:3], 3, s[12:13]
	global_load_dwordx2 v[4:5], v[4:5], off
	s_waitcnt vmcnt(0)
	v_fmac_f64_e32 v[0:1], s[14:15], v[4:5]
.LBB65_45:
	s_or_b64 s[4:5], s[16:17], exec
.LBB65_46:
	s_or_b64 exec, exec, s[2:3]
	s_andn2_b64 s[2:3], s[16:17], exec
	s_and_b64 s[4:5], s[4:5], exec
	s_or_b64 s[16:17], s[2:3], s[4:5]
.LBB65_47:
	s_or_b64 exec, exec, s[0:1]
.LBB65_48:
	s_and_saveexec_b64 s[0:1], s[16:17]
	s_cbranch_execz .LBB65_50
; %bb.49:
	v_lshl_add_u64 v[2:3], v[2:3], 3, s[12:13]
	global_store_dwordx2 v[2:3], v[0:1], off
.LBB65_50:
	s_endpgm
	.section	.rodata,"a",@progbits
	.p2align	6, 0x0
	.amdhsa_kernel _ZL20rocblas_gemvn_kernelILi64ELi16EldPKddEviiT3_lPKT2_lT1_lS5_lS6_lS2_lPT4_lS6_li
		.amdhsa_group_segment_fixed_size 32768
		.amdhsa_private_segment_fixed_size 0
		.amdhsa_kernarg_size 400
		.amdhsa_user_sgpr_count 2
		.amdhsa_user_sgpr_dispatch_ptr 0
		.amdhsa_user_sgpr_queue_ptr 0
		.amdhsa_user_sgpr_kernarg_segment_ptr 1
		.amdhsa_user_sgpr_dispatch_id 0
		.amdhsa_user_sgpr_kernarg_preload_length 0
		.amdhsa_user_sgpr_kernarg_preload_offset 0
		.amdhsa_user_sgpr_private_segment_size 0
		.amdhsa_uses_dynamic_stack 0
		.amdhsa_enable_private_segment 0
		.amdhsa_system_sgpr_workgroup_id_x 1
		.amdhsa_system_sgpr_workgroup_id_y 0
		.amdhsa_system_sgpr_workgroup_id_z 1
		.amdhsa_system_sgpr_workgroup_info 0
		.amdhsa_system_vgpr_workitem_id 1
		.amdhsa_next_free_vgpr 72
		.amdhsa_next_free_sgpr 55
		.amdhsa_accum_offset 72
		.amdhsa_reserve_vcc 1
		.amdhsa_float_round_mode_32 0
		.amdhsa_float_round_mode_16_64 0
		.amdhsa_float_denorm_mode_32 3
		.amdhsa_float_denorm_mode_16_64 3
		.amdhsa_dx10_clamp 1
		.amdhsa_ieee_mode 1
		.amdhsa_fp16_overflow 0
		.amdhsa_tg_split 0
		.amdhsa_exception_fp_ieee_invalid_op 0
		.amdhsa_exception_fp_denorm_src 0
		.amdhsa_exception_fp_ieee_div_zero 0
		.amdhsa_exception_fp_ieee_overflow 0
		.amdhsa_exception_fp_ieee_underflow 0
		.amdhsa_exception_fp_ieee_inexact 0
		.amdhsa_exception_int_div_zero 0
	.end_amdhsa_kernel
	.section	.text._ZL20rocblas_gemvn_kernelILi64ELi16EldPKddEviiT3_lPKT2_lT1_lS5_lS6_lS2_lPT4_lS6_li,"axG",@progbits,_ZL20rocblas_gemvn_kernelILi64ELi16EldPKddEviiT3_lPKT2_lT1_lS5_lS6_lS2_lPT4_lS6_li,comdat
.Lfunc_end65:
	.size	_ZL20rocblas_gemvn_kernelILi64ELi16EldPKddEviiT3_lPKT2_lT1_lS5_lS6_lS2_lPT4_lS6_li, .Lfunc_end65-_ZL20rocblas_gemvn_kernelILi64ELi16EldPKddEviiT3_lPKT2_lT1_lS5_lS6_lS2_lPT4_lS6_li
                                        ; -- End function
	.section	.AMDGPU.csdata,"",@progbits
; Kernel info:
; codeLenInByte = 2828
; NumSgprs: 61
; NumVgprs: 72
; NumAgprs: 0
; TotalNumVgprs: 72
; ScratchSize: 0
; MemoryBound: 1
; FloatMode: 240
; IeeeMode: 1
; LDSByteSize: 32768 bytes/workgroup (compile time only)
; SGPRBlocks: 7
; VGPRBlocks: 8
; NumSGPRsForWavesPerEU: 61
; NumVGPRsForWavesPerEU: 72
; AccumOffset: 72
; Occupancy: 7
; WaveLimiterHint : 0
; COMPUTE_PGM_RSRC2:SCRATCH_EN: 0
; COMPUTE_PGM_RSRC2:USER_SGPR: 2
; COMPUTE_PGM_RSRC2:TRAP_HANDLER: 0
; COMPUTE_PGM_RSRC2:TGID_X_EN: 1
; COMPUTE_PGM_RSRC2:TGID_Y_EN: 0
; COMPUTE_PGM_RSRC2:TGID_Z_EN: 1
; COMPUTE_PGM_RSRC2:TIDIG_COMP_CNT: 1
; COMPUTE_PGM_RSRC3_GFX90A:ACCUM_OFFSET: 17
; COMPUTE_PGM_RSRC3_GFX90A:TG_SPLIT: 0
	.section	.text._ZL20rocblas_gemvn_kernelILi64ELi16EidddEviiT3_lPKT2_lT1_lS3_lS4_lS0_lPT4_lS4_li,"axG",@progbits,_ZL20rocblas_gemvn_kernelILi64ELi16EidddEviiT3_lPKT2_lT1_lS3_lS4_lS0_lPT4_lS4_li,comdat
	.globl	_ZL20rocblas_gemvn_kernelILi64ELi16EidddEviiT3_lPKT2_lT1_lS3_lS4_lS0_lPT4_lS4_li ; -- Begin function _ZL20rocblas_gemvn_kernelILi64ELi16EidddEviiT3_lPKT2_lT1_lS3_lS4_lS0_lPT4_lS4_li
	.p2align	8
	.type	_ZL20rocblas_gemvn_kernelILi64ELi16EidddEviiT3_lPKT2_lT1_lS3_lS4_lS0_lPT4_lS4_li,@function
_ZL20rocblas_gemvn_kernelILi64ELi16EidddEviiT3_lPKT2_lT1_lS3_lS4_lS0_lPT4_lS4_li: ; @_ZL20rocblas_gemvn_kernelILi64ELi16EidddEviiT3_lPKT2_lT1_lS3_lS4_lS0_lPT4_lS4_li
; %bb.0:
	s_load_dwordx2 s[4:5], s[0:1], 0x9c
	s_waitcnt lgkmcnt(0)
	s_lshr_b32 s6, s4, 16
	s_and_b32 s4, s4, 0xffff
	s_and_b32 s5, s5, 0xffff
	s_mul_i32 s4, s6, s4
	s_mul_i32 s4, s4, s5
	s_cmpk_lg_i32 s4, 0x400
	s_cbranch_scc1 .LBB66_50
; %bb.1:
	s_load_dwordx2 s[14:15], s[0:1], 0x8
	s_load_dwordx4 s[8:11], s[0:1], 0x50
	s_waitcnt lgkmcnt(0)
	v_cmp_eq_f64_e64 s[4:5], s[14:15], 0
	v_cmp_eq_f64_e64 s[6:7], s[10:11], 1.0
	s_and_b64 s[4:5], s[4:5], s[6:7]
	s_and_b64 vcc, exec, s[4:5]
	s_cbranch_vccnz .LBB66_50
; %bb.2:
	s_load_dwordx2 s[12:13], s[0:1], 0x80
	s_load_dword s33, s[0:1], 0x78
	s_load_dwordx2 s[16:17], s[0:1], 0x0
	s_load_dwordx4 s[4:7], s[0:1], 0x68
	v_and_b32_e32 v2, 0x3ff, v0
	s_waitcnt lgkmcnt(0)
	s_mul_i32 s13, s3, s13
	s_mul_hi_u32 s18, s3, s12
	s_add_i32 s13, s18, s13
	s_mul_i32 s12, s3, s12
	s_lshl_b64 s[12:13], s[12:13], 3
	s_add_u32 s12, s4, s12
	s_addc_u32 s13, s5, s13
	s_lshl_b64 s[4:5], s[6:7], 3
	s_add_u32 s12, s12, s4
	s_addc_u32 s13, s13, s5
	v_bfe_u32 v3, v0, 10, 10
	v_cmp_neq_f64_e64 s[4:5], s[14:15], 0
	v_lshl_add_u32 v54, v3, 6, v2
	s_mov_b64 s[18:19], 0
	s_and_b64 vcc, exec, s[4:5]
	s_cbranch_vccnz .LBB66_9
; %bb.3:
	s_movk_i32 s4, 0x100
	v_cmp_gt_u32_e32 vcc, s4, v54
	s_mov_b64 s[4:5], 0
                                        ; implicit-def: $vgpr0_vgpr1
                                        ; implicit-def: $vgpr4_vgpr5
	s_and_saveexec_b64 s[6:7], vcc
	s_cbranch_execz .LBB66_10
; %bb.4:
	v_lshl_or_b32 v6, s2, 8, v54
	v_mov_b32_e32 v7, 0
	s_ashr_i32 s19, s16, 31
	s_mov_b32 s18, s16
	v_cmp_gt_i64_e32 vcc, s[18:19], v[6:7]
	s_mov_b64 s[20:21], 0
                                        ; implicit-def: $vgpr0_vgpr1
                                        ; implicit-def: $vgpr4_vgpr5
	s_and_saveexec_b64 s[18:19], vcc
	s_cbranch_execz .LBB66_8
; %bb.5:
	v_mad_u64_u32 v[4:5], s[22:23], s33, v6, 0
	s_ashr_i32 s24, s33, 31
	v_mov_b32_e32 v8, v5
	v_cmp_eq_f64_e64 s[20:21], s[10:11], 0
	v_mad_u64_u32 v[6:7], s[22:23], s24, v6, v[8:9]
	v_mov_b64_e32 v[0:1], 0
	v_mov_b32_e32 v5, v6
	s_and_b64 vcc, exec, s[20:21]
	s_cbranch_vccnz .LBB66_7
; %bb.6:
	v_lshl_add_u64 v[0:1], v[4:5], 3, s[12:13]
	global_load_dwordx2 v[0:1], v[0:1], off
	s_waitcnt vmcnt(0)
	v_mul_f64 v[0:1], v[0:1], s[10:11]
.LBB66_7:
	s_mov_b64 s[20:21], exec
.LBB66_8:
	s_or_b64 exec, exec, s[18:19]
	s_and_b64 s[18:19], s[20:21], exec
	s_or_b64 exec, exec, s[6:7]
	s_and_b64 vcc, exec, s[4:5]
	s_cbranch_vccnz .LBB66_11
	s_branch .LBB66_48
.LBB66_9:
                                        ; implicit-def: $vgpr0_vgpr1
                                        ; implicit-def: $vgpr4_vgpr5
	s_cbranch_execnz .LBB66_11
	s_branch .LBB66_48
.LBB66_10:
	s_or_b64 exec, exec, s[6:7]
	s_and_b64 vcc, exec, s[4:5]
	s_cbranch_vccz .LBB66_48
.LBB66_11:
	s_load_dwordx4 s[4:7], s[0:1], 0x30
	s_load_dwordx4 s[20:23], s[0:1], 0x18
	s_load_dword s35, s[0:1], 0x28
	s_load_dwordx2 s[24:25], s[0:1], 0x40
	s_load_dword s36, s[0:1], 0x48
	s_waitcnt lgkmcnt(0)
	s_mul_i32 s0, s3, s5
	s_mul_hi_u32 s1, s3, s4
	s_add_i32 s1, s1, s0
	s_mul_i32 s0, s3, s4
	s_lshl_b64 s[0:1], s[0:1], 3
	s_add_u32 s4, s20, s0
	s_addc_u32 s5, s21, s1
	s_lshl_b64 s[0:1], s[22:23], 3
	s_add_u32 s20, s4, s0
	s_addc_u32 s21, s5, s1
	s_mul_i32 s0, s3, s9
	s_mul_hi_u32 s1, s3, s8
	s_add_i32 s1, s1, s0
	s_mul_i32 s0, s3, s8
	s_lshl_b64 s[0:1], s[0:1], 3
	s_add_u32 s3, s6, s0
	s_addc_u32 s4, s7, s1
	s_lshl_b64 s[0:1], s[24:25], 3
	s_add_u32 s8, s3, s0
	s_addc_u32 s9, s4, s1
	s_ashr_i32 s0, s17, 31
	s_lshr_b32 s0, s0, 26
	s_add_i32 s38, s17, s0
	s_lshl_b32 s34, s2, 8
	s_andn2_b32 s38, s38, 63
	v_lshlrev_b32_e32 v56, 2, v3
	v_mov_b64_e32 v[0:1], 0
	s_mov_b32 s37, 0
	v_add_u32_e32 v55, s34, v2
	v_cmp_gt_i32_e32 vcc, s38, v56
	v_mov_b64_e32 v[4:5], v[0:1]
	v_mov_b64_e32 v[6:7], v[0:1]
	v_mov_b64_e32 v[8:9], v[0:1]
	s_and_saveexec_b64 s[22:23], vcc
	s_cbranch_execz .LBB66_23
; %bb.12:
	v_add_u32_e32 v0, 64, v55
	v_cmp_gt_i32_e64 s[0:1], s16, v0
	v_add_u32_e32 v0, 0x80, v55
	v_cmp_gt_i32_e64 s[2:3], s16, v0
	;; [unrolled: 2-line block ×3, first 2 shown]
	v_mul_lo_u32 v0, s35, v56
	v_add3_u32 v57, v0, s35, v2
	v_add_u32_e32 v0, 2, v56
	v_mad_u64_u32 v[10:11], s[6:7], s35, v0, v[2:3]
	v_add_u32_e32 v1, 3, v56
	v_mul_lo_u32 v4, v3, s35
	v_mul_lo_u32 v58, s36, v0
	;; [unrolled: 1-line block ×3, first 2 shown]
	v_mad_u64_u32 v[12:13], s[6:7], s35, v1, v[2:3]
	v_lshl_add_u32 v11, v4, 2, v2
	v_mul_lo_u32 v4, s36, v56
	v_mul_lo_u32 v59, s36, v1
	v_lshlrev_b32_e32 v60, 2, v0
	v_mov_b64_e32 v[0:1], 0
	v_cmp_gt_i32_e32 vcc, s16, v55
	s_lshl_b32 s39, s35, 6
	v_add_u32_e32 v13, s36, v4
	s_lshl_b32 s40, s36, 6
	s_mov_b64 s[24:25], 0
	v_mov_b64_e32 v[4:5], v[0:1]
	v_mov_b64_e32 v[6:7], v[0:1]
	;; [unrolled: 1-line block ×3, first 2 shown]
	s_branch .LBB66_17
.LBB66_13:                              ;   in Loop: Header=BB66_17 Depth=1
	s_or_b64 exec, exec, s[30:31]
	s_waitcnt vmcnt(3)
	v_fmac_f64_e32 v[6:7], v[20:21], v[52:53]
	s_waitcnt vmcnt(2)
	v_fmac_f64_e32 v[6:7], v[18:19], v[50:51]
	;; [unrolled: 2-line block ×4, first 2 shown]
.LBB66_14:                              ;   in Loop: Header=BB66_17 Depth=1
	s_or_b64 exec, exec, s[28:29]
	s_waitcnt vmcnt(3)
	v_fmac_f64_e32 v[4:5], v[20:21], v[36:37]
	s_waitcnt vmcnt(2)
	v_fmac_f64_e32 v[4:5], v[18:19], v[34:35]
	;; [unrolled: 2-line block ×4, first 2 shown]
.LBB66_15:                              ;   in Loop: Header=BB66_17 Depth=1
	s_or_b64 exec, exec, s[26:27]
	s_waitcnt vmcnt(3)
	v_fmac_f64_e32 v[0:1], v[20:21], v[28:29]
	s_waitcnt vmcnt(2)
	v_fmac_f64_e32 v[0:1], v[18:19], v[26:27]
	;; [unrolled: 2-line block ×4, first 2 shown]
.LBB66_16:                              ;   in Loop: Header=BB66_17 Depth=1
	s_or_b64 exec, exec, s[6:7]
	v_add_u32_e32 v56, 64, v56
	s_add_i32 s37, s37, s40
	v_cmp_le_i32_e64 s[6:7], s38, v56
	v_add_u32_e32 v57, s39, v57
	v_add_u32_e32 v10, s39, v10
	;; [unrolled: 1-line block ×3, first 2 shown]
	s_or_b64 s[24:25], s[6:7], s[24:25]
	v_add_u32_e32 v11, s39, v11
	s_andn2_b64 exec, exec, s[24:25]
	s_cbranch_execz .LBB66_22
.LBB66_17:                              ; =>This Inner Loop Header: Depth=1
	s_and_saveexec_b64 s[6:7], vcc
	s_cbranch_execz .LBB66_16
; %bb.18:                               ;   in Loop: Header=BB66_17 Depth=1
	v_add_u32_e32 v14, s37, v60
	v_ashrrev_i32_e32 v15, 31, v14
	v_lshl_add_u64 v[22:23], v[14:15], 3, s[8:9]
	v_add_u32_e32 v14, s37, v13
	v_ashrrev_i32_e32 v15, 31, v14
	v_lshl_add_u64 v[24:25], v[14:15], 3, s[8:9]
	;; [unrolled: 3-line block ×4, first 2 shown]
	global_load_dwordx2 v[20:21], v[22:23], off
	global_load_dwordx2 v[18:19], v[24:25], off
	;; [unrolled: 1-line block ×4, first 2 shown]
	v_add_u32_e32 v22, s34, v11
	v_ashrrev_i32_e32 v23, 31, v22
	v_lshl_add_u64 v[38:39], v[22:23], 3, s[20:21]
	v_add_u32_e32 v22, s34, v57
	v_ashrrev_i32_e32 v23, 31, v22
	v_lshl_add_u64 v[40:41], v[22:23], 3, s[20:21]
	;; [unrolled: 3-line block ×4, first 2 shown]
	global_load_dwordx2 v[28:29], v[38:39], off
	global_load_dwordx2 v[26:27], v[40:41], off
	;; [unrolled: 1-line block ×4, first 2 shown]
	s_and_saveexec_b64 s[26:27], s[0:1]
	s_cbranch_execz .LBB66_15
; %bb.19:                               ;   in Loop: Header=BB66_17 Depth=1
	global_load_dwordx2 v[36:37], v[38:39], off offset:512
	global_load_dwordx2 v[34:35], v[40:41], off offset:512
	;; [unrolled: 1-line block ×4, first 2 shown]
	s_and_saveexec_b64 s[28:29], s[2:3]
	s_cbranch_execz .LBB66_14
; %bb.20:                               ;   in Loop: Header=BB66_17 Depth=1
	global_load_dwordx2 v[52:53], v[38:39], off offset:1024
	global_load_dwordx2 v[50:51], v[40:41], off offset:1024
	;; [unrolled: 1-line block ×4, first 2 shown]
	s_and_saveexec_b64 s[30:31], s[4:5]
	s_cbranch_execz .LBB66_13
; %bb.21:                               ;   in Loop: Header=BB66_17 Depth=1
	global_load_dwordx2 v[38:39], v[38:39], off offset:1536
	s_nop 0
	global_load_dwordx2 v[40:41], v[40:41], off offset:1536
	s_nop 0
	;; [unrolled: 2-line block ×3, first 2 shown]
	global_load_dwordx2 v[44:45], v[44:45], off offset:1536
	s_waitcnt vmcnt(3)
	v_fmac_f64_e32 v[8:9], v[20:21], v[38:39]
	s_waitcnt vmcnt(2)
	v_fmac_f64_e32 v[8:9], v[18:19], v[40:41]
	;; [unrolled: 2-line block ×4, first 2 shown]
	s_branch .LBB66_13
.LBB66_22:
	s_or_b64 exec, exec, s[24:25]
.LBB66_23:
	s_or_b64 exec, exec, s[22:23]
	s_sub_i32 s0, s17, s38
	s_cmp_lt_i32 s0, 1
	s_cbranch_scc1 .LBB66_41
; %bb.24:
	v_mov_b64_e32 v[10:11], 0
	v_cmp_gt_i32_e32 vcc, s17, v56
	v_or_b32_e32 v20, 1, v56
	v_mov_b64_e32 v[16:17], v[10:11]
	v_mov_b64_e32 v[14:15], v[10:11]
	;; [unrolled: 1-line block ×3, first 2 shown]
	s_and_saveexec_b64 s[2:3], vcc
	s_cbranch_execz .LBB66_32
; %bb.25:
	v_mul_lo_u32 v10, v56, s36
	v_ashrrev_i32_e32 v11, 31, v10
	v_lshl_add_u64 v[10:11], v[10:11], 3, s[8:9]
	global_load_dwordx2 v[12:13], v[10:11], off
	v_mov_b64_e32 v[14:15], 0
	v_cmp_gt_i32_e64 s[0:1], s17, v20
	v_mov_b64_e32 v[16:17], v[14:15]
	v_mov_b64_e32 v[10:11], v[14:15]
	s_and_saveexec_b64 s[4:5], s[0:1]
	s_cbranch_execz .LBB66_31
; %bb.26:
	v_mul_lo_u32 v10, v20, s36
	v_ashrrev_i32_e32 v11, 31, v10
	v_lshl_add_u64 v[10:11], v[10:11], 3, s[8:9]
	global_load_dwordx2 v[14:15], v[10:11], off
	v_or_b32_e32 v18, 2, v56
	v_mov_b64_e32 v[16:17], 0
	v_cmp_gt_i32_e64 s[0:1], s17, v18
	v_mov_b64_e32 v[10:11], v[16:17]
	s_and_saveexec_b64 s[6:7], s[0:1]
	s_cbranch_execz .LBB66_30
; %bb.27:
	v_mul_lo_u32 v10, v18, s36
	v_ashrrev_i32_e32 v11, 31, v10
	v_lshl_add_u64 v[10:11], v[10:11], 3, s[8:9]
	global_load_dwordx2 v[16:17], v[10:11], off
	v_or_b32_e32 v18, 3, v56
	v_cmp_gt_i32_e64 s[0:1], s17, v18
	v_mov_b64_e32 v[10:11], 0
	s_and_saveexec_b64 s[22:23], s[0:1]
	s_cbranch_execz .LBB66_29
; %bb.28:
	v_mul_lo_u32 v10, v18, s36
	v_ashrrev_i32_e32 v11, 31, v10
	v_lshl_add_u64 v[10:11], v[10:11], 3, s[8:9]
	global_load_dwordx2 v[10:11], v[10:11], off
.LBB66_29:
	s_or_b64 exec, exec, s[22:23]
.LBB66_30:
	s_or_b64 exec, exec, s[6:7]
.LBB66_31:
	s_or_b64 exec, exec, s[4:5]
.LBB66_32:
	s_or_b64 exec, exec, s[2:3]
	v_cmp_gt_i32_e64 s[0:1], s16, v55
	s_and_saveexec_b64 s[2:3], s[0:1]
	s_cbranch_execz .LBB66_40
; %bb.33:
	v_mul_lo_u32 v18, v56, s35
	v_cndmask_b32_e32 v18, 0, v18, vcc
	v_mul_lo_u32 v21, v20, s35
	v_cmp_gt_i32_e32 vcc, s17, v20
	v_add_u32_e32 v18, v18, v55
	v_ashrrev_i32_e32 v19, 31, v18
	v_cndmask_b32_e32 v20, 0, v21, vcc
	v_add_u32_e32 v20, v20, v55
	v_ashrrev_i32_e32 v21, 31, v20
	v_lshl_add_u64 v[22:23], v[20:21], 3, s[20:21]
	v_or_b32_e32 v20, 2, v56
	v_mul_lo_u32 v21, v20, s35
	v_cmp_gt_i32_e32 vcc, s17, v20
	v_lshl_add_u64 v[18:19], v[18:19], 3, s[20:21]
	v_add_u32_e32 v34, 64, v55
	v_cndmask_b32_e32 v20, 0, v21, vcc
	v_add_u32_e32 v20, v20, v55
	v_ashrrev_i32_e32 v21, 31, v20
	v_lshl_add_u64 v[24:25], v[20:21], 3, s[20:21]
	v_or_b32_e32 v20, 3, v56
	v_mul_lo_u32 v21, v20, s35
	v_cmp_gt_i32_e32 vcc, s17, v20
	global_load_dwordx2 v[28:29], v[18:19], off
	global_load_dwordx2 v[30:31], v[22:23], off
	;; [unrolled: 1-line block ×3, first 2 shown]
	v_cndmask_b32_e32 v20, 0, v21, vcc
	v_add_u32_e32 v20, v20, v55
	v_ashrrev_i32_e32 v21, 31, v20
	v_lshl_add_u64 v[26:27], v[20:21], 3, s[20:21]
	global_load_dwordx2 v[20:21], v[26:27], off
	v_cmp_gt_i32_e32 vcc, s16, v34
	s_waitcnt vmcnt(3)
	v_fmac_f64_e32 v[0:1], v[12:13], v[28:29]
	s_waitcnt vmcnt(2)
	v_fmac_f64_e32 v[0:1], v[14:15], v[30:31]
	;; [unrolled: 2-line block ×3, first 2 shown]
	s_and_saveexec_b64 s[0:1], vcc
	s_cbranch_execz .LBB66_39
; %bb.34:
	global_load_dwordx2 v[30:31], v[18:19], off offset:512
	global_load_dwordx2 v[32:33], v[22:23], off offset:512
	;; [unrolled: 1-line block ×4, first 2 shown]
	v_add_u32_e32 v36, 0x80, v55
	v_cmp_gt_i32_e32 vcc, s16, v36
	s_waitcnt vmcnt(3)
	v_fmac_f64_e32 v[4:5], v[12:13], v[30:31]
	s_waitcnt vmcnt(2)
	v_fmac_f64_e32 v[4:5], v[14:15], v[32:33]
	;; [unrolled: 2-line block ×3, first 2 shown]
	s_and_saveexec_b64 s[4:5], vcc
	s_cbranch_execz .LBB66_38
; %bb.35:
	global_load_dwordx2 v[32:33], v[18:19], off offset:1024
	global_load_dwordx2 v[34:35], v[22:23], off offset:1024
	;; [unrolled: 1-line block ×4, first 2 shown]
	v_add_u32_e32 v38, 0xc0, v55
	v_cmp_gt_i32_e32 vcc, s16, v38
	s_waitcnt vmcnt(3)
	v_fmac_f64_e32 v[6:7], v[12:13], v[32:33]
	s_waitcnt vmcnt(2)
	v_fmac_f64_e32 v[6:7], v[14:15], v[34:35]
	;; [unrolled: 2-line block ×3, first 2 shown]
	s_and_saveexec_b64 s[6:7], vcc
	s_cbranch_execz .LBB66_37
; %bb.36:
	global_load_dwordx2 v[32:33], v[18:19], off offset:1536
	global_load_dwordx2 v[34:35], v[22:23], off offset:1536
	;; [unrolled: 1-line block ×4, first 2 shown]
	s_waitcnt vmcnt(3)
	v_fmac_f64_e32 v[8:9], v[12:13], v[32:33]
	s_waitcnt vmcnt(2)
	v_fmac_f64_e32 v[8:9], v[14:15], v[34:35]
	;; [unrolled: 2-line block ×4, first 2 shown]
.LBB66_37:
	s_or_b64 exec, exec, s[6:7]
	s_waitcnt vmcnt(0)
	v_fmac_f64_e32 v[6:7], v[10:11], v[30:31]
.LBB66_38:
	s_or_b64 exec, exec, s[4:5]
	s_waitcnt vmcnt(0)
	v_fmac_f64_e32 v[4:5], v[10:11], v[28:29]
.LBB66_39:
	s_or_b64 exec, exec, s[0:1]
	s_waitcnt vmcnt(0)
	v_fmac_f64_e32 v[0:1], v[10:11], v[20:21]
.LBB66_40:
	s_or_b64 exec, exec, s[2:3]
.LBB66_41:
	v_lshlrev_b32_e32 v3, 8, v3
	s_movk_i32 s0, 0x100
	v_add_lshl_u32 v2, v3, v2, 3
	v_cmp_gt_u32_e32 vcc, s0, v54
	ds_write2st64_b64 v2, v[0:1], v[4:5] offset1:1
	ds_write2st64_b64 v2, v[6:7], v[8:9] offset0:2 offset1:3
	s_waitcnt lgkmcnt(0)
	s_barrier
	s_waitcnt lgkmcnt(0)
                                        ; implicit-def: $vgpr0_vgpr1
                                        ; implicit-def: $vgpr4_vgpr5
	s_and_saveexec_b64 s[0:1], vcc
	s_cbranch_execz .LBB66_47
; %bb.42:
	v_lshlrev_b32_e32 v20, 3, v54
	ds_read2st64_b64 v[0:3], v20 offset1:4
	ds_read2st64_b64 v[4:7], v20 offset0:8 offset1:12
	s_waitcnt vmcnt(0)
	ds_read2st64_b64 v[8:11], v20 offset0:16 offset1:20
	ds_read2st64_b64 v[12:15], v20 offset0:24 offset1:28
	;; [unrolled: 1-line block ×3, first 2 shown]
	s_waitcnt lgkmcnt(4)
	v_add_f64 v[0:1], v[0:1], v[2:3]
	s_waitcnt lgkmcnt(3)
	v_add_f64 v[0:1], v[4:5], v[0:1]
	v_add_f64 v[0:1], v[6:7], v[0:1]
	s_waitcnt lgkmcnt(2)
	v_add_f64 v[0:1], v[8:9], v[0:1]
	v_add_f64 v[0:1], v[10:11], v[0:1]
	s_waitcnt lgkmcnt(1)
	v_add_f64 v[0:1], v[12:13], v[0:1]
	v_add_f64 v[4:5], v[14:15], v[0:1]
	ds_read2st64_b64 v[0:3], v20 offset0:40 offset1:44
	s_waitcnt lgkmcnt(1)
	v_add_f64 v[8:9], v[16:17], v[4:5]
	ds_read2st64_b64 v[4:7], v20 offset0:48 offset1:52
	v_add_f64 v[12:13], v[18:19], v[8:9]
	ds_read2st64_b64 v[8:11], v20 offset0:56 offset1:60
	s_waitcnt lgkmcnt(2)
	v_add_f64 v[0:1], v[0:1], v[12:13]
	v_add_f64 v[0:1], v[2:3], v[0:1]
	s_waitcnt lgkmcnt(1)
	v_add_f64 v[0:1], v[4:5], v[0:1]
	v_add_f64 v[0:1], v[6:7], v[0:1]
	s_waitcnt lgkmcnt(0)
	v_add_f64 v[0:1], v[8:9], v[0:1]
	v_or_b32_e32 v6, s34, v54
	v_add_f64 v[2:3], v[10:11], v[0:1]
	v_cmp_gt_i32_e32 vcc, s16, v6
	s_mov_b64 s[4:5], s[18:19]
	ds_write_b64 v20, v[2:3]
                                        ; implicit-def: $vgpr0_vgpr1
                                        ; implicit-def: $vgpr4_vgpr5
	s_and_saveexec_b64 s[2:3], vcc
	s_cbranch_execz .LBB66_46
; %bb.43:
	v_cmp_eq_f64_e64 s[4:5], s[10:11], 0
	v_mul_lo_u32 v4, v6, s33
	v_mul_f64 v[0:1], v[2:3], s[14:15]
	v_ashrrev_i32_e32 v5, 31, v4
	s_and_b64 vcc, exec, s[4:5]
	s_cbranch_vccnz .LBB66_45
; %bb.44:
	v_lshl_add_u64 v[2:3], v[4:5], 3, s[12:13]
	global_load_dwordx2 v[2:3], v[2:3], off
	s_waitcnt vmcnt(0)
	v_fmac_f64_e32 v[0:1], s[10:11], v[2:3]
.LBB66_45:
	s_or_b64 s[4:5], s[18:19], exec
.LBB66_46:
	s_or_b64 exec, exec, s[2:3]
	s_andn2_b64 s[2:3], s[18:19], exec
	s_and_b64 s[4:5], s[4:5], exec
	s_or_b64 s[18:19], s[2:3], s[4:5]
.LBB66_47:
	s_or_b64 exec, exec, s[0:1]
.LBB66_48:
	s_and_saveexec_b64 s[0:1], s[18:19]
	s_cbranch_execz .LBB66_50
; %bb.49:
	v_lshl_add_u64 v[2:3], v[4:5], 3, s[12:13]
	global_store_dwordx2 v[2:3], v[0:1], off
.LBB66_50:
	s_endpgm
	.section	.rodata,"a",@progbits
	.p2align	6, 0x0
	.amdhsa_kernel _ZL20rocblas_gemvn_kernelILi64ELi16EidddEviiT3_lPKT2_lT1_lS3_lS4_lS0_lPT4_lS4_li
		.amdhsa_group_segment_fixed_size 32768
		.amdhsa_private_segment_fixed_size 0
		.amdhsa_kernarg_size 400
		.amdhsa_user_sgpr_count 2
		.amdhsa_user_sgpr_dispatch_ptr 0
		.amdhsa_user_sgpr_queue_ptr 0
		.amdhsa_user_sgpr_kernarg_segment_ptr 1
		.amdhsa_user_sgpr_dispatch_id 0
		.amdhsa_user_sgpr_kernarg_preload_length 0
		.amdhsa_user_sgpr_kernarg_preload_offset 0
		.amdhsa_user_sgpr_private_segment_size 0
		.amdhsa_uses_dynamic_stack 0
		.amdhsa_enable_private_segment 0
		.amdhsa_system_sgpr_workgroup_id_x 1
		.amdhsa_system_sgpr_workgroup_id_y 0
		.amdhsa_system_sgpr_workgroup_id_z 1
		.amdhsa_system_sgpr_workgroup_info 0
		.amdhsa_system_vgpr_workitem_id 1
		.amdhsa_next_free_vgpr 61
		.amdhsa_next_free_sgpr 41
		.amdhsa_accum_offset 64
		.amdhsa_reserve_vcc 1
		.amdhsa_float_round_mode_32 0
		.amdhsa_float_round_mode_16_64 0
		.amdhsa_float_denorm_mode_32 3
		.amdhsa_float_denorm_mode_16_64 3
		.amdhsa_dx10_clamp 1
		.amdhsa_ieee_mode 1
		.amdhsa_fp16_overflow 0
		.amdhsa_tg_split 0
		.amdhsa_exception_fp_ieee_invalid_op 0
		.amdhsa_exception_fp_denorm_src 0
		.amdhsa_exception_fp_ieee_div_zero 0
		.amdhsa_exception_fp_ieee_overflow 0
		.amdhsa_exception_fp_ieee_underflow 0
		.amdhsa_exception_fp_ieee_inexact 0
		.amdhsa_exception_int_div_zero 0
	.end_amdhsa_kernel
	.section	.text._ZL20rocblas_gemvn_kernelILi64ELi16EidddEviiT3_lPKT2_lT1_lS3_lS4_lS0_lPT4_lS4_li,"axG",@progbits,_ZL20rocblas_gemvn_kernelILi64ELi16EidddEviiT3_lPKT2_lT1_lS3_lS4_lS0_lPT4_lS4_li,comdat
.Lfunc_end66:
	.size	_ZL20rocblas_gemvn_kernelILi64ELi16EidddEviiT3_lPKT2_lT1_lS3_lS4_lS0_lPT4_lS4_li, .Lfunc_end66-_ZL20rocblas_gemvn_kernelILi64ELi16EidddEviiT3_lPKT2_lT1_lS3_lS4_lS0_lPT4_lS4_li
                                        ; -- End function
	.section	.AMDGPU.csdata,"",@progbits
; Kernel info:
; codeLenInByte = 2436
; NumSgprs: 47
; NumVgprs: 61
; NumAgprs: 0
; TotalNumVgprs: 61
; ScratchSize: 0
; MemoryBound: 0
; FloatMode: 240
; IeeeMode: 1
; LDSByteSize: 32768 bytes/workgroup (compile time only)
; SGPRBlocks: 5
; VGPRBlocks: 7
; NumSGPRsForWavesPerEU: 47
; NumVGPRsForWavesPerEU: 61
; AccumOffset: 64
; Occupancy: 8
; WaveLimiterHint : 1
; COMPUTE_PGM_RSRC2:SCRATCH_EN: 0
; COMPUTE_PGM_RSRC2:USER_SGPR: 2
; COMPUTE_PGM_RSRC2:TRAP_HANDLER: 0
; COMPUTE_PGM_RSRC2:TGID_X_EN: 1
; COMPUTE_PGM_RSRC2:TGID_Y_EN: 0
; COMPUTE_PGM_RSRC2:TGID_Z_EN: 1
; COMPUTE_PGM_RSRC2:TIDIG_COMP_CNT: 1
; COMPUTE_PGM_RSRC3_GFX90A:ACCUM_OFFSET: 15
; COMPUTE_PGM_RSRC3_GFX90A:TG_SPLIT: 0
	.section	.text._ZL20rocblas_gemvn_kernelILi64ELi16EldddEviiT3_lPKT2_lT1_lS3_lS4_lS0_lPT4_lS4_li,"axG",@progbits,_ZL20rocblas_gemvn_kernelILi64ELi16EldddEviiT3_lPKT2_lT1_lS3_lS4_lS0_lPT4_lS4_li,comdat
	.globl	_ZL20rocblas_gemvn_kernelILi64ELi16EldddEviiT3_lPKT2_lT1_lS3_lS4_lS0_lPT4_lS4_li ; -- Begin function _ZL20rocblas_gemvn_kernelILi64ELi16EldddEviiT3_lPKT2_lT1_lS3_lS4_lS0_lPT4_lS4_li
	.p2align	8
	.type	_ZL20rocblas_gemvn_kernelILi64ELi16EldddEviiT3_lPKT2_lT1_lS3_lS4_lS0_lPT4_lS4_li,@function
_ZL20rocblas_gemvn_kernelILi64ELi16EldddEviiT3_lPKT2_lT1_lS3_lS4_lS0_lPT4_lS4_li: ; @_ZL20rocblas_gemvn_kernelILi64ELi16EldddEviiT3_lPKT2_lT1_lS3_lS4_lS0_lPT4_lS4_li
; %bb.0:
	s_load_dwordx2 s[4:5], s[0:1], 0x9c
	s_waitcnt lgkmcnt(0)
	s_lshr_b32 s6, s4, 16
	s_and_b32 s4, s4, 0xffff
	s_and_b32 s5, s5, 0xffff
	s_mul_i32 s4, s6, s4
	s_mul_i32 s4, s4, s5
	s_cmpk_lg_i32 s4, 0x400
	s_cbranch_scc1 .LBB67_50
; %bb.1:
	s_load_dwordx2 s[30:31], s[0:1], 0x8
	s_load_dwordx2 s[28:29], s[0:1], 0x58
	s_waitcnt lgkmcnt(0)
	v_cmp_eq_f64_e64 s[4:5], s[30:31], 0
	v_cmp_eq_f64_e64 s[6:7], s[28:29], 1.0
	s_and_b64 s[4:5], s[4:5], s[6:7]
	s_and_b64 vcc, exec, s[4:5]
	s_cbranch_vccnz .LBB67_50
; %bb.2:
	s_load_dwordx8 s[20:27], s[0:1], 0x68
	s_load_dwordx2 s[34:35], s[0:1], 0x0
	v_and_b32_e32 v69, 0x3ff, v0
	v_bfe_u32 v70, v0, 10, 10
	v_lshl_add_u32 v68, v70, 6, v69
	s_waitcnt lgkmcnt(0)
	s_mul_i32 s5, s3, s27
	s_mul_hi_u32 s6, s3, s26
	s_mul_i32 s4, s3, s26
	s_add_i32 s5, s6, s5
	s_lshl_b64 s[4:5], s[4:5], 3
	s_add_u32 s6, s20, s4
	s_addc_u32 s7, s21, s5
	s_lshl_b64 s[4:5], s[22:23], 3
	s_add_u32 s26, s6, s4
	s_addc_u32 s27, s7, s5
	v_cmp_neq_f64_e64 s[4:5], s[30:31], 0
	s_mov_b64 s[36:37], 0
	s_and_b64 vcc, exec, s[4:5]
	s_cbranch_vccnz .LBB67_9
; %bb.3:
	s_movk_i32 s4, 0x100
	v_cmp_gt_u32_e32 vcc, s4, v68
	s_mov_b64 s[4:5], 0
                                        ; implicit-def: $vgpr0_vgpr1
                                        ; implicit-def: $vgpr2_vgpr3
	s_and_saveexec_b64 s[6:7], vcc
	s_cbranch_execz .LBB67_10
; %bb.4:
	v_lshl_or_b32 v4, s2, 8, v68
	v_mov_b32_e32 v5, 0
	s_ashr_i32 s9, s34, 31
	s_mov_b32 s8, s34
	v_cmp_gt_i64_e32 vcc, s[8:9], v[4:5]
	s_mov_b64 s[10:11], 0
                                        ; implicit-def: $vgpr0_vgpr1
                                        ; implicit-def: $vgpr2_vgpr3
	s_and_saveexec_b64 s[8:9], vcc
	s_cbranch_execz .LBB67_8
; %bb.5:
	v_mad_u64_u32 v[2:3], s[12:13], v4, s24, 0
	v_mov_b32_e32 v6, v3
	v_cmp_eq_f64_e64 s[10:11], s[28:29], 0
	v_mad_u64_u32 v[4:5], s[12:13], v4, s25, v[6:7]
	v_mov_b64_e32 v[0:1], 0
	v_mov_b32_e32 v3, v4
	s_and_b64 vcc, exec, s[10:11]
	s_cbranch_vccnz .LBB67_7
; %bb.6:
	v_lshl_add_u64 v[0:1], v[2:3], 3, s[26:27]
	global_load_dwordx2 v[0:1], v[0:1], off
	s_waitcnt vmcnt(0)
	v_mul_f64 v[0:1], v[0:1], s[28:29]
.LBB67_7:
	s_mov_b64 s[10:11], exec
.LBB67_8:
	s_or_b64 exec, exec, s[8:9]
	s_and_b64 s[36:37], s[10:11], exec
	s_or_b64 exec, exec, s[6:7]
	s_and_b64 vcc, exec, s[4:5]
	s_cbranch_vccnz .LBB67_11
	s_branch .LBB67_48
.LBB67_9:
                                        ; implicit-def: $vgpr0_vgpr1
                                        ; implicit-def: $vgpr2_vgpr3
	s_cbranch_execnz .LBB67_11
	s_branch .LBB67_48
.LBB67_10:
	s_or_b64 exec, exec, s[6:7]
	s_and_b64 vcc, exec, s[4:5]
	s_cbranch_vccz .LBB67_48
.LBB67_11:
	s_load_dwordx16 s[8:23], s[0:1], 0x18
	s_lshl_b32 s33, s2, 8
	v_lshlrev_b32_e32 v71, 2, v70
	v_mov_b64_e32 v[2:3], 0
	v_add_u32_e32 v0, s33, v69
	s_waitcnt lgkmcnt(0)
	s_mul_i32 s0, s3, s15
	s_mul_hi_u32 s1, s3, s14
	s_add_i32 s15, s1, s0
	s_ashr_i32 s0, s35, 31
	s_lshr_b32 s0, s0, 26
	s_add_i32 s54, s35, s0
	s_mul_i32 s4, s3, s23
	s_mul_hi_u32 s5, s3, s22
	s_andn2_b32 s54, s54, 63
	s_mul_i32 s14, s3, s14
	s_add_i32 s23, s5, s4
	s_mul_i32 s22, s3, s22
	v_cmp_gt_i32_e32 vcc, s54, v71
	v_mov_b64_e32 v[4:5], v[2:3]
	v_mov_b64_e32 v[6:7], v[2:3]
	;; [unrolled: 1-line block ×3, first 2 shown]
	s_and_saveexec_b64 s[38:39], vcc
	s_cbranch_execz .LBB67_23
; %bb.12:
	v_add_u32_e32 v2, 64, v0
	v_cmp_gt_i32_e64 s[0:1], s34, v2
	v_add_u32_e32 v2, 0x80, v0
	v_cmp_gt_i32_e64 s[2:3], s34, v2
	v_add_u32_e32 v2, 0xc0, v0
	v_cmp_gt_i32_e64 s[4:5], s34, v2
	v_mad_u64_u32 v[2:3], s[6:7], s20, v70, 0
	v_mov_b32_e32 v4, v3
	v_mad_u64_u32 v[4:5], s[6:7], s21, v70, v[4:5]
	v_ashrrev_i32_e32 v1, 31, v0
	s_lshl_b64 s[40:41], s[18:19], 3
	s_lshl_b64 s[6:7], s[22:23], 3
	v_mov_b32_e32 v3, v4
	s_add_u32 s6, s16, s6
	v_lshlrev_b64 v[12:13], 3, v[0:1]
	v_lshlrev_b32_e32 v1, 2, v70
	v_lshlrev_b64 v[2:3], 5, v[2:3]
	s_addc_u32 s7, s17, s7
	v_or_b32_e32 v6, 3, v1
	v_lshl_add_u64 v[10:11], s[6:7], 0, v[2:3]
	v_mad_u64_u32 v[2:3], s[44:45], s12, v6, 0
	v_mov_b32_e32 v4, v3
	v_mad_u64_u32 v[4:5], s[44:45], s13, v6, v[4:5]
	s_lshl_b64 s[42:43], s[20:21], 9
	s_lshl_b64 s[44:45], s[14:15], 3
	;; [unrolled: 1-line block ×3, first 2 shown]
	s_add_u32 s46, s8, s46
	s_addc_u32 s47, s9, s47
	s_add_u32 s46, s46, s44
	v_mov_b32_e32 v3, v4
	s_addc_u32 s47, s47, s45
	v_lshl_add_u64 v[14:15], v[2:3], 3, s[46:47]
	v_mad_u64_u32 v[2:3], s[48:49], s20, v6, 0
	v_mov_b32_e32 v4, v3
	v_mad_u64_u32 v[4:5], s[48:49], s21, v6, v[4:5]
	v_mov_b32_e32 v3, v4
	v_lshl_add_u64 v[16:17], v[2:3], 3, s[6:7]
	v_mad_u64_u32 v[2:3], s[48:49], s12, v70, 0
	v_mov_b32_e32 v4, v3
	v_mad_u64_u32 v[4:5], s[48:49], s13, v70, v[4:5]
	v_mov_b32_e32 v3, v4
	v_lshlrev_b64 v[2:3], 5, v[2:3]
	v_or_b32_e32 v6, 2, v1
	v_lshl_add_u64 v[18:19], s[46:47], 0, v[2:3]
	v_mad_u64_u32 v[2:3], s[48:49], s12, v6, 0
	v_mov_b32_e32 v4, v3
	v_mad_u64_u32 v[4:5], s[48:49], s13, v6, v[4:5]
	v_mov_b32_e32 v3, v4
	v_lshl_add_u64 v[20:21], v[2:3], 3, s[46:47]
	v_mad_u64_u32 v[2:3], s[48:49], s20, v6, 0
	v_mov_b32_e32 v4, v3
	v_mad_u64_u32 v[4:5], s[48:49], s21, v6, v[4:5]
	v_mov_b32_e32 v3, v4
	v_lshl_add_u64 v[22:23], v[2:3], 3, s[6:7]
	v_mov_b64_e32 v[2:3], s[20:21]
	v_mad_u64_u32 v[2:3], s[48:49], s20, v1, v[2:3]
	v_mov_b32_e32 v4, v3
	v_mad_u64_u32 v[4:5], s[48:49], s21, v1, v[4:5]
	v_mov_b32_e32 v3, v4
	v_lshl_add_u64 v[24:25], v[2:3], 3, s[6:7]
	v_mov_b64_e32 v[2:3], s[12:13]
	;; [unrolled: 6-line block ×3, first 2 shown]
	v_cmp_gt_i32_e32 vcc, s34, v0
	s_lshl_b64 s[44:45], s[12:13], 9
	s_mov_b64 s[46:47], 0
	v_mov_b64_e32 v[4:5], v[2:3]
	v_mov_b64_e32 v[6:7], v[2:3]
	;; [unrolled: 1-line block ×3, first 2 shown]
	s_branch .LBB67_17
.LBB67_13:                              ;   in Loop: Header=BB67_17 Depth=1
	s_or_b64 exec, exec, s[52:53]
	s_waitcnt vmcnt(3)
	v_fmac_f64_e32 v[6:7], v[28:29], v[66:67]
	s_waitcnt vmcnt(2)
	v_fmac_f64_e32 v[6:7], v[30:31], v[64:65]
	;; [unrolled: 2-line block ×4, first 2 shown]
.LBB67_14:                              ;   in Loop: Header=BB67_17 Depth=1
	s_or_b64 exec, exec, s[50:51]
	s_waitcnt vmcnt(3)
	v_fmac_f64_e32 v[4:5], v[28:29], v[50:51]
	s_waitcnt vmcnt(2)
	v_fmac_f64_e32 v[4:5], v[30:31], v[48:49]
	;; [unrolled: 2-line block ×4, first 2 shown]
.LBB67_15:                              ;   in Loop: Header=BB67_17 Depth=1
	s_or_b64 exec, exec, s[48:49]
	s_waitcnt vmcnt(3)
	v_fmac_f64_e32 v[2:3], v[28:29], v[36:37]
	s_waitcnt vmcnt(2)
	v_fmac_f64_e32 v[2:3], v[30:31], v[38:39]
	;; [unrolled: 2-line block ×4, first 2 shown]
.LBB67_16:                              ;   in Loop: Header=BB67_17 Depth=1
	s_or_b64 exec, exec, s[6:7]
	v_add_u32_e32 v71, 64, v71
	v_cmp_le_i32_e64 s[6:7], s54, v71
	v_lshl_add_u64 v[10:11], v[10:11], 0, s[42:43]
	v_lshl_add_u64 v[14:15], v[14:15], 0, s[44:45]
	;; [unrolled: 1-line block ×7, first 2 shown]
	s_or_b64 s[46:47], s[6:7], s[46:47]
	v_lshl_add_u64 v[26:27], v[26:27], 0, s[44:45]
	s_andn2_b64 exec, exec, s[46:47]
	s_cbranch_execz .LBB67_22
.LBB67_17:                              ; =>This Inner Loop Header: Depth=1
	s_and_saveexec_b64 s[6:7], vcc
	s_cbranch_execz .LBB67_16
; %bb.18:                               ;   in Loop: Header=BB67_17 Depth=1
	v_lshl_add_u64 v[28:29], v[10:11], 0, s[40:41]
	v_lshl_add_u64 v[30:31], v[24:25], 0, s[40:41]
	;; [unrolled: 1-line block ×8, first 2 shown]
	global_load_dwordx2 v[28:29], v[28:29], off
	s_nop 0
	global_load_dwordx2 v[30:31], v[30:31], off
	s_nop 0
	;; [unrolled: 2-line block ×4, first 2 shown]
	global_load_dwordx2 v[36:37], v[58:59], off
	global_load_dwordx2 v[38:39], v[56:57], off
	global_load_dwordx2 v[40:41], v[54:55], off
	global_load_dwordx2 v[42:43], v[52:53], off
	s_and_saveexec_b64 s[48:49], s[0:1]
	s_cbranch_execz .LBB67_15
; %bb.19:                               ;   in Loop: Header=BB67_17 Depth=1
	global_load_dwordx2 v[50:51], v[58:59], off offset:512
	global_load_dwordx2 v[48:49], v[56:57], off offset:512
	;; [unrolled: 1-line block ×4, first 2 shown]
	s_and_saveexec_b64 s[50:51], s[2:3]
	s_cbranch_execz .LBB67_14
; %bb.20:                               ;   in Loop: Header=BB67_17 Depth=1
	global_load_dwordx2 v[66:67], v[58:59], off offset:1024
	global_load_dwordx2 v[64:65], v[56:57], off offset:1024
	;; [unrolled: 1-line block ×4, first 2 shown]
	s_and_saveexec_b64 s[52:53], s[4:5]
	s_cbranch_execz .LBB67_13
; %bb.21:                               ;   in Loop: Header=BB67_17 Depth=1
	global_load_dwordx2 v[58:59], v[58:59], off offset:1536
	s_nop 0
	global_load_dwordx2 v[56:57], v[56:57], off offset:1536
	s_nop 0
	;; [unrolled: 2-line block ×3, first 2 shown]
	global_load_dwordx2 v[52:53], v[52:53], off offset:1536
	s_waitcnt vmcnt(3)
	v_fmac_f64_e32 v[8:9], v[28:29], v[58:59]
	s_waitcnt vmcnt(2)
	v_fmac_f64_e32 v[8:9], v[30:31], v[56:57]
	;; [unrolled: 2-line block ×4, first 2 shown]
	s_branch .LBB67_13
.LBB67_22:
	s_or_b64 exec, exec, s[46:47]
.LBB67_23:
	s_or_b64 exec, exec, s[38:39]
	s_sub_i32 s0, s35, s54
	s_cmp_lt_i32 s0, 1
	s_cbranch_scc1 .LBB67_41
; %bb.24:
	v_mov_b64_e32 v[12:13], 0
	v_cmp_gt_i32_e32 vcc, s35, v71
	v_or_b32_e32 v20, 1, v71
	v_mov_b64_e32 v[16:17], v[12:13]
	v_mov_b64_e32 v[14:15], v[12:13]
	;; [unrolled: 1-line block ×3, first 2 shown]
	s_and_saveexec_b64 s[2:3], vcc
	s_cbranch_execz .LBB67_32
; %bb.25:
	s_lshl_b64 s[0:1], s[22:23], 3
	s_add_u32 s4, s16, s0
	s_addc_u32 s5, s17, s1
	s_lshl_b64 s[0:1], s[18:19], 3
	s_add_u32 s4, s4, s0
	s_addc_u32 s5, s5, s1
	v_mad_u64_u32 v[10:11], s[0:1], v71, s20, 0
	v_mov_b32_e32 v12, v11
	v_mad_u64_u32 v[12:13], s[0:1], v71, s21, v[12:13]
	v_mov_b32_e32 v11, v12
	v_lshl_add_u64 v[10:11], v[10:11], 3, s[4:5]
	global_load_dwordx2 v[10:11], v[10:11], off
	v_mov_b64_e32 v[14:15], 0
	v_cmp_gt_i32_e64 s[0:1], s35, v20
	v_mov_b64_e32 v[16:17], v[14:15]
	v_mov_b64_e32 v[12:13], v[14:15]
	s_and_saveexec_b64 s[6:7], s[0:1]
	s_cbranch_execz .LBB67_31
; %bb.26:
	v_mad_u64_u32 v[12:13], s[0:1], v20, s20, 0
	v_mov_b32_e32 v14, v13
	v_mad_u64_u32 v[14:15], s[0:1], v20, s21, v[14:15]
	v_mov_b32_e32 v13, v14
	v_lshl_add_u64 v[12:13], v[12:13], 3, s[4:5]
	global_load_dwordx2 v[14:15], v[12:13], off
	v_or_b32_e32 v1, 2, v71
	v_mov_b64_e32 v[16:17], 0
	v_cmp_gt_i32_e64 s[0:1], s35, v1
	v_mov_b64_e32 v[12:13], v[16:17]
	s_and_saveexec_b64 s[16:17], s[0:1]
	s_cbranch_execz .LBB67_30
; %bb.27:
	v_mad_u64_u32 v[12:13], s[0:1], v1, s20, 0
	v_mov_b32_e32 v16, v13
	v_mad_u64_u32 v[16:17], s[0:1], v1, s21, v[16:17]
	v_mov_b32_e32 v13, v16
	v_lshl_add_u64 v[12:13], v[12:13], 3, s[4:5]
	global_load_dwordx2 v[16:17], v[12:13], off
	v_or_b32_e32 v1, 3, v71
	v_cmp_gt_i32_e64 s[0:1], s35, v1
	v_mov_b64_e32 v[12:13], 0
	s_and_saveexec_b64 s[18:19], s[0:1]
	s_cbranch_execz .LBB67_29
; %bb.28:
	v_mad_u64_u32 v[12:13], s[0:1], v1, s20, 0
	v_mov_b32_e32 v18, v13
	v_mad_u64_u32 v[18:19], s[0:1], v1, s21, v[18:19]
	v_mov_b32_e32 v13, v18
	v_lshl_add_u64 v[12:13], v[12:13], 3, s[4:5]
	global_load_dwordx2 v[12:13], v[12:13], off
.LBB67_29:
	s_or_b64 exec, exec, s[18:19]
.LBB67_30:
	s_or_b64 exec, exec, s[16:17]
.LBB67_31:
	s_or_b64 exec, exec, s[6:7]
.LBB67_32:
	s_or_b64 exec, exec, s[2:3]
	v_cmp_gt_i32_e64 s[0:1], s34, v0
	s_and_saveexec_b64 s[2:3], s[0:1]
	s_cbranch_execz .LBB67_40
; %bb.33:
	s_lshl_b64 s[0:1], s[14:15], 3
	s_add_u32 s4, s8, s0
	s_addc_u32 s5, s9, s1
	s_lshl_b64 s[0:1], s[10:11], 3
	s_add_u32 s0, s4, s0
	s_addc_u32 s1, s5, s1
	v_mad_u64_u32 v[18:19], s[4:5], v71, s12, 0
	v_mov_b32_e32 v22, v19
	v_ashrrev_i32_e32 v1, 31, v0
	v_mad_u64_u32 v[22:23], s[4:5], v71, s13, v[22:23]
	v_mad_u64_u32 v[24:25], s[4:5], v20, s12, 0
	v_cndmask_b32_e32 v18, 0, v18, vcc
	v_cndmask_b32_e32 v19, 0, v22, vcc
	v_lshlrev_b64 v[22:23], 3, v[0:1]
	v_mov_b32_e32 v26, v25
	v_cmp_gt_i32_e32 vcc, s35, v20
	v_or_b32_e32 v1, 2, v71
	v_mad_u64_u32 v[26:27], s[4:5], v20, s13, v[26:27]
	v_cndmask_b32_e32 v20, 0, v24, vcc
	v_mad_u64_u32 v[24:25], s[4:5], v1, s12, 0
	v_cndmask_b32_e32 v21, 0, v26, vcc
	v_mov_b32_e32 v26, v25
	v_mad_u64_u32 v[26:27], s[4:5], v1, s13, v[26:27]
	v_cmp_gt_i32_e32 vcc, s35, v1
	v_or_b32_e32 v1, 3, v71
	v_lshl_add_u64 v[18:19], v[18:19], 3, s[0:1]
	v_cndmask_b32_e32 v25, 0, v26, vcc
	v_mad_u64_u32 v[26:27], s[4:5], v1, s12, 0
	v_mov_b32_e32 v28, v27
	v_cndmask_b32_e32 v24, 0, v24, vcc
	v_mad_u64_u32 v[28:29], s[4:5], v1, s13, v[28:29]
	v_cmp_gt_i32_e32 vcc, s35, v1
	v_lshl_add_u64 v[18:19], v[18:19], 0, v[22:23]
	v_lshl_add_u64 v[20:21], v[20:21], 3, s[0:1]
	v_cndmask_b32_e32 v26, 0, v26, vcc
	v_cndmask_b32_e32 v27, 0, v28, vcc
	v_lshl_add_u64 v[24:25], v[24:25], 3, s[0:1]
	v_lshl_add_u64 v[26:27], v[26:27], 3, s[0:1]
	;; [unrolled: 1-line block ×4, first 2 shown]
	global_load_dwordx2 v[28:29], v[18:19], off
	global_load_dwordx2 v[30:31], v[20:21], off
	;; [unrolled: 1-line block ×3, first 2 shown]
	v_lshl_add_u64 v[26:27], v[26:27], 0, v[22:23]
	global_load_dwordx2 v[22:23], v[26:27], off
	v_add_u32_e32 v1, 64, v0
	v_cmp_gt_i32_e32 vcc, s34, v1
	s_waitcnt vmcnt(3)
	v_fmac_f64_e32 v[2:3], v[10:11], v[28:29]
	s_waitcnt vmcnt(2)
	v_fmac_f64_e32 v[2:3], v[14:15], v[30:31]
	s_waitcnt vmcnt(1)
	v_fmac_f64_e32 v[2:3], v[16:17], v[32:33]
	s_and_saveexec_b64 s[0:1], vcc
	s_cbranch_execz .LBB67_39
; %bb.34:
	global_load_dwordx2 v[30:31], v[18:19], off offset:512
	global_load_dwordx2 v[32:33], v[20:21], off offset:512
	global_load_dwordx2 v[34:35], v[24:25], off offset:512
	global_load_dwordx2 v[28:29], v[26:27], off offset:512
	v_add_u32_e32 v1, 0x80, v0
	v_cmp_gt_i32_e32 vcc, s34, v1
	s_waitcnt vmcnt(3)
	v_fmac_f64_e32 v[4:5], v[10:11], v[30:31]
	s_waitcnt vmcnt(2)
	v_fmac_f64_e32 v[4:5], v[14:15], v[32:33]
	s_waitcnt vmcnt(1)
	v_fmac_f64_e32 v[4:5], v[16:17], v[34:35]
	s_and_saveexec_b64 s[4:5], vcc
	s_cbranch_execz .LBB67_38
; %bb.35:
	global_load_dwordx2 v[32:33], v[18:19], off offset:1024
	global_load_dwordx2 v[34:35], v[20:21], off offset:1024
	global_load_dwordx2 v[36:37], v[24:25], off offset:1024
	global_load_dwordx2 v[30:31], v[26:27], off offset:1024
	;; [unrolled: 15-line block ×3, first 2 shown]
	s_waitcnt vmcnt(3)
	v_fmac_f64_e32 v[8:9], v[10:11], v[0:1]
	s_waitcnt vmcnt(2)
	v_fmac_f64_e32 v[8:9], v[14:15], v[32:33]
	;; [unrolled: 2-line block ×4, first 2 shown]
.LBB67_37:
	s_or_b64 exec, exec, s[6:7]
	s_waitcnt vmcnt(0)
	v_fmac_f64_e32 v[6:7], v[12:13], v[30:31]
.LBB67_38:
	s_or_b64 exec, exec, s[4:5]
	s_waitcnt vmcnt(0)
	v_fmac_f64_e32 v[4:5], v[12:13], v[28:29]
.LBB67_39:
	s_or_b64 exec, exec, s[0:1]
	s_waitcnt vmcnt(0)
	v_fmac_f64_e32 v[2:3], v[12:13], v[22:23]
.LBB67_40:
	s_or_b64 exec, exec, s[2:3]
.LBB67_41:
	v_lshlrev_b32_e32 v0, 8, v70
	s_movk_i32 s0, 0x100
	v_add_lshl_u32 v0, v0, v69, 3
	v_cmp_gt_u32_e32 vcc, s0, v68
	ds_write2st64_b64 v0, v[2:3], v[4:5] offset1:1
	ds_write2st64_b64 v0, v[6:7], v[8:9] offset0:2 offset1:3
	s_waitcnt lgkmcnt(0)
	s_barrier
	s_waitcnt lgkmcnt(0)
                                        ; implicit-def: $vgpr0_vgpr1
                                        ; implicit-def: $vgpr2_vgpr3
	s_and_saveexec_b64 s[0:1], vcc
	s_cbranch_execz .LBB67_47
; %bb.42:
	v_lshlrev_b32_e32 v20, 3, v68
	ds_read2st64_b64 v[0:3], v20 offset1:4
	ds_read2st64_b64 v[4:7], v20 offset0:8 offset1:12
	s_waitcnt vmcnt(0)
	ds_read2st64_b64 v[8:11], v20 offset0:16 offset1:20
	ds_read2st64_b64 v[12:15], v20 offset0:24 offset1:28
	;; [unrolled: 1-line block ×3, first 2 shown]
	s_waitcnt lgkmcnt(4)
	v_add_f64 v[0:1], v[0:1], v[2:3]
	s_waitcnt lgkmcnt(3)
	v_add_f64 v[0:1], v[4:5], v[0:1]
	v_add_f64 v[0:1], v[6:7], v[0:1]
	s_waitcnt lgkmcnt(2)
	v_add_f64 v[0:1], v[8:9], v[0:1]
	;; [unrolled: 3-line block ×3, first 2 shown]
	v_add_f64 v[4:5], v[14:15], v[0:1]
	ds_read2st64_b64 v[0:3], v20 offset0:40 offset1:44
	s_waitcnt lgkmcnt(1)
	v_add_f64 v[8:9], v[16:17], v[4:5]
	ds_read2st64_b64 v[4:7], v20 offset0:48 offset1:52
	v_add_f64 v[12:13], v[18:19], v[8:9]
	ds_read2st64_b64 v[8:11], v20 offset0:56 offset1:60
	s_waitcnt lgkmcnt(2)
	v_add_f64 v[0:1], v[0:1], v[12:13]
	v_add_f64 v[0:1], v[2:3], v[0:1]
	s_waitcnt lgkmcnt(1)
	v_add_f64 v[0:1], v[4:5], v[0:1]
	v_add_f64 v[0:1], v[6:7], v[0:1]
	s_waitcnt lgkmcnt(0)
	v_add_f64 v[0:1], v[8:9], v[0:1]
	v_or_b32_e32 v6, s33, v68
	v_add_f64 v[4:5], v[10:11], v[0:1]
	v_cmp_gt_i32_e32 vcc, s34, v6
	s_mov_b64 s[4:5], s[36:37]
	ds_write_b64 v20, v[4:5]
                                        ; implicit-def: $vgpr0_vgpr1
                                        ; implicit-def: $vgpr2_vgpr3
	s_and_saveexec_b64 s[2:3], vcc
	s_cbranch_execz .LBB67_46
; %bb.43:
	v_ashrrev_i32_e32 v2, 31, v6
	v_cmp_eq_f64_e64 s[4:5], s[28:29], 0
	v_mul_f64 v[0:1], v[4:5], s[30:31]
	v_mul_lo_u32 v4, v6, s25
	v_mul_lo_u32 v5, v2, s24
	v_mad_u64_u32 v[2:3], s[6:7], v6, s24, 0
	v_add3_u32 v3, v3, v4, v5
	s_and_b64 vcc, exec, s[4:5]
	s_cbranch_vccnz .LBB67_45
; %bb.44:
	v_lshl_add_u64 v[4:5], v[2:3], 3, s[26:27]
	global_load_dwordx2 v[4:5], v[4:5], off
	s_waitcnt vmcnt(0)
	v_fmac_f64_e32 v[0:1], s[28:29], v[4:5]
.LBB67_45:
	s_or_b64 s[4:5], s[36:37], exec
.LBB67_46:
	s_or_b64 exec, exec, s[2:3]
	s_andn2_b64 s[2:3], s[36:37], exec
	s_and_b64 s[4:5], s[4:5], exec
	s_or_b64 s[36:37], s[2:3], s[4:5]
.LBB67_47:
	s_or_b64 exec, exec, s[0:1]
.LBB67_48:
	s_and_saveexec_b64 s[0:1], s[36:37]
	s_cbranch_execz .LBB67_50
; %bb.49:
	v_lshl_add_u64 v[2:3], v[2:3], 3, s[26:27]
	global_store_dwordx2 v[2:3], v[0:1], off
.LBB67_50:
	s_endpgm
	.section	.rodata,"a",@progbits
	.p2align	6, 0x0
	.amdhsa_kernel _ZL20rocblas_gemvn_kernelILi64ELi16EldddEviiT3_lPKT2_lT1_lS3_lS4_lS0_lPT4_lS4_li
		.amdhsa_group_segment_fixed_size 32768
		.amdhsa_private_segment_fixed_size 0
		.amdhsa_kernarg_size 400
		.amdhsa_user_sgpr_count 2
		.amdhsa_user_sgpr_dispatch_ptr 0
		.amdhsa_user_sgpr_queue_ptr 0
		.amdhsa_user_sgpr_kernarg_segment_ptr 1
		.amdhsa_user_sgpr_dispatch_id 0
		.amdhsa_user_sgpr_kernarg_preload_length 0
		.amdhsa_user_sgpr_kernarg_preload_offset 0
		.amdhsa_user_sgpr_private_segment_size 0
		.amdhsa_uses_dynamic_stack 0
		.amdhsa_enable_private_segment 0
		.amdhsa_system_sgpr_workgroup_id_x 1
		.amdhsa_system_sgpr_workgroup_id_y 0
		.amdhsa_system_sgpr_workgroup_id_z 1
		.amdhsa_system_sgpr_workgroup_info 0
		.amdhsa_system_vgpr_workitem_id 1
		.amdhsa_next_free_vgpr 72
		.amdhsa_next_free_sgpr 55
		.amdhsa_accum_offset 72
		.amdhsa_reserve_vcc 1
		.amdhsa_float_round_mode_32 0
		.amdhsa_float_round_mode_16_64 0
		.amdhsa_float_denorm_mode_32 3
		.amdhsa_float_denorm_mode_16_64 3
		.amdhsa_dx10_clamp 1
		.amdhsa_ieee_mode 1
		.amdhsa_fp16_overflow 0
		.amdhsa_tg_split 0
		.amdhsa_exception_fp_ieee_invalid_op 0
		.amdhsa_exception_fp_denorm_src 0
		.amdhsa_exception_fp_ieee_div_zero 0
		.amdhsa_exception_fp_ieee_overflow 0
		.amdhsa_exception_fp_ieee_underflow 0
		.amdhsa_exception_fp_ieee_inexact 0
		.amdhsa_exception_int_div_zero 0
	.end_amdhsa_kernel
	.section	.text._ZL20rocblas_gemvn_kernelILi64ELi16EldddEviiT3_lPKT2_lT1_lS3_lS4_lS0_lPT4_lS4_li,"axG",@progbits,_ZL20rocblas_gemvn_kernelILi64ELi16EldddEviiT3_lPKT2_lT1_lS3_lS4_lS0_lPT4_lS4_li,comdat
.Lfunc_end67:
	.size	_ZL20rocblas_gemvn_kernelILi64ELi16EldddEviiT3_lPKT2_lT1_lS3_lS4_lS0_lPT4_lS4_li, .Lfunc_end67-_ZL20rocblas_gemvn_kernelILi64ELi16EldddEviiT3_lPKT2_lT1_lS3_lS4_lS0_lPT4_lS4_li
                                        ; -- End function
	.section	.AMDGPU.csdata,"",@progbits
; Kernel info:
; codeLenInByte = 2772
; NumSgprs: 61
; NumVgprs: 72
; NumAgprs: 0
; TotalNumVgprs: 72
; ScratchSize: 0
; MemoryBound: 1
; FloatMode: 240
; IeeeMode: 1
; LDSByteSize: 32768 bytes/workgroup (compile time only)
; SGPRBlocks: 7
; VGPRBlocks: 8
; NumSGPRsForWavesPerEU: 61
; NumVGPRsForWavesPerEU: 72
; AccumOffset: 72
; Occupancy: 7
; WaveLimiterHint : 1
; COMPUTE_PGM_RSRC2:SCRATCH_EN: 0
; COMPUTE_PGM_RSRC2:USER_SGPR: 2
; COMPUTE_PGM_RSRC2:TRAP_HANDLER: 0
; COMPUTE_PGM_RSRC2:TGID_X_EN: 1
; COMPUTE_PGM_RSRC2:TGID_Y_EN: 0
; COMPUTE_PGM_RSRC2:TGID_Z_EN: 1
; COMPUTE_PGM_RSRC2:TIDIG_COMP_CNT: 1
; COMPUTE_PGM_RSRC3_GFX90A:ACCUM_OFFSET: 17
; COMPUTE_PGM_RSRC3_GFX90A:TG_SPLIT: 0
	.section	.text._ZL22rocblas_gemvtsm_kernelILb0ELi256EdPKddEviiT2_lPKT1_lilS5_lilS2_lPT3_lil,"axG",@progbits,_ZL22rocblas_gemvtsm_kernelILb0ELi256EdPKddEviiT2_lPKT1_lilS5_lilS2_lPT3_lil,comdat
	.globl	_ZL22rocblas_gemvtsm_kernelILb0ELi256EdPKddEviiT2_lPKT1_lilS5_lilS2_lPT3_lil ; -- Begin function _ZL22rocblas_gemvtsm_kernelILb0ELi256EdPKddEviiT2_lPKT1_lilS5_lilS2_lPT3_lil
	.p2align	8
	.type	_ZL22rocblas_gemvtsm_kernelILb0ELi256EdPKddEviiT2_lPKT1_lilS5_lilS2_lPT3_lil,@function
_ZL22rocblas_gemvtsm_kernelILb0ELi256EdPKddEviiT2_lPKT1_lilS5_lilS2_lPT3_lil: ; @_ZL22rocblas_gemvtsm_kernelILb0ELi256EdPKddEviiT2_lPKT1_lilS5_lilS2_lPT3_lil
; %bb.0:
	s_load_dwordx8 s[4:11], s[0:1], 0x8
	s_load_dwordx8 s[12:19], s[0:1], 0x50
	s_waitcnt lgkmcnt(0)
	s_mul_i32 s3, s2, s7
	s_mul_hi_u32 s7, s2, s6
	s_add_i32 s7, s7, s3
	s_mul_i32 s6, s2, s6
	s_lshl_b64 s[6:7], s[6:7], 3
	s_add_u32 s4, s4, s6
	s_addc_u32 s5, s5, s7
	s_load_dwordx2 s[22:23], s[4:5], 0x0
	s_mul_i32 s3, s2, s17
	s_mul_hi_u32 s4, s2, s16
	s_add_i32 s5, s4, s3
	s_mul_i32 s4, s2, s16
	s_lshl_b64 s[4:5], s[4:5], 3
	s_add_u32 s4, s14, s4
	s_addc_u32 s5, s15, s5
	s_load_dwordx2 s[14:15], s[4:5], 0x0
	s_waitcnt lgkmcnt(0)
	v_cmp_eq_f64_e64 s[4:5], s[22:23], 0
	v_cmp_eq_f64_e64 s[6:7], s[14:15], 1.0
	s_and_b64 s[4:5], s[4:5], s[6:7]
	s_and_b64 vcc, exec, s[4:5]
	s_cbranch_vccnz .LBB68_34
; %bb.1:
	s_load_dwordx2 s[4:5], s[0:1], 0x80
	s_load_dword s16, s[0:1], 0x78
	s_load_dwordx2 s[24:25], s[0:1], 0x70
	s_load_dwordx2 s[20:21], s[0:1], 0x0
	s_waitcnt lgkmcnt(0)
	s_mul_i32 s3, s2, s5
	s_mul_hi_u32 s5, s2, s4
	s_add_i32 s27, s5, s3
	s_mul_i32 s26, s2, s4
	v_cmp_neq_f64_e64 s[4:5], s[22:23], 0
	s_and_b64 vcc, exec, s[4:5]
	s_cbranch_vccnz .LBB68_9
; %bb.2:
	s_cmp_gt_i32 s21, 0
	s_cselect_b64 s[6:7], -1, 0
	v_cmp_neq_f64_e64 s[4:5], s[14:15], 0
	v_cndmask_b32_e64 v1, 0, 1, s[6:7]
	s_and_b64 vcc, exec, s[4:5]
	v_cmp_ne_u32_e64 s[4:5], 1, v1
	s_cbranch_vccnz .LBB68_10
; %bb.3:
	s_and_b64 vcc, exec, s[4:5]
	s_cbranch_vccnz .LBB68_8
; %bb.4:
	v_mad_i64_i32 v[2:3], s[28:29], s16, v0, 0
	s_ashr_i32 s17, s16, 31
	s_lshl_b64 s[6:7], s[26:27], 3
	s_lshl_b64 s[28:29], s[24:25], 3
	s_add_u32 s3, s18, s28
	s_addc_u32 s28, s19, s29
	s_add_u32 s6, s3, s6
	s_addc_u32 s7, s28, s7
	v_lshl_add_u64 v[2:3], v[2:3], 3, s[6:7]
	s_lshl_b64 s[6:7], s[16:17], 11
	s_mov_b32 s3, 0
	v_mov_b32_e32 v4, 0
	s_branch .LBB68_6
.LBB68_5:                               ;   in Loop: Header=BB68_6 Depth=1
	s_or_b64 exec, exec, s[28:29]
	s_addk_i32 s3, 0x100
	s_cmp_ge_i32 s3, s21
	v_lshl_add_u64 v[2:3], v[2:3], 0, s[6:7]
	s_cbranch_scc1 .LBB68_8
.LBB68_6:                               ; =>This Inner Loop Header: Depth=1
	v_add_u32_e32 v1, s3, v0
	v_cmp_gt_i32_e32 vcc, s21, v1
	s_and_saveexec_b64 s[28:29], vcc
	s_cbranch_execz .LBB68_5
; %bb.7:                                ;   in Loop: Header=BB68_6 Depth=1
	v_mov_b32_e32 v5, v4
	global_store_dwordx2 v[2:3], v[4:5], off
	s_branch .LBB68_5
.LBB68_8:
	s_cbranch_execz .LBB68_11
	s_branch .LBB68_16
.LBB68_9:
	s_branch .LBB68_17
.LBB68_10:
.LBB68_11:
	s_and_b64 vcc, exec, s[4:5]
	s_cbranch_vccnz .LBB68_16
; %bb.12:
	v_mad_i64_i32 v[2:3], s[6:7], s16, v0, 0
	s_ashr_i32 s17, s16, 31
	s_lshl_b64 s[4:5], s[26:27], 3
	s_lshl_b64 s[6:7], s[24:25], 3
	s_add_u32 s3, s18, s6
	s_addc_u32 s6, s19, s7
	s_add_u32 s4, s3, s4
	s_addc_u32 s5, s6, s5
	v_lshl_add_u64 v[2:3], v[2:3], 3, s[4:5]
	s_lshl_b64 s[4:5], s[16:17], 11
	s_mov_b32 s3, 0
	s_branch .LBB68_14
.LBB68_13:                              ;   in Loop: Header=BB68_14 Depth=1
	s_or_b64 exec, exec, s[6:7]
	s_addk_i32 s3, 0x100
	s_cmp_ge_i32 s3, s21
	v_lshl_add_u64 v[2:3], v[2:3], 0, s[4:5]
	s_cbranch_scc1 .LBB68_16
.LBB68_14:                              ; =>This Inner Loop Header: Depth=1
	v_add_u32_e32 v1, s3, v0
	v_cmp_gt_i32_e32 vcc, s21, v1
	s_and_saveexec_b64 s[6:7], vcc
	s_cbranch_execz .LBB68_13
; %bb.15:                               ;   in Loop: Header=BB68_14 Depth=1
	global_load_dwordx2 v[4:5], v[2:3], off
	s_waitcnt vmcnt(0)
	v_mul_f64 v[4:5], s[14:15], v[4:5]
	global_store_dwordx2 v[2:3], v[4:5], off
	s_branch .LBB68_13
.LBB68_16:
	s_cbranch_execnz .LBB68_34
.LBB68_17:
	s_load_dwordx4 s[4:7], s[0:1], 0x30
	s_load_dwordx2 s[30:31], s[0:1], 0x40
	v_cmp_gt_i32_e32 vcc, s20, v0
	s_and_saveexec_b64 s[28:29], vcc
	s_cbranch_execz .LBB68_19
; %bb.18:
	s_mul_i32 s3, s2, s13
	s_mul_hi_u32 s13, s2, s12
	s_add_i32 s13, s13, s3
	s_mul_i32 s12, s2, s12
	s_lshl_b64 s[12:13], s[12:13], 3
	s_waitcnt lgkmcnt(0)
	s_add_u32 s3, s6, s12
	s_addc_u32 s12, s7, s13
	s_load_dword s13, s[0:1], 0x48
	s_lshl_b64 s[6:7], s[30:31], 3
	s_add_u32 s6, s3, s6
	s_addc_u32 s7, s12, s7
	v_lshlrev_b32_e32 v1, 3, v0
	s_waitcnt lgkmcnt(0)
	v_mad_i64_i32 v[2:3], s[12:13], s13, v0, 0
	v_lshl_add_u64 v[2:3], v[2:3], 3, s[6:7]
	global_load_dwordx2 v[2:3], v[2:3], off
	s_waitcnt vmcnt(0)
	v_mul_f64 v[2:3], s[22:23], v[2:3]
	ds_write_b64 v1, v[2:3]
.LBB68_19:
	s_or_b64 exec, exec, s[28:29]
	s_cmp_lt_i32 s21, 1
	s_waitcnt lgkmcnt(0)
	s_barrier
	s_cbranch_scc1 .LBB68_34
; %bb.20:
	s_load_dword s0, s[0:1], 0x28
	s_lshl_b64 s[6:7], s[26:27], 3
	s_add_u32 s3, s18, s6
	s_addc_u32 s1, s19, s7
	s_lshl_b64 s[6:7], s[24:25], 3
	s_add_u32 s6, s3, s6
	s_addc_u32 s7, s1, s7
	s_waitcnt lgkmcnt(0)
	s_ashr_i32 s1, s0, 31
	s_ashr_i32 s17, s16, 31
	s_cmp_gt_i32 s20, 0
	s_cselect_b64 s[24:25], -1, 0
	s_and_b32 s22, s20, 7
	s_cmp_gt_u32 s20, 7
	s_cselect_b64 s[26:27], -1, 0
	s_and_b32 s20, s20, 0x7ffffff8
	s_cmp_lg_u32 s22, 0
	s_mul_i32 s3, s5, s2
	s_mul_hi_u32 s5, s4, s2
	s_cselect_b64 s[18:19], -1, 0
	s_add_i32 s3, s5, s3
	s_mul_i32 s2, s4, s2
	v_mad_i64_i32 v[2:3], s[4:5], s0, v0, 0
	s_lshl_b64 s[2:3], s[2:3], 3
	s_lshl_b64 s[4:5], s[10:11], 3
	s_add_u32 s4, s8, s4
	s_addc_u32 s5, s9, s5
	s_add_u32 s2, s4, s2
	s_addc_u32 s3, s5, s3
	s_lshl_b64 s[8:9], s[0:1], 11
	v_cmp_neq_f64_e64 s[0:1], s[14:15], 0
	v_lshl_add_u64 v[2:3], v[2:3], 3, s[2:3]
	v_cndmask_b32_e64 v6, 0, 1, s[26:27]
	v_cndmask_b32_e64 v1, 0, 1, s[0:1]
	v_cmp_ne_u32_e64 s[0:1], 1, v1
	v_cndmask_b32_e64 v1, 0, 1, s[24:25]
	s_mov_b32 s13, 0
	v_lshl_add_u64 v[4:5], v[2:3], 0, 56
	v_cmp_ne_u32_e64 s[2:3], 1, v6
	v_cmp_ne_u32_e64 s[4:5], 1, v1
	s_mov_b32 s23, 0
	s_branch .LBB68_23
.LBB68_21:                              ;   in Loop: Header=BB68_23 Depth=1
	global_store_dwordx2 v[6:7], v[8:9], off
.LBB68_22:                              ;   in Loop: Header=BB68_23 Depth=1
	s_or_b64 exec, exec, s[10:11]
	s_addk_i32 s23, 0x100
	v_lshl_add_u64 v[4:5], v[4:5], 0, s[8:9]
	s_cmp_ge_i32 s23, s21
	v_lshl_add_u64 v[2:3], v[2:3], 0, s[8:9]
	s_cbranch_scc1 .LBB68_34
.LBB68_23:                              ; =>This Loop Header: Depth=1
                                        ;     Child Loop BB68_29 Depth 2
                                        ;     Child Loop BB68_33 Depth 2
	v_add_u32_e32 v1, s23, v0
	v_cmp_gt_i32_e32 vcc, s21, v1
	s_and_saveexec_b64 s[10:11], vcc
	s_cbranch_execz .LBB68_22
; %bb.24:                               ;   in Loop: Header=BB68_23 Depth=1
	v_mad_u64_u32 v[6:7], s[24:25], v1, s16, 0
	v_mov_b32_e32 v8, v7
	v_mad_u64_u32 v[8:9], s[24:25], v1, s17, v[8:9]
	v_mov_b32_e32 v7, v8
	s_and_b64 vcc, exec, s[0:1]
	v_lshl_add_u64 v[6:7], v[6:7], 3, s[6:7]
	s_cbranch_vccnz .LBB68_26
; %bb.25:                               ;   in Loop: Header=BB68_23 Depth=1
	global_load_dwordx2 v[8:9], v[6:7], off
	s_waitcnt vmcnt(0)
	v_mul_f64 v[8:9], s[14:15], v[8:9]
	s_and_b64 vcc, exec, s[4:5]
	s_cbranch_vccz .LBB68_27
	s_branch .LBB68_21
.LBB68_26:                              ;   in Loop: Header=BB68_23 Depth=1
	v_mov_b64_e32 v[8:9], 0
	s_and_b64 vcc, exec, s[4:5]
	s_cbranch_vccnz .LBB68_21
.LBB68_27:                              ;   in Loop: Header=BB68_23 Depth=1
	s_mov_b32 s12, 0
	s_and_b64 vcc, exec, s[2:3]
	s_cbranch_vccnz .LBB68_31
; %bb.28:                               ;   in Loop: Header=BB68_23 Depth=1
	s_mov_b32 s24, 0
	v_mov_b64_e32 v[10:11], v[4:5]
.LBB68_29:                              ;   Parent Loop BB68_23 Depth=1
                                        ; =>  This Inner Loop Header: Depth=2
	global_load_dwordx4 v[12:15], v[10:11], off offset:-56
	global_load_dwordx4 v[16:19], v[10:11], off offset:-40
	;; [unrolled: 1-line block ×4, first 2 shown]
	v_mov_b32_e32 v1, s12
	ds_read_b128 v[28:31], v1
	ds_read_b128 v[32:35], v1 offset:16
	ds_read_b128 v[36:39], v1 offset:32
	ds_read_b128 v[40:43], v1 offset:48
	s_add_i32 s24, s24, 8
	s_add_i32 s12, s12, 64
	v_lshl_add_u64 v[10:11], v[10:11], 0, 64
	s_cmp_eq_u32 s20, s24
	s_waitcnt vmcnt(3) lgkmcnt(3)
	v_fmac_f64_e32 v[8:9], v[28:29], v[12:13]
	v_fmac_f64_e32 v[8:9], v[30:31], v[14:15]
	s_waitcnt vmcnt(2) lgkmcnt(2)
	v_fmac_f64_e32 v[8:9], v[32:33], v[16:17]
	v_fmac_f64_e32 v[8:9], v[34:35], v[18:19]
	;; [unrolled: 3-line block ×4, first 2 shown]
	s_cbranch_scc0 .LBB68_29
; %bb.30:                               ;   in Loop: Header=BB68_23 Depth=1
	s_mov_b32 s12, s20
.LBB68_31:                              ;   in Loop: Header=BB68_23 Depth=1
	s_andn2_b64 vcc, exec, s[18:19]
	s_cbranch_vccnz .LBB68_21
; %bb.32:                               ;   in Loop: Header=BB68_23 Depth=1
	s_lshl_b32 s24, s12, 3
	v_lshl_add_u64 v[10:11], s[12:13], 3, v[2:3]
	s_mov_b32 s12, s22
.LBB68_33:                              ;   Parent Loop BB68_23 Depth=1
                                        ; =>  This Inner Loop Header: Depth=2
	global_load_dwordx2 v[12:13], v[10:11], off
	v_mov_b32_e32 v1, s24
	ds_read_b64 v[14:15], v1
	s_add_i32 s24, s24, 8
	s_add_i32 s12, s12, -1
	v_lshl_add_u64 v[10:11], v[10:11], 0, 8
	s_cmp_lg_u32 s12, 0
	s_waitcnt vmcnt(0) lgkmcnt(0)
	v_fmac_f64_e32 v[8:9], v[14:15], v[12:13]
	s_cbranch_scc1 .LBB68_33
	s_branch .LBB68_21
.LBB68_34:
	s_endpgm
	.section	.rodata,"a",@progbits
	.p2align	6, 0x0
	.amdhsa_kernel _ZL22rocblas_gemvtsm_kernelILb0ELi256EdPKddEviiT2_lPKT1_lilS5_lilS2_lPT3_lil
		.amdhsa_group_segment_fixed_size 512
		.amdhsa_private_segment_fixed_size 0
		.amdhsa_kernarg_size 136
		.amdhsa_user_sgpr_count 2
		.amdhsa_user_sgpr_dispatch_ptr 0
		.amdhsa_user_sgpr_queue_ptr 0
		.amdhsa_user_sgpr_kernarg_segment_ptr 1
		.amdhsa_user_sgpr_dispatch_id 0
		.amdhsa_user_sgpr_kernarg_preload_length 0
		.amdhsa_user_sgpr_kernarg_preload_offset 0
		.amdhsa_user_sgpr_private_segment_size 0
		.amdhsa_uses_dynamic_stack 0
		.amdhsa_enable_private_segment 0
		.amdhsa_system_sgpr_workgroup_id_x 1
		.amdhsa_system_sgpr_workgroup_id_y 0
		.amdhsa_system_sgpr_workgroup_id_z 0
		.amdhsa_system_sgpr_workgroup_info 0
		.amdhsa_system_vgpr_workitem_id 0
		.amdhsa_next_free_vgpr 44
		.amdhsa_next_free_sgpr 32
		.amdhsa_accum_offset 44
		.amdhsa_reserve_vcc 1
		.amdhsa_float_round_mode_32 0
		.amdhsa_float_round_mode_16_64 0
		.amdhsa_float_denorm_mode_32 3
		.amdhsa_float_denorm_mode_16_64 3
		.amdhsa_dx10_clamp 1
		.amdhsa_ieee_mode 1
		.amdhsa_fp16_overflow 0
		.amdhsa_tg_split 0
		.amdhsa_exception_fp_ieee_invalid_op 0
		.amdhsa_exception_fp_denorm_src 0
		.amdhsa_exception_fp_ieee_div_zero 0
		.amdhsa_exception_fp_ieee_overflow 0
		.amdhsa_exception_fp_ieee_underflow 0
		.amdhsa_exception_fp_ieee_inexact 0
		.amdhsa_exception_int_div_zero 0
	.end_amdhsa_kernel
	.section	.text._ZL22rocblas_gemvtsm_kernelILb0ELi256EdPKddEviiT2_lPKT1_lilS5_lilS2_lPT3_lil,"axG",@progbits,_ZL22rocblas_gemvtsm_kernelILb0ELi256EdPKddEviiT2_lPKT1_lilS5_lilS2_lPT3_lil,comdat
.Lfunc_end68:
	.size	_ZL22rocblas_gemvtsm_kernelILb0ELi256EdPKddEviiT2_lPKT1_lilS5_lilS2_lPT3_lil, .Lfunc_end68-_ZL22rocblas_gemvtsm_kernelILb0ELi256EdPKddEviiT2_lPKT1_lilS5_lilS2_lPT3_lil
                                        ; -- End function
	.section	.AMDGPU.csdata,"",@progbits
; Kernel info:
; codeLenInByte = 1264
; NumSgprs: 38
; NumVgprs: 44
; NumAgprs: 0
; TotalNumVgprs: 44
; ScratchSize: 0
; MemoryBound: 0
; FloatMode: 240
; IeeeMode: 1
; LDSByteSize: 512 bytes/workgroup (compile time only)
; SGPRBlocks: 4
; VGPRBlocks: 5
; NumSGPRsForWavesPerEU: 38
; NumVGPRsForWavesPerEU: 44
; AccumOffset: 44
; Occupancy: 8
; WaveLimiterHint : 1
; COMPUTE_PGM_RSRC2:SCRATCH_EN: 0
; COMPUTE_PGM_RSRC2:USER_SGPR: 2
; COMPUTE_PGM_RSRC2:TRAP_HANDLER: 0
; COMPUTE_PGM_RSRC2:TGID_X_EN: 1
; COMPUTE_PGM_RSRC2:TGID_Y_EN: 0
; COMPUTE_PGM_RSRC2:TGID_Z_EN: 0
; COMPUTE_PGM_RSRC2:TIDIG_COMP_CNT: 0
; COMPUTE_PGM_RSRC3_GFX90A:ACCUM_OFFSET: 10
; COMPUTE_PGM_RSRC3_GFX90A:TG_SPLIT: 0
	.section	.text._ZL22rocblas_gemvtsm_kernelILb0ELi256EdddEviiT2_lPKT1_lilS3_lilS0_lPT3_lil,"axG",@progbits,_ZL22rocblas_gemvtsm_kernelILb0ELi256EdddEviiT2_lPKT1_lilS3_lilS0_lPT3_lil,comdat
	.globl	_ZL22rocblas_gemvtsm_kernelILb0ELi256EdddEviiT2_lPKT1_lilS3_lilS0_lPT3_lil ; -- Begin function _ZL22rocblas_gemvtsm_kernelILb0ELi256EdddEviiT2_lPKT1_lilS3_lilS0_lPT3_lil
	.p2align	8
	.type	_ZL22rocblas_gemvtsm_kernelILb0ELi256EdddEviiT2_lPKT1_lilS3_lilS0_lPT3_lil,@function
_ZL22rocblas_gemvtsm_kernelILb0ELi256EdddEviiT2_lPKT1_lilS3_lilS0_lPT3_lil: ; @_ZL22rocblas_gemvtsm_kernelILb0ELi256EdddEviiT2_lPKT1_lilS3_lilS0_lPT3_lil
; %bb.0:
	s_load_dwordx2 s[20:21], s[0:1], 0x8
	s_load_dwordx4 s[8:11], s[0:1], 0x50
	s_waitcnt lgkmcnt(0)
	v_cmp_eq_f64_e64 s[4:5], s[20:21], 0
	v_cmp_eq_f64_e64 s[6:7], s[10:11], 1.0
	s_and_b64 s[4:5], s[4:5], s[6:7]
	s_and_b64 vcc, exec, s[4:5]
	s_cbranch_vccnz .LBB69_34
; %bb.1:
	s_load_dwordx2 s[4:5], s[0:1], 0x80
	s_load_dword s16, s[0:1], 0x78
	s_load_dwordx2 s[18:19], s[0:1], 0x0
	s_load_dwordx4 s[12:15], s[0:1], 0x68
	s_waitcnt lgkmcnt(0)
	s_mul_i32 s3, s2, s5
	s_mul_hi_u32 s5, s2, s4
	s_add_i32 s23, s5, s3
	s_mul_i32 s22, s2, s4
	v_cmp_neq_f64_e64 s[4:5], s[20:21], 0
	s_and_b64 vcc, exec, s[4:5]
	s_cbranch_vccnz .LBB69_9
; %bb.2:
	s_cmp_gt_i32 s19, 0
	s_cselect_b64 s[6:7], -1, 0
	v_cmp_neq_f64_e64 s[4:5], s[10:11], 0
	v_cndmask_b32_e64 v1, 0, 1, s[6:7]
	s_and_b64 vcc, exec, s[4:5]
	v_cmp_ne_u32_e64 s[4:5], 1, v1
	s_cbranch_vccnz .LBB69_10
; %bb.3:
	s_and_b64 vcc, exec, s[4:5]
	s_cbranch_vccnz .LBB69_8
; %bb.4:
	v_mad_i64_i32 v[2:3], s[24:25], s16, v0, 0
	s_ashr_i32 s17, s16, 31
	s_lshl_b64 s[6:7], s[22:23], 3
	s_lshl_b64 s[24:25], s[14:15], 3
	s_add_u32 s3, s12, s24
	s_addc_u32 s24, s13, s25
	s_add_u32 s6, s3, s6
	s_addc_u32 s7, s24, s7
	v_lshl_add_u64 v[2:3], v[2:3], 3, s[6:7]
	s_lshl_b64 s[6:7], s[16:17], 11
	s_mov_b32 s3, 0
	v_mov_b32_e32 v4, 0
	s_branch .LBB69_6
.LBB69_5:                               ;   in Loop: Header=BB69_6 Depth=1
	s_or_b64 exec, exec, s[24:25]
	s_addk_i32 s3, 0x100
	s_cmp_ge_i32 s3, s19
	v_lshl_add_u64 v[2:3], v[2:3], 0, s[6:7]
	s_cbranch_scc1 .LBB69_8
.LBB69_6:                               ; =>This Inner Loop Header: Depth=1
	v_add_u32_e32 v1, s3, v0
	v_cmp_gt_i32_e32 vcc, s19, v1
	s_and_saveexec_b64 s[24:25], vcc
	s_cbranch_execz .LBB69_5
; %bb.7:                                ;   in Loop: Header=BB69_6 Depth=1
	v_mov_b32_e32 v5, v4
	global_store_dwordx2 v[2:3], v[4:5], off
	s_branch .LBB69_5
.LBB69_8:
	s_cbranch_execz .LBB69_11
	s_branch .LBB69_16
.LBB69_9:
	s_branch .LBB69_17
.LBB69_10:
.LBB69_11:
	s_and_b64 vcc, exec, s[4:5]
	s_cbranch_vccnz .LBB69_16
; %bb.12:
	v_mad_i64_i32 v[2:3], s[6:7], s16, v0, 0
	s_ashr_i32 s17, s16, 31
	s_lshl_b64 s[4:5], s[22:23], 3
	s_lshl_b64 s[6:7], s[14:15], 3
	s_add_u32 s3, s12, s6
	s_addc_u32 s6, s13, s7
	s_add_u32 s4, s3, s4
	s_addc_u32 s5, s6, s5
	v_lshl_add_u64 v[2:3], v[2:3], 3, s[4:5]
	s_lshl_b64 s[4:5], s[16:17], 11
	s_mov_b32 s3, 0
	s_branch .LBB69_14
.LBB69_13:                              ;   in Loop: Header=BB69_14 Depth=1
	s_or_b64 exec, exec, s[6:7]
	s_addk_i32 s3, 0x100
	s_cmp_ge_i32 s3, s19
	v_lshl_add_u64 v[2:3], v[2:3], 0, s[4:5]
	s_cbranch_scc1 .LBB69_16
.LBB69_14:                              ; =>This Inner Loop Header: Depth=1
	v_add_u32_e32 v1, s3, v0
	v_cmp_gt_i32_e32 vcc, s19, v1
	s_and_saveexec_b64 s[6:7], vcc
	s_cbranch_execz .LBB69_13
; %bb.15:                               ;   in Loop: Header=BB69_14 Depth=1
	global_load_dwordx2 v[4:5], v[2:3], off
	s_waitcnt vmcnt(0)
	v_mul_f64 v[4:5], v[4:5], s[10:11]
	global_store_dwordx2 v[2:3], v[4:5], off
	s_branch .LBB69_13
.LBB69_16:
	s_cbranch_execnz .LBB69_34
.LBB69_17:
	s_load_dwordx4 s[4:7], s[0:1], 0x30
	s_load_dwordx2 s[26:27], s[0:1], 0x40
	v_cmp_gt_i32_e32 vcc, s18, v0
	s_and_saveexec_b64 s[24:25], vcc
	s_cbranch_execz .LBB69_19
; %bb.18:
	s_mul_i32 s3, s2, s9
	s_mul_hi_u32 s9, s2, s8
	s_add_i32 s9, s9, s3
	s_mul_i32 s8, s2, s8
	s_lshl_b64 s[8:9], s[8:9], 3
	s_waitcnt lgkmcnt(0)
	s_add_u32 s3, s6, s8
	s_addc_u32 s8, s7, s9
	s_load_dword s9, s[0:1], 0x48
	s_lshl_b64 s[6:7], s[26:27], 3
	s_add_u32 s6, s3, s6
	s_addc_u32 s7, s8, s7
	v_lshlrev_b32_e32 v1, 3, v0
	s_waitcnt lgkmcnt(0)
	v_mad_i64_i32 v[2:3], s[8:9], s9, v0, 0
	v_lshl_add_u64 v[2:3], v[2:3], 3, s[6:7]
	global_load_dwordx2 v[2:3], v[2:3], off
	s_waitcnt vmcnt(0)
	v_mul_f64 v[2:3], v[2:3], s[20:21]
	ds_write_b64 v1, v[2:3]
.LBB69_19:
	s_or_b64 exec, exec, s[24:25]
	s_cmp_lt_i32 s19, 1
	s_waitcnt lgkmcnt(0)
	s_barrier
	s_cbranch_scc1 .LBB69_34
; %bb.20:
	s_load_dwordx4 s[24:27], s[0:1], 0x18
	s_load_dword s20, s[0:1], 0x28
	s_lshl_b64 s[6:7], s[22:23], 3
	s_add_u32 s3, s12, s6
	s_addc_u32 s7, s13, s7
	s_lshl_b64 s[0:1], s[14:15], 3
	s_add_u32 s6, s3, s0
	s_addc_u32 s7, s7, s1
	s_waitcnt lgkmcnt(0)
	s_ashr_i32 s21, s20, 31
	s_ashr_i32 s17, s16, 31
	s_cmp_gt_i32 s18, 0
	s_cselect_b64 s[28:29], -1, 0
	s_and_b32 s22, s18, 7
	s_cmp_gt_u32 s18, 7
	s_cselect_b64 s[30:31], -1, 0
	s_and_b32 s18, s18, 0x7ffffff8
	s_cmp_lg_u32 s22, 0
	s_mul_i32 s0, s5, s2
	s_mul_hi_u32 s1, s4, s2
	s_cselect_b64 s[12:13], -1, 0
	s_add_i32 s1, s1, s0
	s_mul_i32 s0, s4, s2
	v_mad_i64_i32 v[2:3], s[2:3], s20, v0, 0
	s_lshl_b64 s[0:1], s[0:1], 3
	s_lshl_b64 s[2:3], s[26:27], 3
	s_add_u32 s2, s24, s2
	s_addc_u32 s3, s25, s3
	s_add_u32 s0, s2, s0
	s_addc_u32 s1, s3, s1
	v_lshl_add_u64 v[2:3], v[2:3], 3, s[0:1]
	v_cmp_neq_f64_e64 s[0:1], s[10:11], 0
	s_mov_b32 s9, 0
	v_lshl_add_u64 v[4:5], v[2:3], 0, 56
	v_cndmask_b32_e64 v1, 0, 1, s[0:1]
	v_cmp_ne_u32_e64 s[0:1], 1, v1
	v_cndmask_b32_e64 v1, 0, 1, s[28:29]
	v_cmp_ne_u32_e64 s[2:3], 1, v1
	v_cndmask_b32_e64 v1, 0, 1, s[30:31]
	s_lshl_b64 s[14:15], s[20:21], 11
	v_cmp_ne_u32_e64 s[4:5], 1, v1
	s_mov_b32 s23, 0
	s_branch .LBB69_23
.LBB69_21:                              ;   in Loop: Header=BB69_23 Depth=1
	global_store_dwordx2 v[6:7], v[8:9], off
.LBB69_22:                              ;   in Loop: Header=BB69_23 Depth=1
	s_or_b64 exec, exec, s[20:21]
	s_addk_i32 s23, 0x100
	v_lshl_add_u64 v[4:5], v[4:5], 0, s[14:15]
	s_cmp_ge_i32 s23, s19
	v_lshl_add_u64 v[2:3], v[2:3], 0, s[14:15]
	s_cbranch_scc1 .LBB69_34
.LBB69_23:                              ; =>This Loop Header: Depth=1
                                        ;     Child Loop BB69_29 Depth 2
                                        ;     Child Loop BB69_33 Depth 2
	v_add_u32_e32 v1, s23, v0
	v_cmp_gt_i32_e32 vcc, s19, v1
	s_and_saveexec_b64 s[20:21], vcc
	s_cbranch_execz .LBB69_22
; %bb.24:                               ;   in Loop: Header=BB69_23 Depth=1
	v_mad_u64_u32 v[6:7], s[24:25], v1, s16, 0
	v_mov_b32_e32 v8, v7
	v_mad_u64_u32 v[8:9], s[24:25], v1, s17, v[8:9]
	v_mov_b32_e32 v7, v8
	s_and_b64 vcc, exec, s[0:1]
	v_lshl_add_u64 v[6:7], v[6:7], 3, s[6:7]
	s_cbranch_vccnz .LBB69_26
; %bb.25:                               ;   in Loop: Header=BB69_23 Depth=1
	global_load_dwordx2 v[8:9], v[6:7], off
	s_waitcnt vmcnt(0)
	v_mul_f64 v[8:9], v[8:9], s[10:11]
	s_and_b64 vcc, exec, s[2:3]
	s_cbranch_vccz .LBB69_27
	s_branch .LBB69_21
.LBB69_26:                              ;   in Loop: Header=BB69_23 Depth=1
	v_mov_b64_e32 v[8:9], 0
	s_and_b64 vcc, exec, s[2:3]
	s_cbranch_vccnz .LBB69_21
.LBB69_27:                              ;   in Loop: Header=BB69_23 Depth=1
	s_mov_b32 s8, 0
	s_and_b64 vcc, exec, s[4:5]
	s_cbranch_vccnz .LBB69_31
; %bb.28:                               ;   in Loop: Header=BB69_23 Depth=1
	s_mov_b32 s24, 0
	v_mov_b64_e32 v[10:11], v[4:5]
.LBB69_29:                              ;   Parent Loop BB69_23 Depth=1
                                        ; =>  This Inner Loop Header: Depth=2
	global_load_dwordx4 v[12:15], v[10:11], off offset:-56
	global_load_dwordx4 v[16:19], v[10:11], off offset:-40
	;; [unrolled: 1-line block ×4, first 2 shown]
	v_mov_b32_e32 v1, s8
	ds_read_b128 v[28:31], v1
	ds_read_b128 v[32:35], v1 offset:16
	ds_read_b128 v[36:39], v1 offset:32
	;; [unrolled: 1-line block ×3, first 2 shown]
	s_add_i32 s24, s24, 8
	s_add_i32 s8, s8, 64
	v_lshl_add_u64 v[10:11], v[10:11], 0, 64
	s_cmp_eq_u32 s18, s24
	s_waitcnt vmcnt(3) lgkmcnt(3)
	v_fmac_f64_e32 v[8:9], v[28:29], v[12:13]
	v_fmac_f64_e32 v[8:9], v[30:31], v[14:15]
	s_waitcnt vmcnt(2) lgkmcnt(2)
	v_fmac_f64_e32 v[8:9], v[32:33], v[16:17]
	v_fmac_f64_e32 v[8:9], v[34:35], v[18:19]
	;; [unrolled: 3-line block ×4, first 2 shown]
	s_cbranch_scc0 .LBB69_29
; %bb.30:                               ;   in Loop: Header=BB69_23 Depth=1
	s_mov_b32 s8, s18
.LBB69_31:                              ;   in Loop: Header=BB69_23 Depth=1
	s_andn2_b64 vcc, exec, s[12:13]
	s_cbranch_vccnz .LBB69_21
; %bb.32:                               ;   in Loop: Header=BB69_23 Depth=1
	s_lshl_b32 s24, s8, 3
	v_lshl_add_u64 v[10:11], s[8:9], 3, v[2:3]
	s_mov_b32 s8, s22
.LBB69_33:                              ;   Parent Loop BB69_23 Depth=1
                                        ; =>  This Inner Loop Header: Depth=2
	global_load_dwordx2 v[12:13], v[10:11], off
	v_mov_b32_e32 v1, s24
	ds_read_b64 v[14:15], v1
	s_add_i32 s24, s24, 8
	s_add_i32 s8, s8, -1
	v_lshl_add_u64 v[10:11], v[10:11], 0, 8
	s_cmp_lg_u32 s8, 0
	s_waitcnt vmcnt(0) lgkmcnt(0)
	v_fmac_f64_e32 v[8:9], v[14:15], v[12:13]
	s_cbranch_scc1 .LBB69_33
	s_branch .LBB69_21
.LBB69_34:
	s_endpgm
	.section	.rodata,"a",@progbits
	.p2align	6, 0x0
	.amdhsa_kernel _ZL22rocblas_gemvtsm_kernelILb0ELi256EdddEviiT2_lPKT1_lilS3_lilS0_lPT3_lil
		.amdhsa_group_segment_fixed_size 512
		.amdhsa_private_segment_fixed_size 0
		.amdhsa_kernarg_size 136
		.amdhsa_user_sgpr_count 2
		.amdhsa_user_sgpr_dispatch_ptr 0
		.amdhsa_user_sgpr_queue_ptr 0
		.amdhsa_user_sgpr_kernarg_segment_ptr 1
		.amdhsa_user_sgpr_dispatch_id 0
		.amdhsa_user_sgpr_kernarg_preload_length 0
		.amdhsa_user_sgpr_kernarg_preload_offset 0
		.amdhsa_user_sgpr_private_segment_size 0
		.amdhsa_uses_dynamic_stack 0
		.amdhsa_enable_private_segment 0
		.amdhsa_system_sgpr_workgroup_id_x 1
		.amdhsa_system_sgpr_workgroup_id_y 0
		.amdhsa_system_sgpr_workgroup_id_z 0
		.amdhsa_system_sgpr_workgroup_info 0
		.amdhsa_system_vgpr_workitem_id 0
		.amdhsa_next_free_vgpr 44
		.amdhsa_next_free_sgpr 32
		.amdhsa_accum_offset 44
		.amdhsa_reserve_vcc 1
		.amdhsa_float_round_mode_32 0
		.amdhsa_float_round_mode_16_64 0
		.amdhsa_float_denorm_mode_32 3
		.amdhsa_float_denorm_mode_16_64 3
		.amdhsa_dx10_clamp 1
		.amdhsa_ieee_mode 1
		.amdhsa_fp16_overflow 0
		.amdhsa_tg_split 0
		.amdhsa_exception_fp_ieee_invalid_op 0
		.amdhsa_exception_fp_denorm_src 0
		.amdhsa_exception_fp_ieee_div_zero 0
		.amdhsa_exception_fp_ieee_overflow 0
		.amdhsa_exception_fp_ieee_underflow 0
		.amdhsa_exception_fp_ieee_inexact 0
		.amdhsa_exception_int_div_zero 0
	.end_amdhsa_kernel
	.section	.text._ZL22rocblas_gemvtsm_kernelILb0ELi256EdddEviiT2_lPKT1_lilS3_lilS0_lPT3_lil,"axG",@progbits,_ZL22rocblas_gemvtsm_kernelILb0ELi256EdddEviiT2_lPKT1_lilS3_lilS0_lPT3_lil,comdat
.Lfunc_end69:
	.size	_ZL22rocblas_gemvtsm_kernelILb0ELi256EdddEviiT2_lPKT1_lilS3_lilS0_lPT3_lil, .Lfunc_end69-_ZL22rocblas_gemvtsm_kernelILb0ELi256EdddEviiT2_lPKT1_lilS3_lilS0_lPT3_lil
                                        ; -- End function
	.section	.AMDGPU.csdata,"",@progbits
; Kernel info:
; codeLenInByte = 1196
; NumSgprs: 38
; NumVgprs: 44
; NumAgprs: 0
; TotalNumVgprs: 44
; ScratchSize: 0
; MemoryBound: 0
; FloatMode: 240
; IeeeMode: 1
; LDSByteSize: 512 bytes/workgroup (compile time only)
; SGPRBlocks: 4
; VGPRBlocks: 5
; NumSGPRsForWavesPerEU: 38
; NumVGPRsForWavesPerEU: 44
; AccumOffset: 44
; Occupancy: 8
; WaveLimiterHint : 1
; COMPUTE_PGM_RSRC2:SCRATCH_EN: 0
; COMPUTE_PGM_RSRC2:USER_SGPR: 2
; COMPUTE_PGM_RSRC2:TRAP_HANDLER: 0
; COMPUTE_PGM_RSRC2:TGID_X_EN: 1
; COMPUTE_PGM_RSRC2:TGID_Y_EN: 0
; COMPUTE_PGM_RSRC2:TGID_Z_EN: 0
; COMPUTE_PGM_RSRC2:TIDIG_COMP_CNT: 0
; COMPUTE_PGM_RSRC3_GFX90A:ACCUM_OFFSET: 10
; COMPUTE_PGM_RSRC3_GFX90A:TG_SPLIT: 0
	.section	.text._ZL23rocblas_gemvt_sn_kernelILb0ELi256ELi4EidPKddEviiT4_lPKT3_lilS5_lilPT5_i,"axG",@progbits,_ZL23rocblas_gemvt_sn_kernelILb0ELi256ELi4EidPKddEviiT4_lPKT3_lilS5_lilPT5_i,comdat
	.globl	_ZL23rocblas_gemvt_sn_kernelILb0ELi256ELi4EidPKddEviiT4_lPKT3_lilS5_lilPT5_i ; -- Begin function _ZL23rocblas_gemvt_sn_kernelILb0ELi256ELi4EidPKddEviiT4_lPKT3_lilS5_lilPT5_i
	.p2align	8
	.type	_ZL23rocblas_gemvt_sn_kernelILb0ELi256ELi4EidPKddEviiT4_lPKT3_lilS5_lilPT5_i,@function
_ZL23rocblas_gemvt_sn_kernelILb0ELi256ELi4EidPKddEviiT4_lPKT3_lilS5_lilPT5_i: ; @_ZL23rocblas_gemvt_sn_kernelILb0ELi256ELi4EidPKddEviiT4_lPKT3_lilS5_lilPT5_i
; %bb.0:
	s_load_dwordx8 s[20:27], s[0:1], 0x8
	s_load_dwordx2 s[28:29], s[0:1], 0x0
	s_mov_b32 s31, 0
	s_waitcnt lgkmcnt(0)
	s_mul_i32 s4, s3, s23
	s_mul_hi_u32 s5, s3, s22
	s_add_i32 s5, s5, s4
	s_mul_i32 s4, s3, s22
	s_lshl_b64 s[4:5], s[4:5], 3
	s_add_u32 s4, s20, s4
	s_addc_u32 s5, s21, s5
	s_load_dwordx2 s[22:23], s[4:5], 0x0
	s_load_dwordx4 s[8:11], s[0:1], 0x50
	s_load_dword s30, s[0:1], 0x68
	s_ashr_i32 s12, s29, 31
	s_mul_hi_u32 s4, s29, s3
	s_mul_i32 s5, s12, s3
	s_add_i32 s4, s4, s5
	s_mul_i32 s6, s29, s3
	s_waitcnt lgkmcnt(0)
	s_mul_i32 s4, s4, s30
	s_mul_hi_u32 s5, s6, s30
	s_add_i32 s5, s5, s4
	s_mul_i32 s4, s6, s30
	s_lshl_b64 s[4:5], s[4:5], 3
	s_add_u32 s56, s10, s4
	s_addc_u32 s57, s11, s5
	v_cmp_neq_f64_e64 s[4:5], s[22:23], 0
	s_and_b64 vcc, exec, s[4:5]
	v_cmp_eq_u32_e64 s[4:5], 0, v0
	s_cbranch_vccnz .LBB70_5
; %bb.1:
	s_cmp_gt_i32 s29, 0
	s_cselect_b64 s[6:7], -1, 0
	s_and_b64 s[6:7], s[4:5], s[6:7]
	s_and_saveexec_b64 s[4:5], s[6:7]
	s_cbranch_execz .LBB70_4
; %bb.2:
	s_mov_b32 s6, s3
	s_mov_b32 s3, 0
	s_lshl_b64 s[10:11], s[2:3], 3
	s_mov_b32 s3, s6
	s_add_u32 s6, s56, s10
	v_mov_b32_e32 v2, 0
	s_addc_u32 s7, s57, s11
	s_lshl_b64 s[10:11], s[30:31], 3
	v_mov_b32_e32 v3, v2
	s_mov_b32 s13, s29
.LBB70_3:                               ; =>This Inner Loop Header: Depth=1
	s_add_i32 s13, s13, -1
	global_store_dwordx2 v2, v[2:3], s[6:7]
	s_add_u32 s6, s6, s10
	s_addc_u32 s7, s7, s11
	s_cmp_eq_u32 s13, 0
	s_cbranch_scc0 .LBB70_3
.LBB70_4:
	s_or_b64 exec, exec, s[4:5]
	s_cbranch_execz .LBB70_6
	s_branch .LBB70_79
.LBB70_5:
.LBB70_6:
	s_load_dword s34, s[0:1], 0x28
	s_load_dwordx4 s[4:7], s[0:1], 0x30
	s_load_dwordx2 s[10:11], s[0:1], 0x40
	s_load_dword s31, s[0:1], 0x48
	s_mul_i32 s0, s3, s9
	s_mul_hi_u32 s1, s3, s8
	s_add_i32 s1, s1, s0
	s_mul_i32 s0, s3, s8
	s_lshl_b64 s[0:1], s[0:1], 3
	s_waitcnt lgkmcnt(0)
	s_add_u32 s6, s6, s0
	s_addc_u32 s7, s7, s1
	s_lshl_b64 s[0:1], s[10:11], 3
	s_add_u32 s36, s6, s0
	s_addc_u32 s37, s7, s1
	s_mul_i32 s0, s3, s5
	s_mul_hi_u32 s1, s3, s4
	s_add_i32 s1, s1, s0
	s_mul_i32 s0, s3, s4
	s_lshl_b64 s[38:39], s[0:1], 3
	s_add_u32 s0, s24, s38
	s_addc_u32 s1, s25, s39
	s_lshl_b64 s[26:27], s[26:27], 3
	s_add_u32 s0, s0, s26
	s_addc_u32 s1, s1, s27
	s_lshl_b32 s3, s2, 10
	v_lshl_or_b32 v14, v0, 2, s3
	v_ashrrev_i32_e32 v15, 31, v14
	v_lshl_add_u64 v[10:11], v[14:15], 3, s[0:1]
	s_lshr_b32 s0, s12, 30
	s_add_i32 s0, s29, s0
	s_and_b32 s3, s0, -4
	s_ashr_i32 s0, s28, 31
	s_lshr_b32 s0, s0, 30
	s_add_i32 s0, s28, s0
	s_and_b32 s0, s0, -4
	s_sub_i32 s33, s28, s0
	s_cmp_lt_i32 s3, 1
	v_add_u32_e32 v41, 4, v14
	v_add_u32_e32 v42, s33, v14
	v_and_b32_e32 v1, 63, v0
	v_cmp_gt_u32_e64 s[0:1], 64, v0
	v_mbcnt_lo_u32_b32 v40, -1, 0
	v_cmp_gt_u32_e64 s[4:5], 4, v0
	v_lshrrev_b32_e32 v13, 3, v0
	v_mul_lo_u32 v12, v14, s31
	s_cbranch_scc1 .LBB70_54
; %bb.7:
	v_mbcnt_hi_u32_b32 v2, -1, v40
	v_and_b32_e32 v3, 63, v2
	v_cmp_gt_u32_e32 vcc, 32, v3
	v_mul_lo_u32 v16, v14, s31
	s_cmp_gt_i32 s33, 0
	v_cndmask_b32_e64 v4, 0, 1, vcc
	v_lshlrev_b32_e32 v4, 5, v4
	v_cmp_gt_u32_e32 vcc, 48, v3
	v_add_lshl_u32 v43, v4, v2, 2
	s_cselect_b64 s[42:43], -1, 0
	v_cndmask_b32_e64 v4, 0, 1, vcc
	v_lshlrev_b32_e32 v4, 4, v4
	v_cmp_gt_u32_e32 vcc, 56, v3
	v_add_lshl_u32 v44, v4, v2, 2
	s_lshl_b32 s58, s34, 2
	v_cndmask_b32_e64 v4, 0, 1, vcc
	v_lshlrev_b32_e32 v4, 3, v4
	v_cmp_gt_u32_e32 vcc, 60, v3
	v_add_lshl_u32 v45, v4, v2, 2
	s_lshl_b32 s40, s34, 1
	v_cndmask_b32_e64 v4, 0, 1, vcc
	v_lshlrev_b32_e32 v4, 2, v4
	v_cmp_gt_u32_e32 vcc, 62, v3
	v_add_lshl_u32 v46, v4, v2, 2
	s_add_u32 s14, s38, s26
	v_cndmask_b32_e64 v4, 0, 1, vcc
	v_lshlrev_b32_e32 v4, 1, v4
	v_cmp_ne_u32_e32 vcc, 63, v3
	v_add_lshl_u32 v47, v4, v2, 2
	s_addc_u32 s15, s39, s27
	v_addc_co_u32_e32 v2, vcc, 0, v2, vcc
	v_lshlrev_b32_e32 v48, 2, v2
	v_add_u32_e32 v2, s31, v16
	v_ashrrev_i32_e32 v3, 31, v2
	v_lshl_add_u64 v[20:21], v[2:3], 3, s[36:37]
	v_add_u32_e32 v2, s31, v2
	v_ashrrev_i32_e32 v3, 31, v2
	s_mov_b32 s41, 0
	v_lshl_add_u64 v[22:23], v[2:3], 3, s[36:37]
	v_add_u32_e32 v2, s31, v2
	s_add_u32 s14, s24, s14
	v_ashrrev_i32_e32 v17, 31, v16
	v_ashrrev_i32_e32 v3, 31, v2
	s_mov_b32 s35, s41
	s_addc_u32 s15, s25, s15
	v_cmp_ge_i32_e64 s[6:7], s28, v41
	v_cmp_ge_i32_e64 s[8:9], s28, v42
	v_cmp_eq_u32_e64 s[10:11], 0, v1
	v_lshlrev_b32_e32 v49, 3, v1
	v_and_b32_e32 v50, 24, v13
	v_cmp_eq_u32_e64 s[12:13], 0, v0
	v_lshl_add_u64 v[18:19], v[16:17], 3, s[36:37]
	v_lshl_add_u64 v[24:25], v[2:3], 3, s[36:37]
	s_mul_i32 s59, s34, 3
	s_mov_b32 s60, s41
	v_lshl_add_u64 v[26:27], v[14:15], 3, s[14:15]
	v_mov_b32_e32 v28, 0
	s_mov_b32 s44, s41
	s_mov_b64 s[46:47], s[40:41]
	s_mov_b64 s[48:49], s[34:35]
	s_mov_b32 s35, 0
                                        ; implicit-def: $vgpr2_vgpr3_vgpr4_vgpr5_vgpr6_vgpr7_vgpr8_vgpr9
	s_branch .LBB70_9
.LBB70_8:                               ;   in Loop: Header=BB70_9 Depth=1
	s_or_b64 exec, exec, s[14:15]
	s_add_i32 s35, s35, 4
	s_add_u32 s48, s48, s58
	s_addc_u32 s49, s49, 0
	s_add_u32 s46, s46, s58
	s_addc_u32 s47, s47, 0
	;; [unrolled: 2-line block ×3, first 2 shown]
	s_add_i32 s44, s44, s58
	s_cmp_ge_i32 s35, s3
	s_cbranch_scc1 .LBB70_55
.LBB70_9:                               ; =>This Loop Header: Depth=1
                                        ;     Child Loop BB70_40 Depth 2
                                        ;     Child Loop BB70_43 Depth 2
                                        ; implicit-def: $vgpr30_vgpr31
                                        ; implicit-def: $vgpr32_vgpr33
                                        ; implicit-def: $vgpr34_vgpr35
                                        ; implicit-def: $vgpr36_vgpr37
	s_and_saveexec_b64 s[14:15], s[6:7]
	s_xor_b64 s[14:15], exec, s[14:15]
	s_cbranch_execnz .LBB70_36
; %bb.10:                               ;   in Loop: Header=BB70_9 Depth=1
	s_andn2_saveexec_b64 s[50:51], s[14:15]
	s_cbranch_execnz .LBB70_37
.LBB70_11:                              ;   in Loop: Header=BB70_9 Depth=1
	s_or_b64 exec, exec, s[50:51]
	s_and_saveexec_b64 s[14:15], s[0:1]
	s_cbranch_execz .LBB70_13
.LBB70_12:                              ;   in Loop: Header=BB70_9 Depth=1
	v_mov_b32_e32 v29, v28
	ds_write_b64 v49, v[28:29]
.LBB70_13:                              ;   in Loop: Header=BB70_9 Depth=1
	s_or_b64 exec, exec, s[14:15]
	ds_bpermute_b32 v38, v43, v36
	ds_bpermute_b32 v39, v43, v37
	s_waitcnt lgkmcnt(0)
	s_barrier
	v_add_f64 v[36:37], v[36:37], v[38:39]
	ds_bpermute_b32 v38, v44, v36
	ds_bpermute_b32 v39, v44, v37
	s_waitcnt lgkmcnt(0)
	v_add_f64 v[36:37], v[36:37], v[38:39]
	ds_bpermute_b32 v38, v45, v36
	ds_bpermute_b32 v39, v45, v37
	s_waitcnt lgkmcnt(0)
	;; [unrolled: 4-line block ×4, first 2 shown]
	v_add_f64 v[36:37], v[36:37], v[38:39]
	ds_bpermute_b32 v38, v48, v36
	ds_bpermute_b32 v39, v48, v37
	s_and_saveexec_b64 s[14:15], s[10:11]
	s_cbranch_execz .LBB70_15
; %bb.14:                               ;   in Loop: Header=BB70_9 Depth=1
	s_waitcnt lgkmcnt(0)
	v_add_f64 v[36:37], v[36:37], v[38:39]
	ds_write_b64 v50, v[36:37]
.LBB70_15:                              ;   in Loop: Header=BB70_9 Depth=1
	s_or_b64 exec, exec, s[14:15]
	v_mov_b64_e32 v[36:37], 0
	s_waitcnt lgkmcnt(0)
	s_barrier
	s_and_saveexec_b64 s[14:15], s[4:5]
	s_cbranch_execnz .LBB70_45
; %bb.16:                               ;   in Loop: Header=BB70_9 Depth=1
	s_or_b64 exec, exec, s[14:15]
	s_and_saveexec_b64 s[14:15], s[0:1]
	s_cbranch_execnz .LBB70_46
.LBB70_17:                              ;   in Loop: Header=BB70_9 Depth=1
	s_or_b64 exec, exec, s[14:15]
	s_and_saveexec_b64 s[14:15], s[0:1]
	s_cbranch_execz .LBB70_19
.LBB70_18:                              ;   in Loop: Header=BB70_9 Depth=1
	v_mov_b32_e32 v29, v28
	ds_write_b64 v49, v[28:29]
.LBB70_19:                              ;   in Loop: Header=BB70_9 Depth=1
	s_or_b64 exec, exec, s[14:15]
	ds_bpermute_b32 v38, v43, v34
	ds_bpermute_b32 v39, v43, v35
	s_waitcnt lgkmcnt(0)
	s_barrier
	v_add_f64 v[34:35], v[34:35], v[38:39]
	ds_bpermute_b32 v38, v44, v34
	ds_bpermute_b32 v39, v44, v35
	s_waitcnt lgkmcnt(0)
	v_add_f64 v[34:35], v[34:35], v[38:39]
	ds_bpermute_b32 v38, v45, v34
	ds_bpermute_b32 v39, v45, v35
	s_waitcnt lgkmcnt(0)
	;; [unrolled: 4-line block ×4, first 2 shown]
	v_add_f64 v[34:35], v[34:35], v[38:39]
	ds_bpermute_b32 v38, v48, v34
	ds_bpermute_b32 v39, v48, v35
	s_and_saveexec_b64 s[14:15], s[10:11]
	s_cbranch_execz .LBB70_21
; %bb.20:                               ;   in Loop: Header=BB70_9 Depth=1
	s_waitcnt lgkmcnt(0)
	v_add_f64 v[34:35], v[34:35], v[38:39]
	ds_write_b64 v50, v[34:35]
.LBB70_21:                              ;   in Loop: Header=BB70_9 Depth=1
	s_or_b64 exec, exec, s[14:15]
	v_mov_b64_e32 v[34:35], 0
	s_waitcnt lgkmcnt(0)
	s_barrier
	s_and_saveexec_b64 s[14:15], s[4:5]
	s_cbranch_execnz .LBB70_47
; %bb.22:                               ;   in Loop: Header=BB70_9 Depth=1
	s_or_b64 exec, exec, s[14:15]
	s_and_saveexec_b64 s[14:15], s[0:1]
	s_cbranch_execnz .LBB70_48
.LBB70_23:                              ;   in Loop: Header=BB70_9 Depth=1
	s_or_b64 exec, exec, s[14:15]
	s_and_saveexec_b64 s[14:15], s[0:1]
	s_cbranch_execz .LBB70_25
.LBB70_24:                              ;   in Loop: Header=BB70_9 Depth=1
	v_mov_b32_e32 v29, v28
	ds_write_b64 v49, v[28:29]
.LBB70_25:                              ;   in Loop: Header=BB70_9 Depth=1
	s_or_b64 exec, exec, s[14:15]
	ds_bpermute_b32 v38, v43, v32
	ds_bpermute_b32 v39, v43, v33
	s_waitcnt lgkmcnt(0)
	s_barrier
	v_add_f64 v[32:33], v[32:33], v[38:39]
	ds_bpermute_b32 v38, v44, v32
	ds_bpermute_b32 v39, v44, v33
	s_waitcnt lgkmcnt(0)
	v_add_f64 v[32:33], v[32:33], v[38:39]
	ds_bpermute_b32 v38, v45, v32
	ds_bpermute_b32 v39, v45, v33
	s_waitcnt lgkmcnt(0)
	;; [unrolled: 4-line block ×4, first 2 shown]
	v_add_f64 v[32:33], v[32:33], v[38:39]
	ds_bpermute_b32 v38, v48, v32
	ds_bpermute_b32 v39, v48, v33
	s_and_saveexec_b64 s[14:15], s[10:11]
	s_cbranch_execz .LBB70_27
; %bb.26:                               ;   in Loop: Header=BB70_9 Depth=1
	s_waitcnt lgkmcnt(0)
	v_add_f64 v[32:33], v[32:33], v[38:39]
	ds_write_b64 v50, v[32:33]
.LBB70_27:                              ;   in Loop: Header=BB70_9 Depth=1
	s_or_b64 exec, exec, s[14:15]
	v_mov_b64_e32 v[32:33], 0
	s_waitcnt lgkmcnt(0)
	s_barrier
	s_and_saveexec_b64 s[14:15], s[4:5]
	s_cbranch_execnz .LBB70_49
; %bb.28:                               ;   in Loop: Header=BB70_9 Depth=1
	s_or_b64 exec, exec, s[14:15]
	s_and_saveexec_b64 s[14:15], s[0:1]
	s_cbranch_execnz .LBB70_50
.LBB70_29:                              ;   in Loop: Header=BB70_9 Depth=1
	s_or_b64 exec, exec, s[14:15]
	s_and_saveexec_b64 s[14:15], s[0:1]
	s_cbranch_execz .LBB70_31
.LBB70_30:                              ;   in Loop: Header=BB70_9 Depth=1
	v_mov_b32_e32 v29, v28
	ds_write_b64 v49, v[28:29]
.LBB70_31:                              ;   in Loop: Header=BB70_9 Depth=1
	s_or_b64 exec, exec, s[14:15]
	ds_bpermute_b32 v38, v43, v30
	ds_bpermute_b32 v39, v43, v31
	s_waitcnt lgkmcnt(0)
	s_barrier
	v_add_f64 v[30:31], v[30:31], v[38:39]
	ds_bpermute_b32 v38, v44, v30
	ds_bpermute_b32 v39, v44, v31
	s_waitcnt lgkmcnt(0)
	v_add_f64 v[30:31], v[30:31], v[38:39]
	ds_bpermute_b32 v38, v45, v30
	ds_bpermute_b32 v39, v45, v31
	s_waitcnt lgkmcnt(0)
	;; [unrolled: 4-line block ×4, first 2 shown]
	v_add_f64 v[30:31], v[30:31], v[38:39]
	ds_bpermute_b32 v38, v48, v30
	ds_bpermute_b32 v39, v48, v31
	s_and_saveexec_b64 s[14:15], s[10:11]
	s_cbranch_execz .LBB70_33
; %bb.32:                               ;   in Loop: Header=BB70_9 Depth=1
	s_waitcnt lgkmcnt(0)
	v_add_f64 v[30:31], v[30:31], v[38:39]
	ds_write_b64 v50, v[30:31]
.LBB70_33:                              ;   in Loop: Header=BB70_9 Depth=1
	s_or_b64 exec, exec, s[14:15]
	v_mov_b64_e32 v[30:31], 0
	s_waitcnt lgkmcnt(0)
	s_barrier
	s_and_saveexec_b64 s[14:15], s[4:5]
	s_cbranch_execnz .LBB70_51
; %bb.34:                               ;   in Loop: Header=BB70_9 Depth=1
	s_or_b64 exec, exec, s[14:15]
	s_and_saveexec_b64 s[14:15], s[0:1]
	s_cbranch_execnz .LBB70_52
.LBB70_35:                              ;   in Loop: Header=BB70_9 Depth=1
	s_or_b64 exec, exec, s[14:15]
	s_and_saveexec_b64 s[14:15], s[12:13]
	s_cbranch_execz .LBB70_8
	s_branch .LBB70_53
.LBB70_36:                              ;   in Loop: Header=BB70_9 Depth=1
	s_mul_i32 s16, s35, s34
	s_ashr_i32 s17, s16, 31
	v_lshl_add_u64 v[8:9], s[16:17], 3, v[10:11]
	s_add_i32 s16, s16, s34
	s_ashr_i32 s17, s16, 31
	v_lshl_add_u64 v[34:35], s[16:17], 3, v[10:11]
	s_add_i32 s16, s16, s34
	s_ashr_i32 s17, s16, 31
	global_load_dwordx2 v[2:3], v[18:19], off
	global_load_dwordx2 v[4:5], v[20:21], off
	;; [unrolled: 1-line block ×3, first 2 shown]
	global_load_dwordx4 v[52:55], v[8:9], off offset:16
	s_waitcnt lgkmcnt(0)
	global_load_dwordx4 v[30:33], v[8:9], off
	v_lshl_add_u64 v[36:37], s[16:17], 3, v[10:11]
	s_add_i32 s16, s16, s34
	global_load_dwordx4 v[56:59], v[34:35], off
	global_load_dwordx4 v[60:63], v[36:37], off
	s_ashr_i32 s17, s16, 31
	v_lshl_add_u64 v[38:39], s[16:17], 3, v[10:11]
	global_load_dwordx4 v[64:67], v[38:39], off
	global_load_dwordx4 v[68:71], v[34:35], off offset:16
	global_load_dwordx2 v[8:9], v[24:25], off
	global_load_dwordx4 v[72:75], v[36:37], off offset:16
	global_load_dwordx4 v[76:79], v[38:39], off offset:16
	s_waitcnt vmcnt(7)
	v_fma_f64 v[36:37], v[2:3], v[30:31], 0
	v_fmac_f64_e32 v[36:37], v[4:5], v[32:33]
	v_fmac_f64_e32 v[36:37], v[6:7], v[52:53]
	s_waitcnt vmcnt(6)
	v_fma_f64 v[34:35], v[2:3], v[56:57], 0
	s_waitcnt vmcnt(5)
	v_fma_f64 v[32:33], v[2:3], v[60:61], 0
	;; [unrolled: 2-line block ×3, first 2 shown]
	v_fmac_f64_e32 v[34:35], v[4:5], v[58:59]
	v_fmac_f64_e32 v[32:33], v[4:5], v[62:63]
	;; [unrolled: 1-line block ×3, first 2 shown]
	s_waitcnt vmcnt(3)
	v_fmac_f64_e32 v[34:35], v[6:7], v[68:69]
	s_waitcnt vmcnt(1)
	v_fmac_f64_e32 v[32:33], v[6:7], v[72:73]
	;; [unrolled: 2-line block ×3, first 2 shown]
	v_fmac_f64_e32 v[36:37], v[8:9], v[54:55]
	v_fmac_f64_e32 v[34:35], v[8:9], v[70:71]
	;; [unrolled: 1-line block ×4, first 2 shown]
	s_andn2_saveexec_b64 s[50:51], s[14:15]
	s_cbranch_execz .LBB70_11
.LBB70_37:                              ;   in Loop: Header=BB70_9 Depth=1
	s_waitcnt lgkmcnt(0)
	v_mov_b64_e32 v[30:31], 0
	v_mov_b64_e32 v[32:33], v[30:31]
	;; [unrolled: 1-line block ×4, first 2 shown]
	s_and_saveexec_b64 s[52:53], s[8:9]
	s_cbranch_execz .LBB70_44
; %bb.38:                               ;   in Loop: Header=BB70_9 Depth=1
	v_cndmask_b32_e64 v17, 0, 1, s[42:43]
	v_cmp_ne_u32_e64 s[14:15], 1, v17
	s_andn2_b64 vcc, exec, s[42:43]
	s_cbranch_vccnz .LBB70_41
; %bb.39:                               ;   in Loop: Header=BB70_9 Depth=1
	s_mov_b64 s[54:55], 0
	v_mov_b32_e32 v30, v16
.LBB70_40:                              ;   Parent Loop BB70_9 Depth=1
                                        ; =>  This Inner Loop Header: Depth=2
	v_ashrrev_i32_e32 v31, 31, v30
	v_lshl_add_u64 v[32:33], v[30:31], 3, s[36:37]
	global_load_dwordx2 v[32:33], v[32:33], off
	s_cmp_eq_u32 s54, 3
	s_cselect_b64 vcc, -1, 0
	s_cmp_eq_u32 s54, 2
	s_cselect_b64 s[16:17], -1, 0
	s_cmp_eq_u32 s54, 1
	s_cselect_b64 s[18:19], -1, 0
	;; [unrolled: 2-line block ×3, first 2 shown]
	s_add_u32 s54, s54, 1
	s_addc_u32 s55, s55, 0
	v_add_u32_e32 v30, s31, v30
	s_cmp_eq_u32 s33, s54
	s_waitcnt vmcnt(0)
	v_cndmask_b32_e32 v9, v9, v33, vcc
	v_cndmask_b32_e32 v8, v8, v32, vcc
	v_cndmask_b32_e64 v7, v7, v33, s[16:17]
	v_cndmask_b32_e64 v6, v6, v32, s[16:17]
	;; [unrolled: 1-line block ×6, first 2 shown]
	s_cbranch_scc0 .LBB70_40
.LBB70_41:                              ;   in Loop: Header=BB70_9 Depth=1
	v_mov_b64_e32 v[30:31], 0
	s_and_b64 vcc, exec, s[14:15]
	v_mov_b64_e32 v[32:33], v[30:31]
	v_mov_b64_e32 v[34:35], v[30:31]
	;; [unrolled: 1-line block ×3, first 2 shown]
	s_cbranch_vccnz .LBB70_44
; %bb.42:                               ;   in Loop: Header=BB70_9 Depth=1
	s_ashr_i32 s45, s44, 31
	v_mov_b64_e32 v[36:37], 0
	v_lshl_add_u64 v[38:39], s[44:45], 3, v[26:27]
	s_mov_b64 s[18:19], 0
	v_mov_b64_e32 v[34:35], v[36:37]
	v_mov_b64_e32 v[32:33], v[36:37]
	;; [unrolled: 1-line block ×3, first 2 shown]
.LBB70_43:                              ;   Parent Loop BB70_9 Depth=1
                                        ; =>  This Inner Loop Header: Depth=2
	s_cmp_eq_u32 s18, 1
	s_cselect_b64 vcc, -1, 0
	s_cmp_eq_u32 s18, 2
	s_cselect_b64 s[14:15], -1, 0
	s_cmp_eq_u32 s18, 3
	s_cselect_b64 s[16:17], -1, 0
	s_add_i32 s20, s48, s18
	s_add_i32 s54, s46, s18
	;; [unrolled: 1-line block ×3, first 2 shown]
	s_ashr_i32 s21, s20, 31
	s_ashr_i32 s55, s54, 31
	;; [unrolled: 1-line block ×3, first 2 shown]
	v_lshl_add_u64 v[54:55], s[20:21], 3, v[10:11]
	v_lshl_add_u64 v[56:57], s[54:55], 3, v[10:11]
	;; [unrolled: 1-line block ×3, first 2 shown]
	global_load_dwordx2 v[52:53], v[38:39], off
	s_nop 0
	global_load_dwordx2 v[54:55], v[54:55], off
	s_nop 0
	;; [unrolled: 2-line block ×3, first 2 shown]
	global_load_dwordx2 v[58:59], v[58:59], off
	v_cndmask_b32_e32 v17, v3, v5, vcc
	v_cndmask_b32_e64 v17, v17, v7, s[14:15]
	v_cndmask_b32_e32 v29, v2, v4, vcc
	v_cndmask_b32_e64 v61, v17, v9, s[16:17]
	v_cndmask_b32_e64 v17, v29, v6, s[14:15]
	s_add_u32 s18, s18, 1
	v_cndmask_b32_e64 v60, v17, v8, s[16:17]
	s_addc_u32 s19, s19, 0
	v_lshl_add_u64 v[38:39], v[38:39], 0, 8
	s_cmp_lg_u32 s33, s18
	s_waitcnt vmcnt(2)
	v_fmac_f64_e32 v[34:35], v[60:61], v[54:55]
	v_fmac_f64_e32 v[36:37], v[60:61], v[52:53]
	s_waitcnt vmcnt(1)
	v_fmac_f64_e32 v[32:33], v[60:61], v[56:57]
	s_waitcnt vmcnt(0)
	v_fmac_f64_e32 v[30:31], v[60:61], v[58:59]
	s_cbranch_scc1 .LBB70_43
.LBB70_44:                              ;   in Loop: Header=BB70_9 Depth=1
	s_or_b64 exec, exec, s[52:53]
	s_or_b64 exec, exec, s[50:51]
	s_and_saveexec_b64 s[14:15], s[0:1]
	s_cbranch_execnz .LBB70_12
	s_branch .LBB70_13
.LBB70_45:                              ;   in Loop: Header=BB70_9 Depth=1
	ds_read_b64 v[36:37], v49
	s_or_b64 exec, exec, s[14:15]
	s_and_saveexec_b64 s[14:15], s[0:1]
	s_cbranch_execz .LBB70_17
.LBB70_46:                              ;   in Loop: Header=BB70_9 Depth=1
	s_waitcnt lgkmcnt(0)
	ds_bpermute_b32 v38, v47, v36
	ds_bpermute_b32 v39, v47, v37
	s_waitcnt lgkmcnt(0)
	v_add_f64 v[36:37], v[36:37], v[38:39]
	ds_bpermute_b32 v38, v48, v36
	ds_bpermute_b32 v39, v48, v37
	s_waitcnt lgkmcnt(0)
	v_add_f64 v[36:37], v[36:37], v[38:39]
	s_or_b64 exec, exec, s[14:15]
	s_and_saveexec_b64 s[14:15], s[0:1]
	s_cbranch_execnz .LBB70_18
	s_branch .LBB70_19
.LBB70_47:                              ;   in Loop: Header=BB70_9 Depth=1
	ds_read_b64 v[34:35], v49
	s_or_b64 exec, exec, s[14:15]
	s_and_saveexec_b64 s[14:15], s[0:1]
	s_cbranch_execz .LBB70_23
.LBB70_48:                              ;   in Loop: Header=BB70_9 Depth=1
	s_waitcnt lgkmcnt(0)
	ds_bpermute_b32 v38, v47, v34
	ds_bpermute_b32 v39, v47, v35
	s_waitcnt lgkmcnt(0)
	v_add_f64 v[34:35], v[34:35], v[38:39]
	ds_bpermute_b32 v38, v48, v34
	ds_bpermute_b32 v39, v48, v35
	s_waitcnt lgkmcnt(0)
	v_add_f64 v[34:35], v[34:35], v[38:39]
	s_or_b64 exec, exec, s[14:15]
	s_and_saveexec_b64 s[14:15], s[0:1]
	s_cbranch_execnz .LBB70_24
	s_branch .LBB70_25
.LBB70_49:                              ;   in Loop: Header=BB70_9 Depth=1
	ds_read_b64 v[32:33], v49
	s_or_b64 exec, exec, s[14:15]
	s_and_saveexec_b64 s[14:15], s[0:1]
	s_cbranch_execz .LBB70_29
.LBB70_50:                              ;   in Loop: Header=BB70_9 Depth=1
	s_waitcnt lgkmcnt(0)
	ds_bpermute_b32 v38, v47, v32
	ds_bpermute_b32 v39, v47, v33
	s_waitcnt lgkmcnt(0)
	v_add_f64 v[32:33], v[32:33], v[38:39]
	ds_bpermute_b32 v38, v48, v32
	ds_bpermute_b32 v39, v48, v33
	s_waitcnt lgkmcnt(0)
	v_add_f64 v[32:33], v[32:33], v[38:39]
	s_or_b64 exec, exec, s[14:15]
	s_and_saveexec_b64 s[14:15], s[0:1]
	s_cbranch_execnz .LBB70_30
	s_branch .LBB70_31
.LBB70_51:                              ;   in Loop: Header=BB70_9 Depth=1
	ds_read_b64 v[30:31], v49
	s_or_b64 exec, exec, s[14:15]
	s_and_saveexec_b64 s[14:15], s[0:1]
	s_cbranch_execz .LBB70_35
.LBB70_52:                              ;   in Loop: Header=BB70_9 Depth=1
	s_waitcnt lgkmcnt(0)
	ds_bpermute_b32 v38, v47, v30
	ds_bpermute_b32 v39, v47, v31
	s_waitcnt lgkmcnt(0)
	v_add_f64 v[30:31], v[30:31], v[38:39]
	ds_bpermute_b32 v38, v48, v30
	ds_bpermute_b32 v39, v48, v31
	s_waitcnt lgkmcnt(0)
	v_add_f64 v[30:31], v[30:31], v[38:39]
	s_or_b64 exec, exec, s[14:15]
	s_and_saveexec_b64 s[14:15], s[12:13]
	s_cbranch_execz .LBB70_8
.LBB70_53:                              ;   in Loop: Header=BB70_9 Depth=1
	s_mul_i32 s16, s35, s30
	s_add_i32 s40, s16, s2
	s_lshl_b64 s[16:17], s[40:41], 3
	s_add_u32 s16, s56, s16
	v_mul_f64 v[36:37], s[22:23], v[36:37]
	s_addc_u32 s17, s57, s17
	s_add_i32 s40, s40, s30
	global_store_dwordx2 v28, v[36:37], s[16:17]
	s_lshl_b64 s[16:17], s[40:41], 3
	s_add_u32 s16, s56, s16
	v_mul_f64 v[34:35], s[22:23], v[34:35]
	s_addc_u32 s17, s57, s17
	s_add_i32 s40, s40, s30
	global_store_dwordx2 v28, v[34:35], s[16:17]
	;; [unrolled: 6-line block ×3, first 2 shown]
	s_lshl_b64 s[16:17], s[40:41], 3
	s_add_u32 s16, s56, s16
	s_waitcnt lgkmcnt(0)
	v_mul_f64 v[30:31], s[22:23], v[30:31]
	s_addc_u32 s17, s57, s17
	global_store_dwordx2 v28, v[30:31], s[16:17]
	s_branch .LBB70_8
.LBB70_54:
	s_mov_b32 s35, 0
                                        ; implicit-def: $vgpr2_vgpr3_vgpr4_vgpr5_vgpr6_vgpr7_vgpr8_vgpr9
.LBB70_55:
	s_cmp_ge_i32 s35, s29
	s_cbranch_scc1 .LBB70_79
; %bb.56:
	v_mbcnt_hi_u32_b32 v16, -1, v40
	v_and_b32_e32 v17, 63, v16
	v_cmp_gt_u32_e32 vcc, 32, v17
	s_mov_b32 s3, 0
	s_cmp_gt_i32 s33, 0
	v_cndmask_b32_e64 v18, 0, 1, vcc
	v_lshlrev_b32_e32 v18, 5, v18
	v_cmp_gt_u32_e32 vcc, 48, v17
	v_add_lshl_u32 v29, v18, v16, 2
	s_cselect_b64 s[40:41], -1, 0
	v_cndmask_b32_e64 v18, 0, 1, vcc
	v_lshlrev_b32_e32 v18, 4, v18
	v_cmp_gt_u32_e32 vcc, 56, v17
	s_waitcnt lgkmcnt(0)
	v_add_lshl_u32 v30, v18, v16, 2
	s_lshl_b64 s[14:15], s[2:3], 3
	v_cndmask_b32_e64 v18, 0, 1, vcc
	v_lshlrev_b32_e32 v18, 3, v18
	v_cmp_gt_u32_e32 vcc, 60, v17
	v_add_lshl_u32 v31, v18, v16, 2
	s_add_u32 s2, s56, s14
	v_cndmask_b32_e64 v18, 0, 1, vcc
	v_lshlrev_b32_e32 v18, 2, v18
	v_cmp_gt_u32_e32 vcc, 62, v17
	v_add_lshl_u32 v32, v18, v16, 2
	v_cmp_ge_i32_e64 s[0:1], s28, v41
	v_cndmask_b32_e64 v18, 0, 1, vcc
	v_lshlrev_b32_e32 v18, 1, v18
	v_cmp_ge_i32_e64 s[4:5], s28, v42
	v_add_lshl_u32 v33, v18, v16, 2
	s_addc_u32 s28, s57, s15
	v_add_u32_e32 v18, s31, v12
	v_cmp_ne_u32_e32 vcc, 63, v17
	v_add_u32_e32 v20, s31, v18
	s_add_u32 s14, s38, s26
	v_addc_co_u32_e32 v16, vcc, 0, v16, vcc
	v_ashrrev_i32_e32 v19, 31, v18
	v_ashrrev_i32_e32 v21, 31, v20
	s_addc_u32 s15, s39, s27
	v_lshlrev_b32_e32 v34, 2, v16
	v_lshl_add_u64 v[16:17], v[18:19], 3, s[36:37]
	v_lshl_add_u64 v[18:19], v[20:21], 3, s[36:37]
	v_add_u32_e32 v20, s31, v20
	s_add_u32 s14, s24, s14
	v_and_b32_e32 v35, 24, v13
	v_ashrrev_i32_e32 v13, 31, v12
	v_ashrrev_i32_e32 v21, 31, v20
	s_addc_u32 s15, s25, s15
	v_cmp_gt_u32_e64 s[6:7], 64, v0
	v_lshlrev_b32_e32 v28, 3, v1
	v_cmp_eq_u32_e64 s[8:9], 0, v1
	v_cmp_gt_u32_e64 s[10:11], 4, v0
	v_cmp_eq_u32_e64 s[12:13], 0, v0
	v_lshl_add_u64 v[0:1], v[12:13], 3, s[36:37]
	v_lshl_add_u64 v[20:21], v[20:21], 3, s[36:37]
	v_lshl_add_u64 v[14:15], v[14:15], 3, s[14:15]
	s_mul_i32 s24, s35, s34
	v_mov_b32_e32 v22, 0
	s_branch .LBB70_58
.LBB70_57:                              ;   in Loop: Header=BB70_58 Depth=1
	s_or_b64 exec, exec, s[14:15]
	s_add_i32 s35, s35, 1
	s_add_i32 s24, s24, s34
	s_cmp_ge_i32 s35, s29
	s_cbranch_scc1 .LBB70_79
.LBB70_58:                              ; =>This Loop Header: Depth=1
                                        ;     Child Loop BB70_71 Depth 2
                                        ;     Child Loop BB70_74 Depth 2
	s_waitcnt lgkmcnt(0)
	v_mov_b32_e32 v24, s3
	v_mov_b32_e32 v25, s3
	s_and_saveexec_b64 s[14:15], s[0:1]
	s_xor_b64 s[14:15], exec, s[14:15]
	s_cbranch_execnz .LBB70_67
; %bb.59:                               ;   in Loop: Header=BB70_58 Depth=1
	s_andn2_saveexec_b64 s[26:27], s[14:15]
	s_cbranch_execnz .LBB70_68
.LBB70_60:                              ;   in Loop: Header=BB70_58 Depth=1
	s_or_b64 exec, exec, s[26:27]
	s_and_saveexec_b64 s[14:15], s[6:7]
	s_cbranch_execz .LBB70_62
.LBB70_61:                              ;   in Loop: Header=BB70_58 Depth=1
	v_mov_b32_e32 v23, v22
	ds_write_b64 v28, v[22:23]
.LBB70_62:                              ;   in Loop: Header=BB70_58 Depth=1
	s_or_b64 exec, exec, s[14:15]
	ds_bpermute_b32 v26, v29, v24
	ds_bpermute_b32 v27, v29, v25
	s_waitcnt lgkmcnt(0)
	s_barrier
	v_add_f64 v[24:25], v[24:25], v[26:27]
	ds_bpermute_b32 v26, v30, v24
	ds_bpermute_b32 v27, v30, v25
	s_waitcnt lgkmcnt(0)
	v_add_f64 v[24:25], v[24:25], v[26:27]
	ds_bpermute_b32 v26, v31, v24
	ds_bpermute_b32 v27, v31, v25
	s_waitcnt lgkmcnt(0)
	;; [unrolled: 4-line block ×4, first 2 shown]
	v_add_f64 v[24:25], v[24:25], v[26:27]
	ds_bpermute_b32 v26, v34, v24
	ds_bpermute_b32 v27, v34, v25
	s_and_saveexec_b64 s[14:15], s[8:9]
	s_cbranch_execz .LBB70_64
; %bb.63:                               ;   in Loop: Header=BB70_58 Depth=1
	s_waitcnt lgkmcnt(0)
	v_add_f64 v[24:25], v[24:25], v[26:27]
	ds_write_b64 v35, v[24:25]
.LBB70_64:                              ;   in Loop: Header=BB70_58 Depth=1
	s_or_b64 exec, exec, s[14:15]
	v_mov_b64_e32 v[24:25], 0
	s_waitcnt lgkmcnt(0)
	s_barrier
	s_and_saveexec_b64 s[14:15], s[10:11]
	s_cbranch_execnz .LBB70_76
; %bb.65:                               ;   in Loop: Header=BB70_58 Depth=1
	s_or_b64 exec, exec, s[14:15]
	s_and_saveexec_b64 s[14:15], s[6:7]
	s_cbranch_execnz .LBB70_77
.LBB70_66:                              ;   in Loop: Header=BB70_58 Depth=1
	s_or_b64 exec, exec, s[14:15]
	s_and_saveexec_b64 s[14:15], s[12:13]
	s_cbranch_execz .LBB70_57
	s_branch .LBB70_78
.LBB70_67:                              ;   in Loop: Header=BB70_58 Depth=1
	s_mul_i32 s16, s35, s34
	s_ashr_i32 s17, s16, 31
	v_lshl_add_u64 v[40:41], s[16:17], 3, v[10:11]
	global_load_dwordx4 v[36:39], v[40:41], off offset:16
	global_load_dwordx4 v[24:27], v[40:41], off
	global_load_dwordx2 v[2:3], v[0:1], off
	global_load_dwordx2 v[4:5], v[16:17], off
	;; [unrolled: 1-line block ×4, first 2 shown]
	s_waitcnt vmcnt(3)
	v_fma_f64 v[24:25], v[2:3], v[24:25], 0
	s_waitcnt vmcnt(2)
	v_fmac_f64_e32 v[24:25], v[4:5], v[26:27]
	s_waitcnt vmcnt(1)
	v_fmac_f64_e32 v[24:25], v[6:7], v[36:37]
	;; [unrolled: 2-line block ×3, first 2 shown]
	s_andn2_saveexec_b64 s[26:27], s[14:15]
	s_cbranch_execz .LBB70_60
.LBB70_68:                              ;   in Loop: Header=BB70_58 Depth=1
	s_and_saveexec_b64 s[38:39], s[4:5]
	s_cbranch_execz .LBB70_75
; %bb.69:                               ;   in Loop: Header=BB70_58 Depth=1
	v_cndmask_b32_e64 v13, 0, 1, s[40:41]
	v_cmp_ne_u32_e64 s[14:15], 1, v13
	s_andn2_b64 vcc, exec, s[40:41]
	s_cbranch_vccnz .LBB70_72
; %bb.70:                               ;   in Loop: Header=BB70_58 Depth=1
	s_mov_b64 s[42:43], 0
	v_mov_b32_e32 v26, v12
.LBB70_71:                              ;   Parent Loop BB70_58 Depth=1
                                        ; =>  This Inner Loop Header: Depth=2
	v_ashrrev_i32_e32 v27, 31, v26
	v_lshl_add_u64 v[36:37], v[26:27], 3, s[36:37]
	global_load_dwordx2 v[36:37], v[36:37], off
	s_cmp_eq_u32 s42, 3
	s_cselect_b64 vcc, -1, 0
	s_cmp_eq_u32 s42, 2
	s_cselect_b64 s[16:17], -1, 0
	s_cmp_eq_u32 s42, 1
	s_cselect_b64 s[18:19], -1, 0
	;; [unrolled: 2-line block ×3, first 2 shown]
	s_add_u32 s42, s42, 1
	s_addc_u32 s43, s43, 0
	v_add_u32_e32 v26, s31, v26
	s_cmp_eq_u32 s33, s42
	s_waitcnt vmcnt(0)
	v_cndmask_b32_e32 v9, v9, v37, vcc
	v_cndmask_b32_e32 v8, v8, v36, vcc
	v_cndmask_b32_e64 v7, v7, v37, s[16:17]
	v_cndmask_b32_e64 v6, v6, v36, s[16:17]
	;; [unrolled: 1-line block ×6, first 2 shown]
	s_cbranch_scc0 .LBB70_71
.LBB70_72:                              ;   in Loop: Header=BB70_58 Depth=1
	s_and_b64 vcc, exec, s[14:15]
	s_cbranch_vccnz .LBB70_75
; %bb.73:                               ;   in Loop: Header=BB70_58 Depth=1
	s_ashr_i32 s25, s24, 31
	v_lshl_add_u64 v[26:27], s[24:25], 3, v[14:15]
	s_mov_b64 s[16:17], 0
.LBB70_74:                              ;   Parent Loop BB70_58 Depth=1
                                        ; =>  This Inner Loop Header: Depth=2
	global_load_dwordx2 v[36:37], v[26:27], off
	s_cmp_eq_u32 s16, 1
	s_cselect_b64 vcc, -1, 0
	s_cmp_eq_u32 s16, 2
	v_cndmask_b32_e32 v13, v3, v5, vcc
	s_cselect_b64 s[14:15], -1, 0
	s_cmp_eq_u32 s16, 3
	v_cndmask_b32_e64 v13, v13, v7, s[14:15]
	v_cndmask_b32_e32 v23, v2, v4, vcc
	s_cselect_b64 vcc, -1, 0
	v_cndmask_b32_e32 v39, v13, v9, vcc
	v_cndmask_b32_e64 v13, v23, v6, s[14:15]
	s_add_u32 s16, s16, 1
	v_cndmask_b32_e32 v38, v13, v8, vcc
	s_addc_u32 s17, s17, 0
	v_lshl_add_u64 v[26:27], v[26:27], 0, 8
	s_cmp_lg_u32 s33, s16
	s_waitcnt vmcnt(0)
	v_fmac_f64_e32 v[24:25], v[38:39], v[36:37]
	s_cbranch_scc1 .LBB70_74
.LBB70_75:                              ;   in Loop: Header=BB70_58 Depth=1
	s_or_b64 exec, exec, s[38:39]
	s_or_b64 exec, exec, s[26:27]
	s_and_saveexec_b64 s[14:15], s[6:7]
	s_cbranch_execnz .LBB70_61
	s_branch .LBB70_62
.LBB70_76:                              ;   in Loop: Header=BB70_58 Depth=1
	ds_read_b64 v[24:25], v28
	s_or_b64 exec, exec, s[14:15]
	s_and_saveexec_b64 s[14:15], s[6:7]
	s_cbranch_execz .LBB70_66
.LBB70_77:                              ;   in Loop: Header=BB70_58 Depth=1
	s_waitcnt lgkmcnt(0)
	ds_bpermute_b32 v26, v33, v24
	ds_bpermute_b32 v27, v33, v25
	s_waitcnt lgkmcnt(0)
	v_add_f64 v[24:25], v[24:25], v[26:27]
	ds_bpermute_b32 v26, v34, v24
	ds_bpermute_b32 v27, v34, v25
	s_waitcnt lgkmcnt(0)
	v_add_f64 v[24:25], v[24:25], v[26:27]
	s_or_b64 exec, exec, s[14:15]
	s_and_saveexec_b64 s[14:15], s[12:13]
	s_cbranch_execz .LBB70_57
.LBB70_78:                              ;   in Loop: Header=BB70_58 Depth=1
	s_mul_hi_u32 s17, s35, s30
	s_mul_i32 s16, s35, s30
	s_lshl_b64 s[16:17], s[16:17], 3
	s_add_u32 s16, s2, s16
	s_waitcnt lgkmcnt(0)
	v_mul_f64 v[24:25], s[22:23], v[24:25]
	s_addc_u32 s17, s28, s17
	global_store_dwordx2 v22, v[24:25], s[16:17]
	s_branch .LBB70_57
.LBB70_79:
	s_endpgm
	.section	.rodata,"a",@progbits
	.p2align	6, 0x0
	.amdhsa_kernel _ZL23rocblas_gemvt_sn_kernelILb0ELi256ELi4EidPKddEviiT4_lPKT3_lilS5_lilPT5_i
		.amdhsa_group_segment_fixed_size 512
		.amdhsa_private_segment_fixed_size 0
		.amdhsa_kernarg_size 360
		.amdhsa_user_sgpr_count 2
		.amdhsa_user_sgpr_dispatch_ptr 0
		.amdhsa_user_sgpr_queue_ptr 0
		.amdhsa_user_sgpr_kernarg_segment_ptr 1
		.amdhsa_user_sgpr_dispatch_id 0
		.amdhsa_user_sgpr_kernarg_preload_length 0
		.amdhsa_user_sgpr_kernarg_preload_offset 0
		.amdhsa_user_sgpr_private_segment_size 0
		.amdhsa_uses_dynamic_stack 0
		.amdhsa_enable_private_segment 0
		.amdhsa_system_sgpr_workgroup_id_x 1
		.amdhsa_system_sgpr_workgroup_id_y 0
		.amdhsa_system_sgpr_workgroup_id_z 1
		.amdhsa_system_sgpr_workgroup_info 0
		.amdhsa_system_vgpr_workitem_id 0
		.amdhsa_next_free_vgpr 80
		.amdhsa_next_free_sgpr 64
		.amdhsa_accum_offset 80
		.amdhsa_reserve_vcc 1
		.amdhsa_float_round_mode_32 0
		.amdhsa_float_round_mode_16_64 0
		.amdhsa_float_denorm_mode_32 3
		.amdhsa_float_denorm_mode_16_64 3
		.amdhsa_dx10_clamp 1
		.amdhsa_ieee_mode 1
		.amdhsa_fp16_overflow 0
		.amdhsa_tg_split 0
		.amdhsa_exception_fp_ieee_invalid_op 0
		.amdhsa_exception_fp_denorm_src 0
		.amdhsa_exception_fp_ieee_div_zero 0
		.amdhsa_exception_fp_ieee_overflow 0
		.amdhsa_exception_fp_ieee_underflow 0
		.amdhsa_exception_fp_ieee_inexact 0
		.amdhsa_exception_int_div_zero 0
	.end_amdhsa_kernel
	.section	.text._ZL23rocblas_gemvt_sn_kernelILb0ELi256ELi4EidPKddEviiT4_lPKT3_lilS5_lilPT5_i,"axG",@progbits,_ZL23rocblas_gemvt_sn_kernelILb0ELi256ELi4EidPKddEviiT4_lPKT3_lilS5_lilPT5_i,comdat
.Lfunc_end70:
	.size	_ZL23rocblas_gemvt_sn_kernelILb0ELi256ELi4EidPKddEviiT4_lPKT3_lilS5_lilPT5_i, .Lfunc_end70-_ZL23rocblas_gemvt_sn_kernelILb0ELi256ELi4EidPKddEviiT4_lPKT3_lilS5_lilPT5_i
                                        ; -- End function
	.section	.AMDGPU.csdata,"",@progbits
; Kernel info:
; codeLenInByte = 4392
; NumSgprs: 70
; NumVgprs: 80
; NumAgprs: 0
; TotalNumVgprs: 80
; ScratchSize: 0
; MemoryBound: 1
; FloatMode: 240
; IeeeMode: 1
; LDSByteSize: 512 bytes/workgroup (compile time only)
; SGPRBlocks: 8
; VGPRBlocks: 9
; NumSGPRsForWavesPerEU: 70
; NumVGPRsForWavesPerEU: 80
; AccumOffset: 80
; Occupancy: 6
; WaveLimiterHint : 1
; COMPUTE_PGM_RSRC2:SCRATCH_EN: 0
; COMPUTE_PGM_RSRC2:USER_SGPR: 2
; COMPUTE_PGM_RSRC2:TRAP_HANDLER: 0
; COMPUTE_PGM_RSRC2:TGID_X_EN: 1
; COMPUTE_PGM_RSRC2:TGID_Y_EN: 0
; COMPUTE_PGM_RSRC2:TGID_Z_EN: 1
; COMPUTE_PGM_RSRC2:TIDIG_COMP_CNT: 0
; COMPUTE_PGM_RSRC3_GFX90A:ACCUM_OFFSET: 19
; COMPUTE_PGM_RSRC3_GFX90A:TG_SPLIT: 0
	.section	.text._ZL23rocblas_gemvt_sn_kernelILb0ELi256ELi4EldPKddEviiT4_lPKT3_lilS5_lilPT5_i,"axG",@progbits,_ZL23rocblas_gemvt_sn_kernelILb0ELi256ELi4EldPKddEviiT4_lPKT3_lilS5_lilPT5_i,comdat
	.globl	_ZL23rocblas_gemvt_sn_kernelILb0ELi256ELi4EldPKddEviiT4_lPKT3_lilS5_lilPT5_i ; -- Begin function _ZL23rocblas_gemvt_sn_kernelILb0ELi256ELi4EldPKddEviiT4_lPKT3_lilS5_lilPT5_i
	.p2align	8
	.type	_ZL23rocblas_gemvt_sn_kernelILb0ELi256ELi4EldPKddEviiT4_lPKT3_lilS5_lilPT5_i,@function
_ZL23rocblas_gemvt_sn_kernelILb0ELi256ELi4EldPKddEviiT4_lPKT3_lilS5_lilPT5_i: ; @_ZL23rocblas_gemvt_sn_kernelILb0ELi256ELi4EldPKddEviiT4_lPKT3_lilS5_lilPT5_i
; %bb.0:
	s_load_dwordx8 s[20:27], s[0:1], 0x8
	s_load_dwordx2 s[28:29], s[0:1], 0x0
	s_mov_b32 s31, 0
	s_waitcnt lgkmcnt(0)
	s_mul_i32 s4, s3, s23
	s_mul_hi_u32 s5, s3, s22
	s_add_i32 s5, s5, s4
	s_mul_i32 s4, s3, s22
	s_lshl_b64 s[4:5], s[4:5], 3
	s_add_u32 s4, s20, s4
	s_addc_u32 s5, s21, s5
	s_load_dwordx2 s[34:35], s[4:5], 0x0
	s_load_dwordx4 s[8:11], s[0:1], 0x50
	s_load_dword s30, s[0:1], 0x68
	s_ashr_i32 s12, s29, 31
	s_mul_hi_u32 s4, s29, s3
	s_mul_i32 s5, s12, s3
	s_add_i32 s4, s4, s5
	s_mul_i32 s6, s29, s3
	s_waitcnt lgkmcnt(0)
	s_mul_i32 s4, s4, s30
	s_mul_hi_u32 s5, s6, s30
	s_add_i32 s5, s5, s4
	s_mul_i32 s4, s6, s30
	s_lshl_b64 s[4:5], s[4:5], 3
	s_add_u32 s33, s10, s4
	s_addc_u32 s66, s11, s5
	v_cmp_neq_f64_e64 s[4:5], s[34:35], 0
	s_and_b64 vcc, exec, s[4:5]
	v_cmp_eq_u32_e64 s[4:5], 0, v0
	s_cbranch_vccnz .LBB71_5
; %bb.1:
	s_cmp_gt_i32 s29, 0
	s_cselect_b64 s[6:7], -1, 0
	s_and_b64 s[6:7], s[4:5], s[6:7]
	s_and_saveexec_b64 s[4:5], s[6:7]
	s_cbranch_execz .LBB71_4
; %bb.2:
	s_mov_b32 s6, s3
	s_mov_b32 s3, 0
	s_lshl_b64 s[10:11], s[2:3], 3
	s_mov_b32 s3, s6
	s_add_u32 s6, s33, s10
	v_mov_b32_e32 v2, 0
	s_addc_u32 s7, s66, s11
	s_lshl_b64 s[10:11], s[30:31], 3
	v_mov_b32_e32 v3, v2
	s_mov_b32 s13, s29
.LBB71_3:                               ; =>This Inner Loop Header: Depth=1
	s_add_i32 s13, s13, -1
	global_store_dwordx2 v2, v[2:3], s[6:7]
	s_add_u32 s6, s6, s10
	s_addc_u32 s7, s7, s11
	s_cmp_eq_u32 s13, 0
	s_cbranch_scc0 .LBB71_3
.LBB71_4:
	s_or_b64 exec, exec, s[4:5]
	s_cbranch_execz .LBB71_6
	s_branch .LBB71_79
.LBB71_5:
.LBB71_6:
	s_load_dword s36, s[0:1], 0x28
	s_load_dword s38, s[0:1], 0x48
	s_load_dwordx2 s[4:5], s[0:1], 0x40
	s_load_dwordx4 s[20:23], s[0:1], 0x30
	s_mul_i32 s0, s3, s9
	s_mul_hi_u32 s1, s3, s8
	s_add_i32 s1, s1, s0
	s_mul_i32 s0, s3, s8
	s_waitcnt lgkmcnt(0)
	s_ashr_i32 s37, s36, 31
	s_ashr_i32 s39, s38, 31
	s_lshl_b64 s[40:41], s[0:1], 3
	s_add_u32 s0, s22, s40
	s_addc_u32 s1, s23, s41
	s_lshl_b64 s[44:45], s[4:5], 3
	s_add_u32 s46, s0, s44
	s_addc_u32 s47, s1, s45
	s_mul_i32 s0, s3, s21
	s_mul_hi_u32 s1, s3, s20
	s_add_i32 s1, s1, s0
	s_mul_i32 s0, s3, s20
	s_lshl_b64 s[42:43], s[0:1], 3
	s_add_u32 s0, s24, s42
	s_addc_u32 s1, s25, s43
	s_lshl_b64 s[26:27], s[26:27], 3
	s_add_u32 s0, s0, s26
	s_addc_u32 s1, s1, s27
	s_lshl_b32 s3, s2, 10
	v_lshl_or_b32 v12, v0, 2, s3
	v_ashrrev_i32_e32 v13, 31, v12
	v_lshl_add_u64 v[10:11], v[12:13], 3, s[0:1]
	s_lshr_b32 s0, s12, 30
	s_add_i32 s0, s29, s0
	s_and_b32 s67, s0, -4
	s_ashr_i32 s0, s28, 31
	s_lshr_b32 s0, s0, 30
	s_add_i32 s0, s28, s0
	s_and_b32 s0, s0, -4
	s_sub_i32 s31, s28, s0
	s_cmp_lt_i32 s67, 1
	v_add_u32_e32 v43, 4, v12
	v_add_u32_e32 v44, s31, v12
	v_and_b32_e32 v1, 63, v0
	v_cmp_gt_u32_e64 s[0:1], 64, v0
	v_mbcnt_lo_u32_b32 v42, -1, 0
	v_cmp_gt_u32_e64 s[4:5], 4, v0
	v_lshrrev_b32_e32 v41, 3, v0
	v_or_b32_e32 v40, 1, v12
	v_or_b32_e32 v39, 2, v12
	;; [unrolled: 1-line block ×3, first 2 shown]
	s_cbranch_scc1 .LBB71_54
; %bb.7:
	v_mbcnt_hi_u32_b32 v2, -1, v42
	v_and_b32_e32 v3, 63, v2
	v_cmp_gt_u32_e32 vcc, 32, v3
	s_mov_b32 s3, 0
	s_cmp_gt_i32 s31, 0
	v_cndmask_b32_e64 v4, 0, 1, vcc
	v_lshlrev_b32_e32 v4, 5, v4
	v_cmp_gt_u32_e32 vcc, 48, v3
	v_add_lshl_u32 v45, v4, v2, 2
	s_cselect_b64 s[48:49], -1, 0
	v_cndmask_b32_e64 v4, 0, 1, vcc
	v_lshlrev_b32_e32 v4, 4, v4
	v_cmp_gt_u32_e32 vcc, 56, v3
	v_add_lshl_u32 v46, v4, v2, 2
	s_lshl_b64 s[14:15], s[2:3], 3
	v_cndmask_b32_e64 v4, 0, 1, vcc
	v_lshlrev_b32_e32 v4, 3, v4
	v_cmp_gt_u32_e32 vcc, 60, v3
	v_add_lshl_u32 v47, v4, v2, 2
	s_add_u32 s68, s33, s14
	v_cndmask_b32_e64 v4, 0, 1, vcc
	v_lshlrev_b32_e32 v4, 2, v4
	v_cmp_gt_u32_e32 vcc, 62, v3
	v_add_lshl_u32 v48, v4, v2, 2
	s_addc_u32 s69, s66, s15
	v_cndmask_b32_e64 v4, 0, 1, vcc
	v_lshlrev_b32_e32 v4, 1, v4
	v_add_lshl_u32 v49, v4, v2, 2
	v_cmp_ne_u32_e32 vcc, 63, v3
	v_mad_i64_i32 v[4:5], s[14:15], s38, v40, 0
	s_nop 0
	v_addc_co_u32_e32 v2, vcc, 0, v2, vcc
	v_lshl_add_u64 v[16:17], v[4:5], 3, s[46:47]
	v_mad_i64_i32 v[4:5], s[14:15], s38, v39, 0
	v_lshlrev_b32_e32 v50, 2, v2
	v_mad_i64_i32 v[2:3], s[14:15], s38, v12, 0
	v_lshl_add_u64 v[18:19], v[4:5], 3, s[46:47]
	v_mad_i64_i32 v[4:5], s[14:15], s38, v38, 0
	s_add_u32 s14, s22, s44
	s_addc_u32 s15, s23, s45
	s_add_u32 s14, s14, s40
	v_lshlrev_b64 v[2:3], 3, v[2:3]
	s_addc_u32 s15, s15, s41
	v_cmp_ge_i32_e64 s[6:7], s28, v43
	v_cmp_ge_i32_e64 s[8:9], s28, v44
	v_cmp_eq_u32_e64 s[10:11], 0, v1
	v_lshlrev_b32_e32 v51, 3, v1
	v_and_b32_e32 v52, 24, v41
	v_cmp_eq_u32_e64 s[12:13], 0, v0
	v_lshl_add_u64 v[14:15], s[46:47], 0, v[2:3]
	v_lshl_add_u64 v[20:21], v[4:5], 3, s[46:47]
	;; [unrolled: 1-line block ×3, first 2 shown]
	s_lshl_b64 s[50:51], s[38:39], 3
	s_lshl_b64 s[52:53], s[36:37], 5
	;; [unrolled: 1-line block ×4, first 2 shown]
	s_mul_hi_i32 s59, s36, 24
	s_mul_i32 s58, s36, 24
	v_mov_b32_e32 v24, 0
	v_mov_b64_e32 v[26:27], v[10:11]
                                        ; implicit-def: $vgpr2_vgpr3_vgpr4_vgpr5_vgpr6_vgpr7_vgpr8_vgpr9
	s_branch .LBB71_9
.LBB71_8:                               ;   in Loop: Header=BB71_9 Depth=1
	s_or_b64 exec, exec, s[14:15]
	s_add_i32 s3, s3, 4
	s_cmp_ge_i32 s3, s67
	v_lshl_add_u64 v[26:27], v[26:27], 0, s[52:53]
	s_cbranch_scc1 .LBB71_55
.LBB71_9:                               ; =>This Loop Header: Depth=1
                                        ;     Child Loop BB71_40 Depth 2
                                        ;     Child Loop BB71_43 Depth 2
                                        ; implicit-def: $vgpr28_vgpr29
                                        ; implicit-def: $vgpr30_vgpr31
                                        ; implicit-def: $vgpr34_vgpr35
                                        ; implicit-def: $vgpr32_vgpr33
	s_and_saveexec_b64 s[14:15], s[6:7]
	s_xor_b64 s[14:15], exec, s[14:15]
	s_cbranch_execnz .LBB71_36
; %bb.10:                               ;   in Loop: Header=BB71_9 Depth=1
	s_andn2_saveexec_b64 s[60:61], s[14:15]
	s_cbranch_execnz .LBB71_37
.LBB71_11:                              ;   in Loop: Header=BB71_9 Depth=1
	s_or_b64 exec, exec, s[60:61]
	s_and_saveexec_b64 s[14:15], s[0:1]
	s_cbranch_execz .LBB71_13
.LBB71_12:                              ;   in Loop: Header=BB71_9 Depth=1
	v_mov_b32_e32 v25, v24
	ds_write_b64 v51, v[24:25]
.LBB71_13:                              ;   in Loop: Header=BB71_9 Depth=1
	s_or_b64 exec, exec, s[14:15]
	ds_bpermute_b32 v36, v45, v32
	ds_bpermute_b32 v37, v45, v33
	s_waitcnt lgkmcnt(0)
	s_barrier
	v_add_f64 v[32:33], v[32:33], v[36:37]
	ds_bpermute_b32 v36, v46, v32
	ds_bpermute_b32 v37, v46, v33
	s_waitcnt lgkmcnt(0)
	v_add_f64 v[32:33], v[32:33], v[36:37]
	ds_bpermute_b32 v36, v47, v32
	ds_bpermute_b32 v37, v47, v33
	s_waitcnt lgkmcnt(0)
	;; [unrolled: 4-line block ×4, first 2 shown]
	v_add_f64 v[32:33], v[32:33], v[36:37]
	ds_bpermute_b32 v36, v50, v32
	ds_bpermute_b32 v37, v50, v33
	s_and_saveexec_b64 s[14:15], s[10:11]
	s_cbranch_execz .LBB71_15
; %bb.14:                               ;   in Loop: Header=BB71_9 Depth=1
	s_waitcnt lgkmcnt(0)
	v_add_f64 v[32:33], v[32:33], v[36:37]
	ds_write_b64 v52, v[32:33]
.LBB71_15:                              ;   in Loop: Header=BB71_9 Depth=1
	s_or_b64 exec, exec, s[14:15]
	v_mov_b64_e32 v[32:33], 0
	s_waitcnt lgkmcnt(0)
	s_barrier
	s_and_saveexec_b64 s[14:15], s[4:5]
	s_cbranch_execnz .LBB71_45
; %bb.16:                               ;   in Loop: Header=BB71_9 Depth=1
	s_or_b64 exec, exec, s[14:15]
	s_and_saveexec_b64 s[14:15], s[0:1]
	s_cbranch_execnz .LBB71_46
.LBB71_17:                              ;   in Loop: Header=BB71_9 Depth=1
	s_or_b64 exec, exec, s[14:15]
	s_and_saveexec_b64 s[14:15], s[0:1]
	s_cbranch_execz .LBB71_19
.LBB71_18:                              ;   in Loop: Header=BB71_9 Depth=1
	v_mov_b32_e32 v25, v24
	ds_write_b64 v51, v[24:25]
.LBB71_19:                              ;   in Loop: Header=BB71_9 Depth=1
	s_or_b64 exec, exec, s[14:15]
	ds_bpermute_b32 v36, v45, v34
	ds_bpermute_b32 v37, v45, v35
	s_waitcnt lgkmcnt(0)
	s_barrier
	v_add_f64 v[34:35], v[34:35], v[36:37]
	ds_bpermute_b32 v36, v46, v34
	ds_bpermute_b32 v37, v46, v35
	s_waitcnt lgkmcnt(0)
	v_add_f64 v[34:35], v[34:35], v[36:37]
	ds_bpermute_b32 v36, v47, v34
	ds_bpermute_b32 v37, v47, v35
	s_waitcnt lgkmcnt(0)
	;; [unrolled: 4-line block ×4, first 2 shown]
	v_add_f64 v[34:35], v[34:35], v[36:37]
	ds_bpermute_b32 v36, v50, v34
	ds_bpermute_b32 v37, v50, v35
	s_and_saveexec_b64 s[14:15], s[10:11]
	s_cbranch_execz .LBB71_21
; %bb.20:                               ;   in Loop: Header=BB71_9 Depth=1
	s_waitcnt lgkmcnt(0)
	v_add_f64 v[34:35], v[34:35], v[36:37]
	ds_write_b64 v52, v[34:35]
.LBB71_21:                              ;   in Loop: Header=BB71_9 Depth=1
	s_or_b64 exec, exec, s[14:15]
	v_mov_b64_e32 v[34:35], 0
	s_waitcnt lgkmcnt(0)
	s_barrier
	s_and_saveexec_b64 s[14:15], s[4:5]
	s_cbranch_execnz .LBB71_47
; %bb.22:                               ;   in Loop: Header=BB71_9 Depth=1
	s_or_b64 exec, exec, s[14:15]
	s_and_saveexec_b64 s[14:15], s[0:1]
	s_cbranch_execnz .LBB71_48
.LBB71_23:                              ;   in Loop: Header=BB71_9 Depth=1
	s_or_b64 exec, exec, s[14:15]
	s_and_saveexec_b64 s[14:15], s[0:1]
	s_cbranch_execz .LBB71_25
.LBB71_24:                              ;   in Loop: Header=BB71_9 Depth=1
	v_mov_b32_e32 v25, v24
	ds_write_b64 v51, v[24:25]
.LBB71_25:                              ;   in Loop: Header=BB71_9 Depth=1
	s_or_b64 exec, exec, s[14:15]
	ds_bpermute_b32 v36, v45, v30
	ds_bpermute_b32 v37, v45, v31
	s_waitcnt lgkmcnt(0)
	s_barrier
	v_add_f64 v[30:31], v[30:31], v[36:37]
	ds_bpermute_b32 v36, v46, v30
	ds_bpermute_b32 v37, v46, v31
	s_waitcnt lgkmcnt(0)
	v_add_f64 v[30:31], v[30:31], v[36:37]
	ds_bpermute_b32 v36, v47, v30
	ds_bpermute_b32 v37, v47, v31
	s_waitcnt lgkmcnt(0)
	;; [unrolled: 4-line block ×4, first 2 shown]
	v_add_f64 v[30:31], v[30:31], v[36:37]
	ds_bpermute_b32 v36, v50, v30
	ds_bpermute_b32 v37, v50, v31
	s_and_saveexec_b64 s[14:15], s[10:11]
	s_cbranch_execz .LBB71_27
; %bb.26:                               ;   in Loop: Header=BB71_9 Depth=1
	s_waitcnt lgkmcnt(0)
	v_add_f64 v[30:31], v[30:31], v[36:37]
	ds_write_b64 v52, v[30:31]
.LBB71_27:                              ;   in Loop: Header=BB71_9 Depth=1
	s_or_b64 exec, exec, s[14:15]
	v_mov_b64_e32 v[30:31], 0
	s_waitcnt lgkmcnt(0)
	s_barrier
	s_and_saveexec_b64 s[14:15], s[4:5]
	s_cbranch_execnz .LBB71_49
; %bb.28:                               ;   in Loop: Header=BB71_9 Depth=1
	s_or_b64 exec, exec, s[14:15]
	s_and_saveexec_b64 s[14:15], s[0:1]
	s_cbranch_execnz .LBB71_50
.LBB71_29:                              ;   in Loop: Header=BB71_9 Depth=1
	s_or_b64 exec, exec, s[14:15]
	s_and_saveexec_b64 s[14:15], s[0:1]
	s_cbranch_execz .LBB71_31
.LBB71_30:                              ;   in Loop: Header=BB71_9 Depth=1
	v_mov_b32_e32 v25, v24
	ds_write_b64 v51, v[24:25]
.LBB71_31:                              ;   in Loop: Header=BB71_9 Depth=1
	s_or_b64 exec, exec, s[14:15]
	ds_bpermute_b32 v36, v45, v28
	ds_bpermute_b32 v37, v45, v29
	s_waitcnt lgkmcnt(0)
	s_barrier
	v_add_f64 v[28:29], v[28:29], v[36:37]
	ds_bpermute_b32 v36, v46, v28
	ds_bpermute_b32 v37, v46, v29
	s_waitcnt lgkmcnt(0)
	v_add_f64 v[28:29], v[28:29], v[36:37]
	ds_bpermute_b32 v36, v47, v28
	ds_bpermute_b32 v37, v47, v29
	s_waitcnt lgkmcnt(0)
	v_add_f64 v[28:29], v[28:29], v[36:37]
	ds_bpermute_b32 v36, v48, v28
	ds_bpermute_b32 v37, v48, v29
	s_waitcnt lgkmcnt(0)
	v_add_f64 v[28:29], v[28:29], v[36:37]
	ds_bpermute_b32 v36, v49, v28
	ds_bpermute_b32 v37, v49, v29
	s_waitcnt lgkmcnt(0)
	v_add_f64 v[28:29], v[28:29], v[36:37]
	ds_bpermute_b32 v36, v50, v28
	ds_bpermute_b32 v37, v50, v29
	s_and_saveexec_b64 s[14:15], s[10:11]
	s_cbranch_execz .LBB71_33
; %bb.32:                               ;   in Loop: Header=BB71_9 Depth=1
	s_waitcnt lgkmcnt(0)
	v_add_f64 v[28:29], v[28:29], v[36:37]
	ds_write_b64 v52, v[28:29]
.LBB71_33:                              ;   in Loop: Header=BB71_9 Depth=1
	s_or_b64 exec, exec, s[14:15]
	v_mov_b64_e32 v[28:29], 0
	s_waitcnt lgkmcnt(0)
	s_barrier
	s_and_saveexec_b64 s[14:15], s[4:5]
	s_cbranch_execnz .LBB71_51
; %bb.34:                               ;   in Loop: Header=BB71_9 Depth=1
	s_or_b64 exec, exec, s[14:15]
	s_and_saveexec_b64 s[14:15], s[0:1]
	s_cbranch_execnz .LBB71_52
.LBB71_35:                              ;   in Loop: Header=BB71_9 Depth=1
	s_or_b64 exec, exec, s[14:15]
	s_and_saveexec_b64 s[14:15], s[12:13]
	s_cbranch_execz .LBB71_8
	s_branch .LBB71_53
.LBB71_36:                              ;   in Loop: Header=BB71_9 Depth=1
	s_mul_i32 s16, s3, s37
	s_mul_hi_u32 s17, s3, s36
	s_add_i32 s17, s17, s16
	s_mul_i32 s16, s3, s36
	v_lshl_add_u64 v[6:7], s[16:17], 3, v[10:11]
	s_or_b32 s16, s3, 1
	s_mul_i32 s17, s16, s37
	s_mul_hi_u32 s18, s16, s36
	s_add_i32 s17, s18, s17
	s_mul_i32 s16, s16, s36
	v_lshl_add_u64 v[8:9], s[16:17], 3, v[10:11]
	s_or_b32 s16, s3, 2
	s_mul_i32 s17, s16, s37
	s_mul_hi_u32 s18, s16, s36
	s_add_i32 s17, s18, s17
	s_mul_i32 s16, s16, s36
	s_waitcnt lgkmcnt(0)
	v_lshl_add_u64 v[28:29], s[16:17], 3, v[10:11]
	s_or_b32 s16, s3, 3
	global_load_dwordx2 v[2:3], v[14:15], off
	global_load_dwordx4 v[34:37], v[6:7], off
	global_load_dwordx4 v[54:57], v[8:9], off
	;; [unrolled: 1-line block ×3, first 2 shown]
	s_mul_i32 s17, s16, s37
	s_mul_hi_u32 s18, s16, s36
	s_add_i32 s17, s18, s17
	s_mul_i32 s16, s16, s36
	v_lshl_add_u64 v[30:31], s[16:17], 3, v[10:11]
	global_load_dwordx4 v[62:65], v[30:31], off
	global_load_dwordx2 v[4:5], v[16:17], off
	global_load_dwordx4 v[66:69], v[6:7], off offset:16
	s_nop 0
	global_load_dwordx2 v[6:7], v[18:19], off
	global_load_dwordx4 v[70:73], v[8:9], off offset:16
	global_load_dwordx4 v[74:77], v[28:29], off offset:16
	;; [unrolled: 1-line block ×3, first 2 shown]
	s_nop 0
	global_load_dwordx2 v[8:9], v[20:21], off
	s_waitcnt vmcnt(10)
	v_fma_f64 v[32:33], v[2:3], v[34:35], 0
	s_waitcnt vmcnt(9)
	v_fma_f64 v[34:35], v[2:3], v[54:55], 0
	s_waitcnt vmcnt(8)
	v_fma_f64 v[30:31], v[2:3], v[58:59], 0
	s_waitcnt vmcnt(7)
	v_fma_f64 v[28:29], v[2:3], v[62:63], 0
	s_waitcnt vmcnt(6)
	v_fmac_f64_e32 v[32:33], v[4:5], v[36:37]
	v_fmac_f64_e32 v[34:35], v[4:5], v[56:57]
	;; [unrolled: 1-line block ×4, first 2 shown]
	s_waitcnt vmcnt(4)
	v_fmac_f64_e32 v[32:33], v[6:7], v[66:67]
	s_waitcnt vmcnt(3)
	v_fmac_f64_e32 v[34:35], v[6:7], v[70:71]
	;; [unrolled: 2-line block ×5, first 2 shown]
	v_fmac_f64_e32 v[34:35], v[8:9], v[72:73]
	v_fmac_f64_e32 v[30:31], v[8:9], v[76:77]
	;; [unrolled: 1-line block ×3, first 2 shown]
	s_andn2_saveexec_b64 s[60:61], s[14:15]
	s_cbranch_execz .LBB71_11
.LBB71_37:                              ;   in Loop: Header=BB71_9 Depth=1
	s_waitcnt lgkmcnt(0)
	v_mov_b64_e32 v[28:29], 0
	v_mov_b64_e32 v[30:31], v[28:29]
	v_mov_b64_e32 v[34:35], v[28:29]
	v_mov_b64_e32 v[32:33], v[28:29]
	s_and_saveexec_b64 s[62:63], s[8:9]
	s_cbranch_execz .LBB71_44
; %bb.38:                               ;   in Loop: Header=BB71_9 Depth=1
	v_cndmask_b32_e64 v25, 0, 1, s[48:49]
	v_cmp_ne_u32_e64 s[14:15], 1, v25
	s_andn2_b64 vcc, exec, s[48:49]
	s_cbranch_vccnz .LBB71_41
; %bb.39:                               ;   in Loop: Header=BB71_9 Depth=1
	s_mov_b64 s[64:65], 0
	v_mov_b64_e32 v[28:29], v[22:23]
.LBB71_40:                              ;   Parent Loop BB71_9 Depth=1
                                        ; =>  This Inner Loop Header: Depth=2
	global_load_dwordx2 v[30:31], v[28:29], off
	s_cmp_eq_u32 s64, 3
	s_cselect_b64 vcc, -1, 0
	s_cmp_eq_u32 s64, 2
	s_cselect_b64 s[16:17], -1, 0
	s_cmp_eq_u32 s64, 1
	s_cselect_b64 s[18:19], -1, 0
	;; [unrolled: 2-line block ×3, first 2 shown]
	s_add_u32 s64, s64, 1
	s_addc_u32 s65, s65, 0
	v_lshl_add_u64 v[28:29], v[28:29], 0, s[50:51]
	s_cmp_eq_u32 s31, s64
	s_waitcnt vmcnt(0)
	v_cndmask_b32_e32 v9, v9, v31, vcc
	v_cndmask_b32_e32 v8, v8, v30, vcc
	v_cndmask_b32_e64 v7, v7, v31, s[16:17]
	v_cndmask_b32_e64 v6, v6, v30, s[16:17]
	;; [unrolled: 1-line block ×6, first 2 shown]
	s_cbranch_scc0 .LBB71_40
.LBB71_41:                              ;   in Loop: Header=BB71_9 Depth=1
	v_mov_b64_e32 v[28:29], 0
	s_and_b64 vcc, exec, s[14:15]
	v_mov_b64_e32 v[30:31], v[28:29]
	v_mov_b64_e32 v[34:35], v[28:29]
	;; [unrolled: 1-line block ×3, first 2 shown]
	s_cbranch_vccnz .LBB71_44
; %bb.42:                               ;   in Loop: Header=BB71_9 Depth=1
	v_mov_b64_e32 v[32:33], 0
	s_mov_b64 s[16:17], 0
	v_mov_b64_e32 v[36:37], v[26:27]
	v_mov_b64_e32 v[34:35], v[32:33]
	;; [unrolled: 1-line block ×4, first 2 shown]
.LBB71_43:                              ;   Parent Loop BB71_9 Depth=1
                                        ; =>  This Inner Loop Header: Depth=2
	v_lshl_add_u64 v[56:57], v[36:37], 0, s[54:55]
	v_lshl_add_u64 v[58:59], v[36:37], 0, s[56:57]
	v_lshl_add_u64 v[60:61], v[36:37], 0, s[58:59]
	global_load_dwordx2 v[54:55], v[36:37], off
	s_nop 0
	global_load_dwordx2 v[56:57], v[56:57], off
	s_nop 0
	;; [unrolled: 2-line block ×3, first 2 shown]
	global_load_dwordx2 v[60:61], v[60:61], off
	s_cmp_eq_u32 s16, 1
	s_cselect_b64 vcc, -1, 0
	s_cmp_eq_u32 s16, 2
	v_cndmask_b32_e32 v25, v3, v5, vcc
	s_cselect_b64 s[14:15], -1, 0
	s_cmp_eq_u32 s16, 3
	v_cndmask_b32_e64 v25, v25, v7, s[14:15]
	v_cndmask_b32_e32 v53, v2, v4, vcc
	s_cselect_b64 vcc, -1, 0
	v_cndmask_b32_e32 v63, v25, v9, vcc
	v_cndmask_b32_e64 v25, v53, v6, s[14:15]
	s_add_u32 s16, s16, 1
	v_cndmask_b32_e32 v62, v25, v8, vcc
	s_addc_u32 s17, s17, 0
	v_lshl_add_u64 v[36:37], v[36:37], 0, 8
	s_cmp_lg_u32 s31, s16
	s_waitcnt vmcnt(2)
	v_fmac_f64_e32 v[34:35], v[62:63], v[56:57]
	v_fmac_f64_e32 v[32:33], v[62:63], v[54:55]
	s_waitcnt vmcnt(1)
	v_fmac_f64_e32 v[30:31], v[62:63], v[58:59]
	s_waitcnt vmcnt(0)
	v_fmac_f64_e32 v[28:29], v[62:63], v[60:61]
	s_cbranch_scc1 .LBB71_43
.LBB71_44:                              ;   in Loop: Header=BB71_9 Depth=1
	s_or_b64 exec, exec, s[62:63]
	s_or_b64 exec, exec, s[60:61]
	s_and_saveexec_b64 s[14:15], s[0:1]
	s_cbranch_execnz .LBB71_12
	s_branch .LBB71_13
.LBB71_45:                              ;   in Loop: Header=BB71_9 Depth=1
	ds_read_b64 v[32:33], v51
	s_or_b64 exec, exec, s[14:15]
	s_and_saveexec_b64 s[14:15], s[0:1]
	s_cbranch_execz .LBB71_17
.LBB71_46:                              ;   in Loop: Header=BB71_9 Depth=1
	s_waitcnt lgkmcnt(0)
	ds_bpermute_b32 v36, v49, v32
	ds_bpermute_b32 v37, v49, v33
	s_waitcnt lgkmcnt(0)
	v_add_f64 v[32:33], v[32:33], v[36:37]
	ds_bpermute_b32 v36, v50, v32
	ds_bpermute_b32 v37, v50, v33
	s_waitcnt lgkmcnt(0)
	v_add_f64 v[32:33], v[32:33], v[36:37]
	s_or_b64 exec, exec, s[14:15]
	s_and_saveexec_b64 s[14:15], s[0:1]
	s_cbranch_execnz .LBB71_18
	s_branch .LBB71_19
.LBB71_47:                              ;   in Loop: Header=BB71_9 Depth=1
	ds_read_b64 v[34:35], v51
	s_or_b64 exec, exec, s[14:15]
	s_and_saveexec_b64 s[14:15], s[0:1]
	s_cbranch_execz .LBB71_23
.LBB71_48:                              ;   in Loop: Header=BB71_9 Depth=1
	s_waitcnt lgkmcnt(0)
	ds_bpermute_b32 v36, v49, v34
	ds_bpermute_b32 v37, v49, v35
	s_waitcnt lgkmcnt(0)
	v_add_f64 v[34:35], v[34:35], v[36:37]
	ds_bpermute_b32 v36, v50, v34
	ds_bpermute_b32 v37, v50, v35
	s_waitcnt lgkmcnt(0)
	v_add_f64 v[34:35], v[34:35], v[36:37]
	s_or_b64 exec, exec, s[14:15]
	s_and_saveexec_b64 s[14:15], s[0:1]
	s_cbranch_execnz .LBB71_24
	s_branch .LBB71_25
.LBB71_49:                              ;   in Loop: Header=BB71_9 Depth=1
	ds_read_b64 v[30:31], v51
	s_or_b64 exec, exec, s[14:15]
	s_and_saveexec_b64 s[14:15], s[0:1]
	s_cbranch_execz .LBB71_29
.LBB71_50:                              ;   in Loop: Header=BB71_9 Depth=1
	s_waitcnt lgkmcnt(0)
	ds_bpermute_b32 v36, v49, v30
	ds_bpermute_b32 v37, v49, v31
	s_waitcnt lgkmcnt(0)
	v_add_f64 v[30:31], v[30:31], v[36:37]
	ds_bpermute_b32 v36, v50, v30
	ds_bpermute_b32 v37, v50, v31
	s_waitcnt lgkmcnt(0)
	v_add_f64 v[30:31], v[30:31], v[36:37]
	s_or_b64 exec, exec, s[14:15]
	s_and_saveexec_b64 s[14:15], s[0:1]
	s_cbranch_execnz .LBB71_30
	s_branch .LBB71_31
.LBB71_51:                              ;   in Loop: Header=BB71_9 Depth=1
	ds_read_b64 v[28:29], v51
	s_or_b64 exec, exec, s[14:15]
	s_and_saveexec_b64 s[14:15], s[0:1]
	s_cbranch_execz .LBB71_35
.LBB71_52:                              ;   in Loop: Header=BB71_9 Depth=1
	s_waitcnt lgkmcnt(0)
	ds_bpermute_b32 v36, v49, v28
	ds_bpermute_b32 v37, v49, v29
	s_waitcnt lgkmcnt(0)
	v_add_f64 v[28:29], v[28:29], v[36:37]
	ds_bpermute_b32 v36, v50, v28
	ds_bpermute_b32 v37, v50, v29
	s_waitcnt lgkmcnt(0)
	v_add_f64 v[28:29], v[28:29], v[36:37]
	s_or_b64 exec, exec, s[14:15]
	s_and_saveexec_b64 s[14:15], s[12:13]
	s_cbranch_execz .LBB71_8
.LBB71_53:                              ;   in Loop: Header=BB71_9 Depth=1
	s_mul_hi_u32 s17, s3, s30
	s_mul_i32 s16, s3, s30
	s_lshl_b64 s[16:17], s[16:17], 3
	s_add_u32 s16, s68, s16
	v_mul_f64 v[32:33], s[34:35], v[32:33]
	s_addc_u32 s17, s69, s17
	global_store_dwordx2 v24, v[32:33], s[16:17]
	s_or_b32 s16, s3, 1
	s_mul_hi_u32 s17, s16, s30
	s_mul_i32 s16, s16, s30
	s_lshl_b64 s[16:17], s[16:17], 3
	s_add_u32 s16, s68, s16
	v_mul_f64 v[32:33], s[34:35], v[34:35]
	s_addc_u32 s17, s69, s17
	global_store_dwordx2 v24, v[32:33], s[16:17]
	s_or_b32 s16, s3, 2
	;; [unrolled: 8-line block ×3, first 2 shown]
	s_mul_hi_u32 s17, s16, s30
	s_mul_i32 s16, s16, s30
	s_lshl_b64 s[16:17], s[16:17], 3
	s_add_u32 s16, s68, s16
	s_waitcnt lgkmcnt(0)
	v_mul_f64 v[28:29], s[34:35], v[28:29]
	s_addc_u32 s17, s69, s17
	global_store_dwordx2 v24, v[28:29], s[16:17]
	s_branch .LBB71_8
.LBB71_54:
	s_mov_b32 s3, 0
                                        ; implicit-def: $vgpr2_vgpr3_vgpr4_vgpr5_vgpr6_vgpr7_vgpr8_vgpr9
.LBB71_55:
	s_cmp_ge_i32 s3, s29
	s_cbranch_scc1 .LBB71_79
; %bb.56:
	v_mbcnt_hi_u32_b32 v14, -1, v42
	v_and_b32_e32 v15, 63, v14
	v_cmp_gt_u32_e32 vcc, 32, v15
	s_mov_b32 s49, 0
	s_cmp_gt_i32 s31, 0
	v_cndmask_b32_e64 v16, 0, 1, vcc
	v_lshlrev_b32_e32 v16, 5, v16
	v_cmp_gt_u32_e32 vcc, 48, v15
	s_waitcnt lgkmcnt(0)
	v_add_lshl_u32 v29, v16, v14, 2
	s_mov_b32 s48, s2
	v_cndmask_b32_e64 v16, 0, 1, vcc
	v_lshlrev_b32_e32 v16, 4, v16
	v_cmp_gt_u32_e32 vcc, 56, v15
	v_add_lshl_u32 v30, v16, v14, 2
	s_cselect_b64 s[50:51], -1, 0
	v_cndmask_b32_e64 v16, 0, 1, vcc
	v_lshlrev_b32_e32 v16, 3, v16
	v_cmp_gt_u32_e32 vcc, 60, v15
	v_add_lshl_u32 v31, v16, v14, 2
	s_lshl_b64 s[14:15], s[48:49], 3
	v_cndmask_b32_e64 v16, 0, 1, vcc
	v_lshlrev_b32_e32 v16, 2, v16
	v_cmp_gt_u32_e32 vcc, 62, v15
	v_add_lshl_u32 v32, v16, v14, 2
	s_add_u32 s2, s33, s14
	v_cndmask_b32_e64 v16, 0, 1, vcc
	v_lshlrev_b32_e32 v16, 1, v16
	v_cmp_ne_u32_e32 vcc, 63, v15
	v_add_lshl_u32 v33, v16, v14, 2
	v_cmp_ge_i32_e64 s[0:1], s28, v43
	v_addc_co_u32_e32 v14, vcc, 0, v14, vcc
	v_cmp_ge_i32_e64 s[4:5], s28, v44
	v_cmp_gt_u32_e64 s[6:7], 64, v0
	v_lshlrev_b32_e32 v28, 3, v1
	v_lshlrev_b32_e32 v34, 2, v14
	v_cmp_eq_u32_e64 s[8:9], 0, v1
	v_cmp_gt_u32_e64 s[10:11], 4, v0
	v_cmp_eq_u32_e64 s[12:13], 0, v0
	s_addc_u32 s28, s66, s15
	v_mad_i64_i32 v[0:1], s[14:15], s38, v12, 0
	v_mad_i64_i32 v[14:15], s[14:15], s38, v40, 0
	;; [unrolled: 1-line block ×4, first 2 shown]
	s_add_u32 s14, s22, s44
	s_addc_u32 s15, s23, s45
	s_add_u32 s14, s14, s40
	v_lshlrev_b64 v[20:21], 3, v[0:1]
	s_addc_u32 s15, s15, s41
	v_lshl_add_u64 v[0:1], s[46:47], 0, v[20:21]
	v_lshl_add_u64 v[20:21], s[14:15], 0, v[20:21]
	s_mul_i32 s14, s37, s3
	s_mul_hi_u32 s15, s36, s3
	s_add_i32 s15, s15, s14
	s_mul_i32 s14, s36, s3
	s_lshl_b64 s[22:23], s[38:39], 3
	s_lshl_b64 s[14:15], s[14:15], 3
	s_add_u32 s14, s42, s14
	s_addc_u32 s15, s43, s15
	s_add_u32 s14, s14, s26
	s_addc_u32 s15, s15, s27
	;; [unrolled: 2-line block ×3, first 2 shown]
	v_and_b32_e32 v35, 24, v41
	v_lshl_add_u64 v[14:15], v[14:15], 3, s[46:47]
	v_lshl_add_u64 v[16:17], v[16:17], 3, s[46:47]
	;; [unrolled: 1-line block ×4, first 2 shown]
	s_lshl_b64 s[24:25], s[36:37], 3
	v_mov_b32_e32 v22, 0
	s_branch .LBB71_58
.LBB71_57:                              ;   in Loop: Header=BB71_58 Depth=1
	s_or_b64 exec, exec, s[14:15]
	s_add_i32 s3, s3, 1
	s_cmp_ge_i32 s3, s29
	v_lshl_add_u64 v[12:13], v[12:13], 0, s[24:25]
	s_cbranch_scc1 .LBB71_79
.LBB71_58:                              ; =>This Loop Header: Depth=1
                                        ;     Child Loop BB71_71 Depth 2
                                        ;     Child Loop BB71_74 Depth 2
	s_waitcnt lgkmcnt(0)
	v_mov_b32_e32 v24, s49
	v_mov_b32_e32 v25, s49
	s_and_saveexec_b64 s[14:15], s[0:1]
	s_xor_b64 s[14:15], exec, s[14:15]
	s_cbranch_execnz .LBB71_67
; %bb.59:                               ;   in Loop: Header=BB71_58 Depth=1
	s_andn2_saveexec_b64 s[26:27], s[14:15]
	s_cbranch_execnz .LBB71_68
.LBB71_60:                              ;   in Loop: Header=BB71_58 Depth=1
	s_or_b64 exec, exec, s[26:27]
	s_and_saveexec_b64 s[14:15], s[6:7]
	s_cbranch_execz .LBB71_62
.LBB71_61:                              ;   in Loop: Header=BB71_58 Depth=1
	v_mov_b32_e32 v23, v22
	ds_write_b64 v28, v[22:23]
.LBB71_62:                              ;   in Loop: Header=BB71_58 Depth=1
	s_or_b64 exec, exec, s[14:15]
	ds_bpermute_b32 v26, v29, v24
	ds_bpermute_b32 v27, v29, v25
	s_waitcnt lgkmcnt(0)
	s_barrier
	v_add_f64 v[24:25], v[24:25], v[26:27]
	ds_bpermute_b32 v26, v30, v24
	ds_bpermute_b32 v27, v30, v25
	s_waitcnt lgkmcnt(0)
	v_add_f64 v[24:25], v[24:25], v[26:27]
	ds_bpermute_b32 v26, v31, v24
	ds_bpermute_b32 v27, v31, v25
	s_waitcnt lgkmcnt(0)
	;; [unrolled: 4-line block ×4, first 2 shown]
	v_add_f64 v[24:25], v[24:25], v[26:27]
	ds_bpermute_b32 v26, v34, v24
	ds_bpermute_b32 v27, v34, v25
	s_and_saveexec_b64 s[14:15], s[8:9]
	s_cbranch_execz .LBB71_64
; %bb.63:                               ;   in Loop: Header=BB71_58 Depth=1
	s_waitcnt lgkmcnt(0)
	v_add_f64 v[24:25], v[24:25], v[26:27]
	ds_write_b64 v35, v[24:25]
.LBB71_64:                              ;   in Loop: Header=BB71_58 Depth=1
	s_or_b64 exec, exec, s[14:15]
	v_mov_b64_e32 v[24:25], 0
	s_waitcnt lgkmcnt(0)
	s_barrier
	s_and_saveexec_b64 s[14:15], s[10:11]
	s_cbranch_execnz .LBB71_76
; %bb.65:                               ;   in Loop: Header=BB71_58 Depth=1
	s_or_b64 exec, exec, s[14:15]
	s_and_saveexec_b64 s[14:15], s[6:7]
	s_cbranch_execnz .LBB71_77
.LBB71_66:                              ;   in Loop: Header=BB71_58 Depth=1
	s_or_b64 exec, exec, s[14:15]
	s_and_saveexec_b64 s[14:15], s[12:13]
	s_cbranch_execz .LBB71_57
	s_branch .LBB71_78
.LBB71_67:                              ;   in Loop: Header=BB71_58 Depth=1
	s_mul_i32 s16, s3, s37
	s_mul_hi_u32 s17, s3, s36
	s_add_i32 s17, s17, s16
	s_mul_i32 s16, s3, s36
	v_lshl_add_u64 v[40:41], s[16:17], 3, v[10:11]
	global_load_dwordx4 v[36:39], v[40:41], off offset:16
	global_load_dwordx4 v[24:27], v[40:41], off
	global_load_dwordx2 v[2:3], v[0:1], off
	global_load_dwordx2 v[4:5], v[14:15], off
	;; [unrolled: 1-line block ×4, first 2 shown]
	s_waitcnt vmcnt(3)
	v_fma_f64 v[24:25], v[2:3], v[24:25], 0
	s_waitcnt vmcnt(2)
	v_fmac_f64_e32 v[24:25], v[4:5], v[26:27]
	s_waitcnt vmcnt(1)
	v_fmac_f64_e32 v[24:25], v[6:7], v[36:37]
	;; [unrolled: 2-line block ×3, first 2 shown]
	s_andn2_saveexec_b64 s[26:27], s[14:15]
	s_cbranch_execz .LBB71_60
.LBB71_68:                              ;   in Loop: Header=BB71_58 Depth=1
	s_and_saveexec_b64 s[38:39], s[4:5]
	s_cbranch_execz .LBB71_75
; %bb.69:                               ;   in Loop: Header=BB71_58 Depth=1
	v_cndmask_b32_e64 v23, 0, 1, s[50:51]
	v_cmp_ne_u32_e64 s[14:15], 1, v23
	s_andn2_b64 vcc, exec, s[50:51]
	s_cbranch_vccnz .LBB71_72
; %bb.70:                               ;   in Loop: Header=BB71_58 Depth=1
	s_mov_b64 s[40:41], 0
	v_mov_b64_e32 v[26:27], v[20:21]
.LBB71_71:                              ;   Parent Loop BB71_58 Depth=1
                                        ; =>  This Inner Loop Header: Depth=2
	global_load_dwordx2 v[36:37], v[26:27], off
	s_cmp_eq_u32 s40, 3
	s_cselect_b64 vcc, -1, 0
	s_cmp_eq_u32 s40, 2
	s_cselect_b64 s[16:17], -1, 0
	s_cmp_eq_u32 s40, 1
	s_cselect_b64 s[18:19], -1, 0
	;; [unrolled: 2-line block ×3, first 2 shown]
	s_add_u32 s40, s40, 1
	s_addc_u32 s41, s41, 0
	v_lshl_add_u64 v[26:27], v[26:27], 0, s[22:23]
	s_cmp_eq_u32 s31, s40
	s_waitcnt vmcnt(0)
	v_cndmask_b32_e32 v9, v9, v37, vcc
	v_cndmask_b32_e32 v8, v8, v36, vcc
	v_cndmask_b32_e64 v7, v7, v37, s[16:17]
	v_cndmask_b32_e64 v6, v6, v36, s[16:17]
	;; [unrolled: 1-line block ×6, first 2 shown]
	s_cbranch_scc0 .LBB71_71
.LBB71_72:                              ;   in Loop: Header=BB71_58 Depth=1
	s_and_b64 vcc, exec, s[14:15]
	s_cbranch_vccnz .LBB71_75
; %bb.73:                               ;   in Loop: Header=BB71_58 Depth=1
	s_mov_b64 s[16:17], 0
	v_mov_b64_e32 v[26:27], v[12:13]
.LBB71_74:                              ;   Parent Loop BB71_58 Depth=1
                                        ; =>  This Inner Loop Header: Depth=2
	global_load_dwordx2 v[36:37], v[26:27], off
	s_cmp_eq_u32 s16, 1
	s_cselect_b64 vcc, -1, 0
	s_cmp_eq_u32 s16, 2
	v_cndmask_b32_e32 v23, v3, v5, vcc
	s_cselect_b64 s[14:15], -1, 0
	s_cmp_eq_u32 s16, 3
	v_cndmask_b32_e64 v23, v23, v7, s[14:15]
	v_cndmask_b32_e32 v38, v2, v4, vcc
	s_cselect_b64 vcc, -1, 0
	v_cndmask_b32_e32 v39, v23, v9, vcc
	v_cndmask_b32_e64 v23, v38, v6, s[14:15]
	s_add_u32 s16, s16, 1
	v_cndmask_b32_e32 v38, v23, v8, vcc
	s_addc_u32 s17, s17, 0
	v_lshl_add_u64 v[26:27], v[26:27], 0, 8
	s_cmp_lg_u32 s31, s16
	s_waitcnt vmcnt(0)
	v_fmac_f64_e32 v[24:25], v[38:39], v[36:37]
	s_cbranch_scc1 .LBB71_74
.LBB71_75:                              ;   in Loop: Header=BB71_58 Depth=1
	s_or_b64 exec, exec, s[38:39]
	s_or_b64 exec, exec, s[26:27]
	s_and_saveexec_b64 s[14:15], s[6:7]
	s_cbranch_execnz .LBB71_61
	s_branch .LBB71_62
.LBB71_76:                              ;   in Loop: Header=BB71_58 Depth=1
	ds_read_b64 v[24:25], v28
	s_or_b64 exec, exec, s[14:15]
	s_and_saveexec_b64 s[14:15], s[6:7]
	s_cbranch_execz .LBB71_66
.LBB71_77:                              ;   in Loop: Header=BB71_58 Depth=1
	s_waitcnt lgkmcnt(0)
	ds_bpermute_b32 v26, v33, v24
	ds_bpermute_b32 v27, v33, v25
	s_waitcnt lgkmcnt(0)
	v_add_f64 v[24:25], v[24:25], v[26:27]
	ds_bpermute_b32 v26, v34, v24
	ds_bpermute_b32 v27, v34, v25
	s_waitcnt lgkmcnt(0)
	v_add_f64 v[24:25], v[24:25], v[26:27]
	s_or_b64 exec, exec, s[14:15]
	s_and_saveexec_b64 s[14:15], s[12:13]
	s_cbranch_execz .LBB71_57
.LBB71_78:                              ;   in Loop: Header=BB71_58 Depth=1
	s_mul_hi_u32 s17, s3, s30
	s_mul_i32 s16, s3, s30
	s_lshl_b64 s[16:17], s[16:17], 3
	s_add_u32 s16, s2, s16
	s_waitcnt lgkmcnt(0)
	v_mul_f64 v[24:25], s[34:35], v[24:25]
	s_addc_u32 s17, s28, s17
	global_store_dwordx2 v22, v[24:25], s[16:17]
	s_branch .LBB71_57
.LBB71_79:
	s_endpgm
	.section	.rodata,"a",@progbits
	.p2align	6, 0x0
	.amdhsa_kernel _ZL23rocblas_gemvt_sn_kernelILb0ELi256ELi4EldPKddEviiT4_lPKT3_lilS5_lilPT5_i
		.amdhsa_group_segment_fixed_size 512
		.amdhsa_private_segment_fixed_size 0
		.amdhsa_kernarg_size 360
		.amdhsa_user_sgpr_count 2
		.amdhsa_user_sgpr_dispatch_ptr 0
		.amdhsa_user_sgpr_queue_ptr 0
		.amdhsa_user_sgpr_kernarg_segment_ptr 1
		.amdhsa_user_sgpr_dispatch_id 0
		.amdhsa_user_sgpr_kernarg_preload_length 0
		.amdhsa_user_sgpr_kernarg_preload_offset 0
		.amdhsa_user_sgpr_private_segment_size 0
		.amdhsa_uses_dynamic_stack 0
		.amdhsa_enable_private_segment 0
		.amdhsa_system_sgpr_workgroup_id_x 1
		.amdhsa_system_sgpr_workgroup_id_y 0
		.amdhsa_system_sgpr_workgroup_id_z 1
		.amdhsa_system_sgpr_workgroup_info 0
		.amdhsa_system_vgpr_workitem_id 0
		.amdhsa_next_free_vgpr 82
		.amdhsa_next_free_sgpr 70
		.amdhsa_accum_offset 84
		.amdhsa_reserve_vcc 1
		.amdhsa_float_round_mode_32 0
		.amdhsa_float_round_mode_16_64 0
		.amdhsa_float_denorm_mode_32 3
		.amdhsa_float_denorm_mode_16_64 3
		.amdhsa_dx10_clamp 1
		.amdhsa_ieee_mode 1
		.amdhsa_fp16_overflow 0
		.amdhsa_tg_split 0
		.amdhsa_exception_fp_ieee_invalid_op 0
		.amdhsa_exception_fp_denorm_src 0
		.amdhsa_exception_fp_ieee_div_zero 0
		.amdhsa_exception_fp_ieee_overflow 0
		.amdhsa_exception_fp_ieee_underflow 0
		.amdhsa_exception_fp_ieee_inexact 0
		.amdhsa_exception_int_div_zero 0
	.end_amdhsa_kernel
	.section	.text._ZL23rocblas_gemvt_sn_kernelILb0ELi256ELi4EldPKddEviiT4_lPKT3_lilS5_lilPT5_i,"axG",@progbits,_ZL23rocblas_gemvt_sn_kernelILb0ELi256ELi4EldPKddEviiT4_lPKT3_lilS5_lilPT5_i,comdat
.Lfunc_end71:
	.size	_ZL23rocblas_gemvt_sn_kernelILb0ELi256ELi4EldPKddEviiT4_lPKT3_lilS5_lilPT5_i, .Lfunc_end71-_ZL23rocblas_gemvt_sn_kernelILb0ELi256ELi4EldPKddEviiT4_lPKT3_lilS5_lilPT5_i
                                        ; -- End function
	.section	.AMDGPU.csdata,"",@progbits
; Kernel info:
; codeLenInByte = 4504
; NumSgprs: 76
; NumVgprs: 82
; NumAgprs: 0
; TotalNumVgprs: 82
; ScratchSize: 0
; MemoryBound: 1
; FloatMode: 240
; IeeeMode: 1
; LDSByteSize: 512 bytes/workgroup (compile time only)
; SGPRBlocks: 9
; VGPRBlocks: 10
; NumSGPRsForWavesPerEU: 76
; NumVGPRsForWavesPerEU: 82
; AccumOffset: 84
; Occupancy: 5
; WaveLimiterHint : 1
; COMPUTE_PGM_RSRC2:SCRATCH_EN: 0
; COMPUTE_PGM_RSRC2:USER_SGPR: 2
; COMPUTE_PGM_RSRC2:TRAP_HANDLER: 0
; COMPUTE_PGM_RSRC2:TGID_X_EN: 1
; COMPUTE_PGM_RSRC2:TGID_Y_EN: 0
; COMPUTE_PGM_RSRC2:TGID_Z_EN: 1
; COMPUTE_PGM_RSRC2:TIDIG_COMP_CNT: 0
; COMPUTE_PGM_RSRC3_GFX90A:ACCUM_OFFSET: 20
; COMPUTE_PGM_RSRC3_GFX90A:TG_SPLIT: 0
	.section	.text._ZL23rocblas_gemvt_sn_reduceILi256ELi8EdPKddEviT2_lPT3_lilPT1_i,"axG",@progbits,_ZL23rocblas_gemvt_sn_reduceILi256ELi8EdPKddEviT2_lPT3_lilPT1_i,comdat
	.globl	_ZL23rocblas_gemvt_sn_reduceILi256ELi8EdPKddEviT2_lPT3_lilPT1_i ; -- Begin function _ZL23rocblas_gemvt_sn_reduceILi256ELi8EdPKddEviT2_lPT3_lilPT1_i
	.p2align	8
	.type	_ZL23rocblas_gemvt_sn_reduceILi256ELi8EdPKddEviT2_lPT3_lilPT1_i,@function
_ZL23rocblas_gemvt_sn_reduceILi256ELi8EdPKddEviT2_lPT3_lilPT1_i: ; @_ZL23rocblas_gemvt_sn_reduceILi256ELi8EdPKddEviT2_lPT3_lilPT1_i
; %bb.0:
	s_load_dword s2, s[0:1], 0x0
	s_load_dwordx8 s[8:15], s[0:1], 0x8
	v_lshlrev_b32_e32 v1, 3, v0
	s_mov_b32 s17, 0
	v_mov_b64_e32 v[2:3], 0
	s_waitcnt lgkmcnt(0)
	s_ashr_i32 s5, s2, 31
	s_mul_i32 s6, s4, s11
	s_mul_hi_u32 s7, s4, s10
	s_add_i32 s7, s7, s6
	s_mul_i32 s6, s4, s10
	s_lshl_b64 s[10:11], s[6:7], 3
	s_add_u32 s8, s8, s10
	s_load_dwordx2 s[6:7], s[0:1], 0x38
	s_load_dword s10, s[0:1], 0x4c
	s_addc_u32 s9, s9, s11
	s_add_u32 s20, s0, 0x48
	s_load_dwordx2 s[8:9], s[8:9], 0x0
	s_addc_u32 s21, s1, 0
	s_waitcnt lgkmcnt(0)
	s_mul_i32 s10, s10, s4
	s_add_i32 s10, s10, s3
	s_mul_i32 s11, s10, s5
	s_lshr_b32 s5, s5, 29
	s_add_i32 s5, s2, s5
	s_mul_hi_u32 s16, s10, s2
	s_and_b32 s5, s5, -8
	s_add_i32 s11, s16, s11
	s_mul_i32 s10, s10, s2
	v_cmp_gt_i32_e32 vcc, s5, v1
	s_and_saveexec_b64 s[18:19], vcc
	s_cbranch_execz .LBB72_4
; %bb.1:
	s_load_dword s16, s[20:21], 0xc
	s_lshl_b64 s[20:21], s[10:11], 3
	v_lshlrev_b32_e32 v2, 6, v0
	v_mov_b32_e32 v3, 0
	s_waitcnt lgkmcnt(0)
	s_and_b32 s16, s16, 0xffff
	s_lshl_b32 s22, s16, 3
	s_add_u32 s20, s6, s20
	s_addc_u32 s21, s7, s21
	v_lshl_add_u64 v[2:3], s[20:21], 0, v[2:3]
	s_lshl_b32 s16, s16, 6
	v_lshl_add_u64 v[4:5], v[2:3], 0, 56
	s_mov_b64 s[20:21], 0
	v_mov_b64_e32 v[2:3], 0
.LBB72_2:                               ; =>This Inner Loop Header: Depth=1
	global_load_dwordx4 v[6:9], v[4:5], off offset:-56
	global_load_dwordx4 v[10:13], v[4:5], off offset:-40
	;; [unrolled: 1-line block ×4, first 2 shown]
	v_add_u32_e32 v1, s22, v1
	v_cmp_le_i32_e32 vcc, s5, v1
	v_lshl_add_u64 v[4:5], v[4:5], 0, s[16:17]
	s_or_b64 s[20:21], vcc, s[20:21]
	s_waitcnt vmcnt(3)
	v_add_f64 v[2:3], v[2:3], v[6:7]
	v_add_f64 v[2:3], v[2:3], v[8:9]
	s_waitcnt vmcnt(2)
	v_add_f64 v[2:3], v[2:3], v[10:11]
	v_add_f64 v[2:3], v[2:3], v[12:13]
	;; [unrolled: 3-line block ×4, first 2 shown]
	s_andn2_b64 exec, exec, s[20:21]
	s_cbranch_execnz .LBB72_2
; %bb.3:
	s_or_b64 exec, exec, s[20:21]
.LBB72_4:
	s_or_b64 exec, exec, s[18:19]
	s_sub_i32 s5, s2, s5
	v_cmp_gt_u32_e32 vcc, s5, v0
	s_and_saveexec_b64 s[16:17], vcc
	s_cbranch_execz .LBB72_6
; %bb.5:
	s_lshl_b64 s[10:11], s[10:11], 3
	s_add_u32 s6, s6, s10
	s_addc_u32 s7, s7, s11
	v_xad_u32 v4, v0, -1, s2
	v_mov_b32_e32 v5, 0
	v_lshl_add_u64 v[4:5], v[4:5], 3, s[6:7]
	global_load_dwordx2 v[4:5], v[4:5], off
	s_waitcnt vmcnt(0)
	v_add_f64 v[2:3], v[2:3], v[4:5]
.LBB72_6:
	s_or_b64 exec, exec, s[16:17]
	v_and_b32_e32 v6, 63, v0
	v_cmp_gt_u32_e32 vcc, 64, v0
	v_lshlrev_b32_e32 v1, 3, v6
	s_and_saveexec_b64 s[6:7], vcc
	s_cbranch_execz .LBB72_8
; %bb.7:
	v_mov_b32_e32 v4, 0
	v_mov_b32_e32 v5, v4
	ds_write_b64 v1, v[4:5]
.LBB72_8:
	s_or_b64 exec, exec, s[6:7]
	v_mbcnt_lo_u32_b32 v4, -1, 0
	v_mbcnt_hi_u32_b32 v8, -1, v4
	v_and_b32_e32 v9, 63, v8
	v_cmp_gt_u32_e64 s[6:7], 32, v9
	s_waitcnt lgkmcnt(0)
	s_barrier
	v_cndmask_b32_e64 v4, 0, 1, s[6:7]
	v_lshlrev_b32_e32 v4, 5, v4
	v_add_lshl_u32 v5, v4, v8, 2
	ds_bpermute_b32 v4, v5, v2
	ds_bpermute_b32 v5, v5, v3
	v_cmp_gt_u32_e64 s[6:7], 48, v9
	s_waitcnt lgkmcnt(0)
	v_add_f64 v[2:3], v[2:3], v[4:5]
	v_cndmask_b32_e64 v7, 0, 1, s[6:7]
	v_lshlrev_b32_e32 v4, 4, v7
	v_add_lshl_u32 v5, v4, v8, 2
	ds_bpermute_b32 v4, v5, v2
	ds_bpermute_b32 v5, v5, v3
	v_cmp_gt_u32_e64 s[6:7], 56, v9
	s_waitcnt lgkmcnt(0)
	v_add_f64 v[2:3], v[2:3], v[4:5]
	;; [unrolled: 8-line block ×4, first 2 shown]
	v_cndmask_b32_e64 v4, 0, 1, s[6:7]
	v_lshlrev_b32_e32 v4, 1, v4
	v_add_lshl_u32 v7, v4, v8, 2
	ds_bpermute_b32 v4, v7, v2
	ds_bpermute_b32 v5, v7, v3
	v_cmp_ne_u32_e64 s[6:7], 63, v9
	s_waitcnt lgkmcnt(0)
	v_add_f64 v[2:3], v[2:3], v[4:5]
	v_addc_co_u32_e64 v4, s[6:7], 0, v8, s[6:7]
	v_lshlrev_b32_e32 v8, 2, v4
	ds_bpermute_b32 v4, v8, v2
	ds_bpermute_b32 v5, v8, v3
	v_cmp_eq_u32_e64 s[6:7], 0, v6
	s_and_saveexec_b64 s[10:11], s[6:7]
	s_cbranch_execz .LBB72_10
; %bb.9:
	v_lshrrev_b32_e32 v6, 3, v0
	v_and_b32_e32 v6, 24, v6
	s_waitcnt lgkmcnt(0)
	v_add_f64 v[2:3], v[2:3], v[4:5]
	ds_write_b64 v6, v[2:3]
.LBB72_10:
	s_or_b64 exec, exec, s[10:11]
	v_cmp_gt_u32_e64 s[6:7], 4, v0
	v_mov_b64_e32 v[2:3], 0
	s_waitcnt lgkmcnt(0)
	s_barrier
	s_and_saveexec_b64 s[10:11], s[6:7]
	s_cbranch_execnz .LBB72_14
; %bb.11:
	s_or_b64 exec, exec, s[10:11]
	s_and_saveexec_b64 s[6:7], vcc
	s_cbranch_execnz .LBB72_15
.LBB72_12:
	s_or_b64 exec, exec, s[6:7]
	v_cmp_eq_u32_e32 vcc, 0, v0
	s_and_saveexec_b64 s[6:7], vcc
	s_cbranch_execnz .LBB72_16
.LBB72_13:
	s_endpgm
.LBB72_14:
	ds_read_b64 v[2:3], v1
	s_or_b64 exec, exec, s[10:11]
	s_and_saveexec_b64 s[6:7], vcc
	s_cbranch_execz .LBB72_12
.LBB72_15:
	s_waitcnt lgkmcnt(0)
	ds_bpermute_b32 v4, v7, v2
	ds_bpermute_b32 v5, v7, v3
	s_waitcnt lgkmcnt(0)
	v_add_f64 v[2:3], v[2:3], v[4:5]
	ds_bpermute_b32 v4, v8, v2
	ds_bpermute_b32 v5, v8, v3
	s_waitcnt lgkmcnt(0)
	v_add_f64 v[2:3], v[2:3], v[4:5]
	s_or_b64 exec, exec, s[6:7]
	v_cmp_eq_u32_e32 vcc, 0, v0
	s_and_saveexec_b64 s[6:7], vcc
	s_cbranch_execz .LBB72_13
.LBB72_16:
	s_load_dword s5, s[0:1], 0x28
	s_load_dwordx2 s[6:7], s[0:1], 0x30
	s_waitcnt lgkmcnt(0)
	s_ashr_i32 s10, s5, 31
	s_mul_i32 s1, s4, s7
	s_mul_hi_u32 s2, s4, s6
	s_mul_i32 s0, s4, s6
	s_add_i32 s1, s2, s1
	s_lshl_b64 s[0:1], s[0:1], 3
	s_add_u32 s2, s12, s0
	s_addc_u32 s4, s13, s1
	s_lshl_b64 s[0:1], s[14:15], 3
	s_add_u32 s2, s2, s0
	v_cmp_eq_f64_e64 s[6:7], s[8:9], 0
	s_mul_hi_u32 s0, s5, s3
	s_mul_i32 s10, s10, s3
	s_addc_u32 s4, s4, s1
	s_add_i32 s1, s0, s10
	s_mul_i32 s0, s5, s3
	s_and_b64 vcc, exec, s[6:7]
	s_cbranch_vccnz .LBB72_18
; %bb.17:
	s_lshl_b64 s[6:7], s[0:1], 3
	s_add_u32 s6, s2, s6
	s_addc_u32 s7, s4, s7
	s_load_dwordx2 s[6:7], s[6:7], 0x0
	s_waitcnt lgkmcnt(0)
	v_mov_b64_e32 v[0:1], s[6:7]
	v_fmac_f64_e32 v[2:3], s[8:9], v[0:1]
.LBB72_18:
	s_lshl_b64 s[0:1], s[0:1], 3
	s_add_u32 s0, s2, s0
	s_addc_u32 s1, s4, s1
	v_mov_b32_e32 v0, 0
	global_store_dwordx2 v0, v[2:3], s[0:1]
	s_endpgm
	.section	.rodata,"a",@progbits
	.p2align	6, 0x0
	.amdhsa_kernel _ZL23rocblas_gemvt_sn_reduceILi256ELi8EdPKddEviT2_lPT3_lilPT1_i
		.amdhsa_group_segment_fixed_size 512
		.amdhsa_private_segment_fixed_size 0
		.amdhsa_kernarg_size 328
		.amdhsa_user_sgpr_count 2
		.amdhsa_user_sgpr_dispatch_ptr 0
		.amdhsa_user_sgpr_queue_ptr 0
		.amdhsa_user_sgpr_kernarg_segment_ptr 1
		.amdhsa_user_sgpr_dispatch_id 0
		.amdhsa_user_sgpr_kernarg_preload_length 0
		.amdhsa_user_sgpr_kernarg_preload_offset 0
		.amdhsa_user_sgpr_private_segment_size 0
		.amdhsa_uses_dynamic_stack 0
		.amdhsa_enable_private_segment 0
		.amdhsa_system_sgpr_workgroup_id_x 1
		.amdhsa_system_sgpr_workgroup_id_y 1
		.amdhsa_system_sgpr_workgroup_id_z 1
		.amdhsa_system_sgpr_workgroup_info 0
		.amdhsa_system_vgpr_workitem_id 0
		.amdhsa_next_free_vgpr 22
		.amdhsa_next_free_sgpr 23
		.amdhsa_accum_offset 24
		.amdhsa_reserve_vcc 1
		.amdhsa_float_round_mode_32 0
		.amdhsa_float_round_mode_16_64 0
		.amdhsa_float_denorm_mode_32 3
		.amdhsa_float_denorm_mode_16_64 3
		.amdhsa_dx10_clamp 1
		.amdhsa_ieee_mode 1
		.amdhsa_fp16_overflow 0
		.amdhsa_tg_split 0
		.amdhsa_exception_fp_ieee_invalid_op 0
		.amdhsa_exception_fp_denorm_src 0
		.amdhsa_exception_fp_ieee_div_zero 0
		.amdhsa_exception_fp_ieee_overflow 0
		.amdhsa_exception_fp_ieee_underflow 0
		.amdhsa_exception_fp_ieee_inexact 0
		.amdhsa_exception_int_div_zero 0
	.end_amdhsa_kernel
	.section	.text._ZL23rocblas_gemvt_sn_reduceILi256ELi8EdPKddEviT2_lPT3_lilPT1_i,"axG",@progbits,_ZL23rocblas_gemvt_sn_reduceILi256ELi8EdPKddEviT2_lPT3_lilPT1_i,comdat
.Lfunc_end72:
	.size	_ZL23rocblas_gemvt_sn_reduceILi256ELi8EdPKddEviT2_lPT3_lilPT1_i, .Lfunc_end72-_ZL23rocblas_gemvt_sn_reduceILi256ELi8EdPKddEviT2_lPT3_lilPT1_i
                                        ; -- End function
	.section	.AMDGPU.csdata,"",@progbits
; Kernel info:
; codeLenInByte = 1188
; NumSgprs: 29
; NumVgprs: 22
; NumAgprs: 0
; TotalNumVgprs: 22
; ScratchSize: 0
; MemoryBound: 1
; FloatMode: 240
; IeeeMode: 1
; LDSByteSize: 512 bytes/workgroup (compile time only)
; SGPRBlocks: 3
; VGPRBlocks: 2
; NumSGPRsForWavesPerEU: 29
; NumVGPRsForWavesPerEU: 22
; AccumOffset: 24
; Occupancy: 8
; WaveLimiterHint : 0
; COMPUTE_PGM_RSRC2:SCRATCH_EN: 0
; COMPUTE_PGM_RSRC2:USER_SGPR: 2
; COMPUTE_PGM_RSRC2:TRAP_HANDLER: 0
; COMPUTE_PGM_RSRC2:TGID_X_EN: 1
; COMPUTE_PGM_RSRC2:TGID_Y_EN: 1
; COMPUTE_PGM_RSRC2:TGID_Z_EN: 1
; COMPUTE_PGM_RSRC2:TIDIG_COMP_CNT: 0
; COMPUTE_PGM_RSRC3_GFX90A:ACCUM_OFFSET: 5
; COMPUTE_PGM_RSRC3_GFX90A:TG_SPLIT: 0
	.section	.text._ZL23rocblas_gemvt_sn_kernelILb0ELi256ELi4EidddEviiT4_lPKT3_lilS3_lilPT5_i,"axG",@progbits,_ZL23rocblas_gemvt_sn_kernelILb0ELi256ELi4EidddEviiT4_lPKT3_lilS3_lilPT5_i,comdat
	.globl	_ZL23rocblas_gemvt_sn_kernelILb0ELi256ELi4EidddEviiT4_lPKT3_lilS3_lilPT5_i ; -- Begin function _ZL23rocblas_gemvt_sn_kernelILb0ELi256ELi4EidddEviiT4_lPKT3_lilS3_lilPT5_i
	.p2align	8
	.type	_ZL23rocblas_gemvt_sn_kernelILb0ELi256ELi4EidddEviiT4_lPKT3_lilS3_lilPT5_i,@function
_ZL23rocblas_gemvt_sn_kernelILb0ELi256ELi4EidddEviiT4_lPKT3_lilS3_lilPT5_i: ; @_ZL23rocblas_gemvt_sn_kernelILb0ELi256ELi4EidddEviiT4_lPKT3_lilS3_lilPT5_i
; %bb.0:
	s_load_dwordx4 s[24:27], s[0:1], 0x0
	s_load_dwordx4 s[8:11], s[0:1], 0x50
	s_load_dword s22, s[0:1], 0x68
	s_mov_b32 s23, 0
	s_waitcnt lgkmcnt(0)
	s_ashr_i32 s12, s25, 31
	s_mul_hi_u32 s4, s25, s3
	s_mul_i32 s5, s12, s3
	s_add_i32 s4, s4, s5
	s_mul_i32 s6, s25, s3
	s_mul_i32 s4, s4, s22
	s_mul_hi_u32 s5, s6, s22
	s_add_i32 s5, s5, s4
	s_mul_i32 s4, s6, s22
	s_lshl_b64 s[4:5], s[4:5], 3
	s_add_u32 s56, s10, s4
	s_addc_u32 s57, s11, s5
	v_cmp_neq_f64_e64 s[4:5], s[26:27], 0
	s_and_b64 vcc, exec, s[4:5]
	v_cmp_eq_u32_e64 s[4:5], 0, v0
	s_cbranch_vccnz .LBB73_5
; %bb.1:
	s_cmp_gt_i32 s25, 0
	s_cselect_b64 s[6:7], -1, 0
	s_and_b64 s[6:7], s[4:5], s[6:7]
	s_and_saveexec_b64 s[4:5], s[6:7]
	s_cbranch_execz .LBB73_4
; %bb.2:
	s_mov_b32 s6, s3
	s_mov_b32 s3, 0
	s_lshl_b64 s[10:11], s[2:3], 3
	s_mov_b32 s3, s6
	s_add_u32 s6, s56, s10
	v_mov_b32_e32 v2, 0
	s_addc_u32 s7, s57, s11
	s_lshl_b64 s[10:11], s[22:23], 3
	v_mov_b32_e32 v3, v2
	s_mov_b32 s13, s25
.LBB73_3:                               ; =>This Inner Loop Header: Depth=1
	s_add_i32 s13, s13, -1
	global_store_dwordx2 v2, v[2:3], s[6:7]
	s_add_u32 s6, s6, s10
	s_addc_u32 s7, s7, s11
	s_cmp_eq_u32 s13, 0
	s_cbranch_scc0 .LBB73_3
.LBB73_4:
	s_or_b64 exec, exec, s[4:5]
	s_cbranch_execz .LBB73_6
	s_branch .LBB73_79
.LBB73_5:
.LBB73_6:
	s_load_dwordx4 s[28:31], s[0:1], 0x18
	s_load_dword s34, s[0:1], 0x28
	s_load_dwordx4 s[4:7], s[0:1], 0x30
	s_load_dwordx2 s[10:11], s[0:1], 0x40
	s_load_dword s23, s[0:1], 0x48
	s_mul_i32 s0, s3, s9
	s_mul_hi_u32 s1, s3, s8
	s_add_i32 s1, s1, s0
	s_mul_i32 s0, s3, s8
	s_lshl_b64 s[0:1], s[0:1], 3
	s_waitcnt lgkmcnt(0)
	s_add_u32 s6, s6, s0
	s_addc_u32 s7, s7, s1
	s_lshl_b64 s[0:1], s[10:11], 3
	s_add_u32 s36, s6, s0
	s_addc_u32 s37, s7, s1
	s_mul_i32 s0, s3, s5
	s_mul_hi_u32 s1, s3, s4
	s_add_i32 s1, s1, s0
	s_mul_i32 s0, s3, s4
	s_lshl_b64 s[38:39], s[0:1], 3
	s_add_u32 s0, s28, s38
	s_addc_u32 s1, s29, s39
	s_lshl_b64 s[30:31], s[30:31], 3
	s_add_u32 s0, s0, s30
	s_addc_u32 s1, s1, s31
	s_lshl_b32 s3, s2, 10
	v_lshl_or_b32 v14, v0, 2, s3
	v_ashrrev_i32_e32 v15, 31, v14
	v_lshl_add_u64 v[10:11], v[14:15], 3, s[0:1]
	s_lshr_b32 s0, s12, 30
	s_add_i32 s0, s25, s0
	s_and_b32 s3, s0, -4
	s_ashr_i32 s0, s24, 31
	s_lshr_b32 s0, s0, 30
	s_add_i32 s0, s24, s0
	s_and_b32 s0, s0, -4
	s_sub_i32 s33, s24, s0
	s_cmp_lt_i32 s3, 1
	v_add_u32_e32 v41, 4, v14
	v_add_u32_e32 v42, s33, v14
	v_and_b32_e32 v1, 63, v0
	v_cmp_gt_u32_e64 s[0:1], 64, v0
	v_mbcnt_lo_u32_b32 v40, -1, 0
	v_cmp_gt_u32_e64 s[4:5], 4, v0
	v_lshrrev_b32_e32 v13, 3, v0
	v_mul_lo_u32 v12, v14, s23
	s_cbranch_scc1 .LBB73_54
; %bb.7:
	v_mbcnt_hi_u32_b32 v2, -1, v40
	v_and_b32_e32 v3, 63, v2
	v_cmp_gt_u32_e32 vcc, 32, v3
	v_mul_lo_u32 v16, v14, s23
	s_cmp_gt_i32 s33, 0
	v_cndmask_b32_e64 v4, 0, 1, vcc
	v_lshlrev_b32_e32 v4, 5, v4
	v_cmp_gt_u32_e32 vcc, 48, v3
	v_add_lshl_u32 v43, v4, v2, 2
	s_cselect_b64 s[42:43], -1, 0
	v_cndmask_b32_e64 v4, 0, 1, vcc
	v_lshlrev_b32_e32 v4, 4, v4
	v_cmp_gt_u32_e32 vcc, 56, v3
	v_add_lshl_u32 v44, v4, v2, 2
	s_lshl_b32 s58, s34, 2
	v_cndmask_b32_e64 v4, 0, 1, vcc
	v_lshlrev_b32_e32 v4, 3, v4
	v_cmp_gt_u32_e32 vcc, 60, v3
	v_add_lshl_u32 v45, v4, v2, 2
	s_lshl_b32 s40, s34, 1
	v_cndmask_b32_e64 v4, 0, 1, vcc
	v_lshlrev_b32_e32 v4, 2, v4
	v_cmp_gt_u32_e32 vcc, 62, v3
	v_add_lshl_u32 v46, v4, v2, 2
	s_add_u32 s14, s38, s30
	v_cndmask_b32_e64 v4, 0, 1, vcc
	v_lshlrev_b32_e32 v4, 1, v4
	v_cmp_ne_u32_e32 vcc, 63, v3
	v_add_lshl_u32 v47, v4, v2, 2
	s_addc_u32 s15, s39, s31
	v_addc_co_u32_e32 v2, vcc, 0, v2, vcc
	v_lshlrev_b32_e32 v48, 2, v2
	v_add_u32_e32 v2, s23, v16
	v_ashrrev_i32_e32 v3, 31, v2
	v_lshl_add_u64 v[20:21], v[2:3], 3, s[36:37]
	v_add_u32_e32 v2, s23, v2
	v_ashrrev_i32_e32 v3, 31, v2
	s_mov_b32 s41, 0
	v_lshl_add_u64 v[22:23], v[2:3], 3, s[36:37]
	v_add_u32_e32 v2, s23, v2
	s_add_u32 s14, s28, s14
	v_ashrrev_i32_e32 v17, 31, v16
	v_ashrrev_i32_e32 v3, 31, v2
	s_mov_b32 s35, s41
	s_addc_u32 s15, s29, s15
	v_cmp_ge_i32_e64 s[6:7], s24, v41
	v_cmp_ge_i32_e64 s[8:9], s24, v42
	v_cmp_eq_u32_e64 s[10:11], 0, v1
	v_lshlrev_b32_e32 v49, 3, v1
	v_and_b32_e32 v50, 24, v13
	v_cmp_eq_u32_e64 s[12:13], 0, v0
	v_lshl_add_u64 v[18:19], v[16:17], 3, s[36:37]
	v_lshl_add_u64 v[24:25], v[2:3], 3, s[36:37]
	s_mul_i32 s59, s34, 3
	s_mov_b32 s60, s41
	v_lshl_add_u64 v[26:27], v[14:15], 3, s[14:15]
	v_mov_b32_e32 v28, 0
	s_mov_b32 s44, s41
	s_mov_b64 s[46:47], s[40:41]
	s_mov_b64 s[48:49], s[34:35]
	s_mov_b32 s35, 0
                                        ; implicit-def: $vgpr2_vgpr3_vgpr4_vgpr5_vgpr6_vgpr7_vgpr8_vgpr9
	s_branch .LBB73_9
.LBB73_8:                               ;   in Loop: Header=BB73_9 Depth=1
	s_or_b64 exec, exec, s[14:15]
	s_add_i32 s35, s35, 4
	s_add_u32 s48, s48, s58
	s_addc_u32 s49, s49, 0
	s_add_u32 s46, s46, s58
	s_addc_u32 s47, s47, 0
	;; [unrolled: 2-line block ×3, first 2 shown]
	s_add_i32 s44, s44, s58
	s_cmp_ge_i32 s35, s3
	s_cbranch_scc1 .LBB73_55
.LBB73_9:                               ; =>This Loop Header: Depth=1
                                        ;     Child Loop BB73_40 Depth 2
                                        ;     Child Loop BB73_43 Depth 2
                                        ; implicit-def: $vgpr30_vgpr31
                                        ; implicit-def: $vgpr32_vgpr33
                                        ; implicit-def: $vgpr34_vgpr35
                                        ; implicit-def: $vgpr36_vgpr37
	s_and_saveexec_b64 s[14:15], s[6:7]
	s_xor_b64 s[14:15], exec, s[14:15]
	s_cbranch_execnz .LBB73_36
; %bb.10:                               ;   in Loop: Header=BB73_9 Depth=1
	s_andn2_saveexec_b64 s[50:51], s[14:15]
	s_cbranch_execnz .LBB73_37
.LBB73_11:                              ;   in Loop: Header=BB73_9 Depth=1
	s_or_b64 exec, exec, s[50:51]
	s_and_saveexec_b64 s[14:15], s[0:1]
	s_cbranch_execz .LBB73_13
.LBB73_12:                              ;   in Loop: Header=BB73_9 Depth=1
	v_mov_b32_e32 v29, v28
	ds_write_b64 v49, v[28:29]
.LBB73_13:                              ;   in Loop: Header=BB73_9 Depth=1
	s_or_b64 exec, exec, s[14:15]
	ds_bpermute_b32 v38, v43, v36
	ds_bpermute_b32 v39, v43, v37
	s_waitcnt lgkmcnt(0)
	s_barrier
	v_add_f64 v[36:37], v[36:37], v[38:39]
	ds_bpermute_b32 v38, v44, v36
	ds_bpermute_b32 v39, v44, v37
	s_waitcnt lgkmcnt(0)
	v_add_f64 v[36:37], v[36:37], v[38:39]
	ds_bpermute_b32 v38, v45, v36
	ds_bpermute_b32 v39, v45, v37
	s_waitcnt lgkmcnt(0)
	;; [unrolled: 4-line block ×4, first 2 shown]
	v_add_f64 v[36:37], v[36:37], v[38:39]
	ds_bpermute_b32 v38, v48, v36
	ds_bpermute_b32 v39, v48, v37
	s_and_saveexec_b64 s[14:15], s[10:11]
	s_cbranch_execz .LBB73_15
; %bb.14:                               ;   in Loop: Header=BB73_9 Depth=1
	s_waitcnt lgkmcnt(0)
	v_add_f64 v[36:37], v[36:37], v[38:39]
	ds_write_b64 v50, v[36:37]
.LBB73_15:                              ;   in Loop: Header=BB73_9 Depth=1
	s_or_b64 exec, exec, s[14:15]
	v_mov_b64_e32 v[36:37], 0
	s_waitcnt lgkmcnt(0)
	s_barrier
	s_and_saveexec_b64 s[14:15], s[4:5]
	s_cbranch_execnz .LBB73_45
; %bb.16:                               ;   in Loop: Header=BB73_9 Depth=1
	s_or_b64 exec, exec, s[14:15]
	s_and_saveexec_b64 s[14:15], s[0:1]
	s_cbranch_execnz .LBB73_46
.LBB73_17:                              ;   in Loop: Header=BB73_9 Depth=1
	s_or_b64 exec, exec, s[14:15]
	s_and_saveexec_b64 s[14:15], s[0:1]
	s_cbranch_execz .LBB73_19
.LBB73_18:                              ;   in Loop: Header=BB73_9 Depth=1
	v_mov_b32_e32 v29, v28
	ds_write_b64 v49, v[28:29]
.LBB73_19:                              ;   in Loop: Header=BB73_9 Depth=1
	s_or_b64 exec, exec, s[14:15]
	ds_bpermute_b32 v38, v43, v34
	ds_bpermute_b32 v39, v43, v35
	s_waitcnt lgkmcnt(0)
	s_barrier
	v_add_f64 v[34:35], v[34:35], v[38:39]
	ds_bpermute_b32 v38, v44, v34
	ds_bpermute_b32 v39, v44, v35
	s_waitcnt lgkmcnt(0)
	v_add_f64 v[34:35], v[34:35], v[38:39]
	ds_bpermute_b32 v38, v45, v34
	ds_bpermute_b32 v39, v45, v35
	s_waitcnt lgkmcnt(0)
	;; [unrolled: 4-line block ×4, first 2 shown]
	v_add_f64 v[34:35], v[34:35], v[38:39]
	ds_bpermute_b32 v38, v48, v34
	ds_bpermute_b32 v39, v48, v35
	s_and_saveexec_b64 s[14:15], s[10:11]
	s_cbranch_execz .LBB73_21
; %bb.20:                               ;   in Loop: Header=BB73_9 Depth=1
	s_waitcnt lgkmcnt(0)
	v_add_f64 v[34:35], v[34:35], v[38:39]
	ds_write_b64 v50, v[34:35]
.LBB73_21:                              ;   in Loop: Header=BB73_9 Depth=1
	s_or_b64 exec, exec, s[14:15]
	v_mov_b64_e32 v[34:35], 0
	s_waitcnt lgkmcnt(0)
	s_barrier
	s_and_saveexec_b64 s[14:15], s[4:5]
	s_cbranch_execnz .LBB73_47
; %bb.22:                               ;   in Loop: Header=BB73_9 Depth=1
	s_or_b64 exec, exec, s[14:15]
	s_and_saveexec_b64 s[14:15], s[0:1]
	s_cbranch_execnz .LBB73_48
.LBB73_23:                              ;   in Loop: Header=BB73_9 Depth=1
	s_or_b64 exec, exec, s[14:15]
	s_and_saveexec_b64 s[14:15], s[0:1]
	s_cbranch_execz .LBB73_25
.LBB73_24:                              ;   in Loop: Header=BB73_9 Depth=1
	v_mov_b32_e32 v29, v28
	ds_write_b64 v49, v[28:29]
.LBB73_25:                              ;   in Loop: Header=BB73_9 Depth=1
	s_or_b64 exec, exec, s[14:15]
	ds_bpermute_b32 v38, v43, v32
	ds_bpermute_b32 v39, v43, v33
	s_waitcnt lgkmcnt(0)
	s_barrier
	v_add_f64 v[32:33], v[32:33], v[38:39]
	ds_bpermute_b32 v38, v44, v32
	ds_bpermute_b32 v39, v44, v33
	s_waitcnt lgkmcnt(0)
	v_add_f64 v[32:33], v[32:33], v[38:39]
	ds_bpermute_b32 v38, v45, v32
	ds_bpermute_b32 v39, v45, v33
	s_waitcnt lgkmcnt(0)
	;; [unrolled: 4-line block ×4, first 2 shown]
	v_add_f64 v[32:33], v[32:33], v[38:39]
	ds_bpermute_b32 v38, v48, v32
	ds_bpermute_b32 v39, v48, v33
	s_and_saveexec_b64 s[14:15], s[10:11]
	s_cbranch_execz .LBB73_27
; %bb.26:                               ;   in Loop: Header=BB73_9 Depth=1
	s_waitcnt lgkmcnt(0)
	v_add_f64 v[32:33], v[32:33], v[38:39]
	ds_write_b64 v50, v[32:33]
.LBB73_27:                              ;   in Loop: Header=BB73_9 Depth=1
	s_or_b64 exec, exec, s[14:15]
	v_mov_b64_e32 v[32:33], 0
	s_waitcnt lgkmcnt(0)
	s_barrier
	s_and_saveexec_b64 s[14:15], s[4:5]
	s_cbranch_execnz .LBB73_49
; %bb.28:                               ;   in Loop: Header=BB73_9 Depth=1
	s_or_b64 exec, exec, s[14:15]
	s_and_saveexec_b64 s[14:15], s[0:1]
	s_cbranch_execnz .LBB73_50
.LBB73_29:                              ;   in Loop: Header=BB73_9 Depth=1
	s_or_b64 exec, exec, s[14:15]
	s_and_saveexec_b64 s[14:15], s[0:1]
	s_cbranch_execz .LBB73_31
.LBB73_30:                              ;   in Loop: Header=BB73_9 Depth=1
	v_mov_b32_e32 v29, v28
	ds_write_b64 v49, v[28:29]
.LBB73_31:                              ;   in Loop: Header=BB73_9 Depth=1
	s_or_b64 exec, exec, s[14:15]
	ds_bpermute_b32 v38, v43, v30
	ds_bpermute_b32 v39, v43, v31
	s_waitcnt lgkmcnt(0)
	s_barrier
	v_add_f64 v[30:31], v[30:31], v[38:39]
	ds_bpermute_b32 v38, v44, v30
	ds_bpermute_b32 v39, v44, v31
	s_waitcnt lgkmcnt(0)
	v_add_f64 v[30:31], v[30:31], v[38:39]
	ds_bpermute_b32 v38, v45, v30
	ds_bpermute_b32 v39, v45, v31
	s_waitcnt lgkmcnt(0)
	;; [unrolled: 4-line block ×4, first 2 shown]
	v_add_f64 v[30:31], v[30:31], v[38:39]
	ds_bpermute_b32 v38, v48, v30
	ds_bpermute_b32 v39, v48, v31
	s_and_saveexec_b64 s[14:15], s[10:11]
	s_cbranch_execz .LBB73_33
; %bb.32:                               ;   in Loop: Header=BB73_9 Depth=1
	s_waitcnt lgkmcnt(0)
	v_add_f64 v[30:31], v[30:31], v[38:39]
	ds_write_b64 v50, v[30:31]
.LBB73_33:                              ;   in Loop: Header=BB73_9 Depth=1
	s_or_b64 exec, exec, s[14:15]
	v_mov_b64_e32 v[30:31], 0
	s_waitcnt lgkmcnt(0)
	s_barrier
	s_and_saveexec_b64 s[14:15], s[4:5]
	s_cbranch_execnz .LBB73_51
; %bb.34:                               ;   in Loop: Header=BB73_9 Depth=1
	s_or_b64 exec, exec, s[14:15]
	s_and_saveexec_b64 s[14:15], s[0:1]
	s_cbranch_execnz .LBB73_52
.LBB73_35:                              ;   in Loop: Header=BB73_9 Depth=1
	s_or_b64 exec, exec, s[14:15]
	s_and_saveexec_b64 s[14:15], s[12:13]
	s_cbranch_execz .LBB73_8
	s_branch .LBB73_53
.LBB73_36:                              ;   in Loop: Header=BB73_9 Depth=1
	s_mul_i32 s16, s35, s34
	s_ashr_i32 s17, s16, 31
	v_lshl_add_u64 v[8:9], s[16:17], 3, v[10:11]
	s_add_i32 s16, s16, s34
	s_ashr_i32 s17, s16, 31
	v_lshl_add_u64 v[34:35], s[16:17], 3, v[10:11]
	s_add_i32 s16, s16, s34
	s_ashr_i32 s17, s16, 31
	global_load_dwordx2 v[2:3], v[18:19], off
	global_load_dwordx2 v[4:5], v[20:21], off
	;; [unrolled: 1-line block ×3, first 2 shown]
	global_load_dwordx4 v[52:55], v[8:9], off offset:16
	s_waitcnt lgkmcnt(0)
	global_load_dwordx4 v[30:33], v[8:9], off
	v_lshl_add_u64 v[36:37], s[16:17], 3, v[10:11]
	s_add_i32 s16, s16, s34
	global_load_dwordx4 v[56:59], v[34:35], off
	global_load_dwordx4 v[60:63], v[36:37], off
	s_ashr_i32 s17, s16, 31
	v_lshl_add_u64 v[38:39], s[16:17], 3, v[10:11]
	global_load_dwordx4 v[64:67], v[38:39], off
	global_load_dwordx4 v[68:71], v[34:35], off offset:16
	global_load_dwordx2 v[8:9], v[24:25], off
	global_load_dwordx4 v[72:75], v[36:37], off offset:16
	global_load_dwordx4 v[76:79], v[38:39], off offset:16
	s_waitcnt vmcnt(7)
	v_fma_f64 v[36:37], v[2:3], v[30:31], 0
	v_fmac_f64_e32 v[36:37], v[4:5], v[32:33]
	v_fmac_f64_e32 v[36:37], v[6:7], v[52:53]
	s_waitcnt vmcnt(6)
	v_fma_f64 v[34:35], v[2:3], v[56:57], 0
	s_waitcnt vmcnt(5)
	v_fma_f64 v[32:33], v[2:3], v[60:61], 0
	s_waitcnt vmcnt(4)
	v_fma_f64 v[30:31], v[2:3], v[64:65], 0
	v_fmac_f64_e32 v[34:35], v[4:5], v[58:59]
	v_fmac_f64_e32 v[32:33], v[4:5], v[62:63]
	;; [unrolled: 1-line block ×3, first 2 shown]
	s_waitcnt vmcnt(3)
	v_fmac_f64_e32 v[34:35], v[6:7], v[68:69]
	s_waitcnt vmcnt(1)
	v_fmac_f64_e32 v[32:33], v[6:7], v[72:73]
	;; [unrolled: 2-line block ×3, first 2 shown]
	v_fmac_f64_e32 v[36:37], v[8:9], v[54:55]
	v_fmac_f64_e32 v[34:35], v[8:9], v[70:71]
	v_fmac_f64_e32 v[32:33], v[8:9], v[74:75]
	v_fmac_f64_e32 v[30:31], v[8:9], v[78:79]
	s_andn2_saveexec_b64 s[50:51], s[14:15]
	s_cbranch_execz .LBB73_11
.LBB73_37:                              ;   in Loop: Header=BB73_9 Depth=1
	s_waitcnt lgkmcnt(0)
	v_mov_b64_e32 v[30:31], 0
	v_mov_b64_e32 v[32:33], v[30:31]
	;; [unrolled: 1-line block ×4, first 2 shown]
	s_and_saveexec_b64 s[52:53], s[8:9]
	s_cbranch_execz .LBB73_44
; %bb.38:                               ;   in Loop: Header=BB73_9 Depth=1
	v_cndmask_b32_e64 v17, 0, 1, s[42:43]
	v_cmp_ne_u32_e64 s[14:15], 1, v17
	s_andn2_b64 vcc, exec, s[42:43]
	s_cbranch_vccnz .LBB73_41
; %bb.39:                               ;   in Loop: Header=BB73_9 Depth=1
	s_mov_b64 s[54:55], 0
	v_mov_b32_e32 v30, v16
.LBB73_40:                              ;   Parent Loop BB73_9 Depth=1
                                        ; =>  This Inner Loop Header: Depth=2
	v_ashrrev_i32_e32 v31, 31, v30
	v_lshl_add_u64 v[32:33], v[30:31], 3, s[36:37]
	global_load_dwordx2 v[32:33], v[32:33], off
	s_cmp_eq_u32 s54, 3
	s_cselect_b64 vcc, -1, 0
	s_cmp_eq_u32 s54, 2
	s_cselect_b64 s[16:17], -1, 0
	s_cmp_eq_u32 s54, 1
	s_cselect_b64 s[18:19], -1, 0
	;; [unrolled: 2-line block ×3, first 2 shown]
	s_add_u32 s54, s54, 1
	s_addc_u32 s55, s55, 0
	v_add_u32_e32 v30, s23, v30
	s_cmp_eq_u32 s33, s54
	s_waitcnt vmcnt(0)
	v_cndmask_b32_e32 v9, v9, v33, vcc
	v_cndmask_b32_e32 v8, v8, v32, vcc
	v_cndmask_b32_e64 v7, v7, v33, s[16:17]
	v_cndmask_b32_e64 v6, v6, v32, s[16:17]
	;; [unrolled: 1-line block ×6, first 2 shown]
	s_cbranch_scc0 .LBB73_40
.LBB73_41:                              ;   in Loop: Header=BB73_9 Depth=1
	v_mov_b64_e32 v[30:31], 0
	s_and_b64 vcc, exec, s[14:15]
	v_mov_b64_e32 v[32:33], v[30:31]
	v_mov_b64_e32 v[34:35], v[30:31]
	;; [unrolled: 1-line block ×3, first 2 shown]
	s_cbranch_vccnz .LBB73_44
; %bb.42:                               ;   in Loop: Header=BB73_9 Depth=1
	s_ashr_i32 s45, s44, 31
	v_mov_b64_e32 v[36:37], 0
	v_lshl_add_u64 v[38:39], s[44:45], 3, v[26:27]
	s_mov_b64 s[18:19], 0
	v_mov_b64_e32 v[34:35], v[36:37]
	v_mov_b64_e32 v[32:33], v[36:37]
	v_mov_b64_e32 v[30:31], v[36:37]
.LBB73_43:                              ;   Parent Loop BB73_9 Depth=1
                                        ; =>  This Inner Loop Header: Depth=2
	s_cmp_eq_u32 s18, 1
	s_cselect_b64 vcc, -1, 0
	s_cmp_eq_u32 s18, 2
	s_cselect_b64 s[14:15], -1, 0
	s_cmp_eq_u32 s18, 3
	s_cselect_b64 s[16:17], -1, 0
	s_add_i32 s20, s48, s18
	s_add_i32 s54, s46, s18
	;; [unrolled: 1-line block ×3, first 2 shown]
	s_ashr_i32 s21, s20, 31
	s_ashr_i32 s55, s54, 31
	;; [unrolled: 1-line block ×3, first 2 shown]
	v_lshl_add_u64 v[54:55], s[20:21], 3, v[10:11]
	v_lshl_add_u64 v[56:57], s[54:55], 3, v[10:11]
	;; [unrolled: 1-line block ×3, first 2 shown]
	global_load_dwordx2 v[52:53], v[38:39], off
	s_nop 0
	global_load_dwordx2 v[54:55], v[54:55], off
	s_nop 0
	;; [unrolled: 2-line block ×3, first 2 shown]
	global_load_dwordx2 v[58:59], v[58:59], off
	v_cndmask_b32_e32 v17, v3, v5, vcc
	v_cndmask_b32_e64 v17, v17, v7, s[14:15]
	v_cndmask_b32_e32 v29, v2, v4, vcc
	v_cndmask_b32_e64 v61, v17, v9, s[16:17]
	v_cndmask_b32_e64 v17, v29, v6, s[14:15]
	s_add_u32 s18, s18, 1
	v_cndmask_b32_e64 v60, v17, v8, s[16:17]
	s_addc_u32 s19, s19, 0
	v_lshl_add_u64 v[38:39], v[38:39], 0, 8
	s_cmp_lg_u32 s33, s18
	s_waitcnt vmcnt(2)
	v_fmac_f64_e32 v[34:35], v[60:61], v[54:55]
	v_fmac_f64_e32 v[36:37], v[60:61], v[52:53]
	s_waitcnt vmcnt(1)
	v_fmac_f64_e32 v[32:33], v[60:61], v[56:57]
	s_waitcnt vmcnt(0)
	v_fmac_f64_e32 v[30:31], v[60:61], v[58:59]
	s_cbranch_scc1 .LBB73_43
.LBB73_44:                              ;   in Loop: Header=BB73_9 Depth=1
	s_or_b64 exec, exec, s[52:53]
	s_or_b64 exec, exec, s[50:51]
	s_and_saveexec_b64 s[14:15], s[0:1]
	s_cbranch_execnz .LBB73_12
	s_branch .LBB73_13
.LBB73_45:                              ;   in Loop: Header=BB73_9 Depth=1
	ds_read_b64 v[36:37], v49
	s_or_b64 exec, exec, s[14:15]
	s_and_saveexec_b64 s[14:15], s[0:1]
	s_cbranch_execz .LBB73_17
.LBB73_46:                              ;   in Loop: Header=BB73_9 Depth=1
	s_waitcnt lgkmcnt(0)
	ds_bpermute_b32 v38, v47, v36
	ds_bpermute_b32 v39, v47, v37
	s_waitcnt lgkmcnt(0)
	v_add_f64 v[36:37], v[36:37], v[38:39]
	ds_bpermute_b32 v38, v48, v36
	ds_bpermute_b32 v39, v48, v37
	s_waitcnt lgkmcnt(0)
	v_add_f64 v[36:37], v[36:37], v[38:39]
	s_or_b64 exec, exec, s[14:15]
	s_and_saveexec_b64 s[14:15], s[0:1]
	s_cbranch_execnz .LBB73_18
	s_branch .LBB73_19
.LBB73_47:                              ;   in Loop: Header=BB73_9 Depth=1
	ds_read_b64 v[34:35], v49
	s_or_b64 exec, exec, s[14:15]
	s_and_saveexec_b64 s[14:15], s[0:1]
	s_cbranch_execz .LBB73_23
.LBB73_48:                              ;   in Loop: Header=BB73_9 Depth=1
	s_waitcnt lgkmcnt(0)
	ds_bpermute_b32 v38, v47, v34
	ds_bpermute_b32 v39, v47, v35
	s_waitcnt lgkmcnt(0)
	v_add_f64 v[34:35], v[34:35], v[38:39]
	ds_bpermute_b32 v38, v48, v34
	ds_bpermute_b32 v39, v48, v35
	s_waitcnt lgkmcnt(0)
	v_add_f64 v[34:35], v[34:35], v[38:39]
	s_or_b64 exec, exec, s[14:15]
	s_and_saveexec_b64 s[14:15], s[0:1]
	s_cbranch_execnz .LBB73_24
	s_branch .LBB73_25
.LBB73_49:                              ;   in Loop: Header=BB73_9 Depth=1
	ds_read_b64 v[32:33], v49
	s_or_b64 exec, exec, s[14:15]
	s_and_saveexec_b64 s[14:15], s[0:1]
	s_cbranch_execz .LBB73_29
.LBB73_50:                              ;   in Loop: Header=BB73_9 Depth=1
	s_waitcnt lgkmcnt(0)
	ds_bpermute_b32 v38, v47, v32
	ds_bpermute_b32 v39, v47, v33
	s_waitcnt lgkmcnt(0)
	v_add_f64 v[32:33], v[32:33], v[38:39]
	ds_bpermute_b32 v38, v48, v32
	ds_bpermute_b32 v39, v48, v33
	s_waitcnt lgkmcnt(0)
	v_add_f64 v[32:33], v[32:33], v[38:39]
	s_or_b64 exec, exec, s[14:15]
	s_and_saveexec_b64 s[14:15], s[0:1]
	s_cbranch_execnz .LBB73_30
	s_branch .LBB73_31
.LBB73_51:                              ;   in Loop: Header=BB73_9 Depth=1
	ds_read_b64 v[30:31], v49
	s_or_b64 exec, exec, s[14:15]
	s_and_saveexec_b64 s[14:15], s[0:1]
	s_cbranch_execz .LBB73_35
.LBB73_52:                              ;   in Loop: Header=BB73_9 Depth=1
	s_waitcnt lgkmcnt(0)
	ds_bpermute_b32 v38, v47, v30
	ds_bpermute_b32 v39, v47, v31
	s_waitcnt lgkmcnt(0)
	v_add_f64 v[30:31], v[30:31], v[38:39]
	ds_bpermute_b32 v38, v48, v30
	ds_bpermute_b32 v39, v48, v31
	s_waitcnt lgkmcnt(0)
	v_add_f64 v[30:31], v[30:31], v[38:39]
	s_or_b64 exec, exec, s[14:15]
	s_and_saveexec_b64 s[14:15], s[12:13]
	s_cbranch_execz .LBB73_8
.LBB73_53:                              ;   in Loop: Header=BB73_9 Depth=1
	s_mul_i32 s16, s35, s22
	s_add_i32 s40, s16, s2
	s_lshl_b64 s[16:17], s[40:41], 3
	s_add_u32 s16, s56, s16
	v_mul_f64 v[36:37], v[36:37], s[26:27]
	s_addc_u32 s17, s57, s17
	s_add_i32 s40, s40, s22
	global_store_dwordx2 v28, v[36:37], s[16:17]
	s_lshl_b64 s[16:17], s[40:41], 3
	s_add_u32 s16, s56, s16
	v_mul_f64 v[34:35], v[34:35], s[26:27]
	s_addc_u32 s17, s57, s17
	s_add_i32 s40, s40, s22
	global_store_dwordx2 v28, v[34:35], s[16:17]
	;; [unrolled: 6-line block ×3, first 2 shown]
	s_lshl_b64 s[16:17], s[40:41], 3
	s_add_u32 s16, s56, s16
	s_waitcnt lgkmcnt(0)
	v_mul_f64 v[30:31], v[30:31], s[26:27]
	s_addc_u32 s17, s57, s17
	global_store_dwordx2 v28, v[30:31], s[16:17]
	s_branch .LBB73_8
.LBB73_54:
	s_mov_b32 s35, 0
                                        ; implicit-def: $vgpr2_vgpr3_vgpr4_vgpr5_vgpr6_vgpr7_vgpr8_vgpr9
.LBB73_55:
	s_cmp_ge_i32 s35, s25
	s_cbranch_scc1 .LBB73_79
; %bb.56:
	v_mbcnt_hi_u32_b32 v16, -1, v40
	v_and_b32_e32 v17, 63, v16
	v_cmp_gt_u32_e32 vcc, 32, v17
	s_mov_b32 s3, 0
	s_cmp_gt_i32 s33, 0
	v_cndmask_b32_e64 v18, 0, 1, vcc
	v_lshlrev_b32_e32 v18, 5, v18
	v_cmp_gt_u32_e32 vcc, 48, v17
	v_add_lshl_u32 v29, v18, v16, 2
	s_cselect_b64 s[40:41], -1, 0
	v_cndmask_b32_e64 v18, 0, 1, vcc
	v_lshlrev_b32_e32 v18, 4, v18
	v_cmp_gt_u32_e32 vcc, 56, v17
	s_waitcnt lgkmcnt(0)
	v_add_lshl_u32 v30, v18, v16, 2
	s_lshl_b64 s[14:15], s[2:3], 3
	v_cndmask_b32_e64 v18, 0, 1, vcc
	v_lshlrev_b32_e32 v18, 3, v18
	v_cmp_gt_u32_e32 vcc, 60, v17
	v_add_lshl_u32 v31, v18, v16, 2
	s_add_u32 s2, s56, s14
	v_cndmask_b32_e64 v18, 0, 1, vcc
	v_lshlrev_b32_e32 v18, 2, v18
	v_cmp_gt_u32_e32 vcc, 62, v17
	v_add_lshl_u32 v32, v18, v16, 2
	v_cmp_ge_i32_e64 s[0:1], s24, v41
	v_cndmask_b32_e64 v18, 0, 1, vcc
	v_lshlrev_b32_e32 v18, 1, v18
	v_cmp_ge_i32_e64 s[4:5], s24, v42
	v_add_lshl_u32 v33, v18, v16, 2
	s_addc_u32 s24, s57, s15
	v_add_u32_e32 v18, s23, v12
	v_cmp_ne_u32_e32 vcc, 63, v17
	v_add_u32_e32 v20, s23, v18
	s_add_u32 s14, s38, s30
	v_addc_co_u32_e32 v16, vcc, 0, v16, vcc
	v_ashrrev_i32_e32 v19, 31, v18
	v_ashrrev_i32_e32 v21, 31, v20
	s_addc_u32 s15, s39, s31
	v_lshlrev_b32_e32 v34, 2, v16
	v_lshl_add_u64 v[16:17], v[18:19], 3, s[36:37]
	v_lshl_add_u64 v[18:19], v[20:21], 3, s[36:37]
	v_add_u32_e32 v20, s23, v20
	s_add_u32 s14, s28, s14
	v_and_b32_e32 v35, 24, v13
	v_ashrrev_i32_e32 v13, 31, v12
	v_ashrrev_i32_e32 v21, 31, v20
	s_addc_u32 s15, s29, s15
	v_cmp_gt_u32_e64 s[6:7], 64, v0
	v_lshlrev_b32_e32 v28, 3, v1
	v_cmp_eq_u32_e64 s[8:9], 0, v1
	v_cmp_gt_u32_e64 s[10:11], 4, v0
	v_cmp_eq_u32_e64 s[12:13], 0, v0
	v_lshl_add_u64 v[0:1], v[12:13], 3, s[36:37]
	v_lshl_add_u64 v[20:21], v[20:21], 3, s[36:37]
	v_lshl_add_u64 v[14:15], v[14:15], 3, s[14:15]
	s_mul_i32 s28, s35, s34
	v_mov_b32_e32 v22, 0
	s_branch .LBB73_58
.LBB73_57:                              ;   in Loop: Header=BB73_58 Depth=1
	s_or_b64 exec, exec, s[14:15]
	s_add_i32 s35, s35, 1
	s_add_i32 s28, s28, s34
	s_cmp_ge_i32 s35, s25
	s_cbranch_scc1 .LBB73_79
.LBB73_58:                              ; =>This Loop Header: Depth=1
                                        ;     Child Loop BB73_71 Depth 2
                                        ;     Child Loop BB73_74 Depth 2
	s_waitcnt lgkmcnt(0)
	v_mov_b32_e32 v24, s3
	v_mov_b32_e32 v25, s3
	s_and_saveexec_b64 s[14:15], s[0:1]
	s_xor_b64 s[14:15], exec, s[14:15]
	s_cbranch_execnz .LBB73_67
; %bb.59:                               ;   in Loop: Header=BB73_58 Depth=1
	s_andn2_saveexec_b64 s[30:31], s[14:15]
	s_cbranch_execnz .LBB73_68
.LBB73_60:                              ;   in Loop: Header=BB73_58 Depth=1
	s_or_b64 exec, exec, s[30:31]
	s_and_saveexec_b64 s[14:15], s[6:7]
	s_cbranch_execz .LBB73_62
.LBB73_61:                              ;   in Loop: Header=BB73_58 Depth=1
	v_mov_b32_e32 v23, v22
	ds_write_b64 v28, v[22:23]
.LBB73_62:                              ;   in Loop: Header=BB73_58 Depth=1
	s_or_b64 exec, exec, s[14:15]
	ds_bpermute_b32 v26, v29, v24
	ds_bpermute_b32 v27, v29, v25
	s_waitcnt lgkmcnt(0)
	s_barrier
	v_add_f64 v[24:25], v[24:25], v[26:27]
	ds_bpermute_b32 v26, v30, v24
	ds_bpermute_b32 v27, v30, v25
	s_waitcnt lgkmcnt(0)
	v_add_f64 v[24:25], v[24:25], v[26:27]
	ds_bpermute_b32 v26, v31, v24
	ds_bpermute_b32 v27, v31, v25
	s_waitcnt lgkmcnt(0)
	;; [unrolled: 4-line block ×4, first 2 shown]
	v_add_f64 v[24:25], v[24:25], v[26:27]
	ds_bpermute_b32 v26, v34, v24
	ds_bpermute_b32 v27, v34, v25
	s_and_saveexec_b64 s[14:15], s[8:9]
	s_cbranch_execz .LBB73_64
; %bb.63:                               ;   in Loop: Header=BB73_58 Depth=1
	s_waitcnt lgkmcnt(0)
	v_add_f64 v[24:25], v[24:25], v[26:27]
	ds_write_b64 v35, v[24:25]
.LBB73_64:                              ;   in Loop: Header=BB73_58 Depth=1
	s_or_b64 exec, exec, s[14:15]
	v_mov_b64_e32 v[24:25], 0
	s_waitcnt lgkmcnt(0)
	s_barrier
	s_and_saveexec_b64 s[14:15], s[10:11]
	s_cbranch_execnz .LBB73_76
; %bb.65:                               ;   in Loop: Header=BB73_58 Depth=1
	s_or_b64 exec, exec, s[14:15]
	s_and_saveexec_b64 s[14:15], s[6:7]
	s_cbranch_execnz .LBB73_77
.LBB73_66:                              ;   in Loop: Header=BB73_58 Depth=1
	s_or_b64 exec, exec, s[14:15]
	s_and_saveexec_b64 s[14:15], s[12:13]
	s_cbranch_execz .LBB73_57
	s_branch .LBB73_78
.LBB73_67:                              ;   in Loop: Header=BB73_58 Depth=1
	s_mul_i32 s16, s35, s34
	s_ashr_i32 s17, s16, 31
	v_lshl_add_u64 v[40:41], s[16:17], 3, v[10:11]
	global_load_dwordx4 v[36:39], v[40:41], off offset:16
	global_load_dwordx4 v[24:27], v[40:41], off
	global_load_dwordx2 v[2:3], v[0:1], off
	global_load_dwordx2 v[4:5], v[16:17], off
	;; [unrolled: 1-line block ×4, first 2 shown]
	s_waitcnt vmcnt(3)
	v_fma_f64 v[24:25], v[2:3], v[24:25], 0
	s_waitcnt vmcnt(2)
	v_fmac_f64_e32 v[24:25], v[4:5], v[26:27]
	s_waitcnt vmcnt(1)
	v_fmac_f64_e32 v[24:25], v[6:7], v[36:37]
	;; [unrolled: 2-line block ×3, first 2 shown]
	s_andn2_saveexec_b64 s[30:31], s[14:15]
	s_cbranch_execz .LBB73_60
.LBB73_68:                              ;   in Loop: Header=BB73_58 Depth=1
	s_and_saveexec_b64 s[38:39], s[4:5]
	s_cbranch_execz .LBB73_75
; %bb.69:                               ;   in Loop: Header=BB73_58 Depth=1
	v_cndmask_b32_e64 v13, 0, 1, s[40:41]
	v_cmp_ne_u32_e64 s[14:15], 1, v13
	s_andn2_b64 vcc, exec, s[40:41]
	s_cbranch_vccnz .LBB73_72
; %bb.70:                               ;   in Loop: Header=BB73_58 Depth=1
	s_mov_b64 s[42:43], 0
	v_mov_b32_e32 v26, v12
.LBB73_71:                              ;   Parent Loop BB73_58 Depth=1
                                        ; =>  This Inner Loop Header: Depth=2
	v_ashrrev_i32_e32 v27, 31, v26
	v_lshl_add_u64 v[36:37], v[26:27], 3, s[36:37]
	global_load_dwordx2 v[36:37], v[36:37], off
	s_cmp_eq_u32 s42, 3
	s_cselect_b64 vcc, -1, 0
	s_cmp_eq_u32 s42, 2
	s_cselect_b64 s[16:17], -1, 0
	s_cmp_eq_u32 s42, 1
	s_cselect_b64 s[18:19], -1, 0
	;; [unrolled: 2-line block ×3, first 2 shown]
	s_add_u32 s42, s42, 1
	s_addc_u32 s43, s43, 0
	v_add_u32_e32 v26, s23, v26
	s_cmp_eq_u32 s33, s42
	s_waitcnt vmcnt(0)
	v_cndmask_b32_e32 v9, v9, v37, vcc
	v_cndmask_b32_e32 v8, v8, v36, vcc
	v_cndmask_b32_e64 v7, v7, v37, s[16:17]
	v_cndmask_b32_e64 v6, v6, v36, s[16:17]
	;; [unrolled: 1-line block ×6, first 2 shown]
	s_cbranch_scc0 .LBB73_71
.LBB73_72:                              ;   in Loop: Header=BB73_58 Depth=1
	s_and_b64 vcc, exec, s[14:15]
	s_cbranch_vccnz .LBB73_75
; %bb.73:                               ;   in Loop: Header=BB73_58 Depth=1
	s_ashr_i32 s29, s28, 31
	v_lshl_add_u64 v[26:27], s[28:29], 3, v[14:15]
	s_mov_b64 s[16:17], 0
.LBB73_74:                              ;   Parent Loop BB73_58 Depth=1
                                        ; =>  This Inner Loop Header: Depth=2
	global_load_dwordx2 v[36:37], v[26:27], off
	s_cmp_eq_u32 s16, 1
	s_cselect_b64 vcc, -1, 0
	s_cmp_eq_u32 s16, 2
	v_cndmask_b32_e32 v13, v3, v5, vcc
	s_cselect_b64 s[14:15], -1, 0
	s_cmp_eq_u32 s16, 3
	v_cndmask_b32_e64 v13, v13, v7, s[14:15]
	v_cndmask_b32_e32 v23, v2, v4, vcc
	s_cselect_b64 vcc, -1, 0
	v_cndmask_b32_e32 v39, v13, v9, vcc
	v_cndmask_b32_e64 v13, v23, v6, s[14:15]
	s_add_u32 s16, s16, 1
	v_cndmask_b32_e32 v38, v13, v8, vcc
	s_addc_u32 s17, s17, 0
	v_lshl_add_u64 v[26:27], v[26:27], 0, 8
	s_cmp_lg_u32 s33, s16
	s_waitcnt vmcnt(0)
	v_fmac_f64_e32 v[24:25], v[38:39], v[36:37]
	s_cbranch_scc1 .LBB73_74
.LBB73_75:                              ;   in Loop: Header=BB73_58 Depth=1
	s_or_b64 exec, exec, s[38:39]
	s_or_b64 exec, exec, s[30:31]
	s_and_saveexec_b64 s[14:15], s[6:7]
	s_cbranch_execnz .LBB73_61
	s_branch .LBB73_62
.LBB73_76:                              ;   in Loop: Header=BB73_58 Depth=1
	ds_read_b64 v[24:25], v28
	s_or_b64 exec, exec, s[14:15]
	s_and_saveexec_b64 s[14:15], s[6:7]
	s_cbranch_execz .LBB73_66
.LBB73_77:                              ;   in Loop: Header=BB73_58 Depth=1
	s_waitcnt lgkmcnt(0)
	ds_bpermute_b32 v26, v33, v24
	ds_bpermute_b32 v27, v33, v25
	s_waitcnt lgkmcnt(0)
	v_add_f64 v[24:25], v[24:25], v[26:27]
	ds_bpermute_b32 v26, v34, v24
	ds_bpermute_b32 v27, v34, v25
	s_waitcnt lgkmcnt(0)
	v_add_f64 v[24:25], v[24:25], v[26:27]
	s_or_b64 exec, exec, s[14:15]
	s_and_saveexec_b64 s[14:15], s[12:13]
	s_cbranch_execz .LBB73_57
.LBB73_78:                              ;   in Loop: Header=BB73_58 Depth=1
	s_mul_hi_u32 s17, s35, s22
	s_mul_i32 s16, s35, s22
	s_lshl_b64 s[16:17], s[16:17], 3
	s_add_u32 s16, s2, s16
	s_waitcnt lgkmcnt(0)
	v_mul_f64 v[24:25], v[24:25], s[26:27]
	s_addc_u32 s17, s24, s17
	global_store_dwordx2 v22, v[24:25], s[16:17]
	s_branch .LBB73_57
.LBB73_79:
	s_endpgm
	.section	.rodata,"a",@progbits
	.p2align	6, 0x0
	.amdhsa_kernel _ZL23rocblas_gemvt_sn_kernelILb0ELi256ELi4EidddEviiT4_lPKT3_lilS3_lilPT5_i
		.amdhsa_group_segment_fixed_size 512
		.amdhsa_private_segment_fixed_size 0
		.amdhsa_kernarg_size 360
		.amdhsa_user_sgpr_count 2
		.amdhsa_user_sgpr_dispatch_ptr 0
		.amdhsa_user_sgpr_queue_ptr 0
		.amdhsa_user_sgpr_kernarg_segment_ptr 1
		.amdhsa_user_sgpr_dispatch_id 0
		.amdhsa_user_sgpr_kernarg_preload_length 0
		.amdhsa_user_sgpr_kernarg_preload_offset 0
		.amdhsa_user_sgpr_private_segment_size 0
		.amdhsa_uses_dynamic_stack 0
		.amdhsa_enable_private_segment 0
		.amdhsa_system_sgpr_workgroup_id_x 1
		.amdhsa_system_sgpr_workgroup_id_y 0
		.amdhsa_system_sgpr_workgroup_id_z 1
		.amdhsa_system_sgpr_workgroup_info 0
		.amdhsa_system_vgpr_workitem_id 0
		.amdhsa_next_free_vgpr 80
		.amdhsa_next_free_sgpr 64
		.amdhsa_accum_offset 80
		.amdhsa_reserve_vcc 1
		.amdhsa_float_round_mode_32 0
		.amdhsa_float_round_mode_16_64 0
		.amdhsa_float_denorm_mode_32 3
		.amdhsa_float_denorm_mode_16_64 3
		.amdhsa_dx10_clamp 1
		.amdhsa_ieee_mode 1
		.amdhsa_fp16_overflow 0
		.amdhsa_tg_split 0
		.amdhsa_exception_fp_ieee_invalid_op 0
		.amdhsa_exception_fp_denorm_src 0
		.amdhsa_exception_fp_ieee_div_zero 0
		.amdhsa_exception_fp_ieee_overflow 0
		.amdhsa_exception_fp_ieee_underflow 0
		.amdhsa_exception_fp_ieee_inexact 0
		.amdhsa_exception_int_div_zero 0
	.end_amdhsa_kernel
	.section	.text._ZL23rocblas_gemvt_sn_kernelILb0ELi256ELi4EidddEviiT4_lPKT3_lilS3_lilPT5_i,"axG",@progbits,_ZL23rocblas_gemvt_sn_kernelILb0ELi256ELi4EidddEviiT4_lPKT3_lilS3_lilPT5_i,comdat
.Lfunc_end73:
	.size	_ZL23rocblas_gemvt_sn_kernelILb0ELi256ELi4EidddEviiT4_lPKT3_lilS3_lilPT5_i, .Lfunc_end73-_ZL23rocblas_gemvt_sn_kernelILb0ELi256ELi4EidddEviiT4_lPKT3_lilS3_lilPT5_i
                                        ; -- End function
	.section	.AMDGPU.csdata,"",@progbits
; Kernel info:
; codeLenInByte = 4352
; NumSgprs: 70
; NumVgprs: 80
; NumAgprs: 0
; TotalNumVgprs: 80
; ScratchSize: 0
; MemoryBound: 1
; FloatMode: 240
; IeeeMode: 1
; LDSByteSize: 512 bytes/workgroup (compile time only)
; SGPRBlocks: 8
; VGPRBlocks: 9
; NumSGPRsForWavesPerEU: 70
; NumVGPRsForWavesPerEU: 80
; AccumOffset: 80
; Occupancy: 6
; WaveLimiterHint : 1
; COMPUTE_PGM_RSRC2:SCRATCH_EN: 0
; COMPUTE_PGM_RSRC2:USER_SGPR: 2
; COMPUTE_PGM_RSRC2:TRAP_HANDLER: 0
; COMPUTE_PGM_RSRC2:TGID_X_EN: 1
; COMPUTE_PGM_RSRC2:TGID_Y_EN: 0
; COMPUTE_PGM_RSRC2:TGID_Z_EN: 1
; COMPUTE_PGM_RSRC2:TIDIG_COMP_CNT: 0
; COMPUTE_PGM_RSRC3_GFX90A:ACCUM_OFFSET: 19
; COMPUTE_PGM_RSRC3_GFX90A:TG_SPLIT: 0
	.section	.text._ZL23rocblas_gemvt_sn_kernelILb0ELi256ELi4EldddEviiT4_lPKT3_lilS3_lilPT5_i,"axG",@progbits,_ZL23rocblas_gemvt_sn_kernelILb0ELi256ELi4EldddEviiT4_lPKT3_lilS3_lilPT5_i,comdat
	.globl	_ZL23rocblas_gemvt_sn_kernelILb0ELi256ELi4EldddEviiT4_lPKT3_lilS3_lilPT5_i ; -- Begin function _ZL23rocblas_gemvt_sn_kernelILb0ELi256ELi4EldddEviiT4_lPKT3_lilS3_lilPT5_i
	.p2align	8
	.type	_ZL23rocblas_gemvt_sn_kernelILb0ELi256ELi4EldddEviiT4_lPKT3_lilS3_lilPT5_i,@function
_ZL23rocblas_gemvt_sn_kernelILb0ELi256ELi4EldddEviiT4_lPKT3_lilS3_lilPT5_i: ; @_ZL23rocblas_gemvt_sn_kernelILb0ELi256ELi4EldddEviiT4_lPKT3_lilS3_lilPT5_i
; %bb.0:
	s_load_dwordx4 s[24:27], s[0:1], 0x0
	s_load_dwordx4 s[8:11], s[0:1], 0x50
	s_load_dword s34, s[0:1], 0x68
	s_mov_b32 s35, 0
	s_waitcnt lgkmcnt(0)
	s_ashr_i32 s12, s25, 31
	s_mul_hi_u32 s4, s25, s3
	s_mul_i32 s5, s12, s3
	s_add_i32 s4, s4, s5
	s_mul_i32 s6, s25, s3
	s_mul_i32 s4, s4, s34
	s_mul_hi_u32 s5, s6, s34
	s_add_i32 s5, s5, s4
	s_mul_i32 s4, s6, s34
	s_lshl_b64 s[4:5], s[4:5], 3
	s_add_u32 s66, s10, s4
	s_addc_u32 s67, s11, s5
	v_cmp_neq_f64_e64 s[4:5], s[26:27], 0
	s_and_b64 vcc, exec, s[4:5]
	v_cmp_eq_u32_e64 s[4:5], 0, v0
	s_cbranch_vccnz .LBB74_5
; %bb.1:
	s_cmp_gt_i32 s25, 0
	s_cselect_b64 s[6:7], -1, 0
	s_and_b64 s[6:7], s[4:5], s[6:7]
	s_and_saveexec_b64 s[4:5], s[6:7]
	s_cbranch_execz .LBB74_4
; %bb.2:
	s_mov_b32 s6, s3
	s_mov_b32 s3, 0
	s_lshl_b64 s[10:11], s[2:3], 3
	s_mov_b32 s3, s6
	s_add_u32 s6, s66, s10
	v_mov_b32_e32 v2, 0
	s_addc_u32 s7, s67, s11
	s_lshl_b64 s[10:11], s[34:35], 3
	v_mov_b32_e32 v3, v2
	s_mov_b32 s13, s25
.LBB74_3:                               ; =>This Inner Loop Header: Depth=1
	s_add_i32 s13, s13, -1
	global_store_dwordx2 v2, v[2:3], s[6:7]
	s_add_u32 s6, s6, s10
	s_addc_u32 s7, s7, s11
	s_cmp_eq_u32 s13, 0
	s_cbranch_scc0 .LBB74_3
.LBB74_4:
	s_or_b64 exec, exec, s[4:5]
	s_cbranch_execz .LBB74_6
	s_branch .LBB74_79
.LBB74_5:
.LBB74_6:
	s_load_dword s36, s[0:1], 0x28
	s_load_dword s38, s[0:1], 0x48
	s_load_dwordx4 s[28:31], s[0:1], 0x18
	s_load_dwordx4 s[20:23], s[0:1], 0x30
	s_load_dwordx2 s[4:5], s[0:1], 0x40
	s_mul_i32 s0, s3, s9
	s_mul_hi_u32 s1, s3, s8
	s_add_i32 s1, s1, s0
	s_mul_i32 s0, s3, s8
	s_waitcnt lgkmcnt(0)
	s_ashr_i32 s37, s36, 31
	s_ashr_i32 s39, s38, 31
	s_lshl_b64 s[40:41], s[0:1], 3
	s_add_u32 s0, s22, s40
	s_addc_u32 s1, s23, s41
	s_lshl_b64 s[44:45], s[4:5], 3
	s_add_u32 s46, s0, s44
	s_addc_u32 s47, s1, s45
	s_mul_i32 s0, s3, s21
	s_mul_hi_u32 s1, s3, s20
	s_add_i32 s1, s1, s0
	s_mul_i32 s0, s3, s20
	s_lshl_b64 s[42:43], s[0:1], 3
	s_add_u32 s0, s28, s42
	s_addc_u32 s1, s29, s43
	s_lshl_b64 s[30:31], s[30:31], 3
	s_add_u32 s0, s0, s30
	s_addc_u32 s1, s1, s31
	s_lshl_b32 s3, s2, 10
	v_lshl_or_b32 v12, v0, 2, s3
	v_ashrrev_i32_e32 v13, 31, v12
	v_lshl_add_u64 v[10:11], v[12:13], 3, s[0:1]
	s_lshr_b32 s0, s12, 30
	s_add_i32 s0, s25, s0
	s_and_b32 s35, s0, -4
	s_ashr_i32 s0, s24, 31
	s_lshr_b32 s0, s0, 30
	s_add_i32 s0, s24, s0
	s_and_b32 s0, s0, -4
	s_sub_i32 s33, s24, s0
	s_cmp_lt_i32 s35, 1
	v_add_u32_e32 v43, 4, v12
	v_add_u32_e32 v44, s33, v12
	v_and_b32_e32 v1, 63, v0
	v_cmp_gt_u32_e64 s[0:1], 64, v0
	v_mbcnt_lo_u32_b32 v42, -1, 0
	v_cmp_gt_u32_e64 s[4:5], 4, v0
	v_lshrrev_b32_e32 v41, 3, v0
	v_or_b32_e32 v40, 1, v12
	v_or_b32_e32 v39, 2, v12
	;; [unrolled: 1-line block ×3, first 2 shown]
	s_cbranch_scc1 .LBB74_54
; %bb.7:
	v_mbcnt_hi_u32_b32 v2, -1, v42
	v_and_b32_e32 v3, 63, v2
	v_cmp_gt_u32_e32 vcc, 32, v3
	s_mov_b32 s3, 0
	s_cmp_gt_i32 s33, 0
	v_cndmask_b32_e64 v4, 0, 1, vcc
	v_lshlrev_b32_e32 v4, 5, v4
	v_cmp_gt_u32_e32 vcc, 48, v3
	v_add_lshl_u32 v45, v4, v2, 2
	s_cselect_b64 s[48:49], -1, 0
	v_cndmask_b32_e64 v4, 0, 1, vcc
	v_lshlrev_b32_e32 v4, 4, v4
	v_cmp_gt_u32_e32 vcc, 56, v3
	v_add_lshl_u32 v46, v4, v2, 2
	s_lshl_b64 s[14:15], s[2:3], 3
	v_cndmask_b32_e64 v4, 0, 1, vcc
	v_lshlrev_b32_e32 v4, 3, v4
	v_cmp_gt_u32_e32 vcc, 60, v3
	v_add_lshl_u32 v47, v4, v2, 2
	s_add_u32 s68, s66, s14
	v_cndmask_b32_e64 v4, 0, 1, vcc
	v_lshlrev_b32_e32 v4, 2, v4
	v_cmp_gt_u32_e32 vcc, 62, v3
	v_add_lshl_u32 v48, v4, v2, 2
	s_addc_u32 s69, s67, s15
	v_cndmask_b32_e64 v4, 0, 1, vcc
	v_lshlrev_b32_e32 v4, 1, v4
	v_add_lshl_u32 v49, v4, v2, 2
	v_cmp_ne_u32_e32 vcc, 63, v3
	v_mad_i64_i32 v[4:5], s[14:15], s38, v40, 0
	s_nop 0
	v_addc_co_u32_e32 v2, vcc, 0, v2, vcc
	v_lshl_add_u64 v[16:17], v[4:5], 3, s[46:47]
	v_mad_i64_i32 v[4:5], s[14:15], s38, v39, 0
	v_lshlrev_b32_e32 v50, 2, v2
	v_mad_i64_i32 v[2:3], s[14:15], s38, v12, 0
	v_lshl_add_u64 v[18:19], v[4:5], 3, s[46:47]
	v_mad_i64_i32 v[4:5], s[14:15], s38, v38, 0
	s_add_u32 s14, s22, s44
	s_addc_u32 s15, s23, s45
	s_add_u32 s14, s14, s40
	v_lshlrev_b64 v[2:3], 3, v[2:3]
	s_addc_u32 s15, s15, s41
	v_cmp_ge_i32_e64 s[6:7], s24, v43
	v_cmp_ge_i32_e64 s[8:9], s24, v44
	v_cmp_eq_u32_e64 s[10:11], 0, v1
	v_lshlrev_b32_e32 v51, 3, v1
	v_and_b32_e32 v52, 24, v41
	v_cmp_eq_u32_e64 s[12:13], 0, v0
	v_lshl_add_u64 v[14:15], s[46:47], 0, v[2:3]
	v_lshl_add_u64 v[20:21], v[4:5], 3, s[46:47]
	;; [unrolled: 1-line block ×3, first 2 shown]
	s_lshl_b64 s[50:51], s[38:39], 3
	s_lshl_b64 s[52:53], s[36:37], 5
	s_lshl_b64 s[54:55], s[36:37], 3
	s_lshl_b64 s[56:57], s[36:37], 4
	s_mul_hi_i32 s59, s36, 24
	s_mul_i32 s58, s36, 24
	v_mov_b32_e32 v24, 0
	v_mov_b64_e32 v[26:27], v[10:11]
                                        ; implicit-def: $vgpr2_vgpr3_vgpr4_vgpr5_vgpr6_vgpr7_vgpr8_vgpr9
	s_branch .LBB74_9
.LBB74_8:                               ;   in Loop: Header=BB74_9 Depth=1
	s_or_b64 exec, exec, s[14:15]
	s_add_i32 s3, s3, 4
	s_cmp_ge_i32 s3, s35
	v_lshl_add_u64 v[26:27], v[26:27], 0, s[52:53]
	s_cbranch_scc1 .LBB74_55
.LBB74_9:                               ; =>This Loop Header: Depth=1
                                        ;     Child Loop BB74_40 Depth 2
                                        ;     Child Loop BB74_43 Depth 2
                                        ; implicit-def: $vgpr28_vgpr29
                                        ; implicit-def: $vgpr30_vgpr31
                                        ; implicit-def: $vgpr34_vgpr35
                                        ; implicit-def: $vgpr32_vgpr33
	s_and_saveexec_b64 s[14:15], s[6:7]
	s_xor_b64 s[14:15], exec, s[14:15]
	s_cbranch_execnz .LBB74_36
; %bb.10:                               ;   in Loop: Header=BB74_9 Depth=1
	s_andn2_saveexec_b64 s[60:61], s[14:15]
	s_cbranch_execnz .LBB74_37
.LBB74_11:                              ;   in Loop: Header=BB74_9 Depth=1
	s_or_b64 exec, exec, s[60:61]
	s_and_saveexec_b64 s[14:15], s[0:1]
	s_cbranch_execz .LBB74_13
.LBB74_12:                              ;   in Loop: Header=BB74_9 Depth=1
	v_mov_b32_e32 v25, v24
	ds_write_b64 v51, v[24:25]
.LBB74_13:                              ;   in Loop: Header=BB74_9 Depth=1
	s_or_b64 exec, exec, s[14:15]
	ds_bpermute_b32 v36, v45, v32
	ds_bpermute_b32 v37, v45, v33
	s_waitcnt lgkmcnt(0)
	s_barrier
	v_add_f64 v[32:33], v[32:33], v[36:37]
	ds_bpermute_b32 v36, v46, v32
	ds_bpermute_b32 v37, v46, v33
	s_waitcnt lgkmcnt(0)
	v_add_f64 v[32:33], v[32:33], v[36:37]
	ds_bpermute_b32 v36, v47, v32
	ds_bpermute_b32 v37, v47, v33
	s_waitcnt lgkmcnt(0)
	;; [unrolled: 4-line block ×4, first 2 shown]
	v_add_f64 v[32:33], v[32:33], v[36:37]
	ds_bpermute_b32 v36, v50, v32
	ds_bpermute_b32 v37, v50, v33
	s_and_saveexec_b64 s[14:15], s[10:11]
	s_cbranch_execz .LBB74_15
; %bb.14:                               ;   in Loop: Header=BB74_9 Depth=1
	s_waitcnt lgkmcnt(0)
	v_add_f64 v[32:33], v[32:33], v[36:37]
	ds_write_b64 v52, v[32:33]
.LBB74_15:                              ;   in Loop: Header=BB74_9 Depth=1
	s_or_b64 exec, exec, s[14:15]
	v_mov_b64_e32 v[32:33], 0
	s_waitcnt lgkmcnt(0)
	s_barrier
	s_and_saveexec_b64 s[14:15], s[4:5]
	s_cbranch_execnz .LBB74_45
; %bb.16:                               ;   in Loop: Header=BB74_9 Depth=1
	s_or_b64 exec, exec, s[14:15]
	s_and_saveexec_b64 s[14:15], s[0:1]
	s_cbranch_execnz .LBB74_46
.LBB74_17:                              ;   in Loop: Header=BB74_9 Depth=1
	s_or_b64 exec, exec, s[14:15]
	s_and_saveexec_b64 s[14:15], s[0:1]
	s_cbranch_execz .LBB74_19
.LBB74_18:                              ;   in Loop: Header=BB74_9 Depth=1
	v_mov_b32_e32 v25, v24
	ds_write_b64 v51, v[24:25]
.LBB74_19:                              ;   in Loop: Header=BB74_9 Depth=1
	s_or_b64 exec, exec, s[14:15]
	ds_bpermute_b32 v36, v45, v34
	ds_bpermute_b32 v37, v45, v35
	s_waitcnt lgkmcnt(0)
	s_barrier
	v_add_f64 v[34:35], v[34:35], v[36:37]
	ds_bpermute_b32 v36, v46, v34
	ds_bpermute_b32 v37, v46, v35
	s_waitcnt lgkmcnt(0)
	v_add_f64 v[34:35], v[34:35], v[36:37]
	ds_bpermute_b32 v36, v47, v34
	ds_bpermute_b32 v37, v47, v35
	s_waitcnt lgkmcnt(0)
	;; [unrolled: 4-line block ×4, first 2 shown]
	v_add_f64 v[34:35], v[34:35], v[36:37]
	ds_bpermute_b32 v36, v50, v34
	ds_bpermute_b32 v37, v50, v35
	s_and_saveexec_b64 s[14:15], s[10:11]
	s_cbranch_execz .LBB74_21
; %bb.20:                               ;   in Loop: Header=BB74_9 Depth=1
	s_waitcnt lgkmcnt(0)
	v_add_f64 v[34:35], v[34:35], v[36:37]
	ds_write_b64 v52, v[34:35]
.LBB74_21:                              ;   in Loop: Header=BB74_9 Depth=1
	s_or_b64 exec, exec, s[14:15]
	v_mov_b64_e32 v[34:35], 0
	s_waitcnt lgkmcnt(0)
	s_barrier
	s_and_saveexec_b64 s[14:15], s[4:5]
	s_cbranch_execnz .LBB74_47
; %bb.22:                               ;   in Loop: Header=BB74_9 Depth=1
	s_or_b64 exec, exec, s[14:15]
	s_and_saveexec_b64 s[14:15], s[0:1]
	s_cbranch_execnz .LBB74_48
.LBB74_23:                              ;   in Loop: Header=BB74_9 Depth=1
	s_or_b64 exec, exec, s[14:15]
	s_and_saveexec_b64 s[14:15], s[0:1]
	s_cbranch_execz .LBB74_25
.LBB74_24:                              ;   in Loop: Header=BB74_9 Depth=1
	v_mov_b32_e32 v25, v24
	ds_write_b64 v51, v[24:25]
.LBB74_25:                              ;   in Loop: Header=BB74_9 Depth=1
	s_or_b64 exec, exec, s[14:15]
	ds_bpermute_b32 v36, v45, v30
	ds_bpermute_b32 v37, v45, v31
	s_waitcnt lgkmcnt(0)
	s_barrier
	v_add_f64 v[30:31], v[30:31], v[36:37]
	ds_bpermute_b32 v36, v46, v30
	ds_bpermute_b32 v37, v46, v31
	s_waitcnt lgkmcnt(0)
	v_add_f64 v[30:31], v[30:31], v[36:37]
	ds_bpermute_b32 v36, v47, v30
	ds_bpermute_b32 v37, v47, v31
	s_waitcnt lgkmcnt(0)
	;; [unrolled: 4-line block ×4, first 2 shown]
	v_add_f64 v[30:31], v[30:31], v[36:37]
	ds_bpermute_b32 v36, v50, v30
	ds_bpermute_b32 v37, v50, v31
	s_and_saveexec_b64 s[14:15], s[10:11]
	s_cbranch_execz .LBB74_27
; %bb.26:                               ;   in Loop: Header=BB74_9 Depth=1
	s_waitcnt lgkmcnt(0)
	v_add_f64 v[30:31], v[30:31], v[36:37]
	ds_write_b64 v52, v[30:31]
.LBB74_27:                              ;   in Loop: Header=BB74_9 Depth=1
	s_or_b64 exec, exec, s[14:15]
	v_mov_b64_e32 v[30:31], 0
	s_waitcnt lgkmcnt(0)
	s_barrier
	s_and_saveexec_b64 s[14:15], s[4:5]
	s_cbranch_execnz .LBB74_49
; %bb.28:                               ;   in Loop: Header=BB74_9 Depth=1
	s_or_b64 exec, exec, s[14:15]
	s_and_saveexec_b64 s[14:15], s[0:1]
	s_cbranch_execnz .LBB74_50
.LBB74_29:                              ;   in Loop: Header=BB74_9 Depth=1
	s_or_b64 exec, exec, s[14:15]
	s_and_saveexec_b64 s[14:15], s[0:1]
	s_cbranch_execz .LBB74_31
.LBB74_30:                              ;   in Loop: Header=BB74_9 Depth=1
	v_mov_b32_e32 v25, v24
	ds_write_b64 v51, v[24:25]
.LBB74_31:                              ;   in Loop: Header=BB74_9 Depth=1
	s_or_b64 exec, exec, s[14:15]
	ds_bpermute_b32 v36, v45, v28
	ds_bpermute_b32 v37, v45, v29
	s_waitcnt lgkmcnt(0)
	s_barrier
	v_add_f64 v[28:29], v[28:29], v[36:37]
	ds_bpermute_b32 v36, v46, v28
	ds_bpermute_b32 v37, v46, v29
	s_waitcnt lgkmcnt(0)
	v_add_f64 v[28:29], v[28:29], v[36:37]
	ds_bpermute_b32 v36, v47, v28
	ds_bpermute_b32 v37, v47, v29
	s_waitcnt lgkmcnt(0)
	;; [unrolled: 4-line block ×4, first 2 shown]
	v_add_f64 v[28:29], v[28:29], v[36:37]
	ds_bpermute_b32 v36, v50, v28
	ds_bpermute_b32 v37, v50, v29
	s_and_saveexec_b64 s[14:15], s[10:11]
	s_cbranch_execz .LBB74_33
; %bb.32:                               ;   in Loop: Header=BB74_9 Depth=1
	s_waitcnt lgkmcnt(0)
	v_add_f64 v[28:29], v[28:29], v[36:37]
	ds_write_b64 v52, v[28:29]
.LBB74_33:                              ;   in Loop: Header=BB74_9 Depth=1
	s_or_b64 exec, exec, s[14:15]
	v_mov_b64_e32 v[28:29], 0
	s_waitcnt lgkmcnt(0)
	s_barrier
	s_and_saveexec_b64 s[14:15], s[4:5]
	s_cbranch_execnz .LBB74_51
; %bb.34:                               ;   in Loop: Header=BB74_9 Depth=1
	s_or_b64 exec, exec, s[14:15]
	s_and_saveexec_b64 s[14:15], s[0:1]
	s_cbranch_execnz .LBB74_52
.LBB74_35:                              ;   in Loop: Header=BB74_9 Depth=1
	s_or_b64 exec, exec, s[14:15]
	s_and_saveexec_b64 s[14:15], s[12:13]
	s_cbranch_execz .LBB74_8
	s_branch .LBB74_53
.LBB74_36:                              ;   in Loop: Header=BB74_9 Depth=1
	s_mul_i32 s16, s3, s37
	s_mul_hi_u32 s17, s3, s36
	s_add_i32 s17, s17, s16
	s_mul_i32 s16, s3, s36
	v_lshl_add_u64 v[6:7], s[16:17], 3, v[10:11]
	s_or_b32 s16, s3, 1
	s_mul_i32 s17, s16, s37
	s_mul_hi_u32 s18, s16, s36
	s_add_i32 s17, s18, s17
	s_mul_i32 s16, s16, s36
	v_lshl_add_u64 v[8:9], s[16:17], 3, v[10:11]
	s_or_b32 s16, s3, 2
	s_mul_i32 s17, s16, s37
	s_mul_hi_u32 s18, s16, s36
	s_add_i32 s17, s18, s17
	s_mul_i32 s16, s16, s36
	s_waitcnt lgkmcnt(0)
	v_lshl_add_u64 v[28:29], s[16:17], 3, v[10:11]
	s_or_b32 s16, s3, 3
	global_load_dwordx2 v[2:3], v[14:15], off
	global_load_dwordx4 v[34:37], v[6:7], off
	global_load_dwordx4 v[54:57], v[8:9], off
	;; [unrolled: 1-line block ×3, first 2 shown]
	s_mul_i32 s17, s16, s37
	s_mul_hi_u32 s18, s16, s36
	s_add_i32 s17, s18, s17
	s_mul_i32 s16, s16, s36
	v_lshl_add_u64 v[30:31], s[16:17], 3, v[10:11]
	global_load_dwordx4 v[62:65], v[30:31], off
	global_load_dwordx2 v[4:5], v[16:17], off
	global_load_dwordx4 v[66:69], v[6:7], off offset:16
	s_nop 0
	global_load_dwordx2 v[6:7], v[18:19], off
	global_load_dwordx4 v[70:73], v[8:9], off offset:16
	global_load_dwordx4 v[74:77], v[28:29], off offset:16
	;; [unrolled: 1-line block ×3, first 2 shown]
	s_nop 0
	global_load_dwordx2 v[8:9], v[20:21], off
	s_waitcnt vmcnt(10)
	v_fma_f64 v[32:33], v[2:3], v[34:35], 0
	s_waitcnt vmcnt(9)
	v_fma_f64 v[34:35], v[2:3], v[54:55], 0
	;; [unrolled: 2-line block ×4, first 2 shown]
	s_waitcnt vmcnt(6)
	v_fmac_f64_e32 v[32:33], v[4:5], v[36:37]
	v_fmac_f64_e32 v[34:35], v[4:5], v[56:57]
	;; [unrolled: 1-line block ×4, first 2 shown]
	s_waitcnt vmcnt(4)
	v_fmac_f64_e32 v[32:33], v[6:7], v[66:67]
	s_waitcnt vmcnt(3)
	v_fmac_f64_e32 v[34:35], v[6:7], v[70:71]
	;; [unrolled: 2-line block ×5, first 2 shown]
	v_fmac_f64_e32 v[34:35], v[8:9], v[72:73]
	v_fmac_f64_e32 v[30:31], v[8:9], v[76:77]
	;; [unrolled: 1-line block ×3, first 2 shown]
	s_andn2_saveexec_b64 s[60:61], s[14:15]
	s_cbranch_execz .LBB74_11
.LBB74_37:                              ;   in Loop: Header=BB74_9 Depth=1
	s_waitcnt lgkmcnt(0)
	v_mov_b64_e32 v[28:29], 0
	v_mov_b64_e32 v[30:31], v[28:29]
	;; [unrolled: 1-line block ×4, first 2 shown]
	s_and_saveexec_b64 s[62:63], s[8:9]
	s_cbranch_execz .LBB74_44
; %bb.38:                               ;   in Loop: Header=BB74_9 Depth=1
	v_cndmask_b32_e64 v25, 0, 1, s[48:49]
	v_cmp_ne_u32_e64 s[14:15], 1, v25
	s_andn2_b64 vcc, exec, s[48:49]
	s_cbranch_vccnz .LBB74_41
; %bb.39:                               ;   in Loop: Header=BB74_9 Depth=1
	s_mov_b64 s[64:65], 0
	v_mov_b64_e32 v[28:29], v[22:23]
.LBB74_40:                              ;   Parent Loop BB74_9 Depth=1
                                        ; =>  This Inner Loop Header: Depth=2
	global_load_dwordx2 v[30:31], v[28:29], off
	s_cmp_eq_u32 s64, 3
	s_cselect_b64 vcc, -1, 0
	s_cmp_eq_u32 s64, 2
	s_cselect_b64 s[16:17], -1, 0
	s_cmp_eq_u32 s64, 1
	s_cselect_b64 s[18:19], -1, 0
	;; [unrolled: 2-line block ×3, first 2 shown]
	s_add_u32 s64, s64, 1
	s_addc_u32 s65, s65, 0
	v_lshl_add_u64 v[28:29], v[28:29], 0, s[50:51]
	s_cmp_eq_u32 s33, s64
	s_waitcnt vmcnt(0)
	v_cndmask_b32_e32 v9, v9, v31, vcc
	v_cndmask_b32_e32 v8, v8, v30, vcc
	v_cndmask_b32_e64 v7, v7, v31, s[16:17]
	v_cndmask_b32_e64 v6, v6, v30, s[16:17]
	;; [unrolled: 1-line block ×6, first 2 shown]
	s_cbranch_scc0 .LBB74_40
.LBB74_41:                              ;   in Loop: Header=BB74_9 Depth=1
	v_mov_b64_e32 v[28:29], 0
	s_and_b64 vcc, exec, s[14:15]
	v_mov_b64_e32 v[30:31], v[28:29]
	v_mov_b64_e32 v[34:35], v[28:29]
	;; [unrolled: 1-line block ×3, first 2 shown]
	s_cbranch_vccnz .LBB74_44
; %bb.42:                               ;   in Loop: Header=BB74_9 Depth=1
	v_mov_b64_e32 v[32:33], 0
	s_mov_b64 s[16:17], 0
	v_mov_b64_e32 v[36:37], v[26:27]
	v_mov_b64_e32 v[34:35], v[32:33]
	;; [unrolled: 1-line block ×4, first 2 shown]
.LBB74_43:                              ;   Parent Loop BB74_9 Depth=1
                                        ; =>  This Inner Loop Header: Depth=2
	v_lshl_add_u64 v[56:57], v[36:37], 0, s[54:55]
	v_lshl_add_u64 v[58:59], v[36:37], 0, s[56:57]
	;; [unrolled: 1-line block ×3, first 2 shown]
	global_load_dwordx2 v[54:55], v[36:37], off
	s_nop 0
	global_load_dwordx2 v[56:57], v[56:57], off
	s_nop 0
	;; [unrolled: 2-line block ×3, first 2 shown]
	global_load_dwordx2 v[60:61], v[60:61], off
	s_cmp_eq_u32 s16, 1
	s_cselect_b64 vcc, -1, 0
	s_cmp_eq_u32 s16, 2
	v_cndmask_b32_e32 v25, v3, v5, vcc
	s_cselect_b64 s[14:15], -1, 0
	s_cmp_eq_u32 s16, 3
	v_cndmask_b32_e64 v25, v25, v7, s[14:15]
	v_cndmask_b32_e32 v53, v2, v4, vcc
	s_cselect_b64 vcc, -1, 0
	v_cndmask_b32_e32 v63, v25, v9, vcc
	v_cndmask_b32_e64 v25, v53, v6, s[14:15]
	s_add_u32 s16, s16, 1
	v_cndmask_b32_e32 v62, v25, v8, vcc
	s_addc_u32 s17, s17, 0
	v_lshl_add_u64 v[36:37], v[36:37], 0, 8
	s_cmp_lg_u32 s33, s16
	s_waitcnt vmcnt(2)
	v_fmac_f64_e32 v[34:35], v[62:63], v[56:57]
	v_fmac_f64_e32 v[32:33], v[62:63], v[54:55]
	s_waitcnt vmcnt(1)
	v_fmac_f64_e32 v[30:31], v[62:63], v[58:59]
	s_waitcnt vmcnt(0)
	v_fmac_f64_e32 v[28:29], v[62:63], v[60:61]
	s_cbranch_scc1 .LBB74_43
.LBB74_44:                              ;   in Loop: Header=BB74_9 Depth=1
	s_or_b64 exec, exec, s[62:63]
	s_or_b64 exec, exec, s[60:61]
	s_and_saveexec_b64 s[14:15], s[0:1]
	s_cbranch_execnz .LBB74_12
	s_branch .LBB74_13
.LBB74_45:                              ;   in Loop: Header=BB74_9 Depth=1
	ds_read_b64 v[32:33], v51
	s_or_b64 exec, exec, s[14:15]
	s_and_saveexec_b64 s[14:15], s[0:1]
	s_cbranch_execz .LBB74_17
.LBB74_46:                              ;   in Loop: Header=BB74_9 Depth=1
	s_waitcnt lgkmcnt(0)
	ds_bpermute_b32 v36, v49, v32
	ds_bpermute_b32 v37, v49, v33
	s_waitcnt lgkmcnt(0)
	v_add_f64 v[32:33], v[32:33], v[36:37]
	ds_bpermute_b32 v36, v50, v32
	ds_bpermute_b32 v37, v50, v33
	s_waitcnt lgkmcnt(0)
	v_add_f64 v[32:33], v[32:33], v[36:37]
	s_or_b64 exec, exec, s[14:15]
	s_and_saveexec_b64 s[14:15], s[0:1]
	s_cbranch_execnz .LBB74_18
	s_branch .LBB74_19
.LBB74_47:                              ;   in Loop: Header=BB74_9 Depth=1
	ds_read_b64 v[34:35], v51
	s_or_b64 exec, exec, s[14:15]
	s_and_saveexec_b64 s[14:15], s[0:1]
	s_cbranch_execz .LBB74_23
.LBB74_48:                              ;   in Loop: Header=BB74_9 Depth=1
	s_waitcnt lgkmcnt(0)
	ds_bpermute_b32 v36, v49, v34
	ds_bpermute_b32 v37, v49, v35
	s_waitcnt lgkmcnt(0)
	v_add_f64 v[34:35], v[34:35], v[36:37]
	ds_bpermute_b32 v36, v50, v34
	ds_bpermute_b32 v37, v50, v35
	s_waitcnt lgkmcnt(0)
	v_add_f64 v[34:35], v[34:35], v[36:37]
	s_or_b64 exec, exec, s[14:15]
	s_and_saveexec_b64 s[14:15], s[0:1]
	s_cbranch_execnz .LBB74_24
	s_branch .LBB74_25
.LBB74_49:                              ;   in Loop: Header=BB74_9 Depth=1
	ds_read_b64 v[30:31], v51
	s_or_b64 exec, exec, s[14:15]
	s_and_saveexec_b64 s[14:15], s[0:1]
	s_cbranch_execz .LBB74_29
.LBB74_50:                              ;   in Loop: Header=BB74_9 Depth=1
	s_waitcnt lgkmcnt(0)
	ds_bpermute_b32 v36, v49, v30
	ds_bpermute_b32 v37, v49, v31
	s_waitcnt lgkmcnt(0)
	v_add_f64 v[30:31], v[30:31], v[36:37]
	ds_bpermute_b32 v36, v50, v30
	ds_bpermute_b32 v37, v50, v31
	s_waitcnt lgkmcnt(0)
	v_add_f64 v[30:31], v[30:31], v[36:37]
	s_or_b64 exec, exec, s[14:15]
	s_and_saveexec_b64 s[14:15], s[0:1]
	s_cbranch_execnz .LBB74_30
	s_branch .LBB74_31
.LBB74_51:                              ;   in Loop: Header=BB74_9 Depth=1
	ds_read_b64 v[28:29], v51
	s_or_b64 exec, exec, s[14:15]
	s_and_saveexec_b64 s[14:15], s[0:1]
	s_cbranch_execz .LBB74_35
.LBB74_52:                              ;   in Loop: Header=BB74_9 Depth=1
	s_waitcnt lgkmcnt(0)
	ds_bpermute_b32 v36, v49, v28
	ds_bpermute_b32 v37, v49, v29
	s_waitcnt lgkmcnt(0)
	v_add_f64 v[28:29], v[28:29], v[36:37]
	ds_bpermute_b32 v36, v50, v28
	ds_bpermute_b32 v37, v50, v29
	s_waitcnt lgkmcnt(0)
	v_add_f64 v[28:29], v[28:29], v[36:37]
	s_or_b64 exec, exec, s[14:15]
	s_and_saveexec_b64 s[14:15], s[12:13]
	s_cbranch_execz .LBB74_8
.LBB74_53:                              ;   in Loop: Header=BB74_9 Depth=1
	s_mul_hi_u32 s17, s3, s34
	s_mul_i32 s16, s3, s34
	s_lshl_b64 s[16:17], s[16:17], 3
	s_add_u32 s16, s68, s16
	v_mul_f64 v[32:33], v[32:33], s[26:27]
	s_addc_u32 s17, s69, s17
	global_store_dwordx2 v24, v[32:33], s[16:17]
	s_or_b32 s16, s3, 1
	s_mul_hi_u32 s17, s16, s34
	s_mul_i32 s16, s16, s34
	s_lshl_b64 s[16:17], s[16:17], 3
	s_add_u32 s16, s68, s16
	v_mul_f64 v[32:33], v[34:35], s[26:27]
	s_addc_u32 s17, s69, s17
	global_store_dwordx2 v24, v[32:33], s[16:17]
	s_or_b32 s16, s3, 2
	s_mul_hi_u32 s17, s16, s34
	s_mul_i32 s16, s16, s34
	s_lshl_b64 s[16:17], s[16:17], 3
	s_add_u32 s16, s68, s16
	v_mul_f64 v[30:31], v[30:31], s[26:27]
	s_addc_u32 s17, s69, s17
	global_store_dwordx2 v24, v[30:31], s[16:17]
	s_or_b32 s16, s3, 3
	s_mul_hi_u32 s17, s16, s34
	s_mul_i32 s16, s16, s34
	s_lshl_b64 s[16:17], s[16:17], 3
	s_add_u32 s16, s68, s16
	s_waitcnt lgkmcnt(0)
	v_mul_f64 v[28:29], v[28:29], s[26:27]
	s_addc_u32 s17, s69, s17
	global_store_dwordx2 v24, v[28:29], s[16:17]
	s_branch .LBB74_8
.LBB74_54:
	s_mov_b32 s3, 0
                                        ; implicit-def: $vgpr2_vgpr3_vgpr4_vgpr5_vgpr6_vgpr7_vgpr8_vgpr9
.LBB74_55:
	s_cmp_ge_i32 s3, s25
	s_cbranch_scc1 .LBB74_79
; %bb.56:
	v_mbcnt_hi_u32_b32 v14, -1, v42
	v_and_b32_e32 v15, 63, v14
	v_cmp_gt_u32_e32 vcc, 32, v15
	s_mov_b32 s49, 0
	s_cmp_gt_i32 s33, 0
	v_cndmask_b32_e64 v16, 0, 1, vcc
	v_lshlrev_b32_e32 v16, 5, v16
	v_cmp_gt_u32_e32 vcc, 48, v15
	s_waitcnt lgkmcnt(0)
	v_add_lshl_u32 v29, v16, v14, 2
	s_mov_b32 s48, s2
	v_cndmask_b32_e64 v16, 0, 1, vcc
	v_lshlrev_b32_e32 v16, 4, v16
	v_cmp_gt_u32_e32 vcc, 56, v15
	v_add_lshl_u32 v30, v16, v14, 2
	s_cselect_b64 s[50:51], -1, 0
	v_cndmask_b32_e64 v16, 0, 1, vcc
	v_lshlrev_b32_e32 v16, 3, v16
	v_cmp_gt_u32_e32 vcc, 60, v15
	v_add_lshl_u32 v31, v16, v14, 2
	s_lshl_b64 s[14:15], s[48:49], 3
	v_cndmask_b32_e64 v16, 0, 1, vcc
	v_lshlrev_b32_e32 v16, 2, v16
	v_cmp_gt_u32_e32 vcc, 62, v15
	v_add_lshl_u32 v32, v16, v14, 2
	s_add_u32 s2, s66, s14
	v_cndmask_b32_e64 v16, 0, 1, vcc
	v_lshlrev_b32_e32 v16, 1, v16
	v_cmp_ne_u32_e32 vcc, 63, v15
	v_add_lshl_u32 v33, v16, v14, 2
	v_cmp_ge_i32_e64 s[0:1], s24, v43
	v_addc_co_u32_e32 v14, vcc, 0, v14, vcc
	v_cmp_ge_i32_e64 s[4:5], s24, v44
	v_cmp_gt_u32_e64 s[6:7], 64, v0
	v_lshlrev_b32_e32 v28, 3, v1
	v_lshlrev_b32_e32 v34, 2, v14
	v_cmp_eq_u32_e64 s[8:9], 0, v1
	v_cmp_gt_u32_e64 s[10:11], 4, v0
	v_cmp_eq_u32_e64 s[12:13], 0, v0
	s_addc_u32 s24, s67, s15
	v_mad_i64_i32 v[0:1], s[14:15], s38, v12, 0
	v_mad_i64_i32 v[14:15], s[14:15], s38, v40, 0
	;; [unrolled: 1-line block ×4, first 2 shown]
	s_add_u32 s14, s22, s44
	s_addc_u32 s15, s23, s45
	s_add_u32 s14, s14, s40
	v_lshlrev_b64 v[20:21], 3, v[0:1]
	s_addc_u32 s15, s15, s41
	v_lshl_add_u64 v[0:1], s[46:47], 0, v[20:21]
	v_lshl_add_u64 v[20:21], s[14:15], 0, v[20:21]
	s_mul_i32 s14, s37, s3
	s_mul_hi_u32 s15, s36, s3
	s_add_i32 s15, s15, s14
	s_mul_i32 s14, s36, s3
	s_lshl_b64 s[22:23], s[38:39], 3
	s_lshl_b64 s[14:15], s[14:15], 3
	s_add_u32 s14, s42, s14
	s_addc_u32 s15, s43, s15
	s_add_u32 s14, s14, s30
	s_addc_u32 s15, s15, s31
	s_add_u32 s14, s28, s14
	s_addc_u32 s15, s29, s15
	v_and_b32_e32 v35, 24, v41
	v_lshl_add_u64 v[14:15], v[14:15], 3, s[46:47]
	v_lshl_add_u64 v[16:17], v[16:17], 3, s[46:47]
	;; [unrolled: 1-line block ×4, first 2 shown]
	s_lshl_b64 s[28:29], s[36:37], 3
	v_mov_b32_e32 v22, 0
	s_branch .LBB74_58
.LBB74_57:                              ;   in Loop: Header=BB74_58 Depth=1
	s_or_b64 exec, exec, s[14:15]
	s_add_i32 s3, s3, 1
	s_cmp_ge_i32 s3, s25
	v_lshl_add_u64 v[12:13], v[12:13], 0, s[28:29]
	s_cbranch_scc1 .LBB74_79
.LBB74_58:                              ; =>This Loop Header: Depth=1
                                        ;     Child Loop BB74_71 Depth 2
                                        ;     Child Loop BB74_74 Depth 2
	s_waitcnt lgkmcnt(0)
	v_mov_b32_e32 v24, s49
	v_mov_b32_e32 v25, s49
	s_and_saveexec_b64 s[14:15], s[0:1]
	s_xor_b64 s[14:15], exec, s[14:15]
	s_cbranch_execnz .LBB74_67
; %bb.59:                               ;   in Loop: Header=BB74_58 Depth=1
	s_andn2_saveexec_b64 s[30:31], s[14:15]
	s_cbranch_execnz .LBB74_68
.LBB74_60:                              ;   in Loop: Header=BB74_58 Depth=1
	s_or_b64 exec, exec, s[30:31]
	s_and_saveexec_b64 s[14:15], s[6:7]
	s_cbranch_execz .LBB74_62
.LBB74_61:                              ;   in Loop: Header=BB74_58 Depth=1
	v_mov_b32_e32 v23, v22
	ds_write_b64 v28, v[22:23]
.LBB74_62:                              ;   in Loop: Header=BB74_58 Depth=1
	s_or_b64 exec, exec, s[14:15]
	ds_bpermute_b32 v26, v29, v24
	ds_bpermute_b32 v27, v29, v25
	s_waitcnt lgkmcnt(0)
	s_barrier
	v_add_f64 v[24:25], v[24:25], v[26:27]
	ds_bpermute_b32 v26, v30, v24
	ds_bpermute_b32 v27, v30, v25
	s_waitcnt lgkmcnt(0)
	v_add_f64 v[24:25], v[24:25], v[26:27]
	ds_bpermute_b32 v26, v31, v24
	ds_bpermute_b32 v27, v31, v25
	s_waitcnt lgkmcnt(0)
	;; [unrolled: 4-line block ×4, first 2 shown]
	v_add_f64 v[24:25], v[24:25], v[26:27]
	ds_bpermute_b32 v26, v34, v24
	ds_bpermute_b32 v27, v34, v25
	s_and_saveexec_b64 s[14:15], s[8:9]
	s_cbranch_execz .LBB74_64
; %bb.63:                               ;   in Loop: Header=BB74_58 Depth=1
	s_waitcnt lgkmcnt(0)
	v_add_f64 v[24:25], v[24:25], v[26:27]
	ds_write_b64 v35, v[24:25]
.LBB74_64:                              ;   in Loop: Header=BB74_58 Depth=1
	s_or_b64 exec, exec, s[14:15]
	v_mov_b64_e32 v[24:25], 0
	s_waitcnt lgkmcnt(0)
	s_barrier
	s_and_saveexec_b64 s[14:15], s[10:11]
	s_cbranch_execnz .LBB74_76
; %bb.65:                               ;   in Loop: Header=BB74_58 Depth=1
	s_or_b64 exec, exec, s[14:15]
	s_and_saveexec_b64 s[14:15], s[6:7]
	s_cbranch_execnz .LBB74_77
.LBB74_66:                              ;   in Loop: Header=BB74_58 Depth=1
	s_or_b64 exec, exec, s[14:15]
	s_and_saveexec_b64 s[14:15], s[12:13]
	s_cbranch_execz .LBB74_57
	s_branch .LBB74_78
.LBB74_67:                              ;   in Loop: Header=BB74_58 Depth=1
	s_mul_i32 s16, s3, s37
	s_mul_hi_u32 s17, s3, s36
	s_add_i32 s17, s17, s16
	s_mul_i32 s16, s3, s36
	v_lshl_add_u64 v[40:41], s[16:17], 3, v[10:11]
	global_load_dwordx4 v[36:39], v[40:41], off offset:16
	global_load_dwordx4 v[24:27], v[40:41], off
	global_load_dwordx2 v[2:3], v[0:1], off
	global_load_dwordx2 v[4:5], v[14:15], off
	;; [unrolled: 1-line block ×4, first 2 shown]
	s_waitcnt vmcnt(3)
	v_fma_f64 v[24:25], v[2:3], v[24:25], 0
	s_waitcnt vmcnt(2)
	v_fmac_f64_e32 v[24:25], v[4:5], v[26:27]
	s_waitcnt vmcnt(1)
	v_fmac_f64_e32 v[24:25], v[6:7], v[36:37]
	;; [unrolled: 2-line block ×3, first 2 shown]
	s_andn2_saveexec_b64 s[30:31], s[14:15]
	s_cbranch_execz .LBB74_60
.LBB74_68:                              ;   in Loop: Header=BB74_58 Depth=1
	s_and_saveexec_b64 s[38:39], s[4:5]
	s_cbranch_execz .LBB74_75
; %bb.69:                               ;   in Loop: Header=BB74_58 Depth=1
	v_cndmask_b32_e64 v23, 0, 1, s[50:51]
	v_cmp_ne_u32_e64 s[14:15], 1, v23
	s_andn2_b64 vcc, exec, s[50:51]
	s_cbranch_vccnz .LBB74_72
; %bb.70:                               ;   in Loop: Header=BB74_58 Depth=1
	s_mov_b64 s[40:41], 0
	v_mov_b64_e32 v[26:27], v[20:21]
.LBB74_71:                              ;   Parent Loop BB74_58 Depth=1
                                        ; =>  This Inner Loop Header: Depth=2
	global_load_dwordx2 v[36:37], v[26:27], off
	s_cmp_eq_u32 s40, 3
	s_cselect_b64 vcc, -1, 0
	s_cmp_eq_u32 s40, 2
	s_cselect_b64 s[16:17], -1, 0
	s_cmp_eq_u32 s40, 1
	s_cselect_b64 s[18:19], -1, 0
	;; [unrolled: 2-line block ×3, first 2 shown]
	s_add_u32 s40, s40, 1
	s_addc_u32 s41, s41, 0
	v_lshl_add_u64 v[26:27], v[26:27], 0, s[22:23]
	s_cmp_eq_u32 s33, s40
	s_waitcnt vmcnt(0)
	v_cndmask_b32_e32 v9, v9, v37, vcc
	v_cndmask_b32_e32 v8, v8, v36, vcc
	v_cndmask_b32_e64 v7, v7, v37, s[16:17]
	v_cndmask_b32_e64 v6, v6, v36, s[16:17]
	;; [unrolled: 1-line block ×6, first 2 shown]
	s_cbranch_scc0 .LBB74_71
.LBB74_72:                              ;   in Loop: Header=BB74_58 Depth=1
	s_and_b64 vcc, exec, s[14:15]
	s_cbranch_vccnz .LBB74_75
; %bb.73:                               ;   in Loop: Header=BB74_58 Depth=1
	s_mov_b64 s[16:17], 0
	v_mov_b64_e32 v[26:27], v[12:13]
.LBB74_74:                              ;   Parent Loop BB74_58 Depth=1
                                        ; =>  This Inner Loop Header: Depth=2
	global_load_dwordx2 v[36:37], v[26:27], off
	s_cmp_eq_u32 s16, 1
	s_cselect_b64 vcc, -1, 0
	s_cmp_eq_u32 s16, 2
	v_cndmask_b32_e32 v23, v3, v5, vcc
	s_cselect_b64 s[14:15], -1, 0
	s_cmp_eq_u32 s16, 3
	v_cndmask_b32_e64 v23, v23, v7, s[14:15]
	v_cndmask_b32_e32 v38, v2, v4, vcc
	s_cselect_b64 vcc, -1, 0
	v_cndmask_b32_e32 v39, v23, v9, vcc
	v_cndmask_b32_e64 v23, v38, v6, s[14:15]
	s_add_u32 s16, s16, 1
	v_cndmask_b32_e32 v38, v23, v8, vcc
	s_addc_u32 s17, s17, 0
	v_lshl_add_u64 v[26:27], v[26:27], 0, 8
	s_cmp_lg_u32 s33, s16
	s_waitcnt vmcnt(0)
	v_fmac_f64_e32 v[24:25], v[38:39], v[36:37]
	s_cbranch_scc1 .LBB74_74
.LBB74_75:                              ;   in Loop: Header=BB74_58 Depth=1
	s_or_b64 exec, exec, s[38:39]
	s_or_b64 exec, exec, s[30:31]
	s_and_saveexec_b64 s[14:15], s[6:7]
	s_cbranch_execnz .LBB74_61
	s_branch .LBB74_62
.LBB74_76:                              ;   in Loop: Header=BB74_58 Depth=1
	ds_read_b64 v[24:25], v28
	s_or_b64 exec, exec, s[14:15]
	s_and_saveexec_b64 s[14:15], s[6:7]
	s_cbranch_execz .LBB74_66
.LBB74_77:                              ;   in Loop: Header=BB74_58 Depth=1
	s_waitcnt lgkmcnt(0)
	ds_bpermute_b32 v26, v33, v24
	ds_bpermute_b32 v27, v33, v25
	s_waitcnt lgkmcnt(0)
	v_add_f64 v[24:25], v[24:25], v[26:27]
	ds_bpermute_b32 v26, v34, v24
	ds_bpermute_b32 v27, v34, v25
	s_waitcnt lgkmcnt(0)
	v_add_f64 v[24:25], v[24:25], v[26:27]
	s_or_b64 exec, exec, s[14:15]
	s_and_saveexec_b64 s[14:15], s[12:13]
	s_cbranch_execz .LBB74_57
.LBB74_78:                              ;   in Loop: Header=BB74_58 Depth=1
	s_mul_hi_u32 s17, s3, s34
	s_mul_i32 s16, s3, s34
	s_lshl_b64 s[16:17], s[16:17], 3
	s_add_u32 s16, s2, s16
	s_waitcnt lgkmcnt(0)
	v_mul_f64 v[24:25], v[24:25], s[26:27]
	s_addc_u32 s17, s24, s17
	global_store_dwordx2 v22, v[24:25], s[16:17]
	s_branch .LBB74_57
.LBB74_79:
	s_endpgm
	.section	.rodata,"a",@progbits
	.p2align	6, 0x0
	.amdhsa_kernel _ZL23rocblas_gemvt_sn_kernelILb0ELi256ELi4EldddEviiT4_lPKT3_lilS3_lilPT5_i
		.amdhsa_group_segment_fixed_size 512
		.amdhsa_private_segment_fixed_size 0
		.amdhsa_kernarg_size 360
		.amdhsa_user_sgpr_count 2
		.amdhsa_user_sgpr_dispatch_ptr 0
		.amdhsa_user_sgpr_queue_ptr 0
		.amdhsa_user_sgpr_kernarg_segment_ptr 1
		.amdhsa_user_sgpr_dispatch_id 0
		.amdhsa_user_sgpr_kernarg_preload_length 0
		.amdhsa_user_sgpr_kernarg_preload_offset 0
		.amdhsa_user_sgpr_private_segment_size 0
		.amdhsa_uses_dynamic_stack 0
		.amdhsa_enable_private_segment 0
		.amdhsa_system_sgpr_workgroup_id_x 1
		.amdhsa_system_sgpr_workgroup_id_y 0
		.amdhsa_system_sgpr_workgroup_id_z 1
		.amdhsa_system_sgpr_workgroup_info 0
		.amdhsa_system_vgpr_workitem_id 0
		.amdhsa_next_free_vgpr 82
		.amdhsa_next_free_sgpr 70
		.amdhsa_accum_offset 84
		.amdhsa_reserve_vcc 1
		.amdhsa_float_round_mode_32 0
		.amdhsa_float_round_mode_16_64 0
		.amdhsa_float_denorm_mode_32 3
		.amdhsa_float_denorm_mode_16_64 3
		.amdhsa_dx10_clamp 1
		.amdhsa_ieee_mode 1
		.amdhsa_fp16_overflow 0
		.amdhsa_tg_split 0
		.amdhsa_exception_fp_ieee_invalid_op 0
		.amdhsa_exception_fp_denorm_src 0
		.amdhsa_exception_fp_ieee_div_zero 0
		.amdhsa_exception_fp_ieee_overflow 0
		.amdhsa_exception_fp_ieee_underflow 0
		.amdhsa_exception_fp_ieee_inexact 0
		.amdhsa_exception_int_div_zero 0
	.end_amdhsa_kernel
	.section	.text._ZL23rocblas_gemvt_sn_kernelILb0ELi256ELi4EldddEviiT4_lPKT3_lilS3_lilPT5_i,"axG",@progbits,_ZL23rocblas_gemvt_sn_kernelILb0ELi256ELi4EldddEviiT4_lPKT3_lilS3_lilPT5_i,comdat
.Lfunc_end74:
	.size	_ZL23rocblas_gemvt_sn_kernelILb0ELi256ELi4EldddEviiT4_lPKT3_lilS3_lilPT5_i, .Lfunc_end74-_ZL23rocblas_gemvt_sn_kernelILb0ELi256ELi4EldddEviiT4_lPKT3_lilS3_lilPT5_i
                                        ; -- End function
	.section	.AMDGPU.csdata,"",@progbits
; Kernel info:
; codeLenInByte = 4464
; NumSgprs: 76
; NumVgprs: 82
; NumAgprs: 0
; TotalNumVgprs: 82
; ScratchSize: 0
; MemoryBound: 1
; FloatMode: 240
; IeeeMode: 1
; LDSByteSize: 512 bytes/workgroup (compile time only)
; SGPRBlocks: 9
; VGPRBlocks: 10
; NumSGPRsForWavesPerEU: 76
; NumVGPRsForWavesPerEU: 82
; AccumOffset: 84
; Occupancy: 5
; WaveLimiterHint : 1
; COMPUTE_PGM_RSRC2:SCRATCH_EN: 0
; COMPUTE_PGM_RSRC2:USER_SGPR: 2
; COMPUTE_PGM_RSRC2:TRAP_HANDLER: 0
; COMPUTE_PGM_RSRC2:TGID_X_EN: 1
; COMPUTE_PGM_RSRC2:TGID_Y_EN: 0
; COMPUTE_PGM_RSRC2:TGID_Z_EN: 1
; COMPUTE_PGM_RSRC2:TIDIG_COMP_CNT: 0
; COMPUTE_PGM_RSRC3_GFX90A:ACCUM_OFFSET: 20
; COMPUTE_PGM_RSRC3_GFX90A:TG_SPLIT: 0
	.section	.text._ZL23rocblas_gemvt_sn_reduceILi256ELi8EdddEviT2_lPT3_lilPT1_i,"axG",@progbits,_ZL23rocblas_gemvt_sn_reduceILi256ELi8EdddEviT2_lPT3_lilPT1_i,comdat
	.globl	_ZL23rocblas_gemvt_sn_reduceILi256ELi8EdddEviT2_lPT3_lilPT1_i ; -- Begin function _ZL23rocblas_gemvt_sn_reduceILi256ELi8EdddEviT2_lPT3_lilPT1_i
	.p2align	8
	.type	_ZL23rocblas_gemvt_sn_reduceILi256ELi8EdddEviT2_lPT3_lilPT1_i,@function
_ZL23rocblas_gemvt_sn_reduceILi256ELi8EdddEviT2_lPT3_lilPT1_i: ; @_ZL23rocblas_gemvt_sn_reduceILi256ELi8EdddEviT2_lPT3_lilPT1_i
; %bb.0:
	s_load_dword s2, s[0:1], 0x0
	s_load_dword s5, s[0:1], 0x4c
	s_load_dwordx2 s[6:7], s[0:1], 0x38
	v_lshlrev_b32_e32 v1, 3, v0
	v_mov_b64_e32 v[2:3], 0
	s_waitcnt lgkmcnt(0)
	s_ashr_i32 s10, s2, 31
	s_add_u32 s12, s0, 0x48
	s_mul_i32 s5, s5, s4
	s_addc_u32 s13, s1, 0
	s_add_i32 s5, s5, s3
	s_mul_i32 s8, s5, s10
	s_mul_hi_u32 s9, s5, s2
	s_add_i32 s9, s9, s8
	s_mul_i32 s8, s5, s2
	s_lshr_b32 s5, s10, 29
	s_add_i32 s5, s2, s5
	s_and_b32 s5, s5, -8
	v_cmp_gt_i32_e32 vcc, s5, v1
	s_and_saveexec_b64 s[10:11], vcc
	s_cbranch_execz .LBB75_4
; %bb.1:
	s_load_dword s12, s[12:13], 0xc
	s_lshl_b64 s[14:15], s[8:9], 3
	v_lshlrev_b32_e32 v2, 6, v0
	v_mov_b32_e32 v3, 0
	s_mov_b32 s13, 0
	s_waitcnt lgkmcnt(0)
	s_and_b32 s12, s12, 0xffff
	s_lshl_b32 s16, s12, 3
	s_add_u32 s14, s6, s14
	s_addc_u32 s15, s7, s15
	v_lshl_add_u64 v[2:3], s[14:15], 0, v[2:3]
	v_lshl_add_u64 v[4:5], v[2:3], 0, 56
	s_lshl_b32 s12, s12, 6
	s_mov_b64 s[14:15], 0
	v_mov_b64_e32 v[2:3], 0
.LBB75_2:                               ; =>This Inner Loop Header: Depth=1
	global_load_dwordx4 v[6:9], v[4:5], off offset:-56
	global_load_dwordx4 v[10:13], v[4:5], off offset:-40
	;; [unrolled: 1-line block ×4, first 2 shown]
	v_add_u32_e32 v1, s16, v1
	v_cmp_le_i32_e32 vcc, s5, v1
	v_lshl_add_u64 v[4:5], v[4:5], 0, s[12:13]
	s_or_b64 s[14:15], vcc, s[14:15]
	s_waitcnt vmcnt(3)
	v_add_f64 v[2:3], v[2:3], v[6:7]
	v_add_f64 v[2:3], v[2:3], v[8:9]
	s_waitcnt vmcnt(2)
	v_add_f64 v[2:3], v[2:3], v[10:11]
	v_add_f64 v[2:3], v[2:3], v[12:13]
	;; [unrolled: 3-line block ×4, first 2 shown]
	s_andn2_b64 exec, exec, s[14:15]
	s_cbranch_execnz .LBB75_2
; %bb.3:
	s_or_b64 exec, exec, s[14:15]
.LBB75_4:
	s_or_b64 exec, exec, s[10:11]
	s_sub_i32 s5, s2, s5
	v_cmp_gt_u32_e32 vcc, s5, v0
	s_and_saveexec_b64 s[10:11], vcc
	s_cbranch_execz .LBB75_6
; %bb.5:
	s_lshl_b64 s[8:9], s[8:9], 3
	s_add_u32 s6, s6, s8
	s_addc_u32 s7, s7, s9
	v_xad_u32 v4, v0, -1, s2
	v_mov_b32_e32 v5, 0
	v_lshl_add_u64 v[4:5], v[4:5], 3, s[6:7]
	global_load_dwordx2 v[4:5], v[4:5], off
	s_waitcnt vmcnt(0)
	v_add_f64 v[2:3], v[2:3], v[4:5]
.LBB75_6:
	s_or_b64 exec, exec, s[10:11]
	v_and_b32_e32 v6, 63, v0
	v_cmp_gt_u32_e32 vcc, 64, v0
	v_lshlrev_b32_e32 v1, 3, v6
	s_and_saveexec_b64 s[6:7], vcc
	s_cbranch_execz .LBB75_8
; %bb.7:
	v_mov_b32_e32 v4, 0
	v_mov_b32_e32 v5, v4
	ds_write_b64 v1, v[4:5]
.LBB75_8:
	s_or_b64 exec, exec, s[6:7]
	v_mbcnt_lo_u32_b32 v4, -1, 0
	v_mbcnt_hi_u32_b32 v8, -1, v4
	v_and_b32_e32 v9, 63, v8
	v_cmp_gt_u32_e64 s[6:7], 32, v9
	s_waitcnt lgkmcnt(0)
	s_barrier
	v_cndmask_b32_e64 v4, 0, 1, s[6:7]
	v_lshlrev_b32_e32 v4, 5, v4
	v_add_lshl_u32 v5, v4, v8, 2
	ds_bpermute_b32 v4, v5, v2
	ds_bpermute_b32 v5, v5, v3
	v_cmp_gt_u32_e64 s[6:7], 48, v9
	s_waitcnt lgkmcnt(0)
	v_add_f64 v[2:3], v[2:3], v[4:5]
	v_cndmask_b32_e64 v7, 0, 1, s[6:7]
	v_lshlrev_b32_e32 v4, 4, v7
	v_add_lshl_u32 v5, v4, v8, 2
	ds_bpermute_b32 v4, v5, v2
	ds_bpermute_b32 v5, v5, v3
	v_cmp_gt_u32_e64 s[6:7], 56, v9
	s_waitcnt lgkmcnt(0)
	v_add_f64 v[2:3], v[2:3], v[4:5]
	;; [unrolled: 8-line block ×4, first 2 shown]
	v_cndmask_b32_e64 v4, 0, 1, s[6:7]
	v_lshlrev_b32_e32 v4, 1, v4
	v_add_lshl_u32 v7, v4, v8, 2
	ds_bpermute_b32 v4, v7, v2
	ds_bpermute_b32 v5, v7, v3
	v_cmp_ne_u32_e64 s[6:7], 63, v9
	s_waitcnt lgkmcnt(0)
	v_add_f64 v[2:3], v[2:3], v[4:5]
	v_addc_co_u32_e64 v4, s[6:7], 0, v8, s[6:7]
	v_lshlrev_b32_e32 v8, 2, v4
	ds_bpermute_b32 v4, v8, v2
	ds_bpermute_b32 v5, v8, v3
	v_cmp_eq_u32_e64 s[6:7], 0, v6
	s_and_saveexec_b64 s[8:9], s[6:7]
	s_cbranch_execz .LBB75_10
; %bb.9:
	v_lshrrev_b32_e32 v6, 3, v0
	v_and_b32_e32 v6, 24, v6
	s_waitcnt lgkmcnt(0)
	v_add_f64 v[2:3], v[2:3], v[4:5]
	ds_write_b64 v6, v[2:3]
.LBB75_10:
	s_or_b64 exec, exec, s[8:9]
	v_cmp_gt_u32_e64 s[6:7], 4, v0
	v_mov_b64_e32 v[2:3], 0
	s_waitcnt lgkmcnt(0)
	s_barrier
	s_and_saveexec_b64 s[8:9], s[6:7]
	s_cbranch_execnz .LBB75_14
; %bb.11:
	s_or_b64 exec, exec, s[8:9]
	s_and_saveexec_b64 s[6:7], vcc
	s_cbranch_execnz .LBB75_15
.LBB75_12:
	s_or_b64 exec, exec, s[6:7]
	v_cmp_eq_u32_e32 vcc, 0, v0
	s_and_saveexec_b64 s[6:7], vcc
	s_cbranch_execnz .LBB75_16
.LBB75_13:
	s_endpgm
.LBB75_14:
	ds_read_b64 v[2:3], v1
	s_or_b64 exec, exec, s[8:9]
	s_and_saveexec_b64 s[6:7], vcc
	s_cbranch_execz .LBB75_12
.LBB75_15:
	s_waitcnt lgkmcnt(0)
	ds_bpermute_b32 v4, v7, v2
	ds_bpermute_b32 v5, v7, v3
	s_waitcnt lgkmcnt(0)
	v_add_f64 v[2:3], v[2:3], v[4:5]
	ds_bpermute_b32 v4, v8, v2
	ds_bpermute_b32 v5, v8, v3
	s_waitcnt lgkmcnt(0)
	v_add_f64 v[2:3], v[2:3], v[4:5]
	s_or_b64 exec, exec, s[6:7]
	v_cmp_eq_u32_e32 vcc, 0, v0
	s_and_saveexec_b64 s[6:7], vcc
	s_cbranch_execz .LBB75_13
.LBB75_16:
	s_load_dword s5, s[0:1], 0x28
	s_load_dwordx2 s[12:13], s[0:1], 0x30
	s_load_dwordx2 s[6:7], s[0:1], 0x8
	s_load_dwordx4 s[8:11], s[0:1], 0x18
	s_waitcnt lgkmcnt(0)
	s_ashr_i32 s14, s5, 31
	s_mul_i32 s0, s4, s13
	s_mul_hi_u32 s1, s4, s12
	s_add_i32 s1, s1, s0
	s_mul_i32 s0, s4, s12
	s_lshl_b64 s[0:1], s[0:1], 3
	s_add_u32 s2, s8, s0
	s_addc_u32 s4, s9, s1
	s_lshl_b64 s[0:1], s[10:11], 3
	s_add_u32 s2, s2, s0
	v_cmp_eq_f64_e64 s[8:9], s[6:7], 0
	s_mul_hi_u32 s0, s5, s3
	s_mul_i32 s14, s14, s3
	s_addc_u32 s4, s4, s1
	s_add_i32 s1, s0, s14
	s_mul_i32 s0, s5, s3
	s_and_b64 vcc, exec, s[8:9]
	s_cbranch_vccnz .LBB75_18
; %bb.17:
	s_lshl_b64 s[8:9], s[0:1], 3
	s_add_u32 s8, s2, s8
	s_addc_u32 s9, s4, s9
	s_load_dwordx2 s[8:9], s[8:9], 0x0
	v_mov_b64_e32 v[0:1], s[6:7]
	s_waitcnt lgkmcnt(0)
	v_fmac_f64_e32 v[2:3], s[8:9], v[0:1]
.LBB75_18:
	s_lshl_b64 s[0:1], s[0:1], 3
	s_add_u32 s0, s2, s0
	s_addc_u32 s1, s4, s1
	v_mov_b32_e32 v0, 0
	global_store_dwordx2 v0, v[2:3], s[0:1]
	s_endpgm
	.section	.rodata,"a",@progbits
	.p2align	6, 0x0
	.amdhsa_kernel _ZL23rocblas_gemvt_sn_reduceILi256ELi8EdddEviT2_lPT3_lilPT1_i
		.amdhsa_group_segment_fixed_size 512
		.amdhsa_private_segment_fixed_size 0
		.amdhsa_kernarg_size 328
		.amdhsa_user_sgpr_count 2
		.amdhsa_user_sgpr_dispatch_ptr 0
		.amdhsa_user_sgpr_queue_ptr 0
		.amdhsa_user_sgpr_kernarg_segment_ptr 1
		.amdhsa_user_sgpr_dispatch_id 0
		.amdhsa_user_sgpr_kernarg_preload_length 0
		.amdhsa_user_sgpr_kernarg_preload_offset 0
		.amdhsa_user_sgpr_private_segment_size 0
		.amdhsa_uses_dynamic_stack 0
		.amdhsa_enable_private_segment 0
		.amdhsa_system_sgpr_workgroup_id_x 1
		.amdhsa_system_sgpr_workgroup_id_y 1
		.amdhsa_system_sgpr_workgroup_id_z 1
		.amdhsa_system_sgpr_workgroup_info 0
		.amdhsa_system_vgpr_workitem_id 0
		.amdhsa_next_free_vgpr 22
		.amdhsa_next_free_sgpr 17
		.amdhsa_accum_offset 24
		.amdhsa_reserve_vcc 1
		.amdhsa_float_round_mode_32 0
		.amdhsa_float_round_mode_16_64 0
		.amdhsa_float_denorm_mode_32 3
		.amdhsa_float_denorm_mode_16_64 3
		.amdhsa_dx10_clamp 1
		.amdhsa_ieee_mode 1
		.amdhsa_fp16_overflow 0
		.amdhsa_tg_split 0
		.amdhsa_exception_fp_ieee_invalid_op 0
		.amdhsa_exception_fp_denorm_src 0
		.amdhsa_exception_fp_ieee_div_zero 0
		.amdhsa_exception_fp_ieee_overflow 0
		.amdhsa_exception_fp_ieee_underflow 0
		.amdhsa_exception_fp_ieee_inexact 0
		.amdhsa_exception_int_div_zero 0
	.end_amdhsa_kernel
	.section	.text._ZL23rocblas_gemvt_sn_reduceILi256ELi8EdddEviT2_lPT3_lilPT1_i,"axG",@progbits,_ZL23rocblas_gemvt_sn_reduceILi256ELi8EdddEviT2_lPT3_lilPT1_i,comdat
.Lfunc_end75:
	.size	_ZL23rocblas_gemvt_sn_reduceILi256ELi8EdddEviT2_lPT3_lilPT1_i, .Lfunc_end75-_ZL23rocblas_gemvt_sn_reduceILi256ELi8EdddEviT2_lPT3_lilPT1_i
                                        ; -- End function
	.section	.AMDGPU.csdata,"",@progbits
; Kernel info:
; codeLenInByte = 1156
; NumSgprs: 23
; NumVgprs: 22
; NumAgprs: 0
; TotalNumVgprs: 22
; ScratchSize: 0
; MemoryBound: 1
; FloatMode: 240
; IeeeMode: 1
; LDSByteSize: 512 bytes/workgroup (compile time only)
; SGPRBlocks: 2
; VGPRBlocks: 2
; NumSGPRsForWavesPerEU: 23
; NumVGPRsForWavesPerEU: 22
; AccumOffset: 24
; Occupancy: 8
; WaveLimiterHint : 0
; COMPUTE_PGM_RSRC2:SCRATCH_EN: 0
; COMPUTE_PGM_RSRC2:USER_SGPR: 2
; COMPUTE_PGM_RSRC2:TRAP_HANDLER: 0
; COMPUTE_PGM_RSRC2:TGID_X_EN: 1
; COMPUTE_PGM_RSRC2:TGID_Y_EN: 1
; COMPUTE_PGM_RSRC2:TGID_Z_EN: 1
; COMPUTE_PGM_RSRC2:TIDIG_COMP_CNT: 0
; COMPUTE_PGM_RSRC3_GFX90A:ACCUM_OFFSET: 5
; COMPUTE_PGM_RSRC3_GFX90A:TG_SPLIT: 0
	.section	.text._ZL36rocblas_gemvt_double_buffered_kernelILb0ELi128ELi4ELi16EdPKddEviiT4_lPKT3_lilS5_lilPT5_lili,"axG",@progbits,_ZL36rocblas_gemvt_double_buffered_kernelILb0ELi128ELi4ELi16EdPKddEviiT4_lPKT3_lilS5_lilPT5_lili,comdat
	.globl	_ZL36rocblas_gemvt_double_buffered_kernelILb0ELi128ELi4ELi16EdPKddEviiT4_lPKT3_lilS5_lilPT5_lili ; -- Begin function _ZL36rocblas_gemvt_double_buffered_kernelILb0ELi128ELi4ELi16EdPKddEviiT4_lPKT3_lilS5_lilPT5_lili
	.p2align	8
	.type	_ZL36rocblas_gemvt_double_buffered_kernelILb0ELi128ELi4ELi16EdPKddEviiT4_lPKT3_lilS5_lilPT5_lili,@function
_ZL36rocblas_gemvt_double_buffered_kernelILb0ELi128ELi4ELi16EdPKddEviiT4_lPKT3_lilS5_lilPT5_lili: ; @_ZL36rocblas_gemvt_double_buffered_kernelILb0ELi128ELi4ELi16EdPKddEviiT4_lPKT3_lilS5_lilPT5_lili
; %bb.0:
	s_load_dwordx8 s[8:15], s[0:1], 0x8
	s_waitcnt lgkmcnt(0)
	s_mul_i32 s5, s4, s11
	s_mul_hi_u32 s6, s4, s10
	s_add_i32 s7, s6, s5
	s_mul_i32 s6, s4, s10
	s_lshl_b64 s[6:7], s[6:7], 3
	s_add_u32 s6, s8, s6
	s_addc_u32 s7, s9, s7
	s_load_dwordx2 s[6:7], s[6:7], 0x0
	s_waitcnt lgkmcnt(0)
	v_cmp_eq_f64_e64 s[8:9], s[6:7], 0
	s_and_b64 vcc, exec, s[8:9]
	s_cbranch_vccnz .LBB76_10
; %bb.1:
	s_load_dword s5, s[0:1], 0x84
	s_load_dword s8, s[0:1], 0x0
	s_waitcnt lgkmcnt(0)
	v_cvt_f32_u32_e32 v1, s5
	s_ashr_i32 s9, s8, 31
	s_lshr_b32 s9, s9, 25
	s_sub_i32 s10, 0, s5
	v_rcp_iflag_f32_e32 v1, v1
	s_add_i32 s8, s8, s9
	s_ashr_i32 s8, s8, 7
	v_mul_f32_e32 v1, 0x4f7ffffe, v1
	v_cvt_u32_f32_e32 v1, v1
	s_nop 0
	v_readfirstlane_b32 s9, v1
	s_mul_i32 s10, s10, s9
	s_mul_hi_u32 s10, s9, s10
	s_add_i32 s9, s9, s10
	s_mul_hi_u32 s9, s8, s9
	s_mul_i32 s10, s9, s5
	s_sub_i32 s10, s8, s10
	s_add_i32 s11, s9, 1
	s_sub_i32 s16, s10, s5
	s_cmp_ge_u32 s10, s5
	s_cselect_b32 s9, s11, s9
	s_cselect_b32 s10, s16, s10
	s_add_i32 s11, s9, 1
	s_cmp_ge_u32 s10, s5
	s_cselect_b32 s30, s11, s9
	s_mul_i32 s5, s30, s5
	s_sub_i32 s29, s8, s5
	s_cmp_lt_u32 s3, s29
	s_cselect_b64 s[8:9], -1, 0
	s_cmp_lg_u64 s[8:9], 0
	s_addc_u32 s5, s30, 0
	s_cmp_eq_u32 s5, 0
	s_cbranch_scc1 .LBB76_10
; %bb.2:
	s_load_dwordx4 s[8:11], s[0:1], 0x50
	s_load_dwordx2 s[18:19], s[0:1], 0x60
	v_and_b32_e32 v172, 0x3ff, v0
	v_bfe_u32 v173, v0, 10, 10
	s_lshl_b32 s16, s2, 7
	v_lshl_add_u32 v4, v173, 7, v172
	v_and_b32_e32 v0, 63, v172
	s_ashr_i32 s17, s16, 31
	v_lshrrev_b32_e32 v174, 2, v4
	v_mov_b64_e32 v[70:71], 0
	v_and_b32_e32 v175, 0x7ff0, v174
	s_cmp_lt_i32 s5, 1
	v_lshlrev_b32_e32 v2, 3, v0
	v_mov_b64_e32 v[72:73], v[70:71]
	v_mov_b64_e32 v[76:77], v[70:71]
	;; [unrolled: 1-line block ×15, first 2 shown]
	s_cbranch_scc1 .LBB76_8
; %bb.3:
	s_load_dword s22, s[0:1], 0x28
	s_load_dwordx4 s[36:39], s[0:1], 0x30
	s_load_dwordx2 s[34:35], s[0:1], 0x40
	s_load_dword s20, s[0:1], 0x48
	v_mov_b32_e32 v1, 0
	s_waitcnt lgkmcnt(0)
	v_mad_i64_i32 v[6:7], s[24:25], s22, v175, v[0:1]
	s_mul_i32 s2, s4, s37
	s_mul_hi_u32 s24, s4, s36
	s_add_i32 s25, s24, s2
	s_mul_i32 s24, s4, s36
	s_ashr_i32 s23, s22, 31
	s_ashr_i32 s21, s20, 31
	s_lshl_b64 s[24:25], s[24:25], 3
	s_add_u32 s2, s12, s24
	s_addc_u32 s31, s13, s25
	s_lshl_b64 s[26:27], s[14:15], 3
	s_add_u32 s14, s2, s26
	s_mul_i32 s2, s4, s9
	s_mul_hi_u32 s9, s4, s8
	s_addc_u32 s15, s31, s27
	s_add_i32 s9, s9, s2
	s_mul_i32 s8, s4, s8
	s_lshl_b64 s[8:9], s[8:9], 3
	s_mul_i32 s30, s30, s3
	v_cvt_f64_i32_e32 v[10:11], s3
	v_cvt_f64_u32_e32 v[12:13], s29
	s_add_u32 s2, s38, s8
	v_cvt_f64_u32_e32 v[8:9], s30
	v_min_f64 v[10:11], v[10:11], v[12:13]
	s_addc_u32 s31, s39, s9
	s_lshl_b64 s[8:9], s[34:35], 3
	v_add_f64 v[8:9], v[10:11], v[8:9]
	s_add_u32 s8, s2, s8
	v_cvt_i32_f64_e32 v3, v[8:9]
	s_mul_hi_i32 s3, s22, s16
	s_mul_i32 s2, s22, s16
	s_addc_u32 s9, s31, s9
	s_lshl_b64 s[2:3], s[2:3], 3
	v_lshlrev_b32_e32 v8, 7, v3
	s_add_u32 s2, s14, s2
	v_ashrrev_i32_e32 v9, 31, v8
	s_addc_u32 s3, s15, s3
	v_lshlrev_b64 v[60:61], 3, v[8:9]
	v_lshl_add_u64 v[8:9], s[2:3], 0, v[60:61]
	v_lshl_add_u64 v[6:7], v[6:7], 3, v[8:9]
	v_mov_b32_e32 v3, 0x78
	v_mad_i64_i32 v[10:11], s[2:3], s22, v3, v[6:7]
	s_lshl_b64 s[2:3], s[22:23], 3
	s_nop 0
	v_mov_b32_e32 v3, s3
	v_subrev_co_u32_e32 v12, vcc, s2, v10
	v_lshlrev_b32_e32 v4, 1, v4
	s_nop 0
	v_subb_co_u32_e32 v13, vcc, v11, v3, vcc
	v_subrev_co_u32_e32 v14, vcc, s2, v12
	global_load_dwordx2 v[8:9], v[12:13], off
	s_nop 0
	v_subb_co_u32_e32 v15, vcc, v13, v3, vcc
	global_load_dwordx2 v[12:13], v[14:15], off
	v_subrev_co_u32_e32 v14, vcc, s2, v14
	v_and_b32_e32 v4, 0x7ff80, v4
	s_nop 0
	v_subb_co_u32_e32 v15, vcc, v15, v3, vcc
	global_load_dwordx2 v[16:17], v[14:15], off
	v_subrev_co_u32_e32 v14, vcc, s2, v14
	v_mov_b32_e32 v5, v1
	s_nop 0
	v_subb_co_u32_e32 v15, vcc, v15, v3, vcc
	global_load_dwordx2 v[18:19], v[14:15], off
	v_subrev_co_u32_e32 v14, vcc, s2, v14
	v_lshl_add_u64 v[70:71], s[16:17], 3, v[4:5]
	s_nop 0
	v_subb_co_u32_e32 v15, vcc, v15, v3, vcc
	global_load_dwordx2 v[22:23], v[14:15], off
	v_subrev_co_u32_e32 v14, vcc, s2, v14
	v_lshl_add_u64 v[4:5], v[70:71], 0, 8
	s_nop 0
	v_subb_co_u32_e32 v15, vcc, v15, v3, vcc
	global_load_dwordx2 v[26:27], v[14:15], off
	v_subrev_co_u32_e32 v14, vcc, s2, v14
	s_lshl_b64 s[14:15], s[20:21], 10
	s_nop 0
	v_subb_co_u32_e32 v15, vcc, v15, v3, vcc
	global_load_dwordx2 v[28:29], v[14:15], off
	v_subrev_co_u32_e32 v14, vcc, s2, v14
	s_mov_b32 s28, 0
	s_nop 0
	v_subb_co_u32_e32 v15, vcc, v15, v3, vcc
	global_load_dwordx2 v[32:33], v[14:15], off
	v_subrev_co_u32_e32 v14, vcc, s2, v14
	s_add_i32 s29, s5, -1
	s_nop 0
	v_subb_co_u32_e32 v15, vcc, v15, v3, vcc
	global_load_dwordx2 v[34:35], v[14:15], off
	v_subrev_co_u32_e32 v14, vcc, s2, v14
	s_waitcnt vmcnt(8)
	v_mov_b64_e32 v[132:133], v[8:9]
	v_subb_co_u32_e32 v15, vcc, v15, v3, vcc
	global_load_dwordx2 v[38:39], v[14:15], off
	v_subrev_co_u32_e32 v14, vcc, s2, v14
	s_waitcnt vmcnt(8)
	v_mov_b64_e32 v[130:131], v[12:13]
	v_subb_co_u32_e32 v15, vcc, v15, v3, vcc
	global_load_dwordx2 v[42:43], v[14:15], off
	v_subrev_co_u32_e32 v14, vcc, s2, v14
	s_waitcnt vmcnt(8)
	v_mov_b64_e32 v[128:129], v[16:17]
	v_subb_co_u32_e32 v15, vcc, v15, v3, vcc
	global_load_dwordx2 v[44:45], v[14:15], off
	v_subrev_co_u32_e32 v14, vcc, s2, v14
	s_waitcnt vmcnt(8)
	v_mov_b64_e32 v[126:127], v[18:19]
	v_subb_co_u32_e32 v15, vcc, v15, v3, vcc
	global_load_dwordx2 v[48:49], v[14:15], off
	v_subrev_co_u32_e32 v14, vcc, s2, v14
	s_waitcnt vmcnt(8)
	v_mov_b64_e32 v[124:125], v[22:23]
	v_subb_co_u32_e32 v15, vcc, v15, v3, vcc
	global_load_dwordx2 v[50:51], v[14:15], off
	global_load_dwordx2 v[52:53], v[10:11], off
	;; [unrolled: 1-line block ×3, first 2 shown]
	v_lshl_add_u64 v[6:7], s[12:13], 0, v[60:61]
	v_lshl_add_u64 v[6:7], v[6:7], 0, s[26:27]
	;; [unrolled: 1-line block ×3, first 2 shown]
	v_mov_b32_e32 v3, v1
	v_mad_u64_u32 v[6:7], s[12:13], v4, s22, v[68:69]
	v_mul_lo_u32 v1, v4, s23
	v_mul_lo_u32 v4, v5, s22
	v_add3_u32 v7, v4, v7, v1
	s_mov_b64 s[12:13], 0x400
	v_lshl_add_u64 v[4:5], v[6:7], 0, s[12:13]
	v_lshl_add_u64 v[6:7], v[70:71], 0, 16
	v_mad_u64_u32 v[10:11], s[24:25], v6, s22, v[68:69]
	v_mul_lo_u32 v1, v6, s23
	v_mul_lo_u32 v6, v7, s22
	v_add3_u32 v11, v6, v11, v1
	v_lshl_add_u64 v[6:7], v[10:11], 0, s[12:13]
	v_lshl_add_u64 v[10:11], v[70:71], 0, 24
	v_mad_u64_u32 v[14:15], s[24:25], v10, s22, v[68:69]
	v_mul_lo_u32 v1, v10, s23
	v_mul_lo_u32 v10, v11, s22
	v_add3_u32 v15, v10, v15, v1
	;; [unrolled: 6-line block ×7, first 2 shown]
	s_mov_b64 s[24:25], 0x48
	v_lshl_add_u64 v[36:37], v[40:41], 0, s[12:13]
	v_lshl_add_u64 v[40:41], v[70:71], 0, s[24:25]
	v_mad_u64_u32 v[46:47], s[24:25], v40, s22, v[68:69]
	v_mul_lo_u32 v1, v40, s23
	v_mul_lo_u32 v40, v41, s22
	v_add3_u32 v47, v40, v47, v1
	s_mov_b64 s[24:25], 0x50
	v_lshl_add_u64 v[40:41], v[46:47], 0, s[12:13]
	v_lshl_add_u64 v[46:47], v[70:71], 0, s[24:25]
	v_mad_u64_u32 v[56:57], s[24:25], v46, s22, v[68:69]
	v_mul_lo_u32 v1, v46, s23
	v_mul_lo_u32 v46, v47, s22
	v_add3_u32 v57, v46, v57, v1
	;; [unrolled: 7-line block ×7, first 2 shown]
	v_mad_u64_u32 v[68:69], s[24:25], v70, s22, v[68:69]
	v_mul_lo_u32 v1, v70, s23
	v_mul_lo_u32 v70, v71, s22
	v_add3_u32 v69, v70, v69, v1
	v_or_b32_e32 v1, v60, v2
	v_mul_lo_u32 v60, v61, s20
	v_mul_lo_u32 v61, v1, s21
	v_mad_u64_u32 v[78:79], s[22:23], v1, s20, 0
	v_or_b32_e32 v1, 0x200, v1
	v_add3_u32 v79, v79, v61, v60
	v_mul_lo_u32 v61, v1, s21
	v_mad_u64_u32 v[102:103], s[20:21], v1, s20, 0
	v_add3_u32 v103, v103, v61, v60
	v_mov_b64_e32 v[60:61], 0
	v_lshl_add_u64 v[66:67], v[72:73], 0, s[12:13]
	s_mov_b64 s[20:21], 0x200
	v_mov_b64_e32 v[100:101], v[60:61]
	v_mov_b64_e32 v[96:97], v[60:61]
	;; [unrolled: 1-line block ×15, first 2 shown]
	s_waitcnt vmcnt(0)
	v_mov_b64_e32 v[104:105], v[54:55]
	v_mov_b64_e32 v[106:107], v[50:51]
	;; [unrolled: 1-line block ×11, first 2 shown]
.LBB76_4:                               ; =>This Inner Loop Header: Depth=1
	v_lshl_add_u64 v[170:171], v[68:69], 0, v[2:3]
	v_lshl_add_u64 v[136:137], v[170:171], 0, s[20:21]
	;; [unrolled: 1-line block ×15, first 2 shown]
	global_load_dwordx2 v[136:137], v[170:171], off offset:512
	s_nop 0
	global_load_dwordx2 v[138:139], v[138:139], off
	s_nop 0
	global_load_dwordx2 v[140:141], v[140:141], off
	s_nop 0
	global_load_dwordx2 v[142:143], v[144:145], off
	v_lshl_add_u64 v[166:167], v[164:165], 0, s[2:3]
	global_load_dwordx2 v[144:145], v[146:147], off
	v_lshl_add_u64 v[168:169], s[8:9], 0, v[78:79]
	global_load_dwordx2 v[146:147], v[148:149], off
	s_cmp_lg_u32 s29, s28
	global_load_dwordx2 v[148:149], v[150:151], off
	s_nop 0
	global_load_dwordx2 v[150:151], v[152:153], off
	s_nop 0
	global_load_dwordx2 v[152:153], v[154:155], off
	s_nop 0
	global_load_dwordx2 v[154:155], v[156:157], off
	s_nop 0
	global_load_dwordx2 v[156:157], v[158:159], off
	s_nop 0
	global_load_dwordx2 v[158:159], v[160:161], off
	s_nop 0
	global_load_dwordx2 v[160:161], v[162:163], off
	s_nop 0
	global_load_dwordx2 v[162:163], v[164:165], off
	s_nop 0
	global_load_dwordx2 v[164:165], v[166:167], off
	v_lshl_add_u64 v[166:167], v[166:167], 0, s[2:3]
	global_load_dwordx2 v[166:167], v[166:167], off
	s_nop 0
	global_load_dwordx2 v[168:169], v[168:169], off
	s_cbranch_scc0 .LBB76_6
; %bb.5:                                ;   in Loop: Header=BB76_4 Depth=1
	v_lshl_add_u64 v[106:107], v[4:5], 0, v[2:3]
	v_lshl_add_u64 v[108:109], v[6:7], 0, v[2:3]
	;; [unrolled: 1-line block ×15, first 2 shown]
	global_load_dwordx2 v[104:105], v[170:171], off offset:1024
	s_nop 0
	global_load_dwordx2 v[106:107], v[106:107], off
	s_nop 0
	global_load_dwordx2 v[108:109], v[108:109], off
	;; [unrolled: 2-line block ×15, first 2 shown]
.LBB76_6:                               ;   in Loop: Header=BB76_4 Depth=1
	v_lshl_add_u64 v[170:171], s[8:9], 0, v[102:103]
	global_load_dwordx2 v[170:171], v[170:171], off
	s_add_i32 s28, s28, 1
	s_add_u32 s8, s8, s14
	s_waitcnt vmcnt(1)
	v_fmac_f64_e32 v[60:61], v[54:55], v[168:169]
	v_fmac_f64_e32 v[100:101], v[50:51], v[168:169]
	;; [unrolled: 1-line block ×16, first 2 shown]
	s_addc_u32 s9, s9, s15
	v_lshl_add_u64 v[4:5], v[4:5], 0, s[12:13]
	v_lshl_add_u64 v[6:7], v[6:7], 0, s[12:13]
	v_lshl_add_u64 v[10:11], v[10:11], 0, s[12:13]
	v_lshl_add_u64 v[14:15], v[14:15], 0, s[12:13]
	v_lshl_add_u64 v[20:21], v[20:21], 0, s[12:13]
	v_lshl_add_u64 v[24:25], v[24:25], 0, s[12:13]
	v_lshl_add_u64 v[30:31], v[30:31], 0, s[12:13]
	v_lshl_add_u64 v[36:37], v[36:37], 0, s[12:13]
	v_lshl_add_u64 v[40:41], v[40:41], 0, s[12:13]
	v_lshl_add_u64 v[46:47], v[46:47], 0, s[12:13]
	v_lshl_add_u64 v[56:57], v[56:57], 0, s[12:13]
	v_lshl_add_u64 v[58:59], v[58:59], 0, s[12:13]
	v_lshl_add_u64 v[62:63], v[62:63], 0, s[12:13]
	v_lshl_add_u64 v[64:65], v[64:65], 0, s[12:13]
	v_lshl_add_u64 v[66:67], v[66:67], 0, s[12:13]
	s_cmp_ge_i32 s28, s5
	v_lshl_add_u64 v[68:69], v[68:69], 0, s[12:13]
	s_waitcnt vmcnt(0)
	v_fmac_f64_e32 v[60:61], v[136:137], v[170:171]
	v_fmac_f64_e32 v[100:101], v[138:139], v[170:171]
	;; [unrolled: 1-line block ×16, first 2 shown]
	s_cbranch_scc1 .LBB76_8
; %bb.7:                                ;   in Loop: Header=BB76_4 Depth=1
	v_mov_b64_e32 v[54:55], v[104:105]
	v_mov_b64_e32 v[50:51], v[106:107]
	;; [unrolled: 1-line block ×16, first 2 shown]
	s_branch .LBB76_4
.LBB76_8:
	v_lshl_or_b32 v1, v175, 9, v2
	ds_write2st64_b64 v1, v[60:61], v[100:101] offset1:1
	ds_write2st64_b64 v1, v[96:97], v[98:99] offset0:2 offset1:3
	ds_write2st64_b64 v1, v[92:93], v[94:95] offset0:4 offset1:5
	;; [unrolled: 1-line block ×6, first 2 shown]
	ds_write_b64 v1, v[72:73] offset:7168
	v_lshlrev_b32_e32 v1, 3, v172
	v_lshlrev_b32_e32 v2, 9, v174
	s_movk_i32 s2, 0x1e00
	v_or3_b32 v1, v2, v1, s2
	v_cmp_eq_u32_e32 vcc, 0, v173
	ds_write_b64 v1, v[70:71]
	s_waitcnt lgkmcnt(0)
	s_barrier
	s_and_saveexec_b64 s[2:3], vcc
	s_cbranch_execz .LBB76_10
; %bb.9:
	v_lshlrev_b32_e32 v12, 6, v172
	v_add_u32_e32 v1, 1, v172
	v_and_or_b32 v1, v1, 63, v12
	v_lshlrev_b32_e32 v2, 3, v1
	v_add_u32_e32 v1, 2, v172
	v_or_b32_e32 v13, v0, v12
	v_and_or_b32 v1, v1, 63, v12
	v_lshlrev_b32_e32 v0, 3, v13
	v_lshlrev_b32_e32 v4, 3, v1
	v_add_u32_e32 v1, 3, v172
	s_load_dwordx2 s[8:9], s[0:1], 0x70
	s_load_dword s2, s[0:1], 0x68
	v_and_or_b32 v6, v1, 63, v12
	ds_read_b64 v[0:1], v0
	ds_read_b64 v[2:3], v2
	;; [unrolled: 1-line block ×3, first 2 shown]
	v_lshlrev_b32_e32 v6, 3, v6
	ds_read_b64 v[6:7], v6
	s_waitcnt lgkmcnt(0)
	v_add_f64 v[0:1], v[0:1], 0
	v_add_f64 v[0:1], v[0:1], v[2:3]
	v_add_u32_e32 v3, 5, v172
	v_and_or_b32 v3, v3, 63, v12
	v_add_f64 v[0:1], v[0:1], v[4:5]
	v_lshlrev_b32_e32 v4, 3, v3
	v_add_u32_e32 v3, 6, v172
	v_and_or_b32 v3, v3, 63, v12
	v_add_u32_e32 v2, 4, v172
	v_lshlrev_b32_e32 v8, 3, v3
	v_add_u32_e32 v3, 7, v172
	v_and_or_b32 v2, v2, 63, v12
	v_and_or_b32 v3, v3, 63, v12
	v_lshlrev_b32_e32 v2, 3, v2
	v_lshlrev_b32_e32 v10, 3, v3
	ds_read_b64 v[2:3], v2
	ds_read_b64 v[4:5], v4
	ds_read_b64 v[8:9], v8
	ds_read_b64 v[10:11], v10
	v_add_f64 v[0:1], v[0:1], v[6:7]
	s_waitcnt lgkmcnt(3)
	v_add_f64 v[0:1], v[0:1], v[2:3]
	v_add_u32_e32 v3, 9, v172
	v_and_or_b32 v3, v3, 63, v12
	s_waitcnt lgkmcnt(2)
	v_add_f64 v[0:1], v[0:1], v[4:5]
	v_add_u32_e32 v2, 8, v172
	v_lshlrev_b32_e32 v4, 3, v3
	v_add_u32_e32 v3, 10, v172
	v_and_or_b32 v2, v2, 63, v12
	v_and_or_b32 v3, v3, 63, v12
	v_lshlrev_b32_e32 v2, 3, v2
	v_lshlrev_b32_e32 v6, 3, v3
	v_add_u32_e32 v3, 11, v172
	s_waitcnt lgkmcnt(1)
	v_add_f64 v[0:1], v[0:1], v[8:9]
	v_and_or_b32 v8, v3, 63, v12
	ds_read_b64 v[2:3], v2
	ds_read_b64 v[4:5], v4
	;; [unrolled: 1-line block ×3, first 2 shown]
	s_waitcnt lgkmcnt(3)
	v_add_f64 v[0:1], v[0:1], v[10:11]
	v_lshlrev_b32_e32 v8, 3, v8
	s_waitcnt lgkmcnt(2)
	v_add_f64 v[0:1], v[0:1], v[2:3]
	v_add_u32_e32 v3, 13, v172
	v_and_or_b32 v3, v3, 63, v12
	s_waitcnt lgkmcnt(1)
	v_add_f64 v[0:1], v[0:1], v[4:5]
	v_lshlrev_b32_e32 v4, 3, v3
	v_add_u32_e32 v3, 14, v172
	ds_read_b64 v[8:9], v8
	v_and_or_b32 v3, v3, 63, v12
	s_waitcnt lgkmcnt(1)
	v_add_f64 v[0:1], v[0:1], v[6:7]
	v_add_u32_e32 v2, 12, v172
	v_lshlrev_b32_e32 v6, 3, v3
	v_add_u32_e32 v3, 15, v172
	v_and_or_b32 v2, v2, 63, v12
	v_and_or_b32 v3, v3, 63, v12
	v_lshlrev_b32_e32 v2, 3, v2
	v_lshlrev_b32_e32 v10, 3, v3
	ds_read_b64 v[2:3], v2
	ds_read_b64 v[4:5], v4
	;; [unrolled: 1-line block ×4, first 2 shown]
	s_waitcnt lgkmcnt(4)
	v_add_f64 v[0:1], v[0:1], v[8:9]
	s_waitcnt lgkmcnt(3)
	v_add_f64 v[0:1], v[0:1], v[2:3]
	v_add_u32_e32 v3, 17, v172
	v_and_or_b32 v3, v3, 63, v12
	s_waitcnt lgkmcnt(2)
	v_add_f64 v[0:1], v[0:1], v[4:5]
	v_add_u32_e32 v2, 16, v172
	v_lshlrev_b32_e32 v4, 3, v3
	v_add_u32_e32 v3, 18, v172
	v_and_or_b32 v2, v2, 63, v12
	v_and_or_b32 v3, v3, 63, v12
	s_waitcnt lgkmcnt(1)
	v_add_f64 v[0:1], v[0:1], v[6:7]
	v_lshlrev_b32_e32 v2, 3, v2
	v_lshlrev_b32_e32 v6, 3, v3
	v_add_u32_e32 v3, 19, v172
	v_and_or_b32 v8, v3, 63, v12
	ds_read_b64 v[2:3], v2
	ds_read_b64 v[4:5], v4
	;; [unrolled: 1-line block ×3, first 2 shown]
	s_waitcnt lgkmcnt(3)
	v_add_f64 v[0:1], v[0:1], v[10:11]
	v_lshlrev_b32_e32 v8, 3, v8
	s_waitcnt lgkmcnt(2)
	v_add_f64 v[0:1], v[0:1], v[2:3]
	v_add_u32_e32 v3, 21, v172
	v_and_or_b32 v3, v3, 63, v12
	s_waitcnt lgkmcnt(1)
	v_add_f64 v[0:1], v[0:1], v[4:5]
	v_lshlrev_b32_e32 v4, 3, v3
	v_add_u32_e32 v3, 22, v172
	ds_read_b64 v[8:9], v8
	v_and_or_b32 v3, v3, 63, v12
	s_waitcnt lgkmcnt(1)
	v_add_f64 v[0:1], v[0:1], v[6:7]
	v_add_u32_e32 v2, 20, v172
	v_lshlrev_b32_e32 v6, 3, v3
	v_add_u32_e32 v3, 23, v172
	v_and_or_b32 v2, v2, 63, v12
	v_and_or_b32 v3, v3, 63, v12
	v_lshlrev_b32_e32 v2, 3, v2
	v_lshlrev_b32_e32 v10, 3, v3
	ds_read_b64 v[2:3], v2
	ds_read_b64 v[4:5], v4
	;; [unrolled: 1-line block ×4, first 2 shown]
	s_waitcnt lgkmcnt(4)
	v_add_f64 v[0:1], v[0:1], v[8:9]
	s_waitcnt lgkmcnt(3)
	v_add_f64 v[0:1], v[0:1], v[2:3]
	v_add_u32_e32 v3, 25, v172
	v_and_or_b32 v3, v3, 63, v12
	s_waitcnt lgkmcnt(2)
	v_add_f64 v[0:1], v[0:1], v[4:5]
	v_add_u32_e32 v2, 24, v172
	v_lshlrev_b32_e32 v4, 3, v3
	v_add_u32_e32 v3, 26, v172
	v_and_or_b32 v2, v2, 63, v12
	v_and_or_b32 v3, v3, 63, v12
	s_waitcnt lgkmcnt(1)
	v_add_f64 v[0:1], v[0:1], v[6:7]
	v_lshlrev_b32_e32 v2, 3, v2
	v_lshlrev_b32_e32 v6, 3, v3
	v_add_u32_e32 v3, 27, v172
	v_and_or_b32 v8, v3, 63, v12
	ds_read_b64 v[2:3], v2
	ds_read_b64 v[4:5], v4
	;; [unrolled: 1-line block ×3, first 2 shown]
	s_waitcnt lgkmcnt(3)
	v_add_f64 v[0:1], v[0:1], v[10:11]
	v_lshlrev_b32_e32 v8, 3, v8
	s_waitcnt lgkmcnt(2)
	v_add_f64 v[0:1], v[0:1], v[2:3]
	v_add_u32_e32 v3, 29, v172
	v_and_or_b32 v3, v3, 63, v12
	s_waitcnt lgkmcnt(1)
	v_add_f64 v[0:1], v[0:1], v[4:5]
	v_lshlrev_b32_e32 v4, 3, v3
	v_add_u32_e32 v3, 30, v172
	ds_read_b64 v[8:9], v8
	v_and_or_b32 v3, v3, 63, v12
	s_waitcnt lgkmcnt(1)
	v_add_f64 v[0:1], v[0:1], v[6:7]
	v_add_u32_e32 v2, 28, v172
	v_lshlrev_b32_e32 v6, 3, v3
	v_add_u32_e32 v3, 31, v172
	v_and_or_b32 v2, v2, 63, v12
	v_and_or_b32 v3, v3, 63, v12
	v_lshlrev_b32_e32 v2, 3, v2
	v_lshlrev_b32_e32 v10, 3, v3
	ds_read_b64 v[2:3], v2
	ds_read_b64 v[4:5], v4
	;; [unrolled: 1-line block ×4, first 2 shown]
	s_waitcnt lgkmcnt(4)
	v_add_f64 v[0:1], v[0:1], v[8:9]
	s_waitcnt lgkmcnt(3)
	v_add_f64 v[0:1], v[0:1], v[2:3]
	v_add_u32_e32 v3, 33, v172
	v_and_or_b32 v3, v3, 63, v12
	s_waitcnt lgkmcnt(2)
	v_add_f64 v[0:1], v[0:1], v[4:5]
	v_lshlrev_b32_e32 v4, 3, v3
	v_add_u32_e32 v3, 34, v172
	v_xor_b32_e32 v2, 32, v13
	v_and_or_b32 v3, v3, 63, v12
	s_waitcnt lgkmcnt(1)
	v_add_f64 v[0:1], v[0:1], v[6:7]
	v_lshlrev_b32_e32 v2, 3, v2
	v_lshlrev_b32_e32 v6, 3, v3
	v_add_u32_e32 v3, 35, v172
	v_and_or_b32 v8, v3, 63, v12
	ds_read_b64 v[2:3], v2
	ds_read_b64 v[4:5], v4
	ds_read_b64 v[6:7], v6
	s_waitcnt lgkmcnt(3)
	v_add_f64 v[0:1], v[0:1], v[10:11]
	v_lshlrev_b32_e32 v8, 3, v8
	s_waitcnt lgkmcnt(2)
	v_add_f64 v[0:1], v[0:1], v[2:3]
	v_add_u32_e32 v3, 37, v172
	v_and_or_b32 v3, v3, 63, v12
	s_waitcnt lgkmcnt(1)
	v_add_f64 v[0:1], v[0:1], v[4:5]
	v_lshlrev_b32_e32 v4, 3, v3
	v_add_u32_e32 v3, 38, v172
	ds_read_b64 v[8:9], v8
	v_and_or_b32 v3, v3, 63, v12
	s_waitcnt lgkmcnt(1)
	v_add_f64 v[0:1], v[0:1], v[6:7]
	v_add_u32_e32 v2, 36, v172
	v_lshlrev_b32_e32 v6, 3, v3
	v_add_u32_e32 v3, 39, v172
	v_and_or_b32 v2, v2, 63, v12
	v_and_or_b32 v3, v3, 63, v12
	v_lshlrev_b32_e32 v2, 3, v2
	v_lshlrev_b32_e32 v10, 3, v3
	ds_read_b64 v[2:3], v2
	ds_read_b64 v[4:5], v4
	ds_read_b64 v[6:7], v6
	ds_read_b64 v[10:11], v10
	s_waitcnt lgkmcnt(4)
	v_add_f64 v[0:1], v[0:1], v[8:9]
	s_waitcnt lgkmcnt(3)
	v_add_f64 v[0:1], v[0:1], v[2:3]
	v_add_u32_e32 v3, 41, v172
	v_and_or_b32 v3, v3, 63, v12
	s_waitcnt lgkmcnt(2)
	v_add_f64 v[0:1], v[0:1], v[4:5]
	v_add_u32_e32 v2, 40, v172
	v_lshlrev_b32_e32 v4, 3, v3
	v_add_u32_e32 v3, 42, v172
	v_and_or_b32 v2, v2, 63, v12
	v_and_or_b32 v3, v3, 63, v12
	s_waitcnt lgkmcnt(1)
	v_add_f64 v[0:1], v[0:1], v[6:7]
	v_lshlrev_b32_e32 v2, 3, v2
	v_lshlrev_b32_e32 v6, 3, v3
	v_add_u32_e32 v3, 43, v172
	v_and_or_b32 v8, v3, 63, v12
	ds_read_b64 v[2:3], v2
	ds_read_b64 v[4:5], v4
	ds_read_b64 v[6:7], v6
	s_waitcnt lgkmcnt(3)
	v_add_f64 v[0:1], v[0:1], v[10:11]
	v_lshlrev_b32_e32 v8, 3, v8
	s_waitcnt lgkmcnt(2)
	v_add_f64 v[0:1], v[0:1], v[2:3]
	v_add_u32_e32 v3, 45, v172
	v_and_or_b32 v3, v3, 63, v12
	s_waitcnt lgkmcnt(1)
	v_add_f64 v[0:1], v[0:1], v[4:5]
	v_lshlrev_b32_e32 v4, 3, v3
	v_add_u32_e32 v3, 46, v172
	ds_read_b64 v[8:9], v8
	v_and_or_b32 v3, v3, 63, v12
	s_waitcnt lgkmcnt(1)
	v_add_f64 v[0:1], v[0:1], v[6:7]
	v_add_u32_e32 v2, 44, v172
	v_lshlrev_b32_e32 v6, 3, v3
	v_add_u32_e32 v3, 47, v172
	v_and_or_b32 v2, v2, 63, v12
	v_and_or_b32 v3, v3, 63, v12
	v_lshlrev_b32_e32 v2, 3, v2
	v_lshlrev_b32_e32 v10, 3, v3
	ds_read_b64 v[2:3], v2
	ds_read_b64 v[4:5], v4
	ds_read_b64 v[6:7], v6
	ds_read_b64 v[10:11], v10
	s_waitcnt lgkmcnt(4)
	v_add_f64 v[0:1], v[0:1], v[8:9]
	s_waitcnt lgkmcnt(3)
	v_add_f64 v[0:1], v[0:1], v[2:3]
	v_add_u32_e32 v3, 49, v172
	v_and_or_b32 v3, v3, 63, v12
	s_waitcnt lgkmcnt(2)
	v_add_f64 v[0:1], v[0:1], v[4:5]
	v_add_u32_e32 v2, 48, v172
	v_lshlrev_b32_e32 v4, 3, v3
	v_add_u32_e32 v3, 50, v172
	v_and_or_b32 v2, v2, 63, v12
	;; [unrolled: 48-line block ×3, first 2 shown]
	v_and_or_b32 v3, v3, 63, v12
	s_waitcnt lgkmcnt(1)
	v_add_f64 v[0:1], v[0:1], v[6:7]
	v_lshlrev_b32_e32 v2, 3, v2
	v_lshlrev_b32_e32 v6, 3, v3
	v_add_u32_e32 v3, 59, v172
	v_and_or_b32 v8, v3, 63, v12
	ds_read_b64 v[2:3], v2
	ds_read_b64 v[4:5], v4
	;; [unrolled: 1-line block ×3, first 2 shown]
	s_waitcnt lgkmcnt(3)
	v_add_f64 v[0:1], v[0:1], v[10:11]
	v_lshlrev_b32_e32 v8, 3, v8
	s_waitcnt lgkmcnt(2)
	v_add_f64 v[0:1], v[0:1], v[2:3]
	v_add_u32_e32 v3, 61, v172
	v_and_or_b32 v3, v3, 63, v12
	s_waitcnt lgkmcnt(1)
	v_add_f64 v[0:1], v[0:1], v[4:5]
	v_lshlrev_b32_e32 v4, 3, v3
	v_add_u32_e32 v3, 62, v172
	s_mul_i32 s1, s4, s9
	s_mul_hi_u32 s3, s4, s8
	ds_read_b64 v[8:9], v8
	v_and_or_b32 v3, v3, 63, v12
	s_mul_i32 s0, s4, s8
	s_add_i32 s1, s3, s1
	s_waitcnt lgkmcnt(1)
	v_add_f64 v[0:1], v[0:1], v[6:7]
	v_add_u32_e32 v2, 60, v172
	v_lshlrev_b32_e32 v6, 3, v3
	v_add_u32_e32 v3, -1, v172
	s_lshl_b64 s[0:1], s[0:1], 3
	v_and_or_b32 v2, v2, 63, v12
	v_and_or_b32 v3, v3, 63, v12
	s_add_u32 s3, s10, s0
	v_lshlrev_b32_e32 v2, 3, v2
	v_lshlrev_b32_e32 v10, 3, v3
	s_addc_u32 s4, s11, s1
	s_lshl_b64 s[0:1], s[18:19], 3
	ds_read_b64 v[2:3], v2
	ds_read_b64 v[4:5], v4
	;; [unrolled: 1-line block ×4, first 2 shown]
	s_add_u32 s3, s3, s0
	s_waitcnt lgkmcnt(4)
	v_add_f64 v[0:1], v[0:1], v[8:9]
	s_addc_u32 s4, s4, s1
	s_mul_hi_i32 s1, s2, s16
	s_mul_i32 s0, s2, s16
	s_waitcnt lgkmcnt(3)
	v_add_f64 v[0:1], v[0:1], v[2:3]
	s_lshl_b64 s[0:1], s[0:1], 3
	s_waitcnt lgkmcnt(2)
	v_add_f64 v[0:1], v[0:1], v[4:5]
	s_add_u32 s0, s3, s0
	s_waitcnt lgkmcnt(1)
	v_add_f64 v[0:1], v[0:1], v[6:7]
	s_addc_u32 s1, s4, s1
	s_waitcnt lgkmcnt(0)
	v_add_f64 v[0:1], v[0:1], v[10:11]
	v_mad_i64_i32 v[2:3], s[2:3], s2, v172, 0
	v_lshl_add_u64 v[2:3], v[2:3], 3, s[0:1]
	v_mul_f64 v[0:1], s[6:7], v[0:1]
	global_atomic_add_f64 v[2:3], v[0:1], off
.LBB76_10:
	s_endpgm
	.section	.rodata,"a",@progbits
	.p2align	6, 0x0
	.amdhsa_kernel _ZL36rocblas_gemvt_double_buffered_kernelILb0ELi128ELi4ELi16EdPKddEviiT4_lPKT3_lilS5_lilPT5_lili
		.amdhsa_group_segment_fixed_size 65536
		.amdhsa_private_segment_fixed_size 0
		.amdhsa_kernarg_size 384
		.amdhsa_user_sgpr_count 2
		.amdhsa_user_sgpr_dispatch_ptr 0
		.amdhsa_user_sgpr_queue_ptr 0
		.amdhsa_user_sgpr_kernarg_segment_ptr 1
		.amdhsa_user_sgpr_dispatch_id 0
		.amdhsa_user_sgpr_kernarg_preload_length 0
		.amdhsa_user_sgpr_kernarg_preload_offset 0
		.amdhsa_user_sgpr_private_segment_size 0
		.amdhsa_uses_dynamic_stack 0
		.amdhsa_enable_private_segment 0
		.amdhsa_system_sgpr_workgroup_id_x 1
		.amdhsa_system_sgpr_workgroup_id_y 1
		.amdhsa_system_sgpr_workgroup_id_z 1
		.amdhsa_system_sgpr_workgroup_info 0
		.amdhsa_system_vgpr_workitem_id 1
		.amdhsa_next_free_vgpr 176
		.amdhsa_next_free_sgpr 40
		.amdhsa_accum_offset 176
		.amdhsa_reserve_vcc 1
		.amdhsa_float_round_mode_32 0
		.amdhsa_float_round_mode_16_64 0
		.amdhsa_float_denorm_mode_32 3
		.amdhsa_float_denorm_mode_16_64 3
		.amdhsa_dx10_clamp 1
		.amdhsa_ieee_mode 1
		.amdhsa_fp16_overflow 0
		.amdhsa_tg_split 0
		.amdhsa_exception_fp_ieee_invalid_op 0
		.amdhsa_exception_fp_denorm_src 0
		.amdhsa_exception_fp_ieee_div_zero 0
		.amdhsa_exception_fp_ieee_overflow 0
		.amdhsa_exception_fp_ieee_underflow 0
		.amdhsa_exception_fp_ieee_inexact 0
		.amdhsa_exception_int_div_zero 0
	.end_amdhsa_kernel
	.section	.text._ZL36rocblas_gemvt_double_buffered_kernelILb0ELi128ELi4ELi16EdPKddEviiT4_lPKT3_lilS5_lilPT5_lili,"axG",@progbits,_ZL36rocblas_gemvt_double_buffered_kernelILb0ELi128ELi4ELi16EdPKddEviiT4_lPKT3_lilS5_lilPT5_lili,comdat
.Lfunc_end76:
	.size	_ZL36rocblas_gemvt_double_buffered_kernelILb0ELi128ELi4ELi16EdPKddEviiT4_lPKT3_lilS5_lilPT5_lili, .Lfunc_end76-_ZL36rocblas_gemvt_double_buffered_kernelILb0ELi128ELi4ELi16EdPKddEviiT4_lPKT3_lilS5_lilPT5_lili
                                        ; -- End function
	.section	.AMDGPU.csdata,"",@progbits
; Kernel info:
; codeLenInByte = 5524
; NumSgprs: 46
; NumVgprs: 176
; NumAgprs: 0
; TotalNumVgprs: 176
; ScratchSize: 0
; MemoryBound: 0
; FloatMode: 240
; IeeeMode: 1
; LDSByteSize: 65536 bytes/workgroup (compile time only)
; SGPRBlocks: 5
; VGPRBlocks: 21
; NumSGPRsForWavesPerEU: 46
; NumVGPRsForWavesPerEU: 176
; AccumOffset: 176
; Occupancy: 2
; WaveLimiterHint : 0
; COMPUTE_PGM_RSRC2:SCRATCH_EN: 0
; COMPUTE_PGM_RSRC2:USER_SGPR: 2
; COMPUTE_PGM_RSRC2:TRAP_HANDLER: 0
; COMPUTE_PGM_RSRC2:TGID_X_EN: 1
; COMPUTE_PGM_RSRC2:TGID_Y_EN: 1
; COMPUTE_PGM_RSRC2:TGID_Z_EN: 1
; COMPUTE_PGM_RSRC2:TIDIG_COMP_CNT: 1
; COMPUTE_PGM_RSRC3_GFX90A:ACCUM_OFFSET: 43
; COMPUTE_PGM_RSRC3_GFX90A:TG_SPLIT: 0
	.section	.text._ZL36rocblas_gemvt_double_buffered_kernelILb0ELi128ELi4ELi16EdddEviiT4_lPKT3_lilS3_lilPT5_lili,"axG",@progbits,_ZL36rocblas_gemvt_double_buffered_kernelILb0ELi128ELi4ELi16EdddEviiT4_lPKT3_lilS3_lilPT5_lili,comdat
	.globl	_ZL36rocblas_gemvt_double_buffered_kernelILb0ELi128ELi4ELi16EdddEviiT4_lPKT3_lilS3_lilPT5_lili ; -- Begin function _ZL36rocblas_gemvt_double_buffered_kernelILb0ELi128ELi4ELi16EdddEviiT4_lPKT3_lilS3_lilPT5_lili
	.p2align	8
	.type	_ZL36rocblas_gemvt_double_buffered_kernelILb0ELi128ELi4ELi16EdddEviiT4_lPKT3_lilS3_lilPT5_lili,@function
_ZL36rocblas_gemvt_double_buffered_kernelILb0ELi128ELi4ELi16EdddEviiT4_lPKT3_lilS3_lilPT5_lili: ; @_ZL36rocblas_gemvt_double_buffered_kernelILb0ELi128ELi4ELi16EdddEviiT4_lPKT3_lilS3_lilPT5_lili
; %bb.0:
	s_load_dwordx2 s[6:7], s[0:1], 0x8
	s_waitcnt lgkmcnt(0)
	v_cmp_eq_f64_e64 s[8:9], s[6:7], 0
	s_and_b64 vcc, exec, s[8:9]
	s_cbranch_vccnz .LBB77_10
; %bb.1:
	s_load_dword s5, s[0:1], 0x84
	s_load_dword s8, s[0:1], 0x0
	s_waitcnt lgkmcnt(0)
	v_cvt_f32_u32_e32 v1, s5
	s_ashr_i32 s9, s8, 31
	s_lshr_b32 s9, s9, 25
	s_sub_i32 s10, 0, s5
	v_rcp_iflag_f32_e32 v1, v1
	s_add_i32 s8, s8, s9
	s_ashr_i32 s8, s8, 7
	v_mul_f32_e32 v1, 0x4f7ffffe, v1
	v_cvt_u32_f32_e32 v1, v1
	s_nop 0
	v_readfirstlane_b32 s9, v1
	s_mul_i32 s10, s10, s9
	s_mul_hi_u32 s10, s9, s10
	s_add_i32 s9, s9, s10
	s_mul_hi_u32 s9, s8, s9
	s_mul_i32 s10, s9, s5
	s_sub_i32 s10, s8, s10
	s_add_i32 s11, s9, 1
	s_sub_i32 s12, s10, s5
	s_cmp_ge_u32 s10, s5
	s_cselect_b32 s9, s11, s9
	s_cselect_b32 s10, s12, s10
	s_add_i32 s11, s9, 1
	s_cmp_ge_u32 s10, s5
	s_cselect_b32 s30, s11, s9
	s_mul_i32 s5, s30, s5
	s_sub_i32 s29, s8, s5
	s_cmp_lt_u32 s3, s29
	s_cselect_b64 s[8:9], -1, 0
	s_cmp_lg_u64 s[8:9], 0
	s_addc_u32 s5, s30, 0
	s_cmp_eq_u32 s5, 0
	s_cbranch_scc1 .LBB77_10
; %bb.2:
	s_load_dwordx4 s[8:11], s[0:1], 0x50
	s_load_dwordx2 s[16:17], s[0:1], 0x60
	v_and_b32_e32 v172, 0x3ff, v0
	v_bfe_u32 v173, v0, 10, 10
	s_lshl_b32 s18, s2, 7
	v_lshl_add_u32 v4, v173, 7, v172
	v_and_b32_e32 v0, 63, v172
	s_ashr_i32 s19, s18, 31
	v_lshrrev_b32_e32 v174, 2, v4
	v_mov_b64_e32 v[70:71], 0
	v_and_b32_e32 v175, 0x7ff0, v174
	s_cmp_lt_i32 s5, 1
	v_lshlrev_b32_e32 v2, 3, v0
	v_mov_b64_e32 v[72:73], v[70:71]
	v_mov_b64_e32 v[76:77], v[70:71]
	;; [unrolled: 1-line block ×15, first 2 shown]
	s_cbranch_scc1 .LBB77_8
; %bb.3:
	s_load_dword s22, s[0:1], 0x28
	s_load_dwordx4 s[12:15], s[0:1], 0x18
	s_load_dwordx4 s[36:39], s[0:1], 0x30
	s_load_dwordx2 s[34:35], s[0:1], 0x40
	s_load_dword s20, s[0:1], 0x48
	v_mov_b32_e32 v1, 0
	s_waitcnt lgkmcnt(0)
	v_mad_i64_i32 v[6:7], s[24:25], s22, v175, v[0:1]
	s_mul_i32 s2, s4, s37
	s_mul_hi_u32 s24, s4, s36
	s_add_i32 s25, s24, s2
	s_mul_i32 s24, s4, s36
	s_ashr_i32 s23, s22, 31
	s_ashr_i32 s21, s20, 31
	s_lshl_b64 s[24:25], s[24:25], 3
	s_add_u32 s2, s12, s24
	s_addc_u32 s31, s13, s25
	s_lshl_b64 s[26:27], s[14:15], 3
	s_add_u32 s14, s2, s26
	s_mul_i32 s2, s4, s9
	s_mul_hi_u32 s9, s4, s8
	s_addc_u32 s15, s31, s27
	s_add_i32 s9, s9, s2
	s_mul_i32 s8, s4, s8
	s_lshl_b64 s[8:9], s[8:9], 3
	s_mul_i32 s30, s30, s3
	v_cvt_f64_i32_e32 v[10:11], s3
	v_cvt_f64_u32_e32 v[12:13], s29
	s_add_u32 s2, s38, s8
	v_cvt_f64_u32_e32 v[8:9], s30
	v_min_f64 v[10:11], v[10:11], v[12:13]
	s_addc_u32 s31, s39, s9
	s_lshl_b64 s[8:9], s[34:35], 3
	v_add_f64 v[8:9], v[10:11], v[8:9]
	s_add_u32 s8, s2, s8
	v_cvt_i32_f64_e32 v3, v[8:9]
	s_mul_hi_i32 s3, s22, s18
	s_mul_i32 s2, s22, s18
	s_addc_u32 s9, s31, s9
	s_lshl_b64 s[2:3], s[2:3], 3
	v_lshlrev_b32_e32 v8, 7, v3
	s_add_u32 s2, s14, s2
	v_ashrrev_i32_e32 v9, 31, v8
	s_addc_u32 s3, s15, s3
	v_lshlrev_b64 v[60:61], 3, v[8:9]
	v_lshl_add_u64 v[8:9], s[2:3], 0, v[60:61]
	v_lshl_add_u64 v[6:7], v[6:7], 3, v[8:9]
	v_mov_b32_e32 v3, 0x78
	v_mad_i64_i32 v[10:11], s[2:3], s22, v3, v[6:7]
	s_lshl_b64 s[2:3], s[22:23], 3
	s_nop 0
	v_mov_b32_e32 v3, s3
	v_subrev_co_u32_e32 v12, vcc, s2, v10
	v_lshlrev_b32_e32 v4, 1, v4
	s_nop 0
	v_subb_co_u32_e32 v13, vcc, v11, v3, vcc
	v_subrev_co_u32_e32 v14, vcc, s2, v12
	global_load_dwordx2 v[8:9], v[12:13], off
	s_nop 0
	v_subb_co_u32_e32 v15, vcc, v13, v3, vcc
	global_load_dwordx2 v[12:13], v[14:15], off
	v_subrev_co_u32_e32 v14, vcc, s2, v14
	v_and_b32_e32 v4, 0x7ff80, v4
	s_nop 0
	v_subb_co_u32_e32 v15, vcc, v15, v3, vcc
	global_load_dwordx2 v[16:17], v[14:15], off
	v_subrev_co_u32_e32 v14, vcc, s2, v14
	v_mov_b32_e32 v5, v1
	s_nop 0
	v_subb_co_u32_e32 v15, vcc, v15, v3, vcc
	global_load_dwordx2 v[18:19], v[14:15], off
	v_subrev_co_u32_e32 v14, vcc, s2, v14
	v_lshl_add_u64 v[70:71], s[18:19], 3, v[4:5]
	s_nop 0
	v_subb_co_u32_e32 v15, vcc, v15, v3, vcc
	global_load_dwordx2 v[22:23], v[14:15], off
	v_subrev_co_u32_e32 v14, vcc, s2, v14
	v_lshl_add_u64 v[4:5], v[70:71], 0, 8
	s_nop 0
	v_subb_co_u32_e32 v15, vcc, v15, v3, vcc
	global_load_dwordx2 v[26:27], v[14:15], off
	v_subrev_co_u32_e32 v14, vcc, s2, v14
	s_lshl_b64 s[14:15], s[20:21], 10
	s_nop 0
	v_subb_co_u32_e32 v15, vcc, v15, v3, vcc
	global_load_dwordx2 v[28:29], v[14:15], off
	v_subrev_co_u32_e32 v14, vcc, s2, v14
	s_mov_b32 s28, 0
	s_nop 0
	v_subb_co_u32_e32 v15, vcc, v15, v3, vcc
	global_load_dwordx2 v[32:33], v[14:15], off
	v_subrev_co_u32_e32 v14, vcc, s2, v14
	s_add_i32 s29, s5, -1
	s_nop 0
	v_subb_co_u32_e32 v15, vcc, v15, v3, vcc
	global_load_dwordx2 v[34:35], v[14:15], off
	v_subrev_co_u32_e32 v14, vcc, s2, v14
	s_waitcnt vmcnt(8)
	v_mov_b64_e32 v[132:133], v[8:9]
	v_subb_co_u32_e32 v15, vcc, v15, v3, vcc
	global_load_dwordx2 v[38:39], v[14:15], off
	v_subrev_co_u32_e32 v14, vcc, s2, v14
	s_waitcnt vmcnt(8)
	v_mov_b64_e32 v[130:131], v[12:13]
	;; [unrolled: 5-line block ×5, first 2 shown]
	v_subb_co_u32_e32 v15, vcc, v15, v3, vcc
	global_load_dwordx2 v[50:51], v[14:15], off
	global_load_dwordx2 v[52:53], v[10:11], off
	;; [unrolled: 1-line block ×3, first 2 shown]
	v_lshl_add_u64 v[6:7], s[12:13], 0, v[60:61]
	v_lshl_add_u64 v[6:7], v[6:7], 0, s[26:27]
	;; [unrolled: 1-line block ×3, first 2 shown]
	v_mov_b32_e32 v3, v1
	v_mad_u64_u32 v[6:7], s[12:13], v4, s22, v[68:69]
	v_mul_lo_u32 v1, v4, s23
	v_mul_lo_u32 v4, v5, s22
	v_add3_u32 v7, v4, v7, v1
	s_mov_b64 s[12:13], 0x400
	v_lshl_add_u64 v[4:5], v[6:7], 0, s[12:13]
	v_lshl_add_u64 v[6:7], v[70:71], 0, 16
	v_mad_u64_u32 v[10:11], s[24:25], v6, s22, v[68:69]
	v_mul_lo_u32 v1, v6, s23
	v_mul_lo_u32 v6, v7, s22
	v_add3_u32 v11, v6, v11, v1
	v_lshl_add_u64 v[6:7], v[10:11], 0, s[12:13]
	v_lshl_add_u64 v[10:11], v[70:71], 0, 24
	v_mad_u64_u32 v[14:15], s[24:25], v10, s22, v[68:69]
	v_mul_lo_u32 v1, v10, s23
	v_mul_lo_u32 v10, v11, s22
	v_add3_u32 v15, v10, v15, v1
	v_lshl_add_u64 v[10:11], v[14:15], 0, s[12:13]
	v_lshl_add_u64 v[14:15], v[70:71], 0, 32
	v_mad_u64_u32 v[20:21], s[24:25], v14, s22, v[68:69]
	v_mul_lo_u32 v1, v14, s23
	v_mul_lo_u32 v14, v15, s22
	v_add3_u32 v21, v14, v21, v1
	v_lshl_add_u64 v[14:15], v[20:21], 0, s[12:13]
	v_lshl_add_u64 v[20:21], v[70:71], 0, 40
	v_mad_u64_u32 v[24:25], s[24:25], v20, s22, v[68:69]
	v_mul_lo_u32 v1, v20, s23
	v_mul_lo_u32 v20, v21, s22
	v_add3_u32 v25, v20, v25, v1
	v_lshl_add_u64 v[20:21], v[24:25], 0, s[12:13]
	v_lshl_add_u64 v[24:25], v[70:71], 0, 48
	v_mad_u64_u32 v[30:31], s[24:25], v24, s22, v[68:69]
	v_mul_lo_u32 v1, v24, s23
	v_mul_lo_u32 v24, v25, s22
	v_add3_u32 v31, v24, v31, v1
	v_lshl_add_u64 v[24:25], v[30:31], 0, s[12:13]
	v_lshl_add_u64 v[30:31], v[70:71], 0, 56
	v_mad_u64_u32 v[36:37], s[24:25], v30, s22, v[68:69]
	v_mul_lo_u32 v1, v30, s23
	v_mul_lo_u32 v30, v31, s22
	v_add3_u32 v37, v30, v37, v1
	v_lshl_add_u64 v[30:31], v[36:37], 0, s[12:13]
	v_lshl_add_u64 v[36:37], v[70:71], 0, 64
	v_mad_u64_u32 v[40:41], s[24:25], v36, s22, v[68:69]
	v_mul_lo_u32 v1, v36, s23
	v_mul_lo_u32 v36, v37, s22
	v_add3_u32 v41, v36, v41, v1
	s_mov_b64 s[24:25], 0x48
	v_lshl_add_u64 v[36:37], v[40:41], 0, s[12:13]
	v_lshl_add_u64 v[40:41], v[70:71], 0, s[24:25]
	v_mad_u64_u32 v[46:47], s[24:25], v40, s22, v[68:69]
	v_mul_lo_u32 v1, v40, s23
	v_mul_lo_u32 v40, v41, s22
	v_add3_u32 v47, v40, v47, v1
	s_mov_b64 s[24:25], 0x50
	v_lshl_add_u64 v[40:41], v[46:47], 0, s[12:13]
	v_lshl_add_u64 v[46:47], v[70:71], 0, s[24:25]
	v_mad_u64_u32 v[56:57], s[24:25], v46, s22, v[68:69]
	v_mul_lo_u32 v1, v46, s23
	v_mul_lo_u32 v46, v47, s22
	v_add3_u32 v57, v46, v57, v1
	;; [unrolled: 7-line block ×7, first 2 shown]
	v_mad_u64_u32 v[68:69], s[24:25], v70, s22, v[68:69]
	v_mul_lo_u32 v1, v70, s23
	v_mul_lo_u32 v70, v71, s22
	v_add3_u32 v69, v70, v69, v1
	v_or_b32_e32 v1, v60, v2
	v_mul_lo_u32 v60, v61, s20
	v_mul_lo_u32 v61, v1, s21
	v_mad_u64_u32 v[78:79], s[22:23], v1, s20, 0
	v_or_b32_e32 v1, 0x200, v1
	v_add3_u32 v79, v79, v61, v60
	v_mul_lo_u32 v61, v1, s21
	v_mad_u64_u32 v[102:103], s[20:21], v1, s20, 0
	v_add3_u32 v103, v103, v61, v60
	v_mov_b64_e32 v[60:61], 0
	v_lshl_add_u64 v[66:67], v[72:73], 0, s[12:13]
	s_mov_b64 s[20:21], 0x200
	v_mov_b64_e32 v[100:101], v[60:61]
	v_mov_b64_e32 v[96:97], v[60:61]
	;; [unrolled: 1-line block ×15, first 2 shown]
	s_waitcnt vmcnt(0)
	v_mov_b64_e32 v[104:105], v[54:55]
	v_mov_b64_e32 v[106:107], v[50:51]
	v_mov_b64_e32 v[108:109], v[48:49]
	v_mov_b64_e32 v[110:111], v[44:45]
	v_mov_b64_e32 v[112:113], v[42:43]
	v_mov_b64_e32 v[114:115], v[38:39]
	v_mov_b64_e32 v[116:117], v[34:35]
	v_mov_b64_e32 v[118:119], v[32:33]
	v_mov_b64_e32 v[120:121], v[28:29]
	v_mov_b64_e32 v[122:123], v[26:27]
	v_mov_b64_e32 v[134:135], v[52:53]
.LBB77_4:                               ; =>This Inner Loop Header: Depth=1
	v_lshl_add_u64 v[170:171], v[68:69], 0, v[2:3]
	v_lshl_add_u64 v[136:137], v[170:171], 0, s[20:21]
	v_lshl_add_u64 v[138:139], v[136:137], 0, s[2:3]
	v_lshl_add_u64 v[140:141], v[138:139], 0, s[2:3]
	v_lshl_add_u64 v[144:145], v[140:141], 0, s[2:3]
	v_lshl_add_u64 v[146:147], v[144:145], 0, s[2:3]
	v_lshl_add_u64 v[148:149], v[146:147], 0, s[2:3]
	v_lshl_add_u64 v[150:151], v[148:149], 0, s[2:3]
	v_lshl_add_u64 v[152:153], v[150:151], 0, s[2:3]
	v_lshl_add_u64 v[154:155], v[152:153], 0, s[2:3]
	v_lshl_add_u64 v[156:157], v[154:155], 0, s[2:3]
	v_lshl_add_u64 v[158:159], v[156:157], 0, s[2:3]
	v_lshl_add_u64 v[160:161], v[158:159], 0, s[2:3]
	v_lshl_add_u64 v[162:163], v[160:161], 0, s[2:3]
	v_lshl_add_u64 v[164:165], v[162:163], 0, s[2:3]
	global_load_dwordx2 v[136:137], v[170:171], off offset:512
	s_nop 0
	global_load_dwordx2 v[138:139], v[138:139], off
	s_nop 0
	global_load_dwordx2 v[140:141], v[140:141], off
	;; [unrolled: 2-line block ×3, first 2 shown]
	v_lshl_add_u64 v[166:167], v[164:165], 0, s[2:3]
	global_load_dwordx2 v[144:145], v[146:147], off
	v_lshl_add_u64 v[168:169], s[8:9], 0, v[78:79]
	global_load_dwordx2 v[146:147], v[148:149], off
	s_cmp_lg_u32 s29, s28
	global_load_dwordx2 v[148:149], v[150:151], off
	s_nop 0
	global_load_dwordx2 v[150:151], v[152:153], off
	s_nop 0
	;; [unrolled: 2-line block ×8, first 2 shown]
	global_load_dwordx2 v[164:165], v[166:167], off
	v_lshl_add_u64 v[166:167], v[166:167], 0, s[2:3]
	global_load_dwordx2 v[166:167], v[166:167], off
	s_nop 0
	global_load_dwordx2 v[168:169], v[168:169], off
	s_cbranch_scc0 .LBB77_6
; %bb.5:                                ;   in Loop: Header=BB77_4 Depth=1
	v_lshl_add_u64 v[106:107], v[4:5], 0, v[2:3]
	v_lshl_add_u64 v[108:109], v[6:7], 0, v[2:3]
	v_lshl_add_u64 v[110:111], v[10:11], 0, v[2:3]
	v_lshl_add_u64 v[112:113], v[14:15], 0, v[2:3]
	v_lshl_add_u64 v[114:115], v[20:21], 0, v[2:3]
	v_lshl_add_u64 v[116:117], v[24:25], 0, v[2:3]
	v_lshl_add_u64 v[118:119], v[30:31], 0, v[2:3]
	v_lshl_add_u64 v[120:121], v[36:37], 0, v[2:3]
	v_lshl_add_u64 v[122:123], v[40:41], 0, v[2:3]
	v_lshl_add_u64 v[124:125], v[46:47], 0, v[2:3]
	v_lshl_add_u64 v[126:127], v[56:57], 0, v[2:3]
	v_lshl_add_u64 v[128:129], v[58:59], 0, v[2:3]
	v_lshl_add_u64 v[130:131], v[62:63], 0, v[2:3]
	v_lshl_add_u64 v[132:133], v[64:65], 0, v[2:3]
	v_lshl_add_u64 v[134:135], v[66:67], 0, v[2:3]
	global_load_dwordx2 v[104:105], v[170:171], off offset:1024
	s_nop 0
	global_load_dwordx2 v[106:107], v[106:107], off
	s_nop 0
	global_load_dwordx2 v[108:109], v[108:109], off
	;; [unrolled: 2-line block ×15, first 2 shown]
.LBB77_6:                               ;   in Loop: Header=BB77_4 Depth=1
	v_lshl_add_u64 v[170:171], s[8:9], 0, v[102:103]
	global_load_dwordx2 v[170:171], v[170:171], off
	s_add_i32 s28, s28, 1
	s_add_u32 s8, s8, s14
	s_waitcnt vmcnt(1)
	v_fmac_f64_e32 v[60:61], v[54:55], v[168:169]
	v_fmac_f64_e32 v[100:101], v[50:51], v[168:169]
	;; [unrolled: 1-line block ×16, first 2 shown]
	s_addc_u32 s9, s9, s15
	v_lshl_add_u64 v[4:5], v[4:5], 0, s[12:13]
	v_lshl_add_u64 v[6:7], v[6:7], 0, s[12:13]
	;; [unrolled: 1-line block ×15, first 2 shown]
	s_cmp_ge_i32 s28, s5
	v_lshl_add_u64 v[68:69], v[68:69], 0, s[12:13]
	s_waitcnt vmcnt(0)
	v_fmac_f64_e32 v[60:61], v[136:137], v[170:171]
	v_fmac_f64_e32 v[100:101], v[138:139], v[170:171]
	;; [unrolled: 1-line block ×16, first 2 shown]
	s_cbranch_scc1 .LBB77_8
; %bb.7:                                ;   in Loop: Header=BB77_4 Depth=1
	v_mov_b64_e32 v[54:55], v[104:105]
	v_mov_b64_e32 v[50:51], v[106:107]
	;; [unrolled: 1-line block ×16, first 2 shown]
	s_branch .LBB77_4
.LBB77_8:
	v_lshl_or_b32 v1, v175, 9, v2
	ds_write2st64_b64 v1, v[60:61], v[100:101] offset1:1
	ds_write2st64_b64 v1, v[96:97], v[98:99] offset0:2 offset1:3
	ds_write2st64_b64 v1, v[92:93], v[94:95] offset0:4 offset1:5
	;; [unrolled: 1-line block ×6, first 2 shown]
	ds_write_b64 v1, v[72:73] offset:7168
	v_lshlrev_b32_e32 v1, 3, v172
	v_lshlrev_b32_e32 v2, 9, v174
	s_movk_i32 s2, 0x1e00
	v_or3_b32 v1, v2, v1, s2
	v_cmp_eq_u32_e32 vcc, 0, v173
	ds_write_b64 v1, v[70:71]
	s_waitcnt lgkmcnt(0)
	s_barrier
	s_and_saveexec_b64 s[2:3], vcc
	s_cbranch_execz .LBB77_10
; %bb.9:
	v_lshlrev_b32_e32 v12, 6, v172
	v_add_u32_e32 v1, 1, v172
	v_and_or_b32 v1, v1, 63, v12
	v_lshlrev_b32_e32 v2, 3, v1
	v_add_u32_e32 v1, 2, v172
	v_or_b32_e32 v13, v0, v12
	v_and_or_b32 v1, v1, 63, v12
	v_lshlrev_b32_e32 v0, 3, v13
	v_lshlrev_b32_e32 v4, 3, v1
	v_add_u32_e32 v1, 3, v172
	s_load_dwordx2 s[8:9], s[0:1], 0x70
	s_load_dword s2, s[0:1], 0x68
	v_and_or_b32 v6, v1, 63, v12
	ds_read_b64 v[0:1], v0
	ds_read_b64 v[2:3], v2
	;; [unrolled: 1-line block ×3, first 2 shown]
	v_lshlrev_b32_e32 v6, 3, v6
	ds_read_b64 v[6:7], v6
	s_waitcnt lgkmcnt(0)
	v_add_f64 v[0:1], v[0:1], 0
	v_add_f64 v[0:1], v[0:1], v[2:3]
	v_add_u32_e32 v3, 5, v172
	v_and_or_b32 v3, v3, 63, v12
	v_add_f64 v[0:1], v[0:1], v[4:5]
	v_lshlrev_b32_e32 v4, 3, v3
	v_add_u32_e32 v3, 6, v172
	v_and_or_b32 v3, v3, 63, v12
	v_add_u32_e32 v2, 4, v172
	v_lshlrev_b32_e32 v8, 3, v3
	v_add_u32_e32 v3, 7, v172
	v_and_or_b32 v2, v2, 63, v12
	v_and_or_b32 v3, v3, 63, v12
	v_lshlrev_b32_e32 v2, 3, v2
	v_lshlrev_b32_e32 v10, 3, v3
	ds_read_b64 v[2:3], v2
	ds_read_b64 v[4:5], v4
	;; [unrolled: 1-line block ×4, first 2 shown]
	v_add_f64 v[0:1], v[0:1], v[6:7]
	s_waitcnt lgkmcnt(3)
	v_add_f64 v[0:1], v[0:1], v[2:3]
	v_add_u32_e32 v3, 9, v172
	v_and_or_b32 v3, v3, 63, v12
	s_waitcnt lgkmcnt(2)
	v_add_f64 v[0:1], v[0:1], v[4:5]
	v_add_u32_e32 v2, 8, v172
	v_lshlrev_b32_e32 v4, 3, v3
	v_add_u32_e32 v3, 10, v172
	v_and_or_b32 v2, v2, 63, v12
	v_and_or_b32 v3, v3, 63, v12
	v_lshlrev_b32_e32 v2, 3, v2
	v_lshlrev_b32_e32 v6, 3, v3
	v_add_u32_e32 v3, 11, v172
	s_waitcnt lgkmcnt(1)
	v_add_f64 v[0:1], v[0:1], v[8:9]
	v_and_or_b32 v8, v3, 63, v12
	ds_read_b64 v[2:3], v2
	ds_read_b64 v[4:5], v4
	;; [unrolled: 1-line block ×3, first 2 shown]
	s_waitcnt lgkmcnt(3)
	v_add_f64 v[0:1], v[0:1], v[10:11]
	v_lshlrev_b32_e32 v8, 3, v8
	s_waitcnt lgkmcnt(2)
	v_add_f64 v[0:1], v[0:1], v[2:3]
	v_add_u32_e32 v3, 13, v172
	v_and_or_b32 v3, v3, 63, v12
	s_waitcnt lgkmcnt(1)
	v_add_f64 v[0:1], v[0:1], v[4:5]
	v_lshlrev_b32_e32 v4, 3, v3
	v_add_u32_e32 v3, 14, v172
	ds_read_b64 v[8:9], v8
	v_and_or_b32 v3, v3, 63, v12
	s_waitcnt lgkmcnt(1)
	v_add_f64 v[0:1], v[0:1], v[6:7]
	v_add_u32_e32 v2, 12, v172
	v_lshlrev_b32_e32 v6, 3, v3
	v_add_u32_e32 v3, 15, v172
	v_and_or_b32 v2, v2, 63, v12
	v_and_or_b32 v3, v3, 63, v12
	v_lshlrev_b32_e32 v2, 3, v2
	v_lshlrev_b32_e32 v10, 3, v3
	ds_read_b64 v[2:3], v2
	ds_read_b64 v[4:5], v4
	;; [unrolled: 1-line block ×4, first 2 shown]
	s_waitcnt lgkmcnt(4)
	v_add_f64 v[0:1], v[0:1], v[8:9]
	s_waitcnt lgkmcnt(3)
	v_add_f64 v[0:1], v[0:1], v[2:3]
	v_add_u32_e32 v3, 17, v172
	v_and_or_b32 v3, v3, 63, v12
	s_waitcnt lgkmcnt(2)
	v_add_f64 v[0:1], v[0:1], v[4:5]
	v_add_u32_e32 v2, 16, v172
	v_lshlrev_b32_e32 v4, 3, v3
	v_add_u32_e32 v3, 18, v172
	v_and_or_b32 v2, v2, 63, v12
	v_and_or_b32 v3, v3, 63, v12
	s_waitcnt lgkmcnt(1)
	v_add_f64 v[0:1], v[0:1], v[6:7]
	v_lshlrev_b32_e32 v2, 3, v2
	v_lshlrev_b32_e32 v6, 3, v3
	v_add_u32_e32 v3, 19, v172
	v_and_or_b32 v8, v3, 63, v12
	ds_read_b64 v[2:3], v2
	ds_read_b64 v[4:5], v4
	;; [unrolled: 1-line block ×3, first 2 shown]
	s_waitcnt lgkmcnt(3)
	v_add_f64 v[0:1], v[0:1], v[10:11]
	v_lshlrev_b32_e32 v8, 3, v8
	s_waitcnt lgkmcnt(2)
	v_add_f64 v[0:1], v[0:1], v[2:3]
	v_add_u32_e32 v3, 21, v172
	v_and_or_b32 v3, v3, 63, v12
	s_waitcnt lgkmcnt(1)
	v_add_f64 v[0:1], v[0:1], v[4:5]
	v_lshlrev_b32_e32 v4, 3, v3
	v_add_u32_e32 v3, 22, v172
	ds_read_b64 v[8:9], v8
	v_and_or_b32 v3, v3, 63, v12
	s_waitcnt lgkmcnt(1)
	v_add_f64 v[0:1], v[0:1], v[6:7]
	v_add_u32_e32 v2, 20, v172
	v_lshlrev_b32_e32 v6, 3, v3
	v_add_u32_e32 v3, 23, v172
	v_and_or_b32 v2, v2, 63, v12
	v_and_or_b32 v3, v3, 63, v12
	v_lshlrev_b32_e32 v2, 3, v2
	v_lshlrev_b32_e32 v10, 3, v3
	ds_read_b64 v[2:3], v2
	ds_read_b64 v[4:5], v4
	;; [unrolled: 1-line block ×4, first 2 shown]
	s_waitcnt lgkmcnt(4)
	v_add_f64 v[0:1], v[0:1], v[8:9]
	s_waitcnt lgkmcnt(3)
	v_add_f64 v[0:1], v[0:1], v[2:3]
	v_add_u32_e32 v3, 25, v172
	v_and_or_b32 v3, v3, 63, v12
	s_waitcnt lgkmcnt(2)
	v_add_f64 v[0:1], v[0:1], v[4:5]
	v_add_u32_e32 v2, 24, v172
	v_lshlrev_b32_e32 v4, 3, v3
	v_add_u32_e32 v3, 26, v172
	v_and_or_b32 v2, v2, 63, v12
	v_and_or_b32 v3, v3, 63, v12
	s_waitcnt lgkmcnt(1)
	v_add_f64 v[0:1], v[0:1], v[6:7]
	v_lshlrev_b32_e32 v2, 3, v2
	v_lshlrev_b32_e32 v6, 3, v3
	v_add_u32_e32 v3, 27, v172
	v_and_or_b32 v8, v3, 63, v12
	ds_read_b64 v[2:3], v2
	ds_read_b64 v[4:5], v4
	;; [unrolled: 1-line block ×3, first 2 shown]
	s_waitcnt lgkmcnt(3)
	v_add_f64 v[0:1], v[0:1], v[10:11]
	v_lshlrev_b32_e32 v8, 3, v8
	s_waitcnt lgkmcnt(2)
	v_add_f64 v[0:1], v[0:1], v[2:3]
	v_add_u32_e32 v3, 29, v172
	v_and_or_b32 v3, v3, 63, v12
	s_waitcnt lgkmcnt(1)
	v_add_f64 v[0:1], v[0:1], v[4:5]
	v_lshlrev_b32_e32 v4, 3, v3
	v_add_u32_e32 v3, 30, v172
	ds_read_b64 v[8:9], v8
	v_and_or_b32 v3, v3, 63, v12
	s_waitcnt lgkmcnt(1)
	v_add_f64 v[0:1], v[0:1], v[6:7]
	v_add_u32_e32 v2, 28, v172
	v_lshlrev_b32_e32 v6, 3, v3
	v_add_u32_e32 v3, 31, v172
	v_and_or_b32 v2, v2, 63, v12
	v_and_or_b32 v3, v3, 63, v12
	v_lshlrev_b32_e32 v2, 3, v2
	v_lshlrev_b32_e32 v10, 3, v3
	ds_read_b64 v[2:3], v2
	ds_read_b64 v[4:5], v4
	;; [unrolled: 1-line block ×4, first 2 shown]
	s_waitcnt lgkmcnt(4)
	v_add_f64 v[0:1], v[0:1], v[8:9]
	s_waitcnt lgkmcnt(3)
	v_add_f64 v[0:1], v[0:1], v[2:3]
	v_add_u32_e32 v3, 33, v172
	v_and_or_b32 v3, v3, 63, v12
	s_waitcnt lgkmcnt(2)
	v_add_f64 v[0:1], v[0:1], v[4:5]
	v_lshlrev_b32_e32 v4, 3, v3
	v_add_u32_e32 v3, 34, v172
	v_xor_b32_e32 v2, 32, v13
	v_and_or_b32 v3, v3, 63, v12
	s_waitcnt lgkmcnt(1)
	v_add_f64 v[0:1], v[0:1], v[6:7]
	v_lshlrev_b32_e32 v2, 3, v2
	v_lshlrev_b32_e32 v6, 3, v3
	v_add_u32_e32 v3, 35, v172
	v_and_or_b32 v8, v3, 63, v12
	ds_read_b64 v[2:3], v2
	ds_read_b64 v[4:5], v4
	ds_read_b64 v[6:7], v6
	s_waitcnt lgkmcnt(3)
	v_add_f64 v[0:1], v[0:1], v[10:11]
	v_lshlrev_b32_e32 v8, 3, v8
	s_waitcnt lgkmcnt(2)
	v_add_f64 v[0:1], v[0:1], v[2:3]
	v_add_u32_e32 v3, 37, v172
	v_and_or_b32 v3, v3, 63, v12
	s_waitcnt lgkmcnt(1)
	v_add_f64 v[0:1], v[0:1], v[4:5]
	v_lshlrev_b32_e32 v4, 3, v3
	v_add_u32_e32 v3, 38, v172
	ds_read_b64 v[8:9], v8
	v_and_or_b32 v3, v3, 63, v12
	s_waitcnt lgkmcnt(1)
	v_add_f64 v[0:1], v[0:1], v[6:7]
	v_add_u32_e32 v2, 36, v172
	v_lshlrev_b32_e32 v6, 3, v3
	v_add_u32_e32 v3, 39, v172
	v_and_or_b32 v2, v2, 63, v12
	v_and_or_b32 v3, v3, 63, v12
	v_lshlrev_b32_e32 v2, 3, v2
	v_lshlrev_b32_e32 v10, 3, v3
	ds_read_b64 v[2:3], v2
	ds_read_b64 v[4:5], v4
	ds_read_b64 v[6:7], v6
	ds_read_b64 v[10:11], v10
	s_waitcnt lgkmcnt(4)
	v_add_f64 v[0:1], v[0:1], v[8:9]
	s_waitcnt lgkmcnt(3)
	v_add_f64 v[0:1], v[0:1], v[2:3]
	v_add_u32_e32 v3, 41, v172
	v_and_or_b32 v3, v3, 63, v12
	s_waitcnt lgkmcnt(2)
	v_add_f64 v[0:1], v[0:1], v[4:5]
	v_add_u32_e32 v2, 40, v172
	v_lshlrev_b32_e32 v4, 3, v3
	v_add_u32_e32 v3, 42, v172
	v_and_or_b32 v2, v2, 63, v12
	v_and_or_b32 v3, v3, 63, v12
	s_waitcnt lgkmcnt(1)
	v_add_f64 v[0:1], v[0:1], v[6:7]
	v_lshlrev_b32_e32 v2, 3, v2
	v_lshlrev_b32_e32 v6, 3, v3
	v_add_u32_e32 v3, 43, v172
	v_and_or_b32 v8, v3, 63, v12
	ds_read_b64 v[2:3], v2
	ds_read_b64 v[4:5], v4
	ds_read_b64 v[6:7], v6
	s_waitcnt lgkmcnt(3)
	v_add_f64 v[0:1], v[0:1], v[10:11]
	v_lshlrev_b32_e32 v8, 3, v8
	s_waitcnt lgkmcnt(2)
	v_add_f64 v[0:1], v[0:1], v[2:3]
	v_add_u32_e32 v3, 45, v172
	v_and_or_b32 v3, v3, 63, v12
	s_waitcnt lgkmcnt(1)
	v_add_f64 v[0:1], v[0:1], v[4:5]
	v_lshlrev_b32_e32 v4, 3, v3
	v_add_u32_e32 v3, 46, v172
	ds_read_b64 v[8:9], v8
	v_and_or_b32 v3, v3, 63, v12
	s_waitcnt lgkmcnt(1)
	v_add_f64 v[0:1], v[0:1], v[6:7]
	v_add_u32_e32 v2, 44, v172
	v_lshlrev_b32_e32 v6, 3, v3
	v_add_u32_e32 v3, 47, v172
	v_and_or_b32 v2, v2, 63, v12
	v_and_or_b32 v3, v3, 63, v12
	v_lshlrev_b32_e32 v2, 3, v2
	v_lshlrev_b32_e32 v10, 3, v3
	ds_read_b64 v[2:3], v2
	ds_read_b64 v[4:5], v4
	ds_read_b64 v[6:7], v6
	ds_read_b64 v[10:11], v10
	s_waitcnt lgkmcnt(4)
	v_add_f64 v[0:1], v[0:1], v[8:9]
	s_waitcnt lgkmcnt(3)
	v_add_f64 v[0:1], v[0:1], v[2:3]
	v_add_u32_e32 v3, 49, v172
	v_and_or_b32 v3, v3, 63, v12
	s_waitcnt lgkmcnt(2)
	v_add_f64 v[0:1], v[0:1], v[4:5]
	v_add_u32_e32 v2, 48, v172
	v_lshlrev_b32_e32 v4, 3, v3
	v_add_u32_e32 v3, 50, v172
	v_and_or_b32 v2, v2, 63, v12
	;; [unrolled: 48-line block ×3, first 2 shown]
	v_and_or_b32 v3, v3, 63, v12
	s_waitcnt lgkmcnt(1)
	v_add_f64 v[0:1], v[0:1], v[6:7]
	v_lshlrev_b32_e32 v2, 3, v2
	v_lshlrev_b32_e32 v6, 3, v3
	v_add_u32_e32 v3, 59, v172
	v_and_or_b32 v8, v3, 63, v12
	ds_read_b64 v[2:3], v2
	ds_read_b64 v[4:5], v4
	;; [unrolled: 1-line block ×3, first 2 shown]
	s_waitcnt lgkmcnt(3)
	v_add_f64 v[0:1], v[0:1], v[10:11]
	v_lshlrev_b32_e32 v8, 3, v8
	s_waitcnt lgkmcnt(2)
	v_add_f64 v[0:1], v[0:1], v[2:3]
	v_add_u32_e32 v3, 61, v172
	v_and_or_b32 v3, v3, 63, v12
	s_waitcnt lgkmcnt(1)
	v_add_f64 v[0:1], v[0:1], v[4:5]
	v_lshlrev_b32_e32 v4, 3, v3
	v_add_u32_e32 v3, 62, v172
	s_mul_i32 s1, s4, s9
	s_mul_hi_u32 s3, s4, s8
	ds_read_b64 v[8:9], v8
	v_and_or_b32 v3, v3, 63, v12
	s_mul_i32 s0, s4, s8
	s_add_i32 s1, s3, s1
	s_waitcnt lgkmcnt(1)
	v_add_f64 v[0:1], v[0:1], v[6:7]
	v_add_u32_e32 v2, 60, v172
	v_lshlrev_b32_e32 v6, 3, v3
	v_add_u32_e32 v3, -1, v172
	s_lshl_b64 s[0:1], s[0:1], 3
	v_and_or_b32 v2, v2, 63, v12
	v_and_or_b32 v3, v3, 63, v12
	s_add_u32 s3, s10, s0
	v_lshlrev_b32_e32 v2, 3, v2
	v_lshlrev_b32_e32 v10, 3, v3
	s_addc_u32 s4, s11, s1
	s_lshl_b64 s[0:1], s[16:17], 3
	ds_read_b64 v[2:3], v2
	ds_read_b64 v[4:5], v4
	;; [unrolled: 1-line block ×4, first 2 shown]
	s_add_u32 s3, s3, s0
	s_waitcnt lgkmcnt(4)
	v_add_f64 v[0:1], v[0:1], v[8:9]
	s_addc_u32 s4, s4, s1
	s_mul_hi_i32 s1, s2, s18
	s_mul_i32 s0, s2, s18
	s_waitcnt lgkmcnt(3)
	v_add_f64 v[0:1], v[0:1], v[2:3]
	s_lshl_b64 s[0:1], s[0:1], 3
	s_waitcnt lgkmcnt(2)
	v_add_f64 v[0:1], v[0:1], v[4:5]
	s_add_u32 s0, s3, s0
	s_waitcnt lgkmcnt(1)
	v_add_f64 v[0:1], v[0:1], v[6:7]
	s_addc_u32 s1, s4, s1
	s_waitcnt lgkmcnt(0)
	v_add_f64 v[0:1], v[0:1], v[10:11]
	v_mad_i64_i32 v[2:3], s[2:3], s2, v172, 0
	v_lshl_add_u64 v[2:3], v[2:3], 3, s[0:1]
	v_mul_f64 v[0:1], v[0:1], s[6:7]
	global_atomic_add_f64 v[2:3], v[0:1], off
.LBB77_10:
	s_endpgm
	.section	.rodata,"a",@progbits
	.p2align	6, 0x0
	.amdhsa_kernel _ZL36rocblas_gemvt_double_buffered_kernelILb0ELi128ELi4ELi16EdddEviiT4_lPKT3_lilS3_lilPT5_lili
		.amdhsa_group_segment_fixed_size 65536
		.amdhsa_private_segment_fixed_size 0
		.amdhsa_kernarg_size 384
		.amdhsa_user_sgpr_count 2
		.amdhsa_user_sgpr_dispatch_ptr 0
		.amdhsa_user_sgpr_queue_ptr 0
		.amdhsa_user_sgpr_kernarg_segment_ptr 1
		.amdhsa_user_sgpr_dispatch_id 0
		.amdhsa_user_sgpr_kernarg_preload_length 0
		.amdhsa_user_sgpr_kernarg_preload_offset 0
		.amdhsa_user_sgpr_private_segment_size 0
		.amdhsa_uses_dynamic_stack 0
		.amdhsa_enable_private_segment 0
		.amdhsa_system_sgpr_workgroup_id_x 1
		.amdhsa_system_sgpr_workgroup_id_y 1
		.amdhsa_system_sgpr_workgroup_id_z 1
		.amdhsa_system_sgpr_workgroup_info 0
		.amdhsa_system_vgpr_workitem_id 1
		.amdhsa_next_free_vgpr 176
		.amdhsa_next_free_sgpr 40
		.amdhsa_accum_offset 176
		.amdhsa_reserve_vcc 1
		.amdhsa_float_round_mode_32 0
		.amdhsa_float_round_mode_16_64 0
		.amdhsa_float_denorm_mode_32 3
		.amdhsa_float_denorm_mode_16_64 3
		.amdhsa_dx10_clamp 1
		.amdhsa_ieee_mode 1
		.amdhsa_fp16_overflow 0
		.amdhsa_tg_split 0
		.amdhsa_exception_fp_ieee_invalid_op 0
		.amdhsa_exception_fp_denorm_src 0
		.amdhsa_exception_fp_ieee_div_zero 0
		.amdhsa_exception_fp_ieee_overflow 0
		.amdhsa_exception_fp_ieee_underflow 0
		.amdhsa_exception_fp_ieee_inexact 0
		.amdhsa_exception_int_div_zero 0
	.end_amdhsa_kernel
	.section	.text._ZL36rocblas_gemvt_double_buffered_kernelILb0ELi128ELi4ELi16EdddEviiT4_lPKT3_lilS3_lilPT5_lili,"axG",@progbits,_ZL36rocblas_gemvt_double_buffered_kernelILb0ELi128ELi4ELi16EdddEviiT4_lPKT3_lilS3_lilPT5_lili,comdat
.Lfunc_end77:
	.size	_ZL36rocblas_gemvt_double_buffered_kernelILb0ELi128ELi4ELi16EdddEviiT4_lPKT3_lilS3_lilPT5_lili, .Lfunc_end77-_ZL36rocblas_gemvt_double_buffered_kernelILb0ELi128ELi4ELi16EdddEviiT4_lPKT3_lilS3_lilPT5_lili
                                        ; -- End function
	.section	.AMDGPU.csdata,"",@progbits
; Kernel info:
; codeLenInByte = 5492
; NumSgprs: 46
; NumVgprs: 176
; NumAgprs: 0
; TotalNumVgprs: 176
; ScratchSize: 0
; MemoryBound: 0
; FloatMode: 240
; IeeeMode: 1
; LDSByteSize: 65536 bytes/workgroup (compile time only)
; SGPRBlocks: 5
; VGPRBlocks: 21
; NumSGPRsForWavesPerEU: 46
; NumVGPRsForWavesPerEU: 176
; AccumOffset: 176
; Occupancy: 2
; WaveLimiterHint : 0
; COMPUTE_PGM_RSRC2:SCRATCH_EN: 0
; COMPUTE_PGM_RSRC2:USER_SGPR: 2
; COMPUTE_PGM_RSRC2:TRAP_HANDLER: 0
; COMPUTE_PGM_RSRC2:TGID_X_EN: 1
; COMPUTE_PGM_RSRC2:TGID_Y_EN: 1
; COMPUTE_PGM_RSRC2:TGID_Z_EN: 1
; COMPUTE_PGM_RSRC2:TIDIG_COMP_CNT: 1
; COMPUTE_PGM_RSRC3_GFX90A:ACCUM_OFFSET: 43
; COMPUTE_PGM_RSRC3_GFX90A:TG_SPLIT: 0
	.section	.text._ZL32rocblas_gemvt_warp_reduce_kernelILb0ELi256EidPKddEviiT3_lPKT2_lT1_lS5_lS6_lS2_lPT4_lS6_li,"axG",@progbits,_ZL32rocblas_gemvt_warp_reduce_kernelILb0ELi256EidPKddEviiT3_lPKT2_lT1_lS5_lS6_lS2_lPT4_lS6_li,comdat
	.globl	_ZL32rocblas_gemvt_warp_reduce_kernelILb0ELi256EidPKddEviiT3_lPKT2_lT1_lS5_lS6_lS2_lPT4_lS6_li ; -- Begin function _ZL32rocblas_gemvt_warp_reduce_kernelILb0ELi256EidPKddEviiT3_lPKT2_lT1_lS5_lS6_lS2_lPT4_lS6_li
	.p2align	8
	.type	_ZL32rocblas_gemvt_warp_reduce_kernelILb0ELi256EidPKddEviiT3_lPKT2_lT1_lS5_lS6_lS2_lPT4_lS6_li,@function
_ZL32rocblas_gemvt_warp_reduce_kernelILb0ELi256EidPKddEviiT3_lPKT2_lT1_lS5_lS6_lS2_lPT4_lS6_li: ; @_ZL32rocblas_gemvt_warp_reduce_kernelILb0ELi256EidPKddEviiT3_lPKT2_lT1_lS5_lS6_lS2_lPT4_lS6_li
; %bb.0:
	s_load_dwordx8 s[4:11], s[0:1], 0x8
	s_load_dwordx8 s[12:19], s[0:1], 0x50
	s_waitcnt lgkmcnt(0)
	s_mul_i32 s7, s3, s7
	s_mul_hi_u32 s20, s3, s6
	s_add_i32 s7, s20, s7
	s_mul_i32 s6, s3, s6
	s_lshl_b64 s[6:7], s[6:7], 3
	s_add_u32 s4, s4, s6
	s_addc_u32 s5, s5, s7
	s_load_dwordx2 s[20:21], s[4:5], 0x0
	s_mul_i32 s4, s3, s17
	s_mul_hi_u32 s5, s3, s16
	s_add_i32 s5, s5, s4
	s_mul_i32 s4, s3, s16
	s_lshl_b64 s[4:5], s[4:5], 3
	s_add_u32 s4, s14, s4
	s_addc_u32 s5, s15, s5
	s_load_dwordx2 s[6:7], s[4:5], 0x0
	s_waitcnt lgkmcnt(0)
	v_cmp_eq_f64_e64 s[4:5], s[20:21], 0
	v_cmp_eq_f64_e64 s[14:15], s[6:7], 1.0
	s_and_b64 s[4:5], s[4:5], s[14:15]
	s_and_b64 vcc, exec, s[4:5]
	s_cbranch_vccnz .LBB78_29
; %bb.1:
	s_load_dwordx2 s[4:5], s[0:1], 0x80
	s_load_dwordx2 s[14:15], s[0:1], 0x70
	s_load_dword s26, s[0:1], 0x78
	s_waitcnt lgkmcnt(0)
	s_mul_i32 s5, s3, s5
	s_mul_hi_u32 s16, s3, s4
	s_mul_i32 s4, s3, s4
	s_add_i32 s5, s16, s5
	s_lshl_b64 s[4:5], s[4:5], 3
	s_add_u32 s16, s18, s4
	s_addc_u32 s17, s19, s5
	s_lshl_b64 s[4:5], s[14:15], 3
	s_add_u32 s24, s16, s4
	s_addc_u32 s25, s17, s5
	v_cmp_neq_f64_e64 s[4:5], s[20:21], 0
	s_mov_b64 s[14:15], 0
	s_and_b64 vcc, exec, s[4:5]
	v_cmp_eq_u32_e64 s[4:5], 0, v0
	s_cbranch_vccnz .LBB78_6
; %bb.2:
	s_mov_b64 s[18:19], 0
                                        ; implicit-def: $vgpr2_vgpr3
                                        ; implicit-def: $sgpr16_sgpr17
	s_and_saveexec_b64 s[22:23], s[4:5]
	s_cbranch_execz .LBB78_7
; %bb.3:
	v_cmp_eq_f64_e64 s[4:5], s[6:7], 0
	s_mul_i32 s16, s2, s26
	v_mov_b64_e32 v[2:3], 0
	s_ashr_i32 s17, s16, 31
	s_and_b64 vcc, exec, s[4:5]
	s_cbranch_vccnz .LBB78_5
; %bb.4:
	s_lshl_b64 s[4:5], s[16:17], 3
	s_add_u32 s4, s24, s4
	s_addc_u32 s5, s25, s5
	s_load_dwordx2 s[4:5], s[4:5], 0x0
	s_waitcnt lgkmcnt(0)
	v_mov_b64_e32 v[2:3], s[4:5]
	v_mul_f64 v[2:3], s[6:7], v[2:3]
.LBB78_5:
	s_mov_b64 s[14:15], exec
	s_or_b64 exec, exec, s[22:23]
	s_and_b64 vcc, exec, s[18:19]
	s_cbranch_vccnz .LBB78_8
	s_branch .LBB78_27
.LBB78_6:
                                        ; implicit-def: $vgpr2_vgpr3
                                        ; implicit-def: $sgpr16_sgpr17
	s_cbranch_execnz .LBB78_8
	s_branch .LBB78_27
.LBB78_7:
	s_or_b64 exec, exec, s[22:23]
	s_and_b64 vcc, exec, s[18:19]
	s_cbranch_vccz .LBB78_27
.LBB78_8:
	s_load_dword s16, s[0:1], 0x0
	s_load_dword s18, s[0:1], 0x28
	s_load_dwordx4 s[28:31], s[0:1], 0x30
	s_load_dwordx2 s[4:5], s[0:1], 0x40
	s_mul_i32 s13, s3, s13
	s_mul_hi_u32 s17, s3, s12
	s_add_i32 s13, s17, s13
	s_mul_i32 s12, s3, s12
	s_lshl_b64 s[12:13], s[12:13], 3
	s_waitcnt lgkmcnt(0)
	s_add_u32 s12, s30, s12
	s_addc_u32 s13, s31, s13
	s_lshl_b64 s[4:5], s[4:5], 3
	s_add_u32 s4, s12, s4
	s_load_dword s17, s[0:1], 0x48
	s_mul_i32 s0, s3, s29
	s_mul_hi_u32 s1, s3, s28
	s_addc_u32 s5, s13, s5
	s_add_i32 s1, s1, s0
	s_mul_i32 s0, s3, s28
	s_lshl_b64 s[0:1], s[0:1], 3
	s_add_u32 s3, s8, s0
	s_addc_u32 s8, s9, s1
	s_lshl_b64 s[0:1], s[10:11], 3
	s_add_u32 s3, s3, s0
	s_mul_i32 s0, s2, s18
	s_addc_u32 s8, s8, s1
	s_ashr_i32 s1, s0, 31
	v_cmp_gt_i32_e32 vcc, s16, v0
	s_lshl_b64 s[0:1], s[0:1], 3
	s_add_u32 s0, s0, s3
	v_cndmask_b32_e32 v1, 0, v0, vcc
	v_lshlrev_b32_e32 v2, 3, v1
	v_mov_b32_e32 v3, 0
	s_addc_u32 s1, s1, s8
	v_lshl_add_u64 v[4:5], s[0:1], 0, v[2:3]
	s_ashr_i32 s0, s16, 31
	s_lshr_b32 s0, s0, 24
	s_add_i32 s0, s16, s0
	s_and_b32 s0, s0, 0xffffff00
	v_cmp_gt_i32_e32 vcc, s0, v0
	v_mov_b64_e32 v[2:3], 0
	s_and_saveexec_b64 s[8:9], vcc
	s_cbranch_execz .LBB78_12
; %bb.9:
	s_waitcnt lgkmcnt(0)
	v_mul_lo_u32 v6, v0, s17
	s_lshl_b32 s1, s17, 8
	s_mov_b64 s[10:11], 0
	v_mov_b64_e32 v[2:3], 0
	s_mov_b64 s[12:13], 0x800
	v_mov_b64_e32 v[8:9], v[4:5]
	v_mov_b32_e32 v1, v0
.LBB78_10:                              ; =>This Inner Loop Header: Depth=1
	v_ashrrev_i32_e32 v7, 31, v6
	v_lshl_add_u64 v[12:13], v[6:7], 3, s[4:5]
	global_load_dwordx2 v[10:11], v[8:9], off
	v_add_u32_e32 v1, 0x100, v1
	global_load_dwordx2 v[12:13], v[12:13], off
	v_cmp_le_i32_e32 vcc, s0, v1
	v_lshl_add_u64 v[8:9], v[8:9], 0, s[12:13]
	v_add_u32_e32 v6, s1, v6
	s_or_b64 s[10:11], vcc, s[10:11]
	s_waitcnt vmcnt(0)
	v_fmac_f64_e32 v[2:3], v[10:11], v[12:13]
	s_andn2_b64 exec, exec, s[10:11]
	s_cbranch_execnz .LBB78_10
; %bb.11:
	s_or_b64 exec, exec, s[10:11]
.LBB78_12:
	s_or_b64 exec, exec, s[8:9]
	v_add_u32_e32 v1, s0, v0
	v_cmp_gt_i32_e32 vcc, s16, v1
	s_and_saveexec_b64 s[8:9], vcc
	s_cbranch_execz .LBB78_14
; %bb.13:
	s_waitcnt lgkmcnt(0)
	v_mul_lo_u32 v6, v1, s17
	s_ashr_i32 s1, s0, 31
	v_ashrrev_i32_e32 v7, 31, v6
	v_lshl_add_u64 v[4:5], s[0:1], 3, v[4:5]
	v_lshl_add_u64 v[6:7], v[6:7], 3, s[4:5]
	global_load_dwordx2 v[4:5], v[4:5], off
	s_nop 0
	global_load_dwordx2 v[6:7], v[6:7], off
	s_waitcnt vmcnt(0)
	v_fmac_f64_e32 v[2:3], v[4:5], v[6:7]
.LBB78_14:
	s_or_b64 exec, exec, s[8:9]
	v_and_b32_e32 v6, 63, v0
	v_cmp_gt_u32_e32 vcc, 64, v0
	v_lshlrev_b32_e32 v1, 3, v6
	s_and_saveexec_b64 s[0:1], vcc
	s_cbranch_execz .LBB78_16
; %bb.15:
	v_mov_b32_e32 v4, 0
	v_mov_b32_e32 v5, v4
	ds_write_b64 v1, v[4:5]
.LBB78_16:
	s_or_b64 exec, exec, s[0:1]
	v_mbcnt_lo_u32_b32 v4, -1, 0
	v_mbcnt_hi_u32_b32 v8, -1, v4
	v_and_b32_e32 v9, 63, v8
	v_cmp_gt_u32_e64 s[0:1], 32, v9
	s_waitcnt lgkmcnt(0)
	s_barrier
	v_cndmask_b32_e64 v4, 0, 1, s[0:1]
	v_lshlrev_b32_e32 v4, 5, v4
	v_add_lshl_u32 v5, v4, v8, 2
	ds_bpermute_b32 v4, v5, v2
	ds_bpermute_b32 v5, v5, v3
	v_cmp_gt_u32_e64 s[0:1], 48, v9
	s_waitcnt lgkmcnt(0)
	v_add_f64 v[2:3], v[2:3], v[4:5]
	v_cndmask_b32_e64 v7, 0, 1, s[0:1]
	v_lshlrev_b32_e32 v4, 4, v7
	v_add_lshl_u32 v5, v4, v8, 2
	ds_bpermute_b32 v4, v5, v2
	ds_bpermute_b32 v5, v5, v3
	v_cmp_gt_u32_e64 s[0:1], 56, v9
	s_waitcnt lgkmcnt(0)
	v_add_f64 v[2:3], v[2:3], v[4:5]
	;; [unrolled: 8-line block ×4, first 2 shown]
	v_cndmask_b32_e64 v4, 0, 1, s[0:1]
	v_lshlrev_b32_e32 v4, 1, v4
	v_add_lshl_u32 v7, v4, v8, 2
	ds_bpermute_b32 v4, v7, v2
	ds_bpermute_b32 v5, v7, v3
	v_cmp_ne_u32_e64 s[0:1], 63, v9
	s_waitcnt lgkmcnt(0)
	v_add_f64 v[2:3], v[2:3], v[4:5]
	v_addc_co_u32_e64 v4, s[0:1], 0, v8, s[0:1]
	v_lshlrev_b32_e32 v8, 2, v4
	ds_bpermute_b32 v4, v8, v2
	ds_bpermute_b32 v5, v8, v3
	v_cmp_eq_u32_e64 s[0:1], 0, v6
	s_and_saveexec_b64 s[4:5], s[0:1]
	s_cbranch_execz .LBB78_18
; %bb.17:
	v_lshrrev_b32_e32 v6, 3, v0
	v_and_b32_e32 v6, 24, v6
	s_waitcnt lgkmcnt(0)
	v_add_f64 v[2:3], v[2:3], v[4:5]
	ds_write_b64 v6, v[2:3]
.LBB78_18:
	s_or_b64 exec, exec, s[4:5]
	v_cmp_gt_u32_e64 s[0:1], 4, v0
	s_waitcnt lgkmcnt(0)
	v_mov_b64_e32 v[4:5], 0
	s_barrier
	s_and_saveexec_b64 s[4:5], s[0:1]
	s_cbranch_execz .LBB78_20
; %bb.19:
	ds_read_b64 v[4:5], v1
	s_or_b64 exec, exec, s[4:5]
	s_and_saveexec_b64 s[0:1], vcc
	s_cbranch_execz .LBB78_22
	s_branch .LBB78_21
.LBB78_20:
	s_or_b64 exec, exec, s[4:5]
	s_and_saveexec_b64 s[0:1], vcc
	s_cbranch_execz .LBB78_22
.LBB78_21:
	s_waitcnt lgkmcnt(0)
	ds_bpermute_b32 v2, v7, v4
	ds_bpermute_b32 v3, v7, v5
	s_waitcnt lgkmcnt(0)
	v_add_f64 v[2:3], v[4:5], v[2:3]
	ds_bpermute_b32 v4, v8, v2
	ds_bpermute_b32 v5, v8, v3
	s_waitcnt lgkmcnt(0)
	v_add_f64 v[4:5], v[2:3], v[4:5]
.LBB78_22:
	s_or_b64 exec, exec, s[0:1]
	v_cmp_eq_u32_e32 vcc, 0, v0
                                        ; implicit-def: $vgpr2_vgpr3
                                        ; implicit-def: $sgpr16_sgpr17
	s_and_saveexec_b64 s[0:1], vcc
	s_cbranch_execz .LBB78_26
; %bb.23:
	v_cmp_eq_f64_e64 s[4:5], s[6:7], 0
	s_mul_i32 s16, s2, s26
	s_waitcnt lgkmcnt(0)
	v_mul_f64 v[2:3], s[20:21], v[4:5]
	s_ashr_i32 s17, s16, 31
	s_and_b64 vcc, exec, s[4:5]
	s_cbranch_vccnz .LBB78_25
; %bb.24:
	s_lshl_b64 s[2:3], s[16:17], 3
	s_add_u32 s2, s24, s2
	s_addc_u32 s3, s25, s3
	s_load_dwordx2 s[2:3], s[2:3], 0x0
	s_waitcnt lgkmcnt(0)
	v_mov_b64_e32 v[0:1], s[2:3]
	v_fmac_f64_e32 v[2:3], s[6:7], v[0:1]
.LBB78_25:
	s_or_b64 s[14:15], s[14:15], exec
.LBB78_26:
	s_or_b64 exec, exec, s[0:1]
.LBB78_27:
	s_and_saveexec_b64 s[0:1], s[14:15]
	s_cbranch_execz .LBB78_29
; %bb.28:
	s_lshl_b64 s[0:1], s[16:17], 3
	s_add_u32 s0, s24, s0
	s_addc_u32 s1, s25, s1
	v_mov_b32_e32 v0, 0
	global_store_dwordx2 v0, v[2:3], s[0:1]
.LBB78_29:
	s_endpgm
	.section	.rodata,"a",@progbits
	.p2align	6, 0x0
	.amdhsa_kernel _ZL32rocblas_gemvt_warp_reduce_kernelILb0ELi256EidPKddEviiT3_lPKT2_lT1_lS5_lS6_lS2_lPT4_lS6_li
		.amdhsa_group_segment_fixed_size 512
		.amdhsa_private_segment_fixed_size 0
		.amdhsa_kernarg_size 140
		.amdhsa_user_sgpr_count 2
		.amdhsa_user_sgpr_dispatch_ptr 0
		.amdhsa_user_sgpr_queue_ptr 0
		.amdhsa_user_sgpr_kernarg_segment_ptr 1
		.amdhsa_user_sgpr_dispatch_id 0
		.amdhsa_user_sgpr_kernarg_preload_length 0
		.amdhsa_user_sgpr_kernarg_preload_offset 0
		.amdhsa_user_sgpr_private_segment_size 0
		.amdhsa_uses_dynamic_stack 0
		.amdhsa_enable_private_segment 0
		.amdhsa_system_sgpr_workgroup_id_x 1
		.amdhsa_system_sgpr_workgroup_id_y 0
		.amdhsa_system_sgpr_workgroup_id_z 1
		.amdhsa_system_sgpr_workgroup_info 0
		.amdhsa_system_vgpr_workitem_id 0
		.amdhsa_next_free_vgpr 14
		.amdhsa_next_free_sgpr 32
		.amdhsa_accum_offset 16
		.amdhsa_reserve_vcc 1
		.amdhsa_float_round_mode_32 0
		.amdhsa_float_round_mode_16_64 0
		.amdhsa_float_denorm_mode_32 3
		.amdhsa_float_denorm_mode_16_64 3
		.amdhsa_dx10_clamp 1
		.amdhsa_ieee_mode 1
		.amdhsa_fp16_overflow 0
		.amdhsa_tg_split 0
		.amdhsa_exception_fp_ieee_invalid_op 0
		.amdhsa_exception_fp_denorm_src 0
		.amdhsa_exception_fp_ieee_div_zero 0
		.amdhsa_exception_fp_ieee_overflow 0
		.amdhsa_exception_fp_ieee_underflow 0
		.amdhsa_exception_fp_ieee_inexact 0
		.amdhsa_exception_int_div_zero 0
	.end_amdhsa_kernel
	.section	.text._ZL32rocblas_gemvt_warp_reduce_kernelILb0ELi256EidPKddEviiT3_lPKT2_lT1_lS5_lS6_lS2_lPT4_lS6_li,"axG",@progbits,_ZL32rocblas_gemvt_warp_reduce_kernelILb0ELi256EidPKddEviiT3_lPKT2_lT1_lS5_lS6_lS2_lPT4_lS6_li,comdat
.Lfunc_end78:
	.size	_ZL32rocblas_gemvt_warp_reduce_kernelILb0ELi256EidPKddEviiT3_lPKT2_lT1_lS5_lS6_lS2_lPT4_lS6_li, .Lfunc_end78-_ZL32rocblas_gemvt_warp_reduce_kernelILb0ELi256EidPKddEviiT3_lPKT2_lT1_lS5_lS6_lS2_lPT4_lS6_li
                                        ; -- End function
	.section	.AMDGPU.csdata,"",@progbits
; Kernel info:
; codeLenInByte = 1428
; NumSgprs: 38
; NumVgprs: 14
; NumAgprs: 0
; TotalNumVgprs: 14
; ScratchSize: 0
; MemoryBound: 0
; FloatMode: 240
; IeeeMode: 1
; LDSByteSize: 512 bytes/workgroup (compile time only)
; SGPRBlocks: 4
; VGPRBlocks: 1
; NumSGPRsForWavesPerEU: 38
; NumVGPRsForWavesPerEU: 14
; AccumOffset: 16
; Occupancy: 8
; WaveLimiterHint : 1
; COMPUTE_PGM_RSRC2:SCRATCH_EN: 0
; COMPUTE_PGM_RSRC2:USER_SGPR: 2
; COMPUTE_PGM_RSRC2:TRAP_HANDLER: 0
; COMPUTE_PGM_RSRC2:TGID_X_EN: 1
; COMPUTE_PGM_RSRC2:TGID_Y_EN: 0
; COMPUTE_PGM_RSRC2:TGID_Z_EN: 1
; COMPUTE_PGM_RSRC2:TIDIG_COMP_CNT: 0
; COMPUTE_PGM_RSRC3_GFX90A:ACCUM_OFFSET: 3
; COMPUTE_PGM_RSRC3_GFX90A:TG_SPLIT: 0
	.section	.text._ZL32rocblas_gemvt_warp_reduce_kernelILb0ELi256EldPKddEviiT3_lPKT2_lT1_lS5_lS6_lS2_lPT4_lS6_li,"axG",@progbits,_ZL32rocblas_gemvt_warp_reduce_kernelILb0ELi256EldPKddEviiT3_lPKT2_lT1_lS5_lS6_lS2_lPT4_lS6_li,comdat
	.globl	_ZL32rocblas_gemvt_warp_reduce_kernelILb0ELi256EldPKddEviiT3_lPKT2_lT1_lS5_lS6_lS2_lPT4_lS6_li ; -- Begin function _ZL32rocblas_gemvt_warp_reduce_kernelILb0ELi256EldPKddEviiT3_lPKT2_lT1_lS5_lS6_lS2_lPT4_lS6_li
	.p2align	8
	.type	_ZL32rocblas_gemvt_warp_reduce_kernelILb0ELi256EldPKddEviiT3_lPKT2_lT1_lS5_lS6_lS2_lPT4_lS6_li,@function
_ZL32rocblas_gemvt_warp_reduce_kernelILb0ELi256EldPKddEviiT3_lPKT2_lT1_lS5_lS6_lS2_lPT4_lS6_li: ; @_ZL32rocblas_gemvt_warp_reduce_kernelILb0ELi256EldPKddEviiT3_lPKT2_lT1_lS5_lS6_lS2_lPT4_lS6_li
; %bb.0:
	s_load_dwordx16 s[36:51], s[0:1], 0x8
	s_load_dwordx16 s[8:23], s[0:1], 0x48
	s_waitcnt lgkmcnt(0)
	s_mul_i32 s4, s3, s39
	s_mul_hi_u32 s5, s3, s38
	s_add_i32 s5, s5, s4
	s_mul_i32 s4, s3, s38
	s_lshl_b64 s[4:5], s[4:5], 3
	s_add_u32 s4, s36, s4
	s_addc_u32 s5, s37, s5
	s_load_dwordx2 s[24:25], s[4:5], 0x0
	s_mul_i32 s4, s3, s15
	s_mul_hi_u32 s5, s3, s14
	s_add_i32 s5, s5, s4
	s_mul_i32 s4, s3, s14
	s_lshl_b64 s[4:5], s[4:5], 3
	s_add_u32 s4, s12, s4
	s_addc_u32 s5, s13, s5
	s_load_dwordx2 s[6:7], s[4:5], 0x0
	s_waitcnt lgkmcnt(0)
	v_cmp_eq_f64_e64 s[4:5], s[24:25], 0
	v_cmp_eq_f64_e64 s[12:13], s[6:7], 1.0
	s_and_b64 s[4:5], s[4:5], s[12:13]
	s_and_b64 vcc, exec, s[4:5]
	s_cbranch_vccnz .LBB79_29
; %bb.1:
	s_mul_i32 s4, s3, s23
	s_mul_hi_u32 s5, s3, s22
	s_add_i32 s5, s5, s4
	s_mul_i32 s4, s3, s22
	s_lshl_b64 s[4:5], s[4:5], 3
	s_add_u32 s12, s16, s4
	s_addc_u32 s13, s17, s5
	s_lshl_b64 s[4:5], s[18:19], 3
	s_add_u32 s22, s12, s4
	s_addc_u32 s23, s13, s5
	v_cmp_neq_f64_e64 s[4:5], s[24:25], 0
	s_mov_b64 s[12:13], 0
	s_and_b64 vcc, exec, s[4:5]
	v_cmp_eq_u32_e64 s[4:5], 0, v0
	s_cbranch_vccnz .LBB79_6
; %bb.2:
	s_mov_b64 s[16:17], 0
                                        ; implicit-def: $vgpr2_vgpr3
                                        ; implicit-def: $sgpr14_sgpr15
	s_and_saveexec_b64 s[18:19], s[4:5]
	s_cbranch_execz .LBB79_7
; %bb.3:
	s_ashr_i32 s12, s2, 31
	s_mul_i32 s13, s2, s21
	s_mul_hi_u32 s14, s2, s20
	v_cmp_eq_f64_e64 s[4:5], s[6:7], 0
	s_add_i32 s13, s14, s13
	s_mul_i32 s12, s12, s20
	v_mov_b64_e32 v[2:3], 0
	s_add_i32 s15, s13, s12
	s_mul_i32 s14, s2, s20
	s_and_b64 vcc, exec, s[4:5]
	s_cbranch_vccnz .LBB79_5
; %bb.4:
	s_lshl_b64 s[4:5], s[14:15], 3
	s_add_u32 s4, s22, s4
	s_addc_u32 s5, s23, s5
	s_load_dwordx2 s[4:5], s[4:5], 0x0
	s_waitcnt lgkmcnt(0)
	v_mov_b64_e32 v[2:3], s[4:5]
	v_mul_f64 v[2:3], s[6:7], v[2:3]
.LBB79_5:
	s_mov_b64 s[12:13], exec
	s_or_b64 exec, exec, s[18:19]
	s_and_b64 vcc, exec, s[16:17]
	s_cbranch_vccnz .LBB79_8
	s_branch .LBB79_27
.LBB79_6:
                                        ; implicit-def: $vgpr2_vgpr3
                                        ; implicit-def: $sgpr14_sgpr15
	s_cbranch_execnz .LBB79_8
	s_branch .LBB79_27
.LBB79_7:
	s_or_b64 exec, exec, s[18:19]
	s_and_b64 vcc, exec, s[16:17]
	s_cbranch_vccz .LBB79_27
.LBB79_8:
	s_mul_i32 s4, s3, s11
	s_mul_hi_u32 s5, s3, s10
	s_add_i32 s5, s5, s4
	s_mul_i32 s4, s3, s10
	s_load_dword s1, s[0:1], 0x0
	s_mul_i32 s0, s3, s47
	s_mul_hi_u32 s10, s3, s46
	s_add_i32 s11, s10, s0
	s_mul_i32 s10, s3, s46
	s_lshl_b64 s[10:11], s[10:11], 3
	s_add_u32 s0, s40, s10
	s_addc_u32 s3, s41, s11
	s_lshl_b64 s[10:11], s[42:43], 3
	s_add_u32 s0, s0, s10
	s_addc_u32 s14, s3, s11
	s_ashr_i32 s3, s2, 31
	s_mul_i32 s10, s2, s45
	s_mul_hi_u32 s11, s2, s44
	s_add_i32 s10, s11, s10
	s_mul_i32 s11, s3, s44
	s_add_i32 s11, s10, s11
	s_mul_i32 s10, s2, s44
	s_lshl_b64 s[10:11], s[10:11], 3
	s_add_u32 s10, s10, s0
	s_addc_u32 s11, s11, s14
	s_waitcnt lgkmcnt(0)
	s_ashr_i32 s0, s1, 31
	v_cmp_gt_i32_e32 vcc, s1, v0
	s_lshr_b32 s0, s0, 24
	s_add_i32 s0, s1, s0
	v_cndmask_b32_e32 v1, 0, v0, vcc
	v_lshlrev_b32_e32 v2, 3, v1
	v_mov_b32_e32 v3, 0
	s_and_b32 s0, s0, 0xffffff00
	v_lshl_add_u64 v[4:5], s[10:11], 0, v[2:3]
	v_cmp_gt_i32_e32 vcc, s0, v0
	v_mov_b64_e32 v[2:3], 0
	s_and_saveexec_b64 s[10:11], vcc
	s_cbranch_execz .LBB79_12
; %bb.9:
	v_mad_u64_u32 v[2:3], s[16:17], s8, v0, 0
	v_mov_b32_e32 v6, v3
	v_mad_u64_u32 v[6:7], s[16:17], s9, v0, v[6:7]
	s_lshl_b64 s[14:15], s[4:5], 3
	s_lshl_b64 s[16:17], s[50:51], 3
	s_add_u32 s16, s48, s16
	s_addc_u32 s17, s49, s17
	s_add_u32 s14, s16, s14
	v_mov_b32_e32 v3, v6
	s_addc_u32 s15, s17, s15
	v_lshl_add_u64 v[6:7], v[2:3], 3, s[14:15]
	s_lshl_b64 s[16:17], s[8:9], 11
	s_mov_b64 s[14:15], 0
	v_mov_b64_e32 v[2:3], 0
	s_mov_b64 s[18:19], 0x800
	v_mov_b64_e32 v[8:9], v[4:5]
	v_mov_b32_e32 v1, v0
.LBB79_10:                              ; =>This Inner Loop Header: Depth=1
	global_load_dwordx2 v[10:11], v[8:9], off
	global_load_dwordx2 v[12:13], v[6:7], off
	v_add_u32_e32 v1, 0x100, v1
	v_cmp_le_i32_e32 vcc, s0, v1
	v_lshl_add_u64 v[8:9], v[8:9], 0, s[18:19]
	v_lshl_add_u64 v[6:7], v[6:7], 0, s[16:17]
	s_or_b64 s[14:15], vcc, s[14:15]
	s_waitcnt vmcnt(0)
	v_fmac_f64_e32 v[2:3], v[10:11], v[12:13]
	s_andn2_b64 exec, exec, s[14:15]
	s_cbranch_execnz .LBB79_10
; %bb.11:
	s_or_b64 exec, exec, s[14:15]
.LBB79_12:
	s_or_b64 exec, exec, s[10:11]
	v_add_u32_e32 v1, s0, v0
	v_cmp_gt_i32_e32 vcc, s1, v1
	s_and_saveexec_b64 s[10:11], vcc
	s_cbranch_execz .LBB79_14
; %bb.13:
	s_lshl_b64 s[4:5], s[4:5], 3
	s_add_u32 s1, s48, s4
	s_addc_u32 s14, s49, s5
	s_lshl_b64 s[4:5], s[50:51], 3
	s_add_u32 s4, s1, s4
	s_addc_u32 s5, s14, s5
	s_ashr_i32 s1, s0, 31
	v_ashrrev_i32_e32 v6, 31, v1
	v_lshl_add_u64 v[4:5], s[0:1], 3, v[4:5]
	v_mul_lo_u32 v8, v1, s9
	v_mul_lo_u32 v9, v6, s8
	v_mad_u64_u32 v[6:7], s[0:1], v1, s8, 0
	v_add3_u32 v7, v7, v8, v9
	v_lshl_add_u64 v[6:7], v[6:7], 3, s[4:5]
	global_load_dwordx2 v[4:5], v[4:5], off
	s_nop 0
	global_load_dwordx2 v[6:7], v[6:7], off
	s_waitcnt vmcnt(0)
	v_fmac_f64_e32 v[2:3], v[4:5], v[6:7]
.LBB79_14:
	s_or_b64 exec, exec, s[10:11]
	v_and_b32_e32 v6, 63, v0
	v_cmp_gt_u32_e32 vcc, 64, v0
	v_lshlrev_b32_e32 v1, 3, v6
	s_and_saveexec_b64 s[0:1], vcc
	s_cbranch_execz .LBB79_16
; %bb.15:
	v_mov_b32_e32 v4, 0
	v_mov_b32_e32 v5, v4
	ds_write_b64 v1, v[4:5]
.LBB79_16:
	s_or_b64 exec, exec, s[0:1]
	v_mbcnt_lo_u32_b32 v4, -1, 0
	v_mbcnt_hi_u32_b32 v8, -1, v4
	v_and_b32_e32 v9, 63, v8
	v_cmp_gt_u32_e64 s[0:1], 32, v9
	s_waitcnt lgkmcnt(0)
	s_barrier
	v_cndmask_b32_e64 v4, 0, 1, s[0:1]
	v_lshlrev_b32_e32 v4, 5, v4
	v_add_lshl_u32 v5, v4, v8, 2
	ds_bpermute_b32 v4, v5, v2
	ds_bpermute_b32 v5, v5, v3
	v_cmp_gt_u32_e64 s[0:1], 48, v9
	s_waitcnt lgkmcnt(0)
	v_add_f64 v[2:3], v[2:3], v[4:5]
	v_cndmask_b32_e64 v7, 0, 1, s[0:1]
	v_lshlrev_b32_e32 v4, 4, v7
	v_add_lshl_u32 v5, v4, v8, 2
	ds_bpermute_b32 v4, v5, v2
	ds_bpermute_b32 v5, v5, v3
	v_cmp_gt_u32_e64 s[0:1], 56, v9
	s_waitcnt lgkmcnt(0)
	v_add_f64 v[2:3], v[2:3], v[4:5]
	;; [unrolled: 8-line block ×4, first 2 shown]
	v_cndmask_b32_e64 v4, 0, 1, s[0:1]
	v_lshlrev_b32_e32 v4, 1, v4
	v_add_lshl_u32 v7, v4, v8, 2
	ds_bpermute_b32 v4, v7, v2
	ds_bpermute_b32 v5, v7, v3
	v_cmp_ne_u32_e64 s[0:1], 63, v9
	s_waitcnt lgkmcnt(0)
	v_add_f64 v[2:3], v[2:3], v[4:5]
	v_addc_co_u32_e64 v4, s[0:1], 0, v8, s[0:1]
	v_lshlrev_b32_e32 v8, 2, v4
	ds_bpermute_b32 v4, v8, v2
	ds_bpermute_b32 v5, v8, v3
	v_cmp_eq_u32_e64 s[0:1], 0, v6
	s_and_saveexec_b64 s[4:5], s[0:1]
	s_cbranch_execz .LBB79_18
; %bb.17:
	v_lshrrev_b32_e32 v6, 3, v0
	v_and_b32_e32 v6, 24, v6
	s_waitcnt lgkmcnt(0)
	v_add_f64 v[2:3], v[2:3], v[4:5]
	ds_write_b64 v6, v[2:3]
.LBB79_18:
	s_or_b64 exec, exec, s[4:5]
	v_cmp_gt_u32_e64 s[0:1], 4, v0
	s_waitcnt lgkmcnt(0)
	v_mov_b64_e32 v[4:5], 0
	s_barrier
	s_and_saveexec_b64 s[4:5], s[0:1]
	s_cbranch_execz .LBB79_20
; %bb.19:
	ds_read_b64 v[4:5], v1
	s_or_b64 exec, exec, s[4:5]
	s_and_saveexec_b64 s[0:1], vcc
	s_cbranch_execz .LBB79_22
	s_branch .LBB79_21
.LBB79_20:
	s_or_b64 exec, exec, s[4:5]
	s_and_saveexec_b64 s[0:1], vcc
	s_cbranch_execz .LBB79_22
.LBB79_21:
	s_waitcnt lgkmcnt(0)
	ds_bpermute_b32 v2, v7, v4
	ds_bpermute_b32 v3, v7, v5
	s_waitcnt lgkmcnt(0)
	v_add_f64 v[2:3], v[4:5], v[2:3]
	ds_bpermute_b32 v4, v8, v2
	ds_bpermute_b32 v5, v8, v3
	s_waitcnt lgkmcnt(0)
	v_add_f64 v[4:5], v[2:3], v[4:5]
.LBB79_22:
	s_or_b64 exec, exec, s[0:1]
	v_cmp_eq_u32_e32 vcc, 0, v0
                                        ; implicit-def: $vgpr2_vgpr3
                                        ; implicit-def: $sgpr14_sgpr15
	s_and_saveexec_b64 s[0:1], vcc
	s_cbranch_execz .LBB79_26
; %bb.23:
	s_mul_i32 s8, s2, s21
	s_mul_hi_u32 s9, s2, s20
	v_cmp_eq_f64_e64 s[4:5], s[6:7], 0
	s_add_i32 s8, s9, s8
	s_mul_i32 s3, s3, s20
	s_waitcnt lgkmcnt(0)
	v_mul_f64 v[2:3], s[24:25], v[4:5]
	s_add_i32 s15, s8, s3
	s_mul_i32 s14, s2, s20
	s_and_b64 vcc, exec, s[4:5]
	s_cbranch_vccnz .LBB79_25
; %bb.24:
	s_lshl_b64 s[2:3], s[14:15], 3
	s_add_u32 s2, s22, s2
	s_addc_u32 s3, s23, s3
	s_load_dwordx2 s[2:3], s[2:3], 0x0
	s_waitcnt lgkmcnt(0)
	v_mov_b64_e32 v[0:1], s[2:3]
	v_fmac_f64_e32 v[2:3], s[6:7], v[0:1]
.LBB79_25:
	s_or_b64 s[12:13], s[12:13], exec
.LBB79_26:
	s_or_b64 exec, exec, s[0:1]
.LBB79_27:
	s_and_saveexec_b64 s[0:1], s[12:13]
	s_cbranch_execz .LBB79_29
; %bb.28:
	s_lshl_b64 s[0:1], s[14:15], 3
	s_add_u32 s0, s22, s0
	s_addc_u32 s1, s23, s1
	v_mov_b32_e32 v0, 0
	global_store_dwordx2 v0, v[2:3], s[0:1]
.LBB79_29:
	s_endpgm
	.section	.rodata,"a",@progbits
	.p2align	6, 0x0
	.amdhsa_kernel _ZL32rocblas_gemvt_warp_reduce_kernelILb0ELi256EldPKddEviiT3_lPKT2_lT1_lS5_lS6_lS2_lPT4_lS6_li
		.amdhsa_group_segment_fixed_size 512
		.amdhsa_private_segment_fixed_size 0
		.amdhsa_kernarg_size 140
		.amdhsa_user_sgpr_count 2
		.amdhsa_user_sgpr_dispatch_ptr 0
		.amdhsa_user_sgpr_queue_ptr 0
		.amdhsa_user_sgpr_kernarg_segment_ptr 1
		.amdhsa_user_sgpr_dispatch_id 0
		.amdhsa_user_sgpr_kernarg_preload_length 0
		.amdhsa_user_sgpr_kernarg_preload_offset 0
		.amdhsa_user_sgpr_private_segment_size 0
		.amdhsa_uses_dynamic_stack 0
		.amdhsa_enable_private_segment 0
		.amdhsa_system_sgpr_workgroup_id_x 1
		.amdhsa_system_sgpr_workgroup_id_y 0
		.amdhsa_system_sgpr_workgroup_id_z 1
		.amdhsa_system_sgpr_workgroup_info 0
		.amdhsa_system_vgpr_workitem_id 0
		.amdhsa_next_free_vgpr 14
		.amdhsa_next_free_sgpr 52
		.amdhsa_accum_offset 16
		.amdhsa_reserve_vcc 1
		.amdhsa_float_round_mode_32 0
		.amdhsa_float_round_mode_16_64 0
		.amdhsa_float_denorm_mode_32 3
		.amdhsa_float_denorm_mode_16_64 3
		.amdhsa_dx10_clamp 1
		.amdhsa_ieee_mode 1
		.amdhsa_fp16_overflow 0
		.amdhsa_tg_split 0
		.amdhsa_exception_fp_ieee_invalid_op 0
		.amdhsa_exception_fp_denorm_src 0
		.amdhsa_exception_fp_ieee_div_zero 0
		.amdhsa_exception_fp_ieee_overflow 0
		.amdhsa_exception_fp_ieee_underflow 0
		.amdhsa_exception_fp_ieee_inexact 0
		.amdhsa_exception_int_div_zero 0
	.end_amdhsa_kernel
	.section	.text._ZL32rocblas_gemvt_warp_reduce_kernelILb0ELi256EldPKddEviiT3_lPKT2_lT1_lS5_lS6_lS2_lPT4_lS6_li,"axG",@progbits,_ZL32rocblas_gemvt_warp_reduce_kernelILb0ELi256EldPKddEviiT3_lPKT2_lT1_lS5_lS6_lS2_lPT4_lS6_li,comdat
.Lfunc_end79:
	.size	_ZL32rocblas_gemvt_warp_reduce_kernelILb0ELi256EldPKddEviiT3_lPKT2_lT1_lS5_lS6_lS2_lPT4_lS6_li, .Lfunc_end79-_ZL32rocblas_gemvt_warp_reduce_kernelILb0ELi256EldPKddEviiT3_lPKT2_lT1_lS5_lS6_lS2_lPT4_lS6_li
                                        ; -- End function
	.section	.AMDGPU.csdata,"",@progbits
; Kernel info:
; codeLenInByte = 1480
; NumSgprs: 58
; NumVgprs: 14
; NumAgprs: 0
; TotalNumVgprs: 14
; ScratchSize: 0
; MemoryBound: 0
; FloatMode: 240
; IeeeMode: 1
; LDSByteSize: 512 bytes/workgroup (compile time only)
; SGPRBlocks: 7
; VGPRBlocks: 1
; NumSGPRsForWavesPerEU: 58
; NumVGPRsForWavesPerEU: 14
; AccumOffset: 16
; Occupancy: 8
; WaveLimiterHint : 0
; COMPUTE_PGM_RSRC2:SCRATCH_EN: 0
; COMPUTE_PGM_RSRC2:USER_SGPR: 2
; COMPUTE_PGM_RSRC2:TRAP_HANDLER: 0
; COMPUTE_PGM_RSRC2:TGID_X_EN: 1
; COMPUTE_PGM_RSRC2:TGID_Y_EN: 0
; COMPUTE_PGM_RSRC2:TGID_Z_EN: 1
; COMPUTE_PGM_RSRC2:TIDIG_COMP_CNT: 0
; COMPUTE_PGM_RSRC3_GFX90A:ACCUM_OFFSET: 3
; COMPUTE_PGM_RSRC3_GFX90A:TG_SPLIT: 0
	.section	.text._ZL32rocblas_gemvt_warp_reduce_kernelILb0ELi256EidddEviiT3_lPKT2_lT1_lS3_lS4_lS0_lPT4_lS4_li,"axG",@progbits,_ZL32rocblas_gemvt_warp_reduce_kernelILb0ELi256EidddEviiT3_lPKT2_lT1_lS3_lS4_lS0_lPT4_lS4_li,comdat
	.globl	_ZL32rocblas_gemvt_warp_reduce_kernelILb0ELi256EidddEviiT3_lPKT2_lT1_lS3_lS4_lS0_lPT4_lS4_li ; -- Begin function _ZL32rocblas_gemvt_warp_reduce_kernelILb0ELi256EidddEviiT3_lPKT2_lT1_lS3_lS4_lS0_lPT4_lS4_li
	.p2align	8
	.type	_ZL32rocblas_gemvt_warp_reduce_kernelILb0ELi256EidddEviiT3_lPKT2_lT1_lS3_lS4_lS0_lPT4_lS4_li,@function
_ZL32rocblas_gemvt_warp_reduce_kernelILb0ELi256EidddEviiT3_lPKT2_lT1_lS3_lS4_lS0_lPT4_lS4_li: ; @_ZL32rocblas_gemvt_warp_reduce_kernelILb0ELi256EidddEviiT3_lPKT2_lT1_lS3_lS4_lS0_lPT4_lS4_li
; %bb.0:
	s_load_dwordx2 s[6:7], s[0:1], 0x8
	s_load_dwordx4 s[8:11], s[0:1], 0x50
	s_waitcnt lgkmcnt(0)
	v_cmp_eq_f64_e64 s[4:5], s[6:7], 0
	v_cmp_eq_f64_e64 s[12:13], s[10:11], 1.0
	s_and_b64 s[4:5], s[4:5], s[12:13]
	s_and_b64 vcc, exec, s[4:5]
	s_cbranch_vccnz .LBB80_29
; %bb.1:
	s_load_dwordx2 s[4:5], s[0:1], 0x80
	s_load_dwordx4 s[12:15], s[0:1], 0x68
	s_load_dword s22, s[0:1], 0x78
	s_waitcnt lgkmcnt(0)
	s_mul_i32 s5, s3, s5
	s_mul_hi_u32 s16, s3, s4
	s_mul_i32 s4, s3, s4
	s_add_i32 s5, s16, s5
	s_lshl_b64 s[4:5], s[4:5], 3
	s_add_u32 s12, s12, s4
	s_addc_u32 s13, s13, s5
	s_lshl_b64 s[4:5], s[14:15], 3
	s_add_u32 s20, s12, s4
	s_addc_u32 s21, s13, s5
	v_cmp_neq_f64_e64 s[4:5], s[6:7], 0
	s_mov_b64 s[12:13], 0
	s_and_b64 vcc, exec, s[4:5]
	v_cmp_eq_u32_e64 s[4:5], 0, v0
	s_cbranch_vccnz .LBB80_6
; %bb.2:
	s_mov_b64 s[16:17], 0
                                        ; implicit-def: $vgpr2_vgpr3
                                        ; implicit-def: $sgpr14_sgpr15
	s_and_saveexec_b64 s[18:19], s[4:5]
	s_cbranch_execz .LBB80_7
; %bb.3:
	v_cmp_eq_f64_e64 s[4:5], s[10:11], 0
	s_mul_i32 s14, s2, s22
	v_mov_b64_e32 v[2:3], 0
	s_ashr_i32 s15, s14, 31
	s_and_b64 vcc, exec, s[4:5]
	s_cbranch_vccnz .LBB80_5
; %bb.4:
	s_lshl_b64 s[4:5], s[14:15], 3
	s_add_u32 s4, s20, s4
	s_addc_u32 s5, s21, s5
	s_load_dwordx2 s[4:5], s[4:5], 0x0
	v_mov_b64_e32 v[2:3], s[10:11]
	s_waitcnt lgkmcnt(0)
	v_mul_f64 v[2:3], s[4:5], v[2:3]
.LBB80_5:
	s_mov_b64 s[12:13], exec
	s_or_b64 exec, exec, s[18:19]
	s_and_b64 vcc, exec, s[16:17]
	s_cbranch_vccnz .LBB80_8
	s_branch .LBB80_27
.LBB80_6:
                                        ; implicit-def: $vgpr2_vgpr3
                                        ; implicit-def: $sgpr14_sgpr15
	s_cbranch_execnz .LBB80_8
	s_branch .LBB80_27
.LBB80_7:
	s_or_b64 exec, exec, s[18:19]
	s_and_b64 vcc, exec, s[16:17]
	s_cbranch_vccz .LBB80_27
.LBB80_8:
	s_load_dword s18, s[0:1], 0x0
	s_load_dwordx4 s[24:27], s[0:1], 0x18
	s_load_dword s14, s[0:1], 0x28
	s_load_dwordx4 s[28:31], s[0:1], 0x30
	s_load_dwordx2 s[4:5], s[0:1], 0x40
	s_mul_i32 s9, s3, s9
	s_mul_hi_u32 s15, s3, s8
	s_add_i32 s9, s15, s9
	s_mul_i32 s8, s3, s8
	s_lshl_b64 s[8:9], s[8:9], 3
	s_waitcnt lgkmcnt(0)
	s_add_u32 s8, s30, s8
	s_addc_u32 s9, s31, s9
	s_lshl_b64 s[4:5], s[4:5], 3
	s_add_u32 s4, s8, s4
	s_load_dword s19, s[0:1], 0x48
	s_mul_i32 s0, s3, s29
	s_mul_hi_u32 s1, s3, s28
	s_addc_u32 s5, s9, s5
	s_add_i32 s1, s1, s0
	s_mul_i32 s0, s3, s28
	s_lshl_b64 s[0:1], s[0:1], 3
	s_add_u32 s3, s24, s0
	s_addc_u32 s8, s25, s1
	s_lshl_b64 s[0:1], s[26:27], 3
	s_add_u32 s3, s3, s0
	s_mul_i32 s0, s2, s14
	s_addc_u32 s8, s8, s1
	s_ashr_i32 s1, s0, 31
	v_cmp_gt_i32_e32 vcc, s18, v0
	s_lshl_b64 s[0:1], s[0:1], 3
	s_add_u32 s0, s0, s3
	v_cndmask_b32_e32 v1, 0, v0, vcc
	v_lshlrev_b32_e32 v2, 3, v1
	v_mov_b32_e32 v3, 0
	s_addc_u32 s1, s1, s8
	v_lshl_add_u64 v[4:5], s[0:1], 0, v[2:3]
	s_ashr_i32 s0, s18, 31
	s_lshr_b32 s0, s0, 24
	s_add_i32 s0, s18, s0
	s_and_b32 s0, s0, 0xffffff00
	v_cmp_gt_i32_e32 vcc, s0, v0
	v_mov_b64_e32 v[2:3], 0
	s_and_saveexec_b64 s[8:9], vcc
	s_cbranch_execz .LBB80_12
; %bb.9:
	s_waitcnt lgkmcnt(0)
	v_mul_lo_u32 v6, v0, s19
	s_lshl_b32 s1, s19, 8
	s_mov_b64 s[14:15], 0
	v_mov_b64_e32 v[2:3], 0
	s_mov_b64 s[16:17], 0x800
	v_mov_b64_e32 v[8:9], v[4:5]
	v_mov_b32_e32 v1, v0
.LBB80_10:                              ; =>This Inner Loop Header: Depth=1
	v_ashrrev_i32_e32 v7, 31, v6
	v_lshl_add_u64 v[12:13], v[6:7], 3, s[4:5]
	global_load_dwordx2 v[10:11], v[8:9], off
	v_add_u32_e32 v1, 0x100, v1
	global_load_dwordx2 v[12:13], v[12:13], off
	v_cmp_le_i32_e32 vcc, s0, v1
	v_lshl_add_u64 v[8:9], v[8:9], 0, s[16:17]
	v_add_u32_e32 v6, s1, v6
	s_or_b64 s[14:15], vcc, s[14:15]
	s_waitcnt vmcnt(0)
	v_fmac_f64_e32 v[2:3], v[10:11], v[12:13]
	s_andn2_b64 exec, exec, s[14:15]
	s_cbranch_execnz .LBB80_10
; %bb.11:
	s_or_b64 exec, exec, s[14:15]
.LBB80_12:
	s_or_b64 exec, exec, s[8:9]
	v_add_u32_e32 v1, s0, v0
	v_cmp_gt_i32_e32 vcc, s18, v1
	s_and_saveexec_b64 s[8:9], vcc
	s_cbranch_execz .LBB80_14
; %bb.13:
	s_waitcnt lgkmcnt(0)
	v_mul_lo_u32 v6, v1, s19
	s_ashr_i32 s1, s0, 31
	v_ashrrev_i32_e32 v7, 31, v6
	v_lshl_add_u64 v[4:5], s[0:1], 3, v[4:5]
	v_lshl_add_u64 v[6:7], v[6:7], 3, s[4:5]
	global_load_dwordx2 v[4:5], v[4:5], off
	s_nop 0
	global_load_dwordx2 v[6:7], v[6:7], off
	s_waitcnt vmcnt(0)
	v_fmac_f64_e32 v[2:3], v[4:5], v[6:7]
.LBB80_14:
	s_or_b64 exec, exec, s[8:9]
	v_and_b32_e32 v6, 63, v0
	v_cmp_gt_u32_e32 vcc, 64, v0
	v_lshlrev_b32_e32 v1, 3, v6
	s_and_saveexec_b64 s[0:1], vcc
	s_cbranch_execz .LBB80_16
; %bb.15:
	v_mov_b32_e32 v4, 0
	v_mov_b32_e32 v5, v4
	ds_write_b64 v1, v[4:5]
.LBB80_16:
	s_or_b64 exec, exec, s[0:1]
	v_mbcnt_lo_u32_b32 v4, -1, 0
	v_mbcnt_hi_u32_b32 v8, -1, v4
	v_and_b32_e32 v9, 63, v8
	v_cmp_gt_u32_e64 s[0:1], 32, v9
	s_waitcnt lgkmcnt(0)
	s_barrier
	v_cndmask_b32_e64 v4, 0, 1, s[0:1]
	v_lshlrev_b32_e32 v4, 5, v4
	v_add_lshl_u32 v5, v4, v8, 2
	ds_bpermute_b32 v4, v5, v2
	ds_bpermute_b32 v5, v5, v3
	v_cmp_gt_u32_e64 s[0:1], 48, v9
	s_waitcnt lgkmcnt(0)
	v_add_f64 v[2:3], v[2:3], v[4:5]
	v_cndmask_b32_e64 v7, 0, 1, s[0:1]
	v_lshlrev_b32_e32 v4, 4, v7
	v_add_lshl_u32 v5, v4, v8, 2
	ds_bpermute_b32 v4, v5, v2
	ds_bpermute_b32 v5, v5, v3
	v_cmp_gt_u32_e64 s[0:1], 56, v9
	s_waitcnt lgkmcnt(0)
	v_add_f64 v[2:3], v[2:3], v[4:5]
	;; [unrolled: 8-line block ×4, first 2 shown]
	v_cndmask_b32_e64 v4, 0, 1, s[0:1]
	v_lshlrev_b32_e32 v4, 1, v4
	v_add_lshl_u32 v7, v4, v8, 2
	ds_bpermute_b32 v4, v7, v2
	ds_bpermute_b32 v5, v7, v3
	v_cmp_ne_u32_e64 s[0:1], 63, v9
	s_waitcnt lgkmcnt(0)
	v_add_f64 v[2:3], v[2:3], v[4:5]
	v_addc_co_u32_e64 v4, s[0:1], 0, v8, s[0:1]
	v_lshlrev_b32_e32 v8, 2, v4
	ds_bpermute_b32 v4, v8, v2
	ds_bpermute_b32 v5, v8, v3
	v_cmp_eq_u32_e64 s[0:1], 0, v6
	s_and_saveexec_b64 s[4:5], s[0:1]
	s_cbranch_execz .LBB80_18
; %bb.17:
	v_lshrrev_b32_e32 v6, 3, v0
	v_and_b32_e32 v6, 24, v6
	s_waitcnt lgkmcnt(0)
	v_add_f64 v[2:3], v[2:3], v[4:5]
	ds_write_b64 v6, v[2:3]
.LBB80_18:
	s_or_b64 exec, exec, s[4:5]
	v_cmp_gt_u32_e64 s[0:1], 4, v0
	s_waitcnt lgkmcnt(0)
	v_mov_b64_e32 v[4:5], 0
	s_barrier
	s_and_saveexec_b64 s[4:5], s[0:1]
	s_cbranch_execz .LBB80_20
; %bb.19:
	ds_read_b64 v[4:5], v1
	s_or_b64 exec, exec, s[4:5]
	s_and_saveexec_b64 s[0:1], vcc
	s_cbranch_execz .LBB80_22
	s_branch .LBB80_21
.LBB80_20:
	s_or_b64 exec, exec, s[4:5]
	s_and_saveexec_b64 s[0:1], vcc
	s_cbranch_execz .LBB80_22
.LBB80_21:
	s_waitcnt lgkmcnt(0)
	ds_bpermute_b32 v2, v7, v4
	ds_bpermute_b32 v3, v7, v5
	s_waitcnt lgkmcnt(0)
	v_add_f64 v[2:3], v[4:5], v[2:3]
	ds_bpermute_b32 v4, v8, v2
	ds_bpermute_b32 v5, v8, v3
	s_waitcnt lgkmcnt(0)
	v_add_f64 v[4:5], v[2:3], v[4:5]
.LBB80_22:
	s_or_b64 exec, exec, s[0:1]
	v_cmp_eq_u32_e32 vcc, 0, v0
                                        ; implicit-def: $vgpr2_vgpr3
                                        ; implicit-def: $sgpr14_sgpr15
	s_and_saveexec_b64 s[0:1], vcc
	s_cbranch_execz .LBB80_26
; %bb.23:
	v_cmp_eq_f64_e64 s[4:5], s[10:11], 0
	s_mul_i32 s14, s2, s22
	s_waitcnt lgkmcnt(0)
	v_mul_f64 v[2:3], v[4:5], s[6:7]
	s_ashr_i32 s15, s14, 31
	s_and_b64 vcc, exec, s[4:5]
	s_cbranch_vccnz .LBB80_25
; %bb.24:
	s_lshl_b64 s[2:3], s[14:15], 3
	s_add_u32 s2, s20, s2
	s_addc_u32 s3, s21, s3
	s_load_dwordx2 s[2:3], s[2:3], 0x0
	v_mov_b64_e32 v[0:1], s[10:11]
	s_waitcnt lgkmcnt(0)
	v_fmac_f64_e32 v[2:3], s[2:3], v[0:1]
.LBB80_25:
	s_or_b64 s[12:13], s[12:13], exec
.LBB80_26:
	s_or_b64 exec, exec, s[0:1]
.LBB80_27:
	s_and_saveexec_b64 s[0:1], s[12:13]
	s_cbranch_execz .LBB80_29
; %bb.28:
	s_lshl_b64 s[0:1], s[14:15], 3
	s_add_u32 s0, s20, s0
	s_addc_u32 s1, s21, s1
	v_mov_b32_e32 v0, 0
	global_store_dwordx2 v0, v[2:3], s[0:1]
.LBB80_29:
	s_endpgm
	.section	.rodata,"a",@progbits
	.p2align	6, 0x0
	.amdhsa_kernel _ZL32rocblas_gemvt_warp_reduce_kernelILb0ELi256EidddEviiT3_lPKT2_lT1_lS3_lS4_lS0_lPT4_lS4_li
		.amdhsa_group_segment_fixed_size 512
		.amdhsa_private_segment_fixed_size 0
		.amdhsa_kernarg_size 140
		.amdhsa_user_sgpr_count 2
		.amdhsa_user_sgpr_dispatch_ptr 0
		.amdhsa_user_sgpr_queue_ptr 0
		.amdhsa_user_sgpr_kernarg_segment_ptr 1
		.amdhsa_user_sgpr_dispatch_id 0
		.amdhsa_user_sgpr_kernarg_preload_length 0
		.amdhsa_user_sgpr_kernarg_preload_offset 0
		.amdhsa_user_sgpr_private_segment_size 0
		.amdhsa_uses_dynamic_stack 0
		.amdhsa_enable_private_segment 0
		.amdhsa_system_sgpr_workgroup_id_x 1
		.amdhsa_system_sgpr_workgroup_id_y 0
		.amdhsa_system_sgpr_workgroup_id_z 1
		.amdhsa_system_sgpr_workgroup_info 0
		.amdhsa_system_vgpr_workitem_id 0
		.amdhsa_next_free_vgpr 14
		.amdhsa_next_free_sgpr 32
		.amdhsa_accum_offset 16
		.amdhsa_reserve_vcc 1
		.amdhsa_float_round_mode_32 0
		.amdhsa_float_round_mode_16_64 0
		.amdhsa_float_denorm_mode_32 3
		.amdhsa_float_denorm_mode_16_64 3
		.amdhsa_dx10_clamp 1
		.amdhsa_ieee_mode 1
		.amdhsa_fp16_overflow 0
		.amdhsa_tg_split 0
		.amdhsa_exception_fp_ieee_invalid_op 0
		.amdhsa_exception_fp_denorm_src 0
		.amdhsa_exception_fp_ieee_div_zero 0
		.amdhsa_exception_fp_ieee_overflow 0
		.amdhsa_exception_fp_ieee_underflow 0
		.amdhsa_exception_fp_ieee_inexact 0
		.amdhsa_exception_int_div_zero 0
	.end_amdhsa_kernel
	.section	.text._ZL32rocblas_gemvt_warp_reduce_kernelILb0ELi256EidddEviiT3_lPKT2_lT1_lS3_lS4_lS0_lPT4_lS4_li,"axG",@progbits,_ZL32rocblas_gemvt_warp_reduce_kernelILb0ELi256EidddEviiT3_lPKT2_lT1_lS3_lS4_lS0_lPT4_lS4_li,comdat
.Lfunc_end80:
	.size	_ZL32rocblas_gemvt_warp_reduce_kernelILb0ELi256EidddEviiT3_lPKT2_lT1_lS3_lS4_lS0_lPT4_lS4_li, .Lfunc_end80-_ZL32rocblas_gemvt_warp_reduce_kernelILb0ELi256EidddEviiT3_lPKT2_lT1_lS3_lS4_lS0_lPT4_lS4_li
                                        ; -- End function
	.section	.AMDGPU.csdata,"",@progbits
; Kernel info:
; codeLenInByte = 1360
; NumSgprs: 38
; NumVgprs: 14
; NumAgprs: 0
; TotalNumVgprs: 14
; ScratchSize: 0
; MemoryBound: 0
; FloatMode: 240
; IeeeMode: 1
; LDSByteSize: 512 bytes/workgroup (compile time only)
; SGPRBlocks: 4
; VGPRBlocks: 1
; NumSGPRsForWavesPerEU: 38
; NumVGPRsForWavesPerEU: 14
; AccumOffset: 16
; Occupancy: 8
; WaveLimiterHint : 1
; COMPUTE_PGM_RSRC2:SCRATCH_EN: 0
; COMPUTE_PGM_RSRC2:USER_SGPR: 2
; COMPUTE_PGM_RSRC2:TRAP_HANDLER: 0
; COMPUTE_PGM_RSRC2:TGID_X_EN: 1
; COMPUTE_PGM_RSRC2:TGID_Y_EN: 0
; COMPUTE_PGM_RSRC2:TGID_Z_EN: 1
; COMPUTE_PGM_RSRC2:TIDIG_COMP_CNT: 0
; COMPUTE_PGM_RSRC3_GFX90A:ACCUM_OFFSET: 3
; COMPUTE_PGM_RSRC3_GFX90A:TG_SPLIT: 0
	.section	.text._ZL32rocblas_gemvt_warp_reduce_kernelILb0ELi256EldddEviiT3_lPKT2_lT1_lS3_lS4_lS0_lPT4_lS4_li,"axG",@progbits,_ZL32rocblas_gemvt_warp_reduce_kernelILb0ELi256EldddEviiT3_lPKT2_lT1_lS3_lS4_lS0_lPT4_lS4_li,comdat
	.globl	_ZL32rocblas_gemvt_warp_reduce_kernelILb0ELi256EldddEviiT3_lPKT2_lT1_lS3_lS4_lS0_lPT4_lS4_li ; -- Begin function _ZL32rocblas_gemvt_warp_reduce_kernelILb0ELi256EldddEviiT3_lPKT2_lT1_lS3_lS4_lS0_lPT4_lS4_li
	.p2align	8
	.type	_ZL32rocblas_gemvt_warp_reduce_kernelILb0ELi256EldddEviiT3_lPKT2_lT1_lS3_lS4_lS0_lPT4_lS4_li,@function
_ZL32rocblas_gemvt_warp_reduce_kernelILb0ELi256EldddEviiT3_lPKT2_lT1_lS3_lS4_lS0_lPT4_lS4_li: ; @_ZL32rocblas_gemvt_warp_reduce_kernelILb0ELi256EldddEviiT3_lPKT2_lT1_lS3_lS4_lS0_lPT4_lS4_li
; %bb.0:
	s_load_dwordx2 s[26:27], s[0:1], 0x8
	s_load_dwordx2 s[24:25], s[0:1], 0x58
	s_waitcnt lgkmcnt(0)
	v_cmp_eq_f64_e64 s[4:5], s[26:27], 0
	v_cmp_eq_f64_e64 s[6:7], s[24:25], 1.0
	s_and_b64 s[4:5], s[4:5], s[6:7]
	s_and_b64 vcc, exec, s[4:5]
	s_cbranch_vccnz .LBB81_29
; %bb.1:
	s_load_dwordx8 s[16:23], s[0:1], 0x68
	s_mov_b64 s[28:29], 0
	s_waitcnt lgkmcnt(0)
	s_mul_i32 s5, s3, s23
	s_mul_hi_u32 s6, s3, s22
	s_mul_i32 s4, s3, s22
	s_add_i32 s5, s6, s5
	s_lshl_b64 s[4:5], s[4:5], 3
	s_add_u32 s6, s16, s4
	s_addc_u32 s7, s17, s5
	s_lshl_b64 s[4:5], s[18:19], 3
	s_add_u32 s22, s6, s4
	s_addc_u32 s23, s7, s5
	v_cmp_neq_f64_e64 s[4:5], s[26:27], 0
	s_and_b64 vcc, exec, s[4:5]
	v_cmp_eq_u32_e64 s[4:5], 0, v0
	s_cbranch_vccnz .LBB81_6
; %bb.2:
	s_mov_b64 s[8:9], 0
                                        ; implicit-def: $vgpr2_vgpr3
                                        ; implicit-def: $sgpr6_sgpr7
	s_and_saveexec_b64 s[10:11], s[4:5]
	s_cbranch_execz .LBB81_7
; %bb.3:
	s_ashr_i32 s6, s2, 31
	s_mul_i32 s7, s2, s21
	s_mul_hi_u32 s12, s2, s20
	v_cmp_eq_f64_e64 s[4:5], s[24:25], 0
	s_add_i32 s7, s12, s7
	s_mul_i32 s6, s6, s20
	v_mov_b64_e32 v[2:3], 0
	s_add_i32 s7, s7, s6
	s_mul_i32 s6, s2, s20
	s_and_b64 vcc, exec, s[4:5]
	s_cbranch_vccnz .LBB81_5
; %bb.4:
	s_lshl_b64 s[4:5], s[6:7], 3
	s_add_u32 s4, s22, s4
	s_addc_u32 s5, s23, s5
	s_load_dwordx2 s[4:5], s[4:5], 0x0
	v_mov_b64_e32 v[2:3], s[24:25]
	s_waitcnt lgkmcnt(0)
	v_mul_f64 v[2:3], s[4:5], v[2:3]
.LBB81_5:
	s_mov_b64 s[28:29], exec
	s_or_b64 exec, exec, s[10:11]
	s_and_b64 vcc, exec, s[8:9]
	s_cbranch_vccnz .LBB81_8
	s_branch .LBB81_27
.LBB81_6:
                                        ; implicit-def: $vgpr2_vgpr3
                                        ; implicit-def: $sgpr6_sgpr7
	s_cbranch_execnz .LBB81_8
	s_branch .LBB81_27
.LBB81_7:
	s_or_b64 exec, exec, s[10:11]
	s_and_b64 vcc, exec, s[8:9]
	s_cbranch_vccz .LBB81_27
.LBB81_8:
	s_load_dwordx16 s[4:19], s[0:1], 0x18
	s_load_dword s30, s[0:1], 0x0
	v_mov_b32_e32 v3, 0
	s_waitcnt lgkmcnt(0)
	s_mul_i32 s1, s3, s19
	s_mul_hi_u32 s19, s3, s18
	s_mul_i32 s0, s3, s18
	s_mul_i32 s11, s3, s11
	s_mul_hi_u32 s18, s3, s10
	s_add_i32 s11, s18, s11
	s_mul_i32 s10, s3, s10
	s_add_i32 s1, s19, s1
	s_lshl_b64 s[10:11], s[10:11], 3
	s_add_u32 s3, s4, s10
	s_addc_u32 s10, s5, s11
	s_lshl_b64 s[4:5], s[6:7], 3
	s_add_u32 s6, s3, s4
	s_addc_u32 s7, s10, s5
	s_ashr_i32 s3, s2, 31
	s_mul_i32 s4, s2, s9
	s_mul_hi_u32 s5, s2, s8
	s_add_i32 s4, s5, s4
	s_mul_i32 s5, s3, s8
	s_add_i32 s5, s4, s5
	s_mul_i32 s4, s2, s8
	v_cmp_gt_i32_e32 vcc, s30, v0
	s_lshl_b64 s[4:5], s[4:5], 3
	s_add_u32 s4, s4, s6
	v_cndmask_b32_e32 v1, 0, v0, vcc
	v_lshlrev_b32_e32 v2, 3, v1
	s_addc_u32 s5, s5, s7
	v_lshl_add_u64 v[4:5], s[4:5], 0, v[2:3]
	s_ashr_i32 s4, s30, 31
	s_lshr_b32 s4, s4, 24
	s_add_i32 s4, s30, s4
	s_and_b32 s4, s4, 0xffffff00
	v_cmp_gt_i32_e32 vcc, s4, v0
	v_mov_b64_e32 v[2:3], 0
	s_and_saveexec_b64 s[6:7], vcc
	s_cbranch_execz .LBB81_12
; %bb.9:
	v_mad_u64_u32 v[2:3], s[10:11], s16, v0, 0
	v_mov_b32_e32 v6, v3
	v_mad_u64_u32 v[6:7], s[10:11], s17, v0, v[6:7]
	s_lshl_b64 s[8:9], s[0:1], 3
	s_lshl_b64 s[10:11], s[14:15], 3
	s_add_u32 s5, s12, s10
	s_addc_u32 s10, s13, s11
	s_add_u32 s8, s5, s8
	v_mov_b32_e32 v3, v6
	s_addc_u32 s9, s10, s9
	v_lshl_add_u64 v[6:7], v[2:3], 3, s[8:9]
	s_lshl_b64 s[10:11], s[16:17], 11
	s_mov_b64 s[8:9], 0
	v_mov_b64_e32 v[2:3], 0
	s_mov_b64 s[18:19], 0x800
	v_mov_b64_e32 v[8:9], v[4:5]
	v_mov_b32_e32 v1, v0
.LBB81_10:                              ; =>This Inner Loop Header: Depth=1
	global_load_dwordx2 v[10:11], v[8:9], off
	global_load_dwordx2 v[12:13], v[6:7], off
	v_add_u32_e32 v1, 0x100, v1
	v_cmp_le_i32_e32 vcc, s4, v1
	v_lshl_add_u64 v[8:9], v[8:9], 0, s[18:19]
	v_lshl_add_u64 v[6:7], v[6:7], 0, s[10:11]
	s_or_b64 s[8:9], vcc, s[8:9]
	s_waitcnt vmcnt(0)
	v_fmac_f64_e32 v[2:3], v[10:11], v[12:13]
	s_andn2_b64 exec, exec, s[8:9]
	s_cbranch_execnz .LBB81_10
; %bb.11:
	s_or_b64 exec, exec, s[8:9]
.LBB81_12:
	s_or_b64 exec, exec, s[6:7]
	v_add_u32_e32 v1, s4, v0
	v_cmp_gt_i32_e32 vcc, s30, v1
	s_and_saveexec_b64 s[6:7], vcc
	s_cbranch_execz .LBB81_14
; %bb.13:
	s_lshl_b64 s[0:1], s[0:1], 3
	s_add_u32 s5, s12, s0
	s_addc_u32 s8, s13, s1
	s_lshl_b64 s[0:1], s[14:15], 3
	s_add_u32 s0, s5, s0
	s_addc_u32 s1, s8, s1
	s_ashr_i32 s5, s4, 31
	v_ashrrev_i32_e32 v6, 31, v1
	v_lshl_add_u64 v[4:5], s[4:5], 3, v[4:5]
	v_mul_lo_u32 v8, v1, s17
	v_mul_lo_u32 v9, v6, s16
	v_mad_u64_u32 v[6:7], s[4:5], v1, s16, 0
	v_add3_u32 v7, v7, v8, v9
	v_lshl_add_u64 v[6:7], v[6:7], 3, s[0:1]
	global_load_dwordx2 v[4:5], v[4:5], off
	s_nop 0
	global_load_dwordx2 v[6:7], v[6:7], off
	s_waitcnt vmcnt(0)
	v_fmac_f64_e32 v[2:3], v[4:5], v[6:7]
.LBB81_14:
	s_or_b64 exec, exec, s[6:7]
	v_and_b32_e32 v6, 63, v0
	v_cmp_gt_u32_e32 vcc, 64, v0
	v_lshlrev_b32_e32 v1, 3, v6
	s_and_saveexec_b64 s[0:1], vcc
	s_cbranch_execz .LBB81_16
; %bb.15:
	v_mov_b32_e32 v4, 0
	v_mov_b32_e32 v5, v4
	ds_write_b64 v1, v[4:5]
.LBB81_16:
	s_or_b64 exec, exec, s[0:1]
	v_mbcnt_lo_u32_b32 v4, -1, 0
	v_mbcnt_hi_u32_b32 v8, -1, v4
	v_and_b32_e32 v9, 63, v8
	v_cmp_gt_u32_e64 s[0:1], 32, v9
	s_waitcnt lgkmcnt(0)
	s_barrier
	v_cndmask_b32_e64 v4, 0, 1, s[0:1]
	v_lshlrev_b32_e32 v4, 5, v4
	v_add_lshl_u32 v5, v4, v8, 2
	ds_bpermute_b32 v4, v5, v2
	ds_bpermute_b32 v5, v5, v3
	v_cmp_gt_u32_e64 s[0:1], 48, v9
	s_waitcnt lgkmcnt(0)
	v_add_f64 v[2:3], v[2:3], v[4:5]
	v_cndmask_b32_e64 v7, 0, 1, s[0:1]
	v_lshlrev_b32_e32 v4, 4, v7
	v_add_lshl_u32 v5, v4, v8, 2
	ds_bpermute_b32 v4, v5, v2
	ds_bpermute_b32 v5, v5, v3
	v_cmp_gt_u32_e64 s[0:1], 56, v9
	s_waitcnt lgkmcnt(0)
	v_add_f64 v[2:3], v[2:3], v[4:5]
	;; [unrolled: 8-line block ×4, first 2 shown]
	v_cndmask_b32_e64 v4, 0, 1, s[0:1]
	v_lshlrev_b32_e32 v4, 1, v4
	v_add_lshl_u32 v7, v4, v8, 2
	ds_bpermute_b32 v4, v7, v2
	ds_bpermute_b32 v5, v7, v3
	v_cmp_ne_u32_e64 s[0:1], 63, v9
	s_waitcnt lgkmcnt(0)
	v_add_f64 v[2:3], v[2:3], v[4:5]
	v_addc_co_u32_e64 v4, s[0:1], 0, v8, s[0:1]
	v_lshlrev_b32_e32 v8, 2, v4
	ds_bpermute_b32 v4, v8, v2
	ds_bpermute_b32 v5, v8, v3
	v_cmp_eq_u32_e64 s[0:1], 0, v6
	s_and_saveexec_b64 s[4:5], s[0:1]
	s_cbranch_execz .LBB81_18
; %bb.17:
	v_lshrrev_b32_e32 v6, 3, v0
	v_and_b32_e32 v6, 24, v6
	s_waitcnt lgkmcnt(0)
	v_add_f64 v[2:3], v[2:3], v[4:5]
	ds_write_b64 v6, v[2:3]
.LBB81_18:
	s_or_b64 exec, exec, s[4:5]
	v_cmp_gt_u32_e64 s[0:1], 4, v0
	s_waitcnt lgkmcnt(0)
	v_mov_b64_e32 v[4:5], 0
	s_barrier
	s_and_saveexec_b64 s[4:5], s[0:1]
	s_cbranch_execz .LBB81_20
; %bb.19:
	ds_read_b64 v[4:5], v1
	s_or_b64 exec, exec, s[4:5]
	s_and_saveexec_b64 s[0:1], vcc
	s_cbranch_execz .LBB81_22
	s_branch .LBB81_21
.LBB81_20:
	s_or_b64 exec, exec, s[4:5]
	s_and_saveexec_b64 s[0:1], vcc
	s_cbranch_execz .LBB81_22
.LBB81_21:
	s_waitcnt lgkmcnt(0)
	ds_bpermute_b32 v2, v7, v4
	ds_bpermute_b32 v3, v7, v5
	s_waitcnt lgkmcnt(0)
	v_add_f64 v[2:3], v[4:5], v[2:3]
	ds_bpermute_b32 v4, v8, v2
	ds_bpermute_b32 v5, v8, v3
	s_waitcnt lgkmcnt(0)
	v_add_f64 v[4:5], v[2:3], v[4:5]
.LBB81_22:
	s_or_b64 exec, exec, s[0:1]
	v_cmp_eq_u32_e32 vcc, 0, v0
                                        ; implicit-def: $vgpr2_vgpr3
                                        ; implicit-def: $sgpr6_sgpr7
	s_and_saveexec_b64 s[0:1], vcc
	s_cbranch_execz .LBB81_26
; %bb.23:
	s_mul_i32 s6, s2, s21
	s_mul_hi_u32 s7, s2, s20
	v_cmp_eq_f64_e64 s[4:5], s[24:25], 0
	s_add_i32 s6, s7, s6
	s_mul_i32 s3, s3, s20
	s_waitcnt lgkmcnt(0)
	v_mul_f64 v[2:3], v[4:5], s[26:27]
	s_add_i32 s7, s6, s3
	s_mul_i32 s6, s2, s20
	s_and_b64 vcc, exec, s[4:5]
	s_cbranch_vccnz .LBB81_25
; %bb.24:
	s_lshl_b64 s[2:3], s[6:7], 3
	s_add_u32 s2, s22, s2
	s_addc_u32 s3, s23, s3
	s_load_dwordx2 s[2:3], s[2:3], 0x0
	v_mov_b64_e32 v[0:1], s[24:25]
	s_waitcnt lgkmcnt(0)
	v_fmac_f64_e32 v[2:3], s[2:3], v[0:1]
.LBB81_25:
	s_or_b64 s[28:29], s[28:29], exec
.LBB81_26:
	s_or_b64 exec, exec, s[0:1]
.LBB81_27:
	s_and_saveexec_b64 s[0:1], s[28:29]
	s_cbranch_execz .LBB81_29
; %bb.28:
	s_lshl_b64 s[0:1], s[6:7], 3
	s_add_u32 s0, s22, s0
	s_addc_u32 s1, s23, s1
	v_mov_b32_e32 v0, 0
	global_store_dwordx2 v0, v[2:3], s[0:1]
.LBB81_29:
	s_endpgm
	.section	.rodata,"a",@progbits
	.p2align	6, 0x0
	.amdhsa_kernel _ZL32rocblas_gemvt_warp_reduce_kernelILb0ELi256EldddEviiT3_lPKT2_lT1_lS3_lS4_lS0_lPT4_lS4_li
		.amdhsa_group_segment_fixed_size 512
		.amdhsa_private_segment_fixed_size 0
		.amdhsa_kernarg_size 140
		.amdhsa_user_sgpr_count 2
		.amdhsa_user_sgpr_dispatch_ptr 0
		.amdhsa_user_sgpr_queue_ptr 0
		.amdhsa_user_sgpr_kernarg_segment_ptr 1
		.amdhsa_user_sgpr_dispatch_id 0
		.amdhsa_user_sgpr_kernarg_preload_length 0
		.amdhsa_user_sgpr_kernarg_preload_offset 0
		.amdhsa_user_sgpr_private_segment_size 0
		.amdhsa_uses_dynamic_stack 0
		.amdhsa_enable_private_segment 0
		.amdhsa_system_sgpr_workgroup_id_x 1
		.amdhsa_system_sgpr_workgroup_id_y 0
		.amdhsa_system_sgpr_workgroup_id_z 1
		.amdhsa_system_sgpr_workgroup_info 0
		.amdhsa_system_vgpr_workitem_id 0
		.amdhsa_next_free_vgpr 14
		.amdhsa_next_free_sgpr 31
		.amdhsa_accum_offset 16
		.amdhsa_reserve_vcc 1
		.amdhsa_float_round_mode_32 0
		.amdhsa_float_round_mode_16_64 0
		.amdhsa_float_denorm_mode_32 3
		.amdhsa_float_denorm_mode_16_64 3
		.amdhsa_dx10_clamp 1
		.amdhsa_ieee_mode 1
		.amdhsa_fp16_overflow 0
		.amdhsa_tg_split 0
		.amdhsa_exception_fp_ieee_invalid_op 0
		.amdhsa_exception_fp_denorm_src 0
		.amdhsa_exception_fp_ieee_div_zero 0
		.amdhsa_exception_fp_ieee_overflow 0
		.amdhsa_exception_fp_ieee_underflow 0
		.amdhsa_exception_fp_ieee_inexact 0
		.amdhsa_exception_int_div_zero 0
	.end_amdhsa_kernel
	.section	.text._ZL32rocblas_gemvt_warp_reduce_kernelILb0ELi256EldddEviiT3_lPKT2_lT1_lS3_lS4_lS0_lPT4_lS4_li,"axG",@progbits,_ZL32rocblas_gemvt_warp_reduce_kernelILb0ELi256EldddEviiT3_lPKT2_lT1_lS3_lS4_lS0_lPT4_lS4_li,comdat
.Lfunc_end81:
	.size	_ZL32rocblas_gemvt_warp_reduce_kernelILb0ELi256EldddEviiT3_lPKT2_lT1_lS3_lS4_lS0_lPT4_lS4_li, .Lfunc_end81-_ZL32rocblas_gemvt_warp_reduce_kernelILb0ELi256EldddEviiT3_lPKT2_lT1_lS3_lS4_lS0_lPT4_lS4_li
                                        ; -- End function
	.section	.AMDGPU.csdata,"",@progbits
; Kernel info:
; codeLenInByte = 1424
; NumSgprs: 37
; NumVgprs: 14
; NumAgprs: 0
; TotalNumVgprs: 14
; ScratchSize: 0
; MemoryBound: 0
; FloatMode: 240
; IeeeMode: 1
; LDSByteSize: 512 bytes/workgroup (compile time only)
; SGPRBlocks: 4
; VGPRBlocks: 1
; NumSGPRsForWavesPerEU: 37
; NumVGPRsForWavesPerEU: 14
; AccumOffset: 16
; Occupancy: 8
; WaveLimiterHint : 1
; COMPUTE_PGM_RSRC2:SCRATCH_EN: 0
; COMPUTE_PGM_RSRC2:USER_SGPR: 2
; COMPUTE_PGM_RSRC2:TRAP_HANDLER: 0
; COMPUTE_PGM_RSRC2:TGID_X_EN: 1
; COMPUTE_PGM_RSRC2:TGID_Y_EN: 0
; COMPUTE_PGM_RSRC2:TGID_Z_EN: 1
; COMPUTE_PGM_RSRC2:TIDIG_COMP_CNT: 0
; COMPUTE_PGM_RSRC3_GFX90A:ACCUM_OFFSET: 3
; COMPUTE_PGM_RSRC3_GFX90A:TG_SPLIT: 0
	.section	.text._ZL20rocblas_gemvt_kernelILb0ELi256EdPKddEviiT2_lPKT1_lilS5_lilS2_lPT3_lili,"axG",@progbits,_ZL20rocblas_gemvt_kernelILb0ELi256EdPKddEviiT2_lPKT1_lilS5_lilS2_lPT3_lili,comdat
	.globl	_ZL20rocblas_gemvt_kernelILb0ELi256EdPKddEviiT2_lPKT1_lilS5_lilS2_lPT3_lili ; -- Begin function _ZL20rocblas_gemvt_kernelILb0ELi256EdPKddEviiT2_lPKT1_lilS5_lilS2_lPT3_lili
	.p2align	8
	.type	_ZL20rocblas_gemvt_kernelILb0ELi256EdPKddEviiT2_lPKT1_lilS5_lilS2_lPT3_lili,@function
_ZL20rocblas_gemvt_kernelILb0ELi256EdPKddEviiT2_lPKT1_lilS5_lilS2_lPT3_lili: ; @_ZL20rocblas_gemvt_kernelILb0ELi256EdPKddEviiT2_lPKT1_lilS5_lilS2_lPT3_lili
; %bb.0:
	s_load_dwordx8 s[4:11], s[0:1], 0x8
	s_load_dwordx8 s[12:19], s[0:1], 0x50
	s_waitcnt lgkmcnt(0)
	s_mul_i32 s7, s3, s7
	s_mul_hi_u32 s20, s3, s6
	s_add_i32 s7, s20, s7
	s_mul_i32 s6, s3, s6
	s_lshl_b64 s[6:7], s[6:7], 3
	s_add_u32 s4, s4, s6
	s_addc_u32 s5, s5, s7
	s_load_dwordx2 s[20:21], s[4:5], 0x0
	s_mul_i32 s4, s3, s17
	s_mul_hi_u32 s5, s3, s16
	s_add_i32 s5, s5, s4
	s_mul_i32 s4, s3, s16
	s_lshl_b64 s[4:5], s[4:5], 3
	s_add_u32 s4, s14, s4
	s_addc_u32 s5, s15, s5
	s_load_dwordx2 s[14:15], s[4:5], 0x0
	s_waitcnt lgkmcnt(0)
	v_cmp_eq_f64_e64 s[4:5], s[20:21], 0
	v_cmp_eq_f64_e64 s[6:7], s[14:15], 1.0
	s_and_b64 s[4:5], s[4:5], s[6:7]
	s_and_b64 vcc, exec, s[4:5]
	s_cbranch_vccnz .LBB82_36
; %bb.1:
	s_load_dwordx2 s[4:5], s[0:1], 0x80
	s_load_dwordx2 s[6:7], s[0:1], 0x70
	s_load_dword s26, s[0:1], 0x78
	s_waitcnt lgkmcnt(0)
	s_mul_i32 s5, s3, s5
	s_mul_hi_u32 s16, s3, s4
	s_mul_i32 s4, s3, s4
	s_add_i32 s5, s16, s5
	s_lshl_b64 s[4:5], s[4:5], 3
	s_add_u32 s16, s18, s4
	s_addc_u32 s17, s19, s5
	s_lshl_b64 s[4:5], s[6:7], 3
	s_add_u32 s24, s16, s4
	s_addc_u32 s25, s17, s5
	v_cmp_neq_f64_e64 s[4:5], s[20:21], 0
	s_mov_b64 s[16:17], 0
	s_and_b64 vcc, exec, s[4:5]
	v_cmp_eq_u32_e64 s[4:5], 0, v0
	s_cbranch_vccnz .LBB82_6
; %bb.2:
	s_mov_b64 s[18:19], 0
                                        ; implicit-def: $vgpr2_vgpr3
                                        ; implicit-def: $sgpr6_sgpr7
	s_and_saveexec_b64 s[22:23], s[4:5]
	s_cbranch_execz .LBB82_7
; %bb.3:
	v_cmp_eq_f64_e64 s[4:5], s[14:15], 0
	v_mov_b64_e32 v[2:3], 0
	s_mul_hi_i32 s7, s26, s2
	s_mul_i32 s6, s26, s2
	s_and_b64 vcc, exec, s[4:5]
	s_cbranch_vccnz .LBB82_5
; %bb.4:
	s_lshl_b64 s[4:5], s[6:7], 3
	s_add_u32 s4, s24, s4
	s_addc_u32 s5, s25, s5
	s_load_dwordx2 s[4:5], s[4:5], 0x0
	s_waitcnt lgkmcnt(0)
	v_mov_b64_e32 v[2:3], s[4:5]
	v_mul_f64 v[2:3], s[14:15], v[2:3]
.LBB82_5:
	s_mov_b64 s[16:17], exec
	s_or_b64 exec, exec, s[22:23]
	s_and_b64 vcc, exec, s[18:19]
	s_cbranch_vccnz .LBB82_8
	s_branch .LBB82_34
.LBB82_6:
                                        ; implicit-def: $vgpr2_vgpr3
                                        ; implicit-def: $sgpr6_sgpr7
	s_cbranch_execnz .LBB82_8
	s_branch .LBB82_34
.LBB82_7:
	s_or_b64 exec, exec, s[22:23]
	s_and_b64 vcc, exec, s[18:19]
	s_cbranch_vccz .LBB82_34
.LBB82_8:
	s_load_dword s22, s[0:1], 0x0
	s_load_dword s23, s[0:1], 0x28
	s_load_dwordx4 s[4:7], s[0:1], 0x30
	s_load_dwordx2 s[18:19], s[0:1], 0x40
	s_mul_i32 s13, s3, s13
	s_load_dword s0, s[0:1], 0x48
	s_mul_hi_u32 s27, s3, s12
	s_waitcnt lgkmcnt(0)
	s_mul_i32 s1, s3, s5
	s_mul_hi_u32 s5, s3, s4
	s_add_i32 s5, s5, s1
	s_mul_i32 s4, s3, s4
	s_add_i32 s13, s27, s13
	s_lshl_b64 s[4:5], s[4:5], 3
	s_add_u32 s1, s8, s4
	s_mul_i32 s12, s3, s12
	s_addc_u32 s3, s9, s5
	s_lshl_b64 s[4:5], s[10:11], 3
	s_add_u32 s1, s1, s4
	s_addc_u32 s8, s3, s5
	s_mul_hi_i32 s5, s23, s2
	s_mul_i32 s4, s23, s2
	s_lshl_b64 s[4:5], s[4:5], 3
	s_add_u32 s4, s4, s1
	v_cmp_gt_i32_e32 vcc, s22, v0
	s_addc_u32 s5, s5, s8
	s_ashr_i32 s1, s22, 31
	v_cndmask_b32_e32 v1, 0, v0, vcc
	s_lshr_b32 s1, s1, 24
	v_lshlrev_b32_e32 v2, 3, v1
	v_mov_b32_e32 v3, 0
	s_add_i32 s1, s22, s1
	v_lshl_add_u64 v[2:3], s[4:5], 0, v[2:3]
	s_and_b32 s4, s1, 0xffffff00
	s_mov_b32 s3, 0
	s_cmpk_lt_i32 s22, 0x100
	v_mov_b64_e32 v[4:5], 0
	s_cbranch_scc1 .LBB82_11
; %bb.9:
	v_mad_i64_i32 v[4:5], s[10:11], s0, v0, 0
	s_ashr_i32 s1, s0, 31
	s_lshl_b64 s[8:9], s[12:13], 3
	s_lshl_b64 s[10:11], s[18:19], 3
	s_add_u32 s5, s6, s10
	s_addc_u32 s10, s7, s11
	s_add_u32 s8, s5, s8
	s_addc_u32 s9, s10, s9
	v_lshl_add_u64 v[6:7], v[4:5], 3, s[8:9]
	s_lshl_b64 s[8:9], s[0:1], 11
	v_mov_b64_e32 v[4:5], 0
	s_mov_b64 s[10:11], 0x800
	v_mov_b64_e32 v[8:9], v[2:3]
.LBB82_10:                              ; =>This Inner Loop Header: Depth=1
	global_load_dwordx2 v[10:11], v[8:9], off
	global_load_dwordx2 v[12:13], v[6:7], off
	s_addk_i32 s3, 0x100
	v_lshl_add_u64 v[6:7], v[6:7], 0, s[8:9]
	v_lshl_add_u64 v[8:9], v[8:9], 0, s[10:11]
	s_cmp_ge_i32 s3, s4
	s_waitcnt vmcnt(0)
	v_fmac_f64_e32 v[4:5], v[10:11], v[12:13]
	s_cbranch_scc0 .LBB82_10
.LBB82_11:
	v_add_u32_e32 v1, s4, v0
	v_cmp_gt_i32_e32 vcc, s22, v1
	s_and_saveexec_b64 s[8:9], vcc
	s_cbranch_execz .LBB82_13
; %bb.12:
	s_lshl_b64 s[10:11], s[12:13], 3
	s_add_u32 s1, s6, s10
	s_addc_u32 s3, s7, s11
	s_lshl_b64 s[6:7], s[18:19], 3
	s_add_u32 s6, s1, s6
	s_addc_u32 s7, s3, s7
	s_ashr_i32 s5, s4, 31
	v_mad_i64_i32 v[6:7], s[0:1], s0, v1, 0
	v_lshl_add_u64 v[2:3], s[4:5], 3, v[2:3]
	v_lshl_add_u64 v[6:7], v[6:7], 3, s[6:7]
	global_load_dwordx2 v[2:3], v[2:3], off
	s_nop 0
	global_load_dwordx2 v[6:7], v[6:7], off
	s_waitcnt vmcnt(0)
	v_fmac_f64_e32 v[4:5], v[2:3], v[6:7]
.LBB82_13:
	s_or_b64 exec, exec, s[8:9]
	s_movk_i32 s0, 0x80
	v_lshlrev_b32_e32 v1, 3, v0
	v_cmp_gt_u32_e32 vcc, s0, v0
	ds_write_b64 v1, v[4:5]
	s_waitcnt lgkmcnt(0)
	s_barrier
	s_and_saveexec_b64 s[0:1], vcc
	s_cbranch_execz .LBB82_15
; %bb.14:
	ds_read2st64_b64 v[2:5], v1 offset1:2
	s_waitcnt lgkmcnt(0)
	v_add_f64 v[2:3], v[4:5], v[2:3]
	ds_write_b64 v1, v[2:3]
.LBB82_15:
	s_or_b64 exec, exec, s[0:1]
	v_cmp_gt_u32_e32 vcc, 64, v0
	s_waitcnt lgkmcnt(0)
	s_barrier
	s_and_saveexec_b64 s[0:1], vcc
	s_cbranch_execz .LBB82_17
; %bb.16:
	ds_read2st64_b64 v[2:5], v1 offset1:1
	s_waitcnt lgkmcnt(0)
	v_add_f64 v[2:3], v[4:5], v[2:3]
	ds_write_b64 v1, v[2:3]
.LBB82_17:
	s_or_b64 exec, exec, s[0:1]
	v_cmp_gt_u32_e32 vcc, 32, v0
	s_waitcnt lgkmcnt(0)
	s_barrier
	s_and_saveexec_b64 s[0:1], vcc
	s_cbranch_execz .LBB82_19
; %bb.18:
	ds_read2_b64 v[2:5], v1 offset1:32
	s_waitcnt lgkmcnt(0)
	v_add_f64 v[2:3], v[4:5], v[2:3]
	ds_write_b64 v1, v[2:3]
.LBB82_19:
	s_or_b64 exec, exec, s[0:1]
	v_cmp_gt_u32_e32 vcc, 16, v0
	s_waitcnt lgkmcnt(0)
	s_barrier
	s_and_saveexec_b64 s[0:1], vcc
	s_cbranch_execz .LBB82_21
; %bb.20:
	ds_read2_b64 v[2:5], v1 offset1:16
	s_waitcnt lgkmcnt(0)
	v_add_f64 v[2:3], v[4:5], v[2:3]
	ds_write_b64 v1, v[2:3]
.LBB82_21:
	;; [unrolled: 12-line block ×5, first 2 shown]
	s_or_b64 exec, exec, s[0:1]
	v_cmp_eq_u32_e32 vcc, 0, v0
	s_waitcnt lgkmcnt(0)
	s_barrier
	s_and_saveexec_b64 s[0:1], vcc
	s_cbranch_execz .LBB82_29
; %bb.28:
	v_mov_b32_e32 v4, 0
	ds_read_b128 v[0:3], v4
	s_waitcnt lgkmcnt(0)
	v_add_f64 v[0:1], v[2:3], v[0:1]
	ds_write_b64 v4, v[0:1]
.LBB82_29:
	s_or_b64 exec, exec, s[0:1]
	s_waitcnt lgkmcnt(0)
	s_barrier
	s_waitcnt lgkmcnt(0)
                                        ; implicit-def: $vgpr2_vgpr3
                                        ; implicit-def: $sgpr6_sgpr7
	s_and_saveexec_b64 s[0:1], vcc
	s_cbranch_execz .LBB82_33
; %bb.30:
	v_mov_b32_e32 v0, 0
	ds_read_b64 v[0:1], v0
	v_cmp_eq_f64_e64 s[4:5], s[14:15], 0
	s_mul_hi_i32 s7, s26, s2
	s_mul_i32 s6, s26, s2
	s_and_b64 vcc, exec, s[4:5]
	s_waitcnt lgkmcnt(0)
	v_mul_f64 v[2:3], s[20:21], v[0:1]
	s_cbranch_vccnz .LBB82_32
; %bb.31:
	s_lshl_b64 s[2:3], s[6:7], 3
	s_add_u32 s2, s24, s2
	s_addc_u32 s3, s25, s3
	s_load_dwordx2 s[2:3], s[2:3], 0x0
	s_waitcnt lgkmcnt(0)
	v_mov_b64_e32 v[0:1], s[2:3]
	v_fmac_f64_e32 v[2:3], s[14:15], v[0:1]
.LBB82_32:
	s_or_b64 s[16:17], s[16:17], exec
.LBB82_33:
	s_or_b64 exec, exec, s[0:1]
.LBB82_34:
	s_and_saveexec_b64 s[0:1], s[16:17]
	s_cbranch_execz .LBB82_36
; %bb.35:
	s_lshl_b64 s[0:1], s[6:7], 3
	s_add_u32 s0, s24, s0
	s_addc_u32 s1, s25, s1
	v_mov_b32_e32 v0, 0
	global_store_dwordx2 v0, v[2:3], s[0:1]
.LBB82_36:
	s_endpgm
	.section	.rodata,"a",@progbits
	.p2align	6, 0x0
	.amdhsa_kernel _ZL20rocblas_gemvt_kernelILb0ELi256EdPKddEviiT2_lPKT1_lilS5_lilS2_lPT3_lili
		.amdhsa_group_segment_fixed_size 2048
		.amdhsa_private_segment_fixed_size 0
		.amdhsa_kernarg_size 140
		.amdhsa_user_sgpr_count 2
		.amdhsa_user_sgpr_dispatch_ptr 0
		.amdhsa_user_sgpr_queue_ptr 0
		.amdhsa_user_sgpr_kernarg_segment_ptr 1
		.amdhsa_user_sgpr_dispatch_id 0
		.amdhsa_user_sgpr_kernarg_preload_length 0
		.amdhsa_user_sgpr_kernarg_preload_offset 0
		.amdhsa_user_sgpr_private_segment_size 0
		.amdhsa_uses_dynamic_stack 0
		.amdhsa_enable_private_segment 0
		.amdhsa_system_sgpr_workgroup_id_x 1
		.amdhsa_system_sgpr_workgroup_id_y 0
		.amdhsa_system_sgpr_workgroup_id_z 1
		.amdhsa_system_sgpr_workgroup_info 0
		.amdhsa_system_vgpr_workitem_id 0
		.amdhsa_next_free_vgpr 14
		.amdhsa_next_free_sgpr 28
		.amdhsa_accum_offset 16
		.amdhsa_reserve_vcc 1
		.amdhsa_float_round_mode_32 0
		.amdhsa_float_round_mode_16_64 0
		.amdhsa_float_denorm_mode_32 3
		.amdhsa_float_denorm_mode_16_64 3
		.amdhsa_dx10_clamp 1
		.amdhsa_ieee_mode 1
		.amdhsa_fp16_overflow 0
		.amdhsa_tg_split 0
		.amdhsa_exception_fp_ieee_invalid_op 0
		.amdhsa_exception_fp_denorm_src 0
		.amdhsa_exception_fp_ieee_div_zero 0
		.amdhsa_exception_fp_ieee_overflow 0
		.amdhsa_exception_fp_ieee_underflow 0
		.amdhsa_exception_fp_ieee_inexact 0
		.amdhsa_exception_int_div_zero 0
	.end_amdhsa_kernel
	.section	.text._ZL20rocblas_gemvt_kernelILb0ELi256EdPKddEviiT2_lPKT1_lilS5_lilS2_lPT3_lili,"axG",@progbits,_ZL20rocblas_gemvt_kernelILb0ELi256EdPKddEviiT2_lPKT1_lilS5_lilS2_lPT3_lili,comdat
.Lfunc_end82:
	.size	_ZL20rocblas_gemvt_kernelILb0ELi256EdPKddEviiT2_lPKT1_lilS5_lilS2_lPT3_lili, .Lfunc_end82-_ZL20rocblas_gemvt_kernelILb0ELi256EdPKddEviiT2_lPKT1_lilS5_lilS2_lPT3_lili
                                        ; -- End function
	.section	.AMDGPU.csdata,"",@progbits
; Kernel info:
; codeLenInByte = 1312
; NumSgprs: 34
; NumVgprs: 14
; NumAgprs: 0
; TotalNumVgprs: 14
; ScratchSize: 0
; MemoryBound: 0
; FloatMode: 240
; IeeeMode: 1
; LDSByteSize: 2048 bytes/workgroup (compile time only)
; SGPRBlocks: 4
; VGPRBlocks: 1
; NumSGPRsForWavesPerEU: 34
; NumVGPRsForWavesPerEU: 14
; AccumOffset: 16
; Occupancy: 8
; WaveLimiterHint : 1
; COMPUTE_PGM_RSRC2:SCRATCH_EN: 0
; COMPUTE_PGM_RSRC2:USER_SGPR: 2
; COMPUTE_PGM_RSRC2:TRAP_HANDLER: 0
; COMPUTE_PGM_RSRC2:TGID_X_EN: 1
; COMPUTE_PGM_RSRC2:TGID_Y_EN: 0
; COMPUTE_PGM_RSRC2:TGID_Z_EN: 1
; COMPUTE_PGM_RSRC2:TIDIG_COMP_CNT: 0
; COMPUTE_PGM_RSRC3_GFX90A:ACCUM_OFFSET: 3
; COMPUTE_PGM_RSRC3_GFX90A:TG_SPLIT: 0
	.section	.text._ZL20rocblas_gemvt_kernelILb0ELi256EdddEviiT2_lPKT1_lilS3_lilS0_lPT3_lili,"axG",@progbits,_ZL20rocblas_gemvt_kernelILb0ELi256EdddEviiT2_lPKT1_lilS3_lilS0_lPT3_lili,comdat
	.globl	_ZL20rocblas_gemvt_kernelILb0ELi256EdddEviiT2_lPKT1_lilS3_lilS0_lPT3_lili ; -- Begin function _ZL20rocblas_gemvt_kernelILb0ELi256EdddEviiT2_lPKT1_lilS3_lilS0_lPT3_lili
	.p2align	8
	.type	_ZL20rocblas_gemvt_kernelILb0ELi256EdddEviiT2_lPKT1_lilS3_lilS0_lPT3_lili,@function
_ZL20rocblas_gemvt_kernelILb0ELi256EdddEviiT2_lPKT1_lilS3_lilS0_lPT3_lili: ; @_ZL20rocblas_gemvt_kernelILb0ELi256EdddEviiT2_lPKT1_lilS3_lilS0_lPT3_lili
; %bb.0:
	s_load_dwordx2 s[12:13], s[0:1], 0x8
	s_load_dwordx4 s[8:11], s[0:1], 0x50
	s_waitcnt lgkmcnt(0)
	v_cmp_eq_f64_e64 s[4:5], s[12:13], 0
	v_cmp_eq_f64_e64 s[6:7], s[10:11], 1.0
	s_and_b64 s[4:5], s[4:5], s[6:7]
	s_and_b64 vcc, exec, s[4:5]
	s_cbranch_vccnz .LBB83_36
; %bb.1:
	s_load_dwordx2 s[14:15], s[0:1], 0x80
	s_load_dwordx4 s[4:7], s[0:1], 0x68
	s_load_dword s24, s[0:1], 0x78
	s_waitcnt lgkmcnt(0)
	s_mul_i32 s15, s3, s15
	s_mul_hi_u32 s16, s3, s14
	s_mul_i32 s14, s3, s14
	s_add_i32 s15, s16, s15
	s_lshl_b64 s[14:15], s[14:15], 3
	s_add_u32 s14, s4, s14
	s_addc_u32 s15, s5, s15
	s_lshl_b64 s[4:5], s[6:7], 3
	s_add_u32 s22, s14, s4
	s_addc_u32 s23, s15, s5
	v_cmp_neq_f64_e64 s[4:5], s[12:13], 0
	s_mov_b64 s[14:15], 0
	s_and_b64 vcc, exec, s[4:5]
	v_cmp_eq_u32_e64 s[4:5], 0, v0
	s_cbranch_vccnz .LBB83_6
; %bb.2:
	s_mov_b64 s[16:17], 0
                                        ; implicit-def: $vgpr2_vgpr3
                                        ; implicit-def: $sgpr6_sgpr7
	s_and_saveexec_b64 s[18:19], s[4:5]
	s_cbranch_execz .LBB83_7
; %bb.3:
	v_cmp_eq_f64_e64 s[4:5], s[10:11], 0
	v_mov_b64_e32 v[2:3], 0
	s_mul_hi_i32 s7, s24, s2
	s_mul_i32 s6, s24, s2
	s_and_b64 vcc, exec, s[4:5]
	s_cbranch_vccnz .LBB83_5
; %bb.4:
	s_lshl_b64 s[4:5], s[6:7], 3
	s_add_u32 s4, s22, s4
	s_addc_u32 s5, s23, s5
	s_load_dwordx2 s[4:5], s[4:5], 0x0
	v_mov_b64_e32 v[2:3], s[10:11]
	s_waitcnt lgkmcnt(0)
	v_mul_f64 v[2:3], s[4:5], v[2:3]
.LBB83_5:
	s_mov_b64 s[14:15], exec
	s_or_b64 exec, exec, s[18:19]
	s_and_b64 vcc, exec, s[16:17]
	s_cbranch_vccnz .LBB83_8
	s_branch .LBB83_34
.LBB83_6:
                                        ; implicit-def: $vgpr2_vgpr3
                                        ; implicit-def: $sgpr6_sgpr7
	s_cbranch_execnz .LBB83_8
	s_branch .LBB83_34
.LBB83_7:
	s_or_b64 exec, exec, s[18:19]
	s_and_b64 vcc, exec, s[16:17]
	s_cbranch_vccz .LBB83_34
.LBB83_8:
	s_load_dword s25, s[0:1], 0x0
	s_load_dwordx4 s[28:31], s[0:1], 0x18
	s_load_dword s18, s[0:1], 0x28
	s_load_dwordx4 s[4:7], s[0:1], 0x30
	s_load_dwordx2 s[16:17], s[0:1], 0x40
	s_mul_i32 s9, s3, s9
	s_load_dword s0, s[0:1], 0x48
	s_mul_hi_u32 s19, s3, s8
	s_waitcnt lgkmcnt(0)
	s_mul_i32 s1, s3, s5
	s_mul_hi_u32 s5, s3, s4
	s_add_i32 s5, s5, s1
	s_mul_i32 s4, s3, s4
	s_add_i32 s9, s19, s9
	s_lshl_b64 s[4:5], s[4:5], 3
	s_add_u32 s1, s28, s4
	s_mul_i32 s8, s3, s8
	s_addc_u32 s3, s29, s5
	s_lshl_b64 s[4:5], s[30:31], 3
	s_add_u32 s1, s1, s4
	s_addc_u32 s19, s3, s5
	s_mul_hi_i32 s5, s18, s2
	s_mul_i32 s4, s18, s2
	s_lshl_b64 s[4:5], s[4:5], 3
	s_add_u32 s4, s4, s1
	v_cmp_gt_i32_e32 vcc, s25, v0
	s_addc_u32 s5, s5, s19
	s_ashr_i32 s1, s25, 31
	v_cndmask_b32_e32 v1, 0, v0, vcc
	s_lshr_b32 s1, s1, 24
	v_lshlrev_b32_e32 v2, 3, v1
	v_mov_b32_e32 v3, 0
	s_add_i32 s1, s25, s1
	v_lshl_add_u64 v[2:3], s[4:5], 0, v[2:3]
	s_and_b32 s4, s1, 0xffffff00
	s_mov_b32 s3, 0
	s_cmpk_lt_i32 s25, 0x100
	v_mov_b64_e32 v[4:5], 0
	s_cbranch_scc1 .LBB83_11
; %bb.9:
	v_mad_i64_i32 v[4:5], s[20:21], s0, v0, 0
	s_ashr_i32 s1, s0, 31
	s_lshl_b64 s[18:19], s[8:9], 3
	s_lshl_b64 s[20:21], s[16:17], 3
	s_add_u32 s5, s6, s20
	s_addc_u32 s20, s7, s21
	s_add_u32 s18, s5, s18
	s_addc_u32 s19, s20, s19
	v_lshl_add_u64 v[6:7], v[4:5], 3, s[18:19]
	s_lshl_b64 s[18:19], s[0:1], 11
	v_mov_b64_e32 v[4:5], 0
	s_mov_b64 s[20:21], 0x800
	v_mov_b64_e32 v[8:9], v[2:3]
.LBB83_10:                              ; =>This Inner Loop Header: Depth=1
	global_load_dwordx2 v[10:11], v[8:9], off
	global_load_dwordx2 v[12:13], v[6:7], off
	s_addk_i32 s3, 0x100
	v_lshl_add_u64 v[6:7], v[6:7], 0, s[18:19]
	v_lshl_add_u64 v[8:9], v[8:9], 0, s[20:21]
	s_cmp_ge_i32 s3, s4
	s_waitcnt vmcnt(0)
	v_fmac_f64_e32 v[4:5], v[10:11], v[12:13]
	s_cbranch_scc0 .LBB83_10
.LBB83_11:
	v_add_u32_e32 v1, s4, v0
	v_cmp_gt_i32_e32 vcc, s25, v1
	s_and_saveexec_b64 s[18:19], vcc
	s_cbranch_execz .LBB83_13
; %bb.12:
	s_lshl_b64 s[8:9], s[8:9], 3
	s_add_u32 s1, s6, s8
	s_addc_u32 s3, s7, s9
	s_lshl_b64 s[6:7], s[16:17], 3
	s_add_u32 s6, s1, s6
	s_addc_u32 s7, s3, s7
	s_ashr_i32 s5, s4, 31
	v_mad_i64_i32 v[6:7], s[0:1], s0, v1, 0
	v_lshl_add_u64 v[2:3], s[4:5], 3, v[2:3]
	v_lshl_add_u64 v[6:7], v[6:7], 3, s[6:7]
	global_load_dwordx2 v[2:3], v[2:3], off
	s_nop 0
	global_load_dwordx2 v[6:7], v[6:7], off
	s_waitcnt vmcnt(0)
	v_fmac_f64_e32 v[4:5], v[2:3], v[6:7]
.LBB83_13:
	s_or_b64 exec, exec, s[18:19]
	s_movk_i32 s0, 0x80
	v_lshlrev_b32_e32 v1, 3, v0
	v_cmp_gt_u32_e32 vcc, s0, v0
	ds_write_b64 v1, v[4:5]
	s_waitcnt lgkmcnt(0)
	s_barrier
	s_and_saveexec_b64 s[0:1], vcc
	s_cbranch_execz .LBB83_15
; %bb.14:
	ds_read2st64_b64 v[2:5], v1 offset1:2
	s_waitcnt lgkmcnt(0)
	v_add_f64 v[2:3], v[4:5], v[2:3]
	ds_write_b64 v1, v[2:3]
.LBB83_15:
	s_or_b64 exec, exec, s[0:1]
	v_cmp_gt_u32_e32 vcc, 64, v0
	s_waitcnt lgkmcnt(0)
	s_barrier
	s_and_saveexec_b64 s[0:1], vcc
	s_cbranch_execz .LBB83_17
; %bb.16:
	ds_read2st64_b64 v[2:5], v1 offset1:1
	s_waitcnt lgkmcnt(0)
	v_add_f64 v[2:3], v[4:5], v[2:3]
	ds_write_b64 v1, v[2:3]
.LBB83_17:
	s_or_b64 exec, exec, s[0:1]
	v_cmp_gt_u32_e32 vcc, 32, v0
	s_waitcnt lgkmcnt(0)
	s_barrier
	s_and_saveexec_b64 s[0:1], vcc
	s_cbranch_execz .LBB83_19
; %bb.18:
	ds_read2_b64 v[2:5], v1 offset1:32
	s_waitcnt lgkmcnt(0)
	v_add_f64 v[2:3], v[4:5], v[2:3]
	ds_write_b64 v1, v[2:3]
.LBB83_19:
	s_or_b64 exec, exec, s[0:1]
	v_cmp_gt_u32_e32 vcc, 16, v0
	s_waitcnt lgkmcnt(0)
	s_barrier
	s_and_saveexec_b64 s[0:1], vcc
	s_cbranch_execz .LBB83_21
; %bb.20:
	ds_read2_b64 v[2:5], v1 offset1:16
	s_waitcnt lgkmcnt(0)
	v_add_f64 v[2:3], v[4:5], v[2:3]
	ds_write_b64 v1, v[2:3]
.LBB83_21:
	;; [unrolled: 12-line block ×5, first 2 shown]
	s_or_b64 exec, exec, s[0:1]
	v_cmp_eq_u32_e32 vcc, 0, v0
	s_waitcnt lgkmcnt(0)
	s_barrier
	s_and_saveexec_b64 s[0:1], vcc
	s_cbranch_execz .LBB83_29
; %bb.28:
	v_mov_b32_e32 v4, 0
	ds_read_b128 v[0:3], v4
	s_waitcnt lgkmcnt(0)
	v_add_f64 v[0:1], v[2:3], v[0:1]
	ds_write_b64 v4, v[0:1]
.LBB83_29:
	s_or_b64 exec, exec, s[0:1]
	s_waitcnt lgkmcnt(0)
	s_barrier
	s_waitcnt lgkmcnt(0)
                                        ; implicit-def: $vgpr2_vgpr3
                                        ; implicit-def: $sgpr6_sgpr7
	s_and_saveexec_b64 s[0:1], vcc
	s_cbranch_execz .LBB83_33
; %bb.30:
	v_mov_b32_e32 v0, 0
	ds_read_b64 v[0:1], v0
	v_cmp_eq_f64_e64 s[4:5], s[10:11], 0
	s_mul_hi_i32 s7, s24, s2
	s_mul_i32 s6, s24, s2
	s_and_b64 vcc, exec, s[4:5]
	s_waitcnt lgkmcnt(0)
	v_mul_f64 v[2:3], v[0:1], s[12:13]
	s_cbranch_vccnz .LBB83_32
; %bb.31:
	s_lshl_b64 s[2:3], s[6:7], 3
	s_add_u32 s2, s22, s2
	s_addc_u32 s3, s23, s3
	s_load_dwordx2 s[2:3], s[2:3], 0x0
	v_mov_b64_e32 v[0:1], s[10:11]
	s_waitcnt lgkmcnt(0)
	v_fmac_f64_e32 v[2:3], s[2:3], v[0:1]
.LBB83_32:
	s_or_b64 s[14:15], s[14:15], exec
.LBB83_33:
	s_or_b64 exec, exec, s[0:1]
.LBB83_34:
	s_and_saveexec_b64 s[0:1], s[14:15]
	s_cbranch_execz .LBB83_36
; %bb.35:
	s_lshl_b64 s[0:1], s[6:7], 3
	s_add_u32 s0, s22, s0
	s_addc_u32 s1, s23, s1
	v_mov_b32_e32 v0, 0
	global_store_dwordx2 v0, v[2:3], s[0:1]
.LBB83_36:
	s_endpgm
	.section	.rodata,"a",@progbits
	.p2align	6, 0x0
	.amdhsa_kernel _ZL20rocblas_gemvt_kernelILb0ELi256EdddEviiT2_lPKT1_lilS3_lilS0_lPT3_lili
		.amdhsa_group_segment_fixed_size 2048
		.amdhsa_private_segment_fixed_size 0
		.amdhsa_kernarg_size 140
		.amdhsa_user_sgpr_count 2
		.amdhsa_user_sgpr_dispatch_ptr 0
		.amdhsa_user_sgpr_queue_ptr 0
		.amdhsa_user_sgpr_kernarg_segment_ptr 1
		.amdhsa_user_sgpr_dispatch_id 0
		.amdhsa_user_sgpr_kernarg_preload_length 0
		.amdhsa_user_sgpr_kernarg_preload_offset 0
		.amdhsa_user_sgpr_private_segment_size 0
		.amdhsa_uses_dynamic_stack 0
		.amdhsa_enable_private_segment 0
		.amdhsa_system_sgpr_workgroup_id_x 1
		.amdhsa_system_sgpr_workgroup_id_y 0
		.amdhsa_system_sgpr_workgroup_id_z 1
		.amdhsa_system_sgpr_workgroup_info 0
		.amdhsa_system_vgpr_workitem_id 0
		.amdhsa_next_free_vgpr 14
		.amdhsa_next_free_sgpr 32
		.amdhsa_accum_offset 16
		.amdhsa_reserve_vcc 1
		.amdhsa_float_round_mode_32 0
		.amdhsa_float_round_mode_16_64 0
		.amdhsa_float_denorm_mode_32 3
		.amdhsa_float_denorm_mode_16_64 3
		.amdhsa_dx10_clamp 1
		.amdhsa_ieee_mode 1
		.amdhsa_fp16_overflow 0
		.amdhsa_tg_split 0
		.amdhsa_exception_fp_ieee_invalid_op 0
		.amdhsa_exception_fp_denorm_src 0
		.amdhsa_exception_fp_ieee_div_zero 0
		.amdhsa_exception_fp_ieee_overflow 0
		.amdhsa_exception_fp_ieee_underflow 0
		.amdhsa_exception_fp_ieee_inexact 0
		.amdhsa_exception_int_div_zero 0
	.end_amdhsa_kernel
	.section	.text._ZL20rocblas_gemvt_kernelILb0ELi256EdddEviiT2_lPKT1_lilS3_lilS0_lPT3_lili,"axG",@progbits,_ZL20rocblas_gemvt_kernelILb0ELi256EdddEviiT2_lPKT1_lilS3_lilS0_lPT3_lili,comdat
.Lfunc_end83:
	.size	_ZL20rocblas_gemvt_kernelILb0ELi256EdddEviiT2_lPKT1_lilS3_lilS0_lPT3_lili, .Lfunc_end83-_ZL20rocblas_gemvt_kernelILb0ELi256EdddEviiT2_lPKT1_lilS3_lilS0_lPT3_lili
                                        ; -- End function
	.section	.AMDGPU.csdata,"",@progbits
; Kernel info:
; codeLenInByte = 1244
; NumSgprs: 38
; NumVgprs: 14
; NumAgprs: 0
; TotalNumVgprs: 14
; ScratchSize: 0
; MemoryBound: 0
; FloatMode: 240
; IeeeMode: 1
; LDSByteSize: 2048 bytes/workgroup (compile time only)
; SGPRBlocks: 4
; VGPRBlocks: 1
; NumSGPRsForWavesPerEU: 38
; NumVGPRsForWavesPerEU: 14
; AccumOffset: 16
; Occupancy: 8
; WaveLimiterHint : 1
; COMPUTE_PGM_RSRC2:SCRATCH_EN: 0
; COMPUTE_PGM_RSRC2:USER_SGPR: 2
; COMPUTE_PGM_RSRC2:TRAP_HANDLER: 0
; COMPUTE_PGM_RSRC2:TGID_X_EN: 1
; COMPUTE_PGM_RSRC2:TGID_Y_EN: 0
; COMPUTE_PGM_RSRC2:TGID_Z_EN: 1
; COMPUTE_PGM_RSRC2:TIDIG_COMP_CNT: 0
; COMPUTE_PGM_RSRC3_GFX90A:ACCUM_OFFSET: 3
; COMPUTE_PGM_RSRC3_GFX90A:TG_SPLIT: 0
	.section	.text._ZL32rocblas_gemvt_warp_reduce_kernelILb0ELi1024EidPKddEviiT3_lPKT2_lT1_lS5_lS6_lS2_lPT4_lS6_li,"axG",@progbits,_ZL32rocblas_gemvt_warp_reduce_kernelILb0ELi1024EidPKddEviiT3_lPKT2_lT1_lS5_lS6_lS2_lPT4_lS6_li,comdat
	.globl	_ZL32rocblas_gemvt_warp_reduce_kernelILb0ELi1024EidPKddEviiT3_lPKT2_lT1_lS5_lS6_lS2_lPT4_lS6_li ; -- Begin function _ZL32rocblas_gemvt_warp_reduce_kernelILb0ELi1024EidPKddEviiT3_lPKT2_lT1_lS5_lS6_lS2_lPT4_lS6_li
	.p2align	8
	.type	_ZL32rocblas_gemvt_warp_reduce_kernelILb0ELi1024EidPKddEviiT3_lPKT2_lT1_lS5_lS6_lS2_lPT4_lS6_li,@function
_ZL32rocblas_gemvt_warp_reduce_kernelILb0ELi1024EidPKddEviiT3_lPKT2_lT1_lS5_lS6_lS2_lPT4_lS6_li: ; @_ZL32rocblas_gemvt_warp_reduce_kernelILb0ELi1024EidPKddEviiT3_lPKT2_lT1_lS5_lS6_lS2_lPT4_lS6_li
; %bb.0:
	s_load_dwordx8 s[4:11], s[0:1], 0x8
	s_load_dwordx8 s[12:19], s[0:1], 0x50
	s_waitcnt lgkmcnt(0)
	s_mul_i32 s7, s3, s7
	s_mul_hi_u32 s20, s3, s6
	s_add_i32 s7, s20, s7
	s_mul_i32 s6, s3, s6
	s_lshl_b64 s[6:7], s[6:7], 3
	s_add_u32 s4, s4, s6
	s_addc_u32 s5, s5, s7
	s_load_dwordx2 s[20:21], s[4:5], 0x0
	s_mul_i32 s4, s3, s17
	s_mul_hi_u32 s5, s3, s16
	s_add_i32 s5, s5, s4
	s_mul_i32 s4, s3, s16
	s_lshl_b64 s[4:5], s[4:5], 3
	s_add_u32 s4, s14, s4
	s_addc_u32 s5, s15, s5
	s_load_dwordx2 s[6:7], s[4:5], 0x0
	s_waitcnt lgkmcnt(0)
	v_cmp_eq_f64_e64 s[4:5], s[20:21], 0
	v_cmp_eq_f64_e64 s[14:15], s[6:7], 1.0
	s_and_b64 s[4:5], s[4:5], s[14:15]
	s_and_b64 vcc, exec, s[4:5]
	s_cbranch_vccnz .LBB84_29
; %bb.1:
	s_load_dwordx2 s[4:5], s[0:1], 0x80
	s_load_dwordx2 s[14:15], s[0:1], 0x70
	s_load_dword s26, s[0:1], 0x78
	s_waitcnt lgkmcnt(0)
	s_mul_i32 s5, s3, s5
	s_mul_hi_u32 s16, s3, s4
	s_mul_i32 s4, s3, s4
	s_add_i32 s5, s16, s5
	s_lshl_b64 s[4:5], s[4:5], 3
	s_add_u32 s16, s18, s4
	s_addc_u32 s17, s19, s5
	s_lshl_b64 s[4:5], s[14:15], 3
	s_add_u32 s24, s16, s4
	s_addc_u32 s25, s17, s5
	v_cmp_neq_f64_e64 s[4:5], s[20:21], 0
	s_mov_b64 s[14:15], 0
	s_and_b64 vcc, exec, s[4:5]
	v_cmp_eq_u32_e64 s[4:5], 0, v0
	s_cbranch_vccnz .LBB84_6
; %bb.2:
	s_mov_b64 s[18:19], 0
                                        ; implicit-def: $vgpr2_vgpr3
                                        ; implicit-def: $sgpr16_sgpr17
	s_and_saveexec_b64 s[22:23], s[4:5]
	s_cbranch_execz .LBB84_7
; %bb.3:
	v_cmp_eq_f64_e64 s[4:5], s[6:7], 0
	s_mul_i32 s16, s2, s26
	v_mov_b64_e32 v[2:3], 0
	s_ashr_i32 s17, s16, 31
	s_and_b64 vcc, exec, s[4:5]
	s_cbranch_vccnz .LBB84_5
; %bb.4:
	s_lshl_b64 s[4:5], s[16:17], 3
	s_add_u32 s4, s24, s4
	s_addc_u32 s5, s25, s5
	s_load_dwordx2 s[4:5], s[4:5], 0x0
	s_waitcnt lgkmcnt(0)
	v_mov_b64_e32 v[2:3], s[4:5]
	v_mul_f64 v[2:3], s[6:7], v[2:3]
.LBB84_5:
	s_mov_b64 s[14:15], exec
	s_or_b64 exec, exec, s[22:23]
	s_and_b64 vcc, exec, s[18:19]
	s_cbranch_vccnz .LBB84_8
	s_branch .LBB84_27
.LBB84_6:
                                        ; implicit-def: $vgpr2_vgpr3
                                        ; implicit-def: $sgpr16_sgpr17
	s_cbranch_execnz .LBB84_8
	s_branch .LBB84_27
.LBB84_7:
	s_or_b64 exec, exec, s[22:23]
	s_and_b64 vcc, exec, s[18:19]
	s_cbranch_vccz .LBB84_27
.LBB84_8:
	s_load_dword s16, s[0:1], 0x0
	s_load_dword s18, s[0:1], 0x28
	s_load_dwordx4 s[28:31], s[0:1], 0x30
	s_load_dwordx2 s[4:5], s[0:1], 0x40
	s_mul_i32 s13, s3, s13
	s_mul_hi_u32 s17, s3, s12
	s_add_i32 s13, s17, s13
	s_mul_i32 s12, s3, s12
	s_lshl_b64 s[12:13], s[12:13], 3
	s_waitcnt lgkmcnt(0)
	s_add_u32 s12, s30, s12
	s_addc_u32 s13, s31, s13
	s_lshl_b64 s[4:5], s[4:5], 3
	s_add_u32 s4, s12, s4
	s_load_dword s17, s[0:1], 0x48
	s_mul_i32 s0, s3, s29
	s_mul_hi_u32 s1, s3, s28
	s_addc_u32 s5, s13, s5
	s_add_i32 s1, s1, s0
	s_mul_i32 s0, s3, s28
	s_lshl_b64 s[0:1], s[0:1], 3
	s_add_u32 s3, s8, s0
	s_addc_u32 s8, s9, s1
	s_lshl_b64 s[0:1], s[10:11], 3
	s_add_u32 s3, s3, s0
	s_mul_i32 s0, s2, s18
	s_addc_u32 s8, s8, s1
	s_ashr_i32 s1, s0, 31
	v_cmp_gt_i32_e32 vcc, s16, v0
	s_lshl_b64 s[0:1], s[0:1], 3
	s_add_u32 s0, s0, s3
	v_cndmask_b32_e32 v1, 0, v0, vcc
	v_lshlrev_b32_e32 v2, 3, v1
	v_mov_b32_e32 v3, 0
	s_addc_u32 s1, s1, s8
	v_lshl_add_u64 v[4:5], s[0:1], 0, v[2:3]
	s_ashr_i32 s0, s16, 31
	s_lshr_b32 s0, s0, 22
	s_add_i32 s0, s16, s0
	s_and_b32 s0, s0, 0xfffffc00
	v_cmp_gt_i32_e32 vcc, s0, v0
	v_mov_b64_e32 v[2:3], 0
	s_and_saveexec_b64 s[8:9], vcc
	s_cbranch_execz .LBB84_12
; %bb.9:
	s_waitcnt lgkmcnt(0)
	v_mul_lo_u32 v6, v0, s17
	s_lshl_b32 s1, s17, 10
	s_mov_b64 s[10:11], 0
	v_mov_b64_e32 v[2:3], 0
	s_mov_b64 s[12:13], 0x2000
	v_mov_b64_e32 v[8:9], v[4:5]
	v_mov_b32_e32 v1, v0
.LBB84_10:                              ; =>This Inner Loop Header: Depth=1
	v_ashrrev_i32_e32 v7, 31, v6
	v_lshl_add_u64 v[12:13], v[6:7], 3, s[4:5]
	global_load_dwordx2 v[10:11], v[8:9], off
	v_add_u32_e32 v1, 0x400, v1
	global_load_dwordx2 v[12:13], v[12:13], off
	v_cmp_le_i32_e32 vcc, s0, v1
	v_lshl_add_u64 v[8:9], v[8:9], 0, s[12:13]
	v_add_u32_e32 v6, s1, v6
	s_or_b64 s[10:11], vcc, s[10:11]
	s_waitcnt vmcnt(0)
	v_fmac_f64_e32 v[2:3], v[10:11], v[12:13]
	s_andn2_b64 exec, exec, s[10:11]
	s_cbranch_execnz .LBB84_10
; %bb.11:
	s_or_b64 exec, exec, s[10:11]
.LBB84_12:
	s_or_b64 exec, exec, s[8:9]
	v_or_b32_e32 v1, s0, v0
	v_cmp_gt_i32_e32 vcc, s16, v1
	s_and_saveexec_b64 s[8:9], vcc
	s_cbranch_execz .LBB84_14
; %bb.13:
	s_waitcnt lgkmcnt(0)
	v_mul_lo_u32 v6, v1, s17
	s_ashr_i32 s1, s0, 31
	v_ashrrev_i32_e32 v7, 31, v6
	v_lshl_add_u64 v[4:5], s[0:1], 3, v[4:5]
	v_lshl_add_u64 v[6:7], v[6:7], 3, s[4:5]
	global_load_dwordx2 v[4:5], v[4:5], off
	s_nop 0
	global_load_dwordx2 v[6:7], v[6:7], off
	s_waitcnt vmcnt(0)
	v_fmac_f64_e32 v[2:3], v[4:5], v[6:7]
.LBB84_14:
	s_or_b64 exec, exec, s[8:9]
	v_and_b32_e32 v6, 63, v0
	v_cmp_gt_u32_e32 vcc, 64, v0
	v_lshlrev_b32_e32 v1, 3, v6
	s_and_saveexec_b64 s[0:1], vcc
	s_cbranch_execz .LBB84_16
; %bb.15:
	v_mov_b32_e32 v4, 0
	v_mov_b32_e32 v5, v4
	ds_write_b64 v1, v[4:5]
.LBB84_16:
	s_or_b64 exec, exec, s[0:1]
	v_mbcnt_lo_u32_b32 v4, -1, 0
	v_mbcnt_hi_u32_b32 v10, -1, v4
	v_and_b32_e32 v11, 63, v10
	v_cmp_gt_u32_e64 s[0:1], 32, v11
	s_waitcnt lgkmcnt(0)
	s_barrier
	v_cndmask_b32_e64 v4, 0, 1, s[0:1]
	v_lshlrev_b32_e32 v4, 5, v4
	v_add_lshl_u32 v5, v4, v10, 2
	ds_bpermute_b32 v4, v5, v2
	ds_bpermute_b32 v5, v5, v3
	v_cmp_gt_u32_e64 s[0:1], 48, v11
	s_waitcnt lgkmcnt(0)
	v_add_f64 v[2:3], v[2:3], v[4:5]
	v_cndmask_b32_e64 v7, 0, 1, s[0:1]
	v_lshlrev_b32_e32 v4, 4, v7
	v_add_lshl_u32 v5, v4, v10, 2
	ds_bpermute_b32 v4, v5, v2
	ds_bpermute_b32 v5, v5, v3
	v_cmp_gt_u32_e64 s[0:1], 56, v11
	s_waitcnt lgkmcnt(0)
	v_add_f64 v[2:3], v[2:3], v[4:5]
	;; [unrolled: 8-line block ×4, first 2 shown]
	v_cndmask_b32_e64 v4, 0, 1, s[0:1]
	v_lshlrev_b32_e32 v4, 1, v4
	v_add_lshl_u32 v9, v4, v10, 2
	ds_bpermute_b32 v4, v9, v2
	ds_bpermute_b32 v5, v9, v3
	v_cmp_ne_u32_e64 s[0:1], 63, v11
	s_waitcnt lgkmcnt(0)
	v_add_f64 v[2:3], v[2:3], v[4:5]
	v_addc_co_u32_e64 v4, s[0:1], 0, v10, s[0:1]
	v_lshlrev_b32_e32 v10, 2, v4
	ds_bpermute_b32 v4, v10, v2
	ds_bpermute_b32 v5, v10, v3
	v_cmp_eq_u32_e64 s[0:1], 0, v6
	s_and_saveexec_b64 s[4:5], s[0:1]
	s_cbranch_execz .LBB84_18
; %bb.17:
	v_lshrrev_b32_e32 v6, 3, v0
	v_and_b32_e32 v6, 0x78, v6
	s_waitcnt lgkmcnt(0)
	v_add_f64 v[2:3], v[2:3], v[4:5]
	ds_write_b64 v6, v[2:3]
.LBB84_18:
	s_or_b64 exec, exec, s[4:5]
	v_cmp_gt_u32_e64 s[0:1], 16, v0
	s_waitcnt lgkmcnt(0)
	v_mov_b64_e32 v[4:5], 0
	s_barrier
	s_and_saveexec_b64 s[4:5], s[0:1]
	s_cbranch_execz .LBB84_20
; %bb.19:
	ds_read_b64 v[4:5], v1
	s_or_b64 exec, exec, s[4:5]
	s_and_saveexec_b64 s[0:1], vcc
	s_cbranch_execz .LBB84_22
	s_branch .LBB84_21
.LBB84_20:
	s_or_b64 exec, exec, s[4:5]
	s_and_saveexec_b64 s[0:1], vcc
	s_cbranch_execz .LBB84_22
.LBB84_21:
	s_waitcnt lgkmcnt(0)
	ds_bpermute_b32 v2, v7, v4
	ds_bpermute_b32 v3, v7, v5
	s_waitcnt lgkmcnt(0)
	v_add_f64 v[2:3], v[4:5], v[2:3]
	ds_bpermute_b32 v4, v8, v2
	ds_bpermute_b32 v5, v8, v3
	s_waitcnt lgkmcnt(0)
	v_add_f64 v[2:3], v[2:3], v[4:5]
	;; [unrolled: 4-line block ×4, first 2 shown]
.LBB84_22:
	s_or_b64 exec, exec, s[0:1]
	v_cmp_eq_u32_e32 vcc, 0, v0
                                        ; implicit-def: $vgpr2_vgpr3
                                        ; implicit-def: $sgpr16_sgpr17
	s_and_saveexec_b64 s[0:1], vcc
	s_cbranch_execz .LBB84_26
; %bb.23:
	v_cmp_eq_f64_e64 s[4:5], s[6:7], 0
	s_mul_i32 s16, s2, s26
	s_waitcnt lgkmcnt(0)
	v_mul_f64 v[2:3], s[20:21], v[4:5]
	s_ashr_i32 s17, s16, 31
	s_and_b64 vcc, exec, s[4:5]
	s_cbranch_vccnz .LBB84_25
; %bb.24:
	s_lshl_b64 s[2:3], s[16:17], 3
	s_add_u32 s2, s24, s2
	s_addc_u32 s3, s25, s3
	s_load_dwordx2 s[2:3], s[2:3], 0x0
	s_waitcnt lgkmcnt(0)
	v_mov_b64_e32 v[0:1], s[2:3]
	v_fmac_f64_e32 v[2:3], s[6:7], v[0:1]
.LBB84_25:
	s_or_b64 s[14:15], s[14:15], exec
.LBB84_26:
	s_or_b64 exec, exec, s[0:1]
.LBB84_27:
	s_and_saveexec_b64 s[0:1], s[14:15]
	s_cbranch_execz .LBB84_29
; %bb.28:
	s_lshl_b64 s[0:1], s[16:17], 3
	s_add_u32 s0, s24, s0
	s_addc_u32 s1, s25, s1
	v_mov_b32_e32 v0, 0
	global_store_dwordx2 v0, v[2:3], s[0:1]
.LBB84_29:
	s_endpgm
	.section	.rodata,"a",@progbits
	.p2align	6, 0x0
	.amdhsa_kernel _ZL32rocblas_gemvt_warp_reduce_kernelILb0ELi1024EidPKddEviiT3_lPKT2_lT1_lS5_lS6_lS2_lPT4_lS6_li
		.amdhsa_group_segment_fixed_size 512
		.amdhsa_private_segment_fixed_size 0
		.amdhsa_kernarg_size 140
		.amdhsa_user_sgpr_count 2
		.amdhsa_user_sgpr_dispatch_ptr 0
		.amdhsa_user_sgpr_queue_ptr 0
		.amdhsa_user_sgpr_kernarg_segment_ptr 1
		.amdhsa_user_sgpr_dispatch_id 0
		.amdhsa_user_sgpr_kernarg_preload_length 0
		.amdhsa_user_sgpr_kernarg_preload_offset 0
		.amdhsa_user_sgpr_private_segment_size 0
		.amdhsa_uses_dynamic_stack 0
		.amdhsa_enable_private_segment 0
		.amdhsa_system_sgpr_workgroup_id_x 1
		.amdhsa_system_sgpr_workgroup_id_y 0
		.amdhsa_system_sgpr_workgroup_id_z 1
		.amdhsa_system_sgpr_workgroup_info 0
		.amdhsa_system_vgpr_workitem_id 0
		.amdhsa_next_free_vgpr 14
		.amdhsa_next_free_sgpr 32
		.amdhsa_accum_offset 16
		.amdhsa_reserve_vcc 1
		.amdhsa_float_round_mode_32 0
		.amdhsa_float_round_mode_16_64 0
		.amdhsa_float_denorm_mode_32 3
		.amdhsa_float_denorm_mode_16_64 3
		.amdhsa_dx10_clamp 1
		.amdhsa_ieee_mode 1
		.amdhsa_fp16_overflow 0
		.amdhsa_tg_split 0
		.amdhsa_exception_fp_ieee_invalid_op 0
		.amdhsa_exception_fp_denorm_src 0
		.amdhsa_exception_fp_ieee_div_zero 0
		.amdhsa_exception_fp_ieee_overflow 0
		.amdhsa_exception_fp_ieee_underflow 0
		.amdhsa_exception_fp_ieee_inexact 0
		.amdhsa_exception_int_div_zero 0
	.end_amdhsa_kernel
	.section	.text._ZL32rocblas_gemvt_warp_reduce_kernelILb0ELi1024EidPKddEviiT3_lPKT2_lT1_lS5_lS6_lS2_lPT4_lS6_li,"axG",@progbits,_ZL32rocblas_gemvt_warp_reduce_kernelILb0ELi1024EidPKddEviiT3_lPKT2_lT1_lS5_lS6_lS2_lPT4_lS6_li,comdat
.Lfunc_end84:
	.size	_ZL32rocblas_gemvt_warp_reduce_kernelILb0ELi1024EidPKddEviiT3_lPKT2_lT1_lS5_lS6_lS2_lPT4_lS6_li, .Lfunc_end84-_ZL32rocblas_gemvt_warp_reduce_kernelILb0ELi1024EidPKddEviiT3_lPKT2_lT1_lS5_lS6_lS2_lPT4_lS6_li
                                        ; -- End function
	.section	.AMDGPU.csdata,"",@progbits
; Kernel info:
; codeLenInByte = 1488
; NumSgprs: 38
; NumVgprs: 14
; NumAgprs: 0
; TotalNumVgprs: 14
; ScratchSize: 0
; MemoryBound: 0
; FloatMode: 240
; IeeeMode: 1
; LDSByteSize: 512 bytes/workgroup (compile time only)
; SGPRBlocks: 4
; VGPRBlocks: 1
; NumSGPRsForWavesPerEU: 38
; NumVGPRsForWavesPerEU: 14
; AccumOffset: 16
; Occupancy: 8
; WaveLimiterHint : 1
; COMPUTE_PGM_RSRC2:SCRATCH_EN: 0
; COMPUTE_PGM_RSRC2:USER_SGPR: 2
; COMPUTE_PGM_RSRC2:TRAP_HANDLER: 0
; COMPUTE_PGM_RSRC2:TGID_X_EN: 1
; COMPUTE_PGM_RSRC2:TGID_Y_EN: 0
; COMPUTE_PGM_RSRC2:TGID_Z_EN: 1
; COMPUTE_PGM_RSRC2:TIDIG_COMP_CNT: 0
; COMPUTE_PGM_RSRC3_GFX90A:ACCUM_OFFSET: 3
; COMPUTE_PGM_RSRC3_GFX90A:TG_SPLIT: 0
	.section	.text._ZL32rocblas_gemvt_warp_reduce_kernelILb0ELi1024EldPKddEviiT3_lPKT2_lT1_lS5_lS6_lS2_lPT4_lS6_li,"axG",@progbits,_ZL32rocblas_gemvt_warp_reduce_kernelILb0ELi1024EldPKddEviiT3_lPKT2_lT1_lS5_lS6_lS2_lPT4_lS6_li,comdat
	.globl	_ZL32rocblas_gemvt_warp_reduce_kernelILb0ELi1024EldPKddEviiT3_lPKT2_lT1_lS5_lS6_lS2_lPT4_lS6_li ; -- Begin function _ZL32rocblas_gemvt_warp_reduce_kernelILb0ELi1024EldPKddEviiT3_lPKT2_lT1_lS5_lS6_lS2_lPT4_lS6_li
	.p2align	8
	.type	_ZL32rocblas_gemvt_warp_reduce_kernelILb0ELi1024EldPKddEviiT3_lPKT2_lT1_lS5_lS6_lS2_lPT4_lS6_li,@function
_ZL32rocblas_gemvt_warp_reduce_kernelILb0ELi1024EldPKddEviiT3_lPKT2_lT1_lS5_lS6_lS2_lPT4_lS6_li: ; @_ZL32rocblas_gemvt_warp_reduce_kernelILb0ELi1024EldPKddEviiT3_lPKT2_lT1_lS5_lS6_lS2_lPT4_lS6_li
; %bb.0:
	s_load_dwordx16 s[36:51], s[0:1], 0x8
	s_load_dwordx16 s[8:23], s[0:1], 0x48
	s_waitcnt lgkmcnt(0)
	s_mul_i32 s4, s3, s39
	s_mul_hi_u32 s5, s3, s38
	s_add_i32 s5, s5, s4
	s_mul_i32 s4, s3, s38
	s_lshl_b64 s[4:5], s[4:5], 3
	s_add_u32 s4, s36, s4
	s_addc_u32 s5, s37, s5
	s_load_dwordx2 s[24:25], s[4:5], 0x0
	s_mul_i32 s4, s3, s15
	s_mul_hi_u32 s5, s3, s14
	s_add_i32 s5, s5, s4
	s_mul_i32 s4, s3, s14
	s_lshl_b64 s[4:5], s[4:5], 3
	s_add_u32 s4, s12, s4
	s_addc_u32 s5, s13, s5
	s_load_dwordx2 s[6:7], s[4:5], 0x0
	s_waitcnt lgkmcnt(0)
	v_cmp_eq_f64_e64 s[4:5], s[24:25], 0
	v_cmp_eq_f64_e64 s[12:13], s[6:7], 1.0
	s_and_b64 s[4:5], s[4:5], s[12:13]
	s_and_b64 vcc, exec, s[4:5]
	s_cbranch_vccnz .LBB85_29
; %bb.1:
	s_mul_i32 s4, s3, s23
	s_mul_hi_u32 s5, s3, s22
	s_add_i32 s5, s5, s4
	s_mul_i32 s4, s3, s22
	s_lshl_b64 s[4:5], s[4:5], 3
	s_add_u32 s12, s16, s4
	s_addc_u32 s13, s17, s5
	s_lshl_b64 s[4:5], s[18:19], 3
	s_add_u32 s22, s12, s4
	s_addc_u32 s23, s13, s5
	v_cmp_neq_f64_e64 s[4:5], s[24:25], 0
	s_mov_b64 s[12:13], 0
	s_and_b64 vcc, exec, s[4:5]
	v_cmp_eq_u32_e64 s[4:5], 0, v0
	s_cbranch_vccnz .LBB85_6
; %bb.2:
	s_mov_b64 s[16:17], 0
                                        ; implicit-def: $vgpr2_vgpr3
                                        ; implicit-def: $sgpr14_sgpr15
	s_and_saveexec_b64 s[18:19], s[4:5]
	s_cbranch_execz .LBB85_7
; %bb.3:
	s_ashr_i32 s12, s2, 31
	s_mul_i32 s13, s2, s21
	s_mul_hi_u32 s14, s2, s20
	v_cmp_eq_f64_e64 s[4:5], s[6:7], 0
	s_add_i32 s13, s14, s13
	s_mul_i32 s12, s12, s20
	v_mov_b64_e32 v[2:3], 0
	s_add_i32 s15, s13, s12
	s_mul_i32 s14, s2, s20
	s_and_b64 vcc, exec, s[4:5]
	s_cbranch_vccnz .LBB85_5
; %bb.4:
	s_lshl_b64 s[4:5], s[14:15], 3
	s_add_u32 s4, s22, s4
	s_addc_u32 s5, s23, s5
	s_load_dwordx2 s[4:5], s[4:5], 0x0
	s_waitcnt lgkmcnt(0)
	v_mov_b64_e32 v[2:3], s[4:5]
	v_mul_f64 v[2:3], s[6:7], v[2:3]
.LBB85_5:
	s_mov_b64 s[12:13], exec
	s_or_b64 exec, exec, s[18:19]
	s_and_b64 vcc, exec, s[16:17]
	s_cbranch_vccnz .LBB85_8
	s_branch .LBB85_27
.LBB85_6:
                                        ; implicit-def: $vgpr2_vgpr3
                                        ; implicit-def: $sgpr14_sgpr15
	s_cbranch_execnz .LBB85_8
	s_branch .LBB85_27
.LBB85_7:
	s_or_b64 exec, exec, s[18:19]
	s_and_b64 vcc, exec, s[16:17]
	s_cbranch_vccz .LBB85_27
.LBB85_8:
	s_mul_i32 s4, s3, s11
	s_mul_hi_u32 s5, s3, s10
	s_add_i32 s5, s5, s4
	s_mul_i32 s4, s3, s10
	s_load_dword s1, s[0:1], 0x0
	s_mul_i32 s0, s3, s47
	s_mul_hi_u32 s10, s3, s46
	s_add_i32 s11, s10, s0
	s_mul_i32 s10, s3, s46
	s_lshl_b64 s[10:11], s[10:11], 3
	s_add_u32 s0, s40, s10
	s_addc_u32 s3, s41, s11
	s_lshl_b64 s[10:11], s[42:43], 3
	s_add_u32 s0, s0, s10
	s_addc_u32 s14, s3, s11
	s_ashr_i32 s3, s2, 31
	s_mul_i32 s10, s2, s45
	s_mul_hi_u32 s11, s2, s44
	s_add_i32 s10, s11, s10
	s_mul_i32 s11, s3, s44
	s_add_i32 s11, s10, s11
	s_mul_i32 s10, s2, s44
	s_lshl_b64 s[10:11], s[10:11], 3
	s_add_u32 s10, s10, s0
	s_addc_u32 s11, s11, s14
	s_waitcnt lgkmcnt(0)
	s_ashr_i32 s0, s1, 31
	v_cmp_gt_i32_e32 vcc, s1, v0
	s_lshr_b32 s0, s0, 22
	s_add_i32 s0, s1, s0
	v_cndmask_b32_e32 v1, 0, v0, vcc
	v_lshlrev_b32_e32 v2, 3, v1
	v_mov_b32_e32 v3, 0
	s_and_b32 s0, s0, 0xfffffc00
	v_lshl_add_u64 v[4:5], s[10:11], 0, v[2:3]
	v_cmp_gt_i32_e32 vcc, s0, v0
	v_mov_b64_e32 v[2:3], 0
	s_and_saveexec_b64 s[10:11], vcc
	s_cbranch_execz .LBB85_12
; %bb.9:
	v_mad_u64_u32 v[2:3], s[16:17], s8, v0, 0
	v_mov_b32_e32 v6, v3
	v_mad_u64_u32 v[6:7], s[16:17], s9, v0, v[6:7]
	s_lshl_b64 s[14:15], s[4:5], 3
	s_lshl_b64 s[16:17], s[50:51], 3
	s_add_u32 s16, s48, s16
	s_addc_u32 s17, s49, s17
	s_add_u32 s14, s16, s14
	v_mov_b32_e32 v3, v6
	s_addc_u32 s15, s17, s15
	v_lshl_add_u64 v[6:7], v[2:3], 3, s[14:15]
	s_lshl_b64 s[16:17], s[8:9], 13
	s_mov_b64 s[14:15], 0
	v_mov_b64_e32 v[2:3], 0
	s_mov_b64 s[18:19], 0x2000
	v_mov_b64_e32 v[8:9], v[4:5]
	v_mov_b32_e32 v1, v0
.LBB85_10:                              ; =>This Inner Loop Header: Depth=1
	global_load_dwordx2 v[10:11], v[8:9], off
	global_load_dwordx2 v[12:13], v[6:7], off
	v_add_u32_e32 v1, 0x400, v1
	v_cmp_le_i32_e32 vcc, s0, v1
	v_lshl_add_u64 v[8:9], v[8:9], 0, s[18:19]
	v_lshl_add_u64 v[6:7], v[6:7], 0, s[16:17]
	s_or_b64 s[14:15], vcc, s[14:15]
	s_waitcnt vmcnt(0)
	v_fmac_f64_e32 v[2:3], v[10:11], v[12:13]
	s_andn2_b64 exec, exec, s[14:15]
	s_cbranch_execnz .LBB85_10
; %bb.11:
	s_or_b64 exec, exec, s[14:15]
.LBB85_12:
	s_or_b64 exec, exec, s[10:11]
	v_or_b32_e32 v1, s0, v0
	v_cmp_gt_i32_e32 vcc, s1, v1
	s_and_saveexec_b64 s[10:11], vcc
	s_cbranch_execz .LBB85_14
; %bb.13:
	s_lshl_b64 s[4:5], s[4:5], 3
	s_add_u32 s1, s48, s4
	s_addc_u32 s14, s49, s5
	s_lshl_b64 s[4:5], s[50:51], 3
	s_add_u32 s4, s1, s4
	s_addc_u32 s5, s14, s5
	s_ashr_i32 s1, s0, 31
	v_ashrrev_i32_e32 v6, 31, v1
	v_lshl_add_u64 v[4:5], s[0:1], 3, v[4:5]
	v_mul_lo_u32 v8, v1, s9
	v_mul_lo_u32 v9, v6, s8
	v_mad_u64_u32 v[6:7], s[0:1], v1, s8, 0
	v_add3_u32 v7, v7, v8, v9
	v_lshl_add_u64 v[6:7], v[6:7], 3, s[4:5]
	global_load_dwordx2 v[4:5], v[4:5], off
	s_nop 0
	global_load_dwordx2 v[6:7], v[6:7], off
	s_waitcnt vmcnt(0)
	v_fmac_f64_e32 v[2:3], v[4:5], v[6:7]
.LBB85_14:
	s_or_b64 exec, exec, s[10:11]
	v_and_b32_e32 v6, 63, v0
	v_cmp_gt_u32_e32 vcc, 64, v0
	v_lshlrev_b32_e32 v1, 3, v6
	s_and_saveexec_b64 s[0:1], vcc
	s_cbranch_execz .LBB85_16
; %bb.15:
	v_mov_b32_e32 v4, 0
	v_mov_b32_e32 v5, v4
	ds_write_b64 v1, v[4:5]
.LBB85_16:
	s_or_b64 exec, exec, s[0:1]
	v_mbcnt_lo_u32_b32 v4, -1, 0
	v_mbcnt_hi_u32_b32 v10, -1, v4
	v_and_b32_e32 v11, 63, v10
	v_cmp_gt_u32_e64 s[0:1], 32, v11
	s_waitcnt lgkmcnt(0)
	s_barrier
	v_cndmask_b32_e64 v4, 0, 1, s[0:1]
	v_lshlrev_b32_e32 v4, 5, v4
	v_add_lshl_u32 v5, v4, v10, 2
	ds_bpermute_b32 v4, v5, v2
	ds_bpermute_b32 v5, v5, v3
	v_cmp_gt_u32_e64 s[0:1], 48, v11
	s_waitcnt lgkmcnt(0)
	v_add_f64 v[2:3], v[2:3], v[4:5]
	v_cndmask_b32_e64 v7, 0, 1, s[0:1]
	v_lshlrev_b32_e32 v4, 4, v7
	v_add_lshl_u32 v5, v4, v10, 2
	ds_bpermute_b32 v4, v5, v2
	ds_bpermute_b32 v5, v5, v3
	v_cmp_gt_u32_e64 s[0:1], 56, v11
	s_waitcnt lgkmcnt(0)
	v_add_f64 v[2:3], v[2:3], v[4:5]
	;; [unrolled: 8-line block ×4, first 2 shown]
	v_cndmask_b32_e64 v4, 0, 1, s[0:1]
	v_lshlrev_b32_e32 v4, 1, v4
	v_add_lshl_u32 v9, v4, v10, 2
	ds_bpermute_b32 v4, v9, v2
	ds_bpermute_b32 v5, v9, v3
	v_cmp_ne_u32_e64 s[0:1], 63, v11
	s_waitcnt lgkmcnt(0)
	v_add_f64 v[2:3], v[2:3], v[4:5]
	v_addc_co_u32_e64 v4, s[0:1], 0, v10, s[0:1]
	v_lshlrev_b32_e32 v10, 2, v4
	ds_bpermute_b32 v4, v10, v2
	ds_bpermute_b32 v5, v10, v3
	v_cmp_eq_u32_e64 s[0:1], 0, v6
	s_and_saveexec_b64 s[4:5], s[0:1]
	s_cbranch_execz .LBB85_18
; %bb.17:
	v_lshrrev_b32_e32 v6, 3, v0
	v_and_b32_e32 v6, 0x78, v6
	s_waitcnt lgkmcnt(0)
	v_add_f64 v[2:3], v[2:3], v[4:5]
	ds_write_b64 v6, v[2:3]
.LBB85_18:
	s_or_b64 exec, exec, s[4:5]
	v_cmp_gt_u32_e64 s[0:1], 16, v0
	s_waitcnt lgkmcnt(0)
	v_mov_b64_e32 v[4:5], 0
	s_barrier
	s_and_saveexec_b64 s[4:5], s[0:1]
	s_cbranch_execz .LBB85_20
; %bb.19:
	ds_read_b64 v[4:5], v1
	s_or_b64 exec, exec, s[4:5]
	s_and_saveexec_b64 s[0:1], vcc
	s_cbranch_execz .LBB85_22
	s_branch .LBB85_21
.LBB85_20:
	s_or_b64 exec, exec, s[4:5]
	s_and_saveexec_b64 s[0:1], vcc
	s_cbranch_execz .LBB85_22
.LBB85_21:
	s_waitcnt lgkmcnt(0)
	ds_bpermute_b32 v2, v7, v4
	ds_bpermute_b32 v3, v7, v5
	s_waitcnt lgkmcnt(0)
	v_add_f64 v[2:3], v[4:5], v[2:3]
	ds_bpermute_b32 v4, v8, v2
	ds_bpermute_b32 v5, v8, v3
	s_waitcnt lgkmcnt(0)
	v_add_f64 v[2:3], v[2:3], v[4:5]
	;; [unrolled: 4-line block ×4, first 2 shown]
.LBB85_22:
	s_or_b64 exec, exec, s[0:1]
	v_cmp_eq_u32_e32 vcc, 0, v0
                                        ; implicit-def: $vgpr2_vgpr3
                                        ; implicit-def: $sgpr14_sgpr15
	s_and_saveexec_b64 s[0:1], vcc
	s_cbranch_execz .LBB85_26
; %bb.23:
	s_mul_i32 s8, s2, s21
	s_mul_hi_u32 s9, s2, s20
	v_cmp_eq_f64_e64 s[4:5], s[6:7], 0
	s_add_i32 s8, s9, s8
	s_mul_i32 s3, s3, s20
	s_waitcnt lgkmcnt(0)
	v_mul_f64 v[2:3], s[24:25], v[4:5]
	s_add_i32 s15, s8, s3
	s_mul_i32 s14, s2, s20
	s_and_b64 vcc, exec, s[4:5]
	s_cbranch_vccnz .LBB85_25
; %bb.24:
	s_lshl_b64 s[2:3], s[14:15], 3
	s_add_u32 s2, s22, s2
	s_addc_u32 s3, s23, s3
	s_load_dwordx2 s[2:3], s[2:3], 0x0
	s_waitcnt lgkmcnt(0)
	v_mov_b64_e32 v[0:1], s[2:3]
	v_fmac_f64_e32 v[2:3], s[6:7], v[0:1]
.LBB85_25:
	s_or_b64 s[12:13], s[12:13], exec
.LBB85_26:
	s_or_b64 exec, exec, s[0:1]
.LBB85_27:
	s_and_saveexec_b64 s[0:1], s[12:13]
	s_cbranch_execz .LBB85_29
; %bb.28:
	s_lshl_b64 s[0:1], s[14:15], 3
	s_add_u32 s0, s22, s0
	s_addc_u32 s1, s23, s1
	v_mov_b32_e32 v0, 0
	global_store_dwordx2 v0, v[2:3], s[0:1]
.LBB85_29:
	s_endpgm
	.section	.rodata,"a",@progbits
	.p2align	6, 0x0
	.amdhsa_kernel _ZL32rocblas_gemvt_warp_reduce_kernelILb0ELi1024EldPKddEviiT3_lPKT2_lT1_lS5_lS6_lS2_lPT4_lS6_li
		.amdhsa_group_segment_fixed_size 512
		.amdhsa_private_segment_fixed_size 0
		.amdhsa_kernarg_size 140
		.amdhsa_user_sgpr_count 2
		.amdhsa_user_sgpr_dispatch_ptr 0
		.amdhsa_user_sgpr_queue_ptr 0
		.amdhsa_user_sgpr_kernarg_segment_ptr 1
		.amdhsa_user_sgpr_dispatch_id 0
		.amdhsa_user_sgpr_kernarg_preload_length 0
		.amdhsa_user_sgpr_kernarg_preload_offset 0
		.amdhsa_user_sgpr_private_segment_size 0
		.amdhsa_uses_dynamic_stack 0
		.amdhsa_enable_private_segment 0
		.amdhsa_system_sgpr_workgroup_id_x 1
		.amdhsa_system_sgpr_workgroup_id_y 0
		.amdhsa_system_sgpr_workgroup_id_z 1
		.amdhsa_system_sgpr_workgroup_info 0
		.amdhsa_system_vgpr_workitem_id 0
		.amdhsa_next_free_vgpr 14
		.amdhsa_next_free_sgpr 52
		.amdhsa_accum_offset 16
		.amdhsa_reserve_vcc 1
		.amdhsa_float_round_mode_32 0
		.amdhsa_float_round_mode_16_64 0
		.amdhsa_float_denorm_mode_32 3
		.amdhsa_float_denorm_mode_16_64 3
		.amdhsa_dx10_clamp 1
		.amdhsa_ieee_mode 1
		.amdhsa_fp16_overflow 0
		.amdhsa_tg_split 0
		.amdhsa_exception_fp_ieee_invalid_op 0
		.amdhsa_exception_fp_denorm_src 0
		.amdhsa_exception_fp_ieee_div_zero 0
		.amdhsa_exception_fp_ieee_overflow 0
		.amdhsa_exception_fp_ieee_underflow 0
		.amdhsa_exception_fp_ieee_inexact 0
		.amdhsa_exception_int_div_zero 0
	.end_amdhsa_kernel
	.section	.text._ZL32rocblas_gemvt_warp_reduce_kernelILb0ELi1024EldPKddEviiT3_lPKT2_lT1_lS5_lS6_lS2_lPT4_lS6_li,"axG",@progbits,_ZL32rocblas_gemvt_warp_reduce_kernelILb0ELi1024EldPKddEviiT3_lPKT2_lT1_lS5_lS6_lS2_lPT4_lS6_li,comdat
.Lfunc_end85:
	.size	_ZL32rocblas_gemvt_warp_reduce_kernelILb0ELi1024EldPKddEviiT3_lPKT2_lT1_lS5_lS6_lS2_lPT4_lS6_li, .Lfunc_end85-_ZL32rocblas_gemvt_warp_reduce_kernelILb0ELi1024EldPKddEviiT3_lPKT2_lT1_lS5_lS6_lS2_lPT4_lS6_li
                                        ; -- End function
	.section	.AMDGPU.csdata,"",@progbits
; Kernel info:
; codeLenInByte = 1540
; NumSgprs: 58
; NumVgprs: 14
; NumAgprs: 0
; TotalNumVgprs: 14
; ScratchSize: 0
; MemoryBound: 0
; FloatMode: 240
; IeeeMode: 1
; LDSByteSize: 512 bytes/workgroup (compile time only)
; SGPRBlocks: 7
; VGPRBlocks: 1
; NumSGPRsForWavesPerEU: 58
; NumVGPRsForWavesPerEU: 14
; AccumOffset: 16
; Occupancy: 8
; WaveLimiterHint : 0
; COMPUTE_PGM_RSRC2:SCRATCH_EN: 0
; COMPUTE_PGM_RSRC2:USER_SGPR: 2
; COMPUTE_PGM_RSRC2:TRAP_HANDLER: 0
; COMPUTE_PGM_RSRC2:TGID_X_EN: 1
; COMPUTE_PGM_RSRC2:TGID_Y_EN: 0
; COMPUTE_PGM_RSRC2:TGID_Z_EN: 1
; COMPUTE_PGM_RSRC2:TIDIG_COMP_CNT: 0
; COMPUTE_PGM_RSRC3_GFX90A:ACCUM_OFFSET: 3
; COMPUTE_PGM_RSRC3_GFX90A:TG_SPLIT: 0
	.section	.text._ZL32rocblas_gemvt_warp_reduce_kernelILb0ELi1024EidddEviiT3_lPKT2_lT1_lS3_lS4_lS0_lPT4_lS4_li,"axG",@progbits,_ZL32rocblas_gemvt_warp_reduce_kernelILb0ELi1024EidddEviiT3_lPKT2_lT1_lS3_lS4_lS0_lPT4_lS4_li,comdat
	.globl	_ZL32rocblas_gemvt_warp_reduce_kernelILb0ELi1024EidddEviiT3_lPKT2_lT1_lS3_lS4_lS0_lPT4_lS4_li ; -- Begin function _ZL32rocblas_gemvt_warp_reduce_kernelILb0ELi1024EidddEviiT3_lPKT2_lT1_lS3_lS4_lS0_lPT4_lS4_li
	.p2align	8
	.type	_ZL32rocblas_gemvt_warp_reduce_kernelILb0ELi1024EidddEviiT3_lPKT2_lT1_lS3_lS4_lS0_lPT4_lS4_li,@function
_ZL32rocblas_gemvt_warp_reduce_kernelILb0ELi1024EidddEviiT3_lPKT2_lT1_lS3_lS4_lS0_lPT4_lS4_li: ; @_ZL32rocblas_gemvt_warp_reduce_kernelILb0ELi1024EidddEviiT3_lPKT2_lT1_lS3_lS4_lS0_lPT4_lS4_li
; %bb.0:
	s_load_dwordx2 s[6:7], s[0:1], 0x8
	s_load_dwordx4 s[8:11], s[0:1], 0x50
	s_waitcnt lgkmcnt(0)
	v_cmp_eq_f64_e64 s[4:5], s[6:7], 0
	v_cmp_eq_f64_e64 s[12:13], s[10:11], 1.0
	s_and_b64 s[4:5], s[4:5], s[12:13]
	s_and_b64 vcc, exec, s[4:5]
	s_cbranch_vccnz .LBB86_29
; %bb.1:
	s_load_dwordx2 s[4:5], s[0:1], 0x80
	s_load_dwordx4 s[12:15], s[0:1], 0x68
	s_load_dword s22, s[0:1], 0x78
	s_waitcnt lgkmcnt(0)
	s_mul_i32 s5, s3, s5
	s_mul_hi_u32 s16, s3, s4
	s_mul_i32 s4, s3, s4
	s_add_i32 s5, s16, s5
	s_lshl_b64 s[4:5], s[4:5], 3
	s_add_u32 s12, s12, s4
	s_addc_u32 s13, s13, s5
	s_lshl_b64 s[4:5], s[14:15], 3
	s_add_u32 s20, s12, s4
	s_addc_u32 s21, s13, s5
	v_cmp_neq_f64_e64 s[4:5], s[6:7], 0
	s_mov_b64 s[12:13], 0
	s_and_b64 vcc, exec, s[4:5]
	v_cmp_eq_u32_e64 s[4:5], 0, v0
	s_cbranch_vccnz .LBB86_6
; %bb.2:
	s_mov_b64 s[16:17], 0
                                        ; implicit-def: $vgpr2_vgpr3
                                        ; implicit-def: $sgpr14_sgpr15
	s_and_saveexec_b64 s[18:19], s[4:5]
	s_cbranch_execz .LBB86_7
; %bb.3:
	v_cmp_eq_f64_e64 s[4:5], s[10:11], 0
	s_mul_i32 s14, s2, s22
	v_mov_b64_e32 v[2:3], 0
	s_ashr_i32 s15, s14, 31
	s_and_b64 vcc, exec, s[4:5]
	s_cbranch_vccnz .LBB86_5
; %bb.4:
	s_lshl_b64 s[4:5], s[14:15], 3
	s_add_u32 s4, s20, s4
	s_addc_u32 s5, s21, s5
	s_load_dwordx2 s[4:5], s[4:5], 0x0
	v_mov_b64_e32 v[2:3], s[10:11]
	s_waitcnt lgkmcnt(0)
	v_mul_f64 v[2:3], s[4:5], v[2:3]
.LBB86_5:
	s_mov_b64 s[12:13], exec
	s_or_b64 exec, exec, s[18:19]
	s_and_b64 vcc, exec, s[16:17]
	s_cbranch_vccnz .LBB86_8
	s_branch .LBB86_27
.LBB86_6:
                                        ; implicit-def: $vgpr2_vgpr3
                                        ; implicit-def: $sgpr14_sgpr15
	s_cbranch_execnz .LBB86_8
	s_branch .LBB86_27
.LBB86_7:
	s_or_b64 exec, exec, s[18:19]
	s_and_b64 vcc, exec, s[16:17]
	s_cbranch_vccz .LBB86_27
.LBB86_8:
	s_load_dword s18, s[0:1], 0x0
	s_load_dwordx4 s[24:27], s[0:1], 0x18
	s_load_dword s14, s[0:1], 0x28
	s_load_dwordx4 s[28:31], s[0:1], 0x30
	s_load_dwordx2 s[4:5], s[0:1], 0x40
	s_mul_i32 s9, s3, s9
	s_mul_hi_u32 s15, s3, s8
	s_add_i32 s9, s15, s9
	s_mul_i32 s8, s3, s8
	s_lshl_b64 s[8:9], s[8:9], 3
	s_waitcnt lgkmcnt(0)
	s_add_u32 s8, s30, s8
	s_addc_u32 s9, s31, s9
	s_lshl_b64 s[4:5], s[4:5], 3
	s_add_u32 s4, s8, s4
	s_load_dword s19, s[0:1], 0x48
	s_mul_i32 s0, s3, s29
	s_mul_hi_u32 s1, s3, s28
	s_addc_u32 s5, s9, s5
	s_add_i32 s1, s1, s0
	s_mul_i32 s0, s3, s28
	s_lshl_b64 s[0:1], s[0:1], 3
	s_add_u32 s3, s24, s0
	s_addc_u32 s8, s25, s1
	s_lshl_b64 s[0:1], s[26:27], 3
	s_add_u32 s3, s3, s0
	s_mul_i32 s0, s2, s14
	s_addc_u32 s8, s8, s1
	s_ashr_i32 s1, s0, 31
	v_cmp_gt_i32_e32 vcc, s18, v0
	s_lshl_b64 s[0:1], s[0:1], 3
	s_add_u32 s0, s0, s3
	v_cndmask_b32_e32 v1, 0, v0, vcc
	v_lshlrev_b32_e32 v2, 3, v1
	v_mov_b32_e32 v3, 0
	s_addc_u32 s1, s1, s8
	v_lshl_add_u64 v[4:5], s[0:1], 0, v[2:3]
	s_ashr_i32 s0, s18, 31
	s_lshr_b32 s0, s0, 22
	s_add_i32 s0, s18, s0
	s_and_b32 s0, s0, 0xfffffc00
	v_cmp_gt_i32_e32 vcc, s0, v0
	v_mov_b64_e32 v[2:3], 0
	s_and_saveexec_b64 s[8:9], vcc
	s_cbranch_execz .LBB86_12
; %bb.9:
	s_waitcnt lgkmcnt(0)
	v_mul_lo_u32 v6, v0, s19
	s_lshl_b32 s1, s19, 10
	s_mov_b64 s[14:15], 0
	v_mov_b64_e32 v[2:3], 0
	s_mov_b64 s[16:17], 0x2000
	v_mov_b64_e32 v[8:9], v[4:5]
	v_mov_b32_e32 v1, v0
.LBB86_10:                              ; =>This Inner Loop Header: Depth=1
	v_ashrrev_i32_e32 v7, 31, v6
	v_lshl_add_u64 v[12:13], v[6:7], 3, s[4:5]
	global_load_dwordx2 v[10:11], v[8:9], off
	v_add_u32_e32 v1, 0x400, v1
	global_load_dwordx2 v[12:13], v[12:13], off
	v_cmp_le_i32_e32 vcc, s0, v1
	v_lshl_add_u64 v[8:9], v[8:9], 0, s[16:17]
	v_add_u32_e32 v6, s1, v6
	s_or_b64 s[14:15], vcc, s[14:15]
	s_waitcnt vmcnt(0)
	v_fmac_f64_e32 v[2:3], v[10:11], v[12:13]
	s_andn2_b64 exec, exec, s[14:15]
	s_cbranch_execnz .LBB86_10
; %bb.11:
	s_or_b64 exec, exec, s[14:15]
.LBB86_12:
	s_or_b64 exec, exec, s[8:9]
	v_or_b32_e32 v1, s0, v0
	v_cmp_gt_i32_e32 vcc, s18, v1
	s_and_saveexec_b64 s[8:9], vcc
	s_cbranch_execz .LBB86_14
; %bb.13:
	s_waitcnt lgkmcnt(0)
	v_mul_lo_u32 v6, v1, s19
	s_ashr_i32 s1, s0, 31
	v_ashrrev_i32_e32 v7, 31, v6
	v_lshl_add_u64 v[4:5], s[0:1], 3, v[4:5]
	v_lshl_add_u64 v[6:7], v[6:7], 3, s[4:5]
	global_load_dwordx2 v[4:5], v[4:5], off
	s_nop 0
	global_load_dwordx2 v[6:7], v[6:7], off
	s_waitcnt vmcnt(0)
	v_fmac_f64_e32 v[2:3], v[4:5], v[6:7]
.LBB86_14:
	s_or_b64 exec, exec, s[8:9]
	v_and_b32_e32 v6, 63, v0
	v_cmp_gt_u32_e32 vcc, 64, v0
	v_lshlrev_b32_e32 v1, 3, v6
	s_and_saveexec_b64 s[0:1], vcc
	s_cbranch_execz .LBB86_16
; %bb.15:
	v_mov_b32_e32 v4, 0
	v_mov_b32_e32 v5, v4
	ds_write_b64 v1, v[4:5]
.LBB86_16:
	s_or_b64 exec, exec, s[0:1]
	v_mbcnt_lo_u32_b32 v4, -1, 0
	v_mbcnt_hi_u32_b32 v10, -1, v4
	v_and_b32_e32 v11, 63, v10
	v_cmp_gt_u32_e64 s[0:1], 32, v11
	s_waitcnt lgkmcnt(0)
	s_barrier
	v_cndmask_b32_e64 v4, 0, 1, s[0:1]
	v_lshlrev_b32_e32 v4, 5, v4
	v_add_lshl_u32 v5, v4, v10, 2
	ds_bpermute_b32 v4, v5, v2
	ds_bpermute_b32 v5, v5, v3
	v_cmp_gt_u32_e64 s[0:1], 48, v11
	s_waitcnt lgkmcnt(0)
	v_add_f64 v[2:3], v[2:3], v[4:5]
	v_cndmask_b32_e64 v7, 0, 1, s[0:1]
	v_lshlrev_b32_e32 v4, 4, v7
	v_add_lshl_u32 v5, v4, v10, 2
	ds_bpermute_b32 v4, v5, v2
	ds_bpermute_b32 v5, v5, v3
	v_cmp_gt_u32_e64 s[0:1], 56, v11
	s_waitcnt lgkmcnt(0)
	v_add_f64 v[2:3], v[2:3], v[4:5]
	;; [unrolled: 8-line block ×4, first 2 shown]
	v_cndmask_b32_e64 v4, 0, 1, s[0:1]
	v_lshlrev_b32_e32 v4, 1, v4
	v_add_lshl_u32 v9, v4, v10, 2
	ds_bpermute_b32 v4, v9, v2
	ds_bpermute_b32 v5, v9, v3
	v_cmp_ne_u32_e64 s[0:1], 63, v11
	s_waitcnt lgkmcnt(0)
	v_add_f64 v[2:3], v[2:3], v[4:5]
	v_addc_co_u32_e64 v4, s[0:1], 0, v10, s[0:1]
	v_lshlrev_b32_e32 v10, 2, v4
	ds_bpermute_b32 v4, v10, v2
	ds_bpermute_b32 v5, v10, v3
	v_cmp_eq_u32_e64 s[0:1], 0, v6
	s_and_saveexec_b64 s[4:5], s[0:1]
	s_cbranch_execz .LBB86_18
; %bb.17:
	v_lshrrev_b32_e32 v6, 3, v0
	v_and_b32_e32 v6, 0x78, v6
	s_waitcnt lgkmcnt(0)
	v_add_f64 v[2:3], v[2:3], v[4:5]
	ds_write_b64 v6, v[2:3]
.LBB86_18:
	s_or_b64 exec, exec, s[4:5]
	v_cmp_gt_u32_e64 s[0:1], 16, v0
	s_waitcnt lgkmcnt(0)
	v_mov_b64_e32 v[4:5], 0
	s_barrier
	s_and_saveexec_b64 s[4:5], s[0:1]
	s_cbranch_execz .LBB86_20
; %bb.19:
	ds_read_b64 v[4:5], v1
	s_or_b64 exec, exec, s[4:5]
	s_and_saveexec_b64 s[0:1], vcc
	s_cbranch_execz .LBB86_22
	s_branch .LBB86_21
.LBB86_20:
	s_or_b64 exec, exec, s[4:5]
	s_and_saveexec_b64 s[0:1], vcc
	s_cbranch_execz .LBB86_22
.LBB86_21:
	s_waitcnt lgkmcnt(0)
	ds_bpermute_b32 v2, v7, v4
	ds_bpermute_b32 v3, v7, v5
	s_waitcnt lgkmcnt(0)
	v_add_f64 v[2:3], v[4:5], v[2:3]
	ds_bpermute_b32 v4, v8, v2
	ds_bpermute_b32 v5, v8, v3
	s_waitcnt lgkmcnt(0)
	v_add_f64 v[2:3], v[2:3], v[4:5]
	;; [unrolled: 4-line block ×4, first 2 shown]
.LBB86_22:
	s_or_b64 exec, exec, s[0:1]
	v_cmp_eq_u32_e32 vcc, 0, v0
                                        ; implicit-def: $vgpr2_vgpr3
                                        ; implicit-def: $sgpr14_sgpr15
	s_and_saveexec_b64 s[0:1], vcc
	s_cbranch_execz .LBB86_26
; %bb.23:
	v_cmp_eq_f64_e64 s[4:5], s[10:11], 0
	s_mul_i32 s14, s2, s22
	s_waitcnt lgkmcnt(0)
	v_mul_f64 v[2:3], v[4:5], s[6:7]
	s_ashr_i32 s15, s14, 31
	s_and_b64 vcc, exec, s[4:5]
	s_cbranch_vccnz .LBB86_25
; %bb.24:
	s_lshl_b64 s[2:3], s[14:15], 3
	s_add_u32 s2, s20, s2
	s_addc_u32 s3, s21, s3
	s_load_dwordx2 s[2:3], s[2:3], 0x0
	v_mov_b64_e32 v[0:1], s[10:11]
	s_waitcnt lgkmcnt(0)
	v_fmac_f64_e32 v[2:3], s[2:3], v[0:1]
.LBB86_25:
	s_or_b64 s[12:13], s[12:13], exec
.LBB86_26:
	s_or_b64 exec, exec, s[0:1]
.LBB86_27:
	s_and_saveexec_b64 s[0:1], s[12:13]
	s_cbranch_execz .LBB86_29
; %bb.28:
	s_lshl_b64 s[0:1], s[14:15], 3
	s_add_u32 s0, s20, s0
	s_addc_u32 s1, s21, s1
	v_mov_b32_e32 v0, 0
	global_store_dwordx2 v0, v[2:3], s[0:1]
.LBB86_29:
	s_endpgm
	.section	.rodata,"a",@progbits
	.p2align	6, 0x0
	.amdhsa_kernel _ZL32rocblas_gemvt_warp_reduce_kernelILb0ELi1024EidddEviiT3_lPKT2_lT1_lS3_lS4_lS0_lPT4_lS4_li
		.amdhsa_group_segment_fixed_size 512
		.amdhsa_private_segment_fixed_size 0
		.amdhsa_kernarg_size 140
		.amdhsa_user_sgpr_count 2
		.amdhsa_user_sgpr_dispatch_ptr 0
		.amdhsa_user_sgpr_queue_ptr 0
		.amdhsa_user_sgpr_kernarg_segment_ptr 1
		.amdhsa_user_sgpr_dispatch_id 0
		.amdhsa_user_sgpr_kernarg_preload_length 0
		.amdhsa_user_sgpr_kernarg_preload_offset 0
		.amdhsa_user_sgpr_private_segment_size 0
		.amdhsa_uses_dynamic_stack 0
		.amdhsa_enable_private_segment 0
		.amdhsa_system_sgpr_workgroup_id_x 1
		.amdhsa_system_sgpr_workgroup_id_y 0
		.amdhsa_system_sgpr_workgroup_id_z 1
		.amdhsa_system_sgpr_workgroup_info 0
		.amdhsa_system_vgpr_workitem_id 0
		.amdhsa_next_free_vgpr 14
		.amdhsa_next_free_sgpr 32
		.amdhsa_accum_offset 16
		.amdhsa_reserve_vcc 1
		.amdhsa_float_round_mode_32 0
		.amdhsa_float_round_mode_16_64 0
		.amdhsa_float_denorm_mode_32 3
		.amdhsa_float_denorm_mode_16_64 3
		.amdhsa_dx10_clamp 1
		.amdhsa_ieee_mode 1
		.amdhsa_fp16_overflow 0
		.amdhsa_tg_split 0
		.amdhsa_exception_fp_ieee_invalid_op 0
		.amdhsa_exception_fp_denorm_src 0
		.amdhsa_exception_fp_ieee_div_zero 0
		.amdhsa_exception_fp_ieee_overflow 0
		.amdhsa_exception_fp_ieee_underflow 0
		.amdhsa_exception_fp_ieee_inexact 0
		.amdhsa_exception_int_div_zero 0
	.end_amdhsa_kernel
	.section	.text._ZL32rocblas_gemvt_warp_reduce_kernelILb0ELi1024EidddEviiT3_lPKT2_lT1_lS3_lS4_lS0_lPT4_lS4_li,"axG",@progbits,_ZL32rocblas_gemvt_warp_reduce_kernelILb0ELi1024EidddEviiT3_lPKT2_lT1_lS3_lS4_lS0_lPT4_lS4_li,comdat
.Lfunc_end86:
	.size	_ZL32rocblas_gemvt_warp_reduce_kernelILb0ELi1024EidddEviiT3_lPKT2_lT1_lS3_lS4_lS0_lPT4_lS4_li, .Lfunc_end86-_ZL32rocblas_gemvt_warp_reduce_kernelILb0ELi1024EidddEviiT3_lPKT2_lT1_lS3_lS4_lS0_lPT4_lS4_li
                                        ; -- End function
	.section	.AMDGPU.csdata,"",@progbits
; Kernel info:
; codeLenInByte = 1420
; NumSgprs: 38
; NumVgprs: 14
; NumAgprs: 0
; TotalNumVgprs: 14
; ScratchSize: 0
; MemoryBound: 0
; FloatMode: 240
; IeeeMode: 1
; LDSByteSize: 512 bytes/workgroup (compile time only)
; SGPRBlocks: 4
; VGPRBlocks: 1
; NumSGPRsForWavesPerEU: 38
; NumVGPRsForWavesPerEU: 14
; AccumOffset: 16
; Occupancy: 8
; WaveLimiterHint : 1
; COMPUTE_PGM_RSRC2:SCRATCH_EN: 0
; COMPUTE_PGM_RSRC2:USER_SGPR: 2
; COMPUTE_PGM_RSRC2:TRAP_HANDLER: 0
; COMPUTE_PGM_RSRC2:TGID_X_EN: 1
; COMPUTE_PGM_RSRC2:TGID_Y_EN: 0
; COMPUTE_PGM_RSRC2:TGID_Z_EN: 1
; COMPUTE_PGM_RSRC2:TIDIG_COMP_CNT: 0
; COMPUTE_PGM_RSRC3_GFX90A:ACCUM_OFFSET: 3
; COMPUTE_PGM_RSRC3_GFX90A:TG_SPLIT: 0
	.section	.text._ZL32rocblas_gemvt_warp_reduce_kernelILb0ELi1024EldddEviiT3_lPKT2_lT1_lS3_lS4_lS0_lPT4_lS4_li,"axG",@progbits,_ZL32rocblas_gemvt_warp_reduce_kernelILb0ELi1024EldddEviiT3_lPKT2_lT1_lS3_lS4_lS0_lPT4_lS4_li,comdat
	.globl	_ZL32rocblas_gemvt_warp_reduce_kernelILb0ELi1024EldddEviiT3_lPKT2_lT1_lS3_lS4_lS0_lPT4_lS4_li ; -- Begin function _ZL32rocblas_gemvt_warp_reduce_kernelILb0ELi1024EldddEviiT3_lPKT2_lT1_lS3_lS4_lS0_lPT4_lS4_li
	.p2align	8
	.type	_ZL32rocblas_gemvt_warp_reduce_kernelILb0ELi1024EldddEviiT3_lPKT2_lT1_lS3_lS4_lS0_lPT4_lS4_li,@function
_ZL32rocblas_gemvt_warp_reduce_kernelILb0ELi1024EldddEviiT3_lPKT2_lT1_lS3_lS4_lS0_lPT4_lS4_li: ; @_ZL32rocblas_gemvt_warp_reduce_kernelILb0ELi1024EldddEviiT3_lPKT2_lT1_lS3_lS4_lS0_lPT4_lS4_li
; %bb.0:
	s_load_dwordx2 s[26:27], s[0:1], 0x8
	s_load_dwordx2 s[24:25], s[0:1], 0x58
	s_waitcnt lgkmcnt(0)
	v_cmp_eq_f64_e64 s[4:5], s[26:27], 0
	v_cmp_eq_f64_e64 s[6:7], s[24:25], 1.0
	s_and_b64 s[4:5], s[4:5], s[6:7]
	s_and_b64 vcc, exec, s[4:5]
	s_cbranch_vccnz .LBB87_29
; %bb.1:
	s_load_dwordx8 s[16:23], s[0:1], 0x68
	s_mov_b64 s[28:29], 0
	s_waitcnt lgkmcnt(0)
	s_mul_i32 s5, s3, s23
	s_mul_hi_u32 s6, s3, s22
	s_mul_i32 s4, s3, s22
	s_add_i32 s5, s6, s5
	s_lshl_b64 s[4:5], s[4:5], 3
	s_add_u32 s6, s16, s4
	s_addc_u32 s7, s17, s5
	s_lshl_b64 s[4:5], s[18:19], 3
	s_add_u32 s22, s6, s4
	s_addc_u32 s23, s7, s5
	v_cmp_neq_f64_e64 s[4:5], s[26:27], 0
	s_and_b64 vcc, exec, s[4:5]
	v_cmp_eq_u32_e64 s[4:5], 0, v0
	s_cbranch_vccnz .LBB87_6
; %bb.2:
	s_mov_b64 s[8:9], 0
                                        ; implicit-def: $vgpr2_vgpr3
                                        ; implicit-def: $sgpr6_sgpr7
	s_and_saveexec_b64 s[10:11], s[4:5]
	s_cbranch_execz .LBB87_7
; %bb.3:
	s_ashr_i32 s6, s2, 31
	s_mul_i32 s7, s2, s21
	s_mul_hi_u32 s12, s2, s20
	v_cmp_eq_f64_e64 s[4:5], s[24:25], 0
	s_add_i32 s7, s12, s7
	s_mul_i32 s6, s6, s20
	v_mov_b64_e32 v[2:3], 0
	s_add_i32 s7, s7, s6
	s_mul_i32 s6, s2, s20
	s_and_b64 vcc, exec, s[4:5]
	s_cbranch_vccnz .LBB87_5
; %bb.4:
	s_lshl_b64 s[4:5], s[6:7], 3
	s_add_u32 s4, s22, s4
	s_addc_u32 s5, s23, s5
	s_load_dwordx2 s[4:5], s[4:5], 0x0
	v_mov_b64_e32 v[2:3], s[24:25]
	s_waitcnt lgkmcnt(0)
	v_mul_f64 v[2:3], s[4:5], v[2:3]
.LBB87_5:
	s_mov_b64 s[28:29], exec
	s_or_b64 exec, exec, s[10:11]
	s_and_b64 vcc, exec, s[8:9]
	s_cbranch_vccnz .LBB87_8
	s_branch .LBB87_27
.LBB87_6:
                                        ; implicit-def: $vgpr2_vgpr3
                                        ; implicit-def: $sgpr6_sgpr7
	s_cbranch_execnz .LBB87_8
	s_branch .LBB87_27
.LBB87_7:
	s_or_b64 exec, exec, s[10:11]
	s_and_b64 vcc, exec, s[8:9]
	s_cbranch_vccz .LBB87_27
.LBB87_8:
	s_load_dwordx16 s[4:19], s[0:1], 0x18
	s_load_dword s30, s[0:1], 0x0
	v_mov_b32_e32 v3, 0
	s_waitcnt lgkmcnt(0)
	s_mul_i32 s1, s3, s19
	s_mul_hi_u32 s19, s3, s18
	s_mul_i32 s0, s3, s18
	s_mul_i32 s11, s3, s11
	s_mul_hi_u32 s18, s3, s10
	s_add_i32 s11, s18, s11
	s_mul_i32 s10, s3, s10
	s_add_i32 s1, s19, s1
	s_lshl_b64 s[10:11], s[10:11], 3
	s_add_u32 s3, s4, s10
	s_addc_u32 s10, s5, s11
	s_lshl_b64 s[4:5], s[6:7], 3
	s_add_u32 s6, s3, s4
	s_addc_u32 s7, s10, s5
	s_ashr_i32 s3, s2, 31
	s_mul_i32 s4, s2, s9
	s_mul_hi_u32 s5, s2, s8
	s_add_i32 s4, s5, s4
	s_mul_i32 s5, s3, s8
	s_add_i32 s5, s4, s5
	s_mul_i32 s4, s2, s8
	v_cmp_gt_i32_e32 vcc, s30, v0
	s_lshl_b64 s[4:5], s[4:5], 3
	s_add_u32 s4, s4, s6
	v_cndmask_b32_e32 v1, 0, v0, vcc
	v_lshlrev_b32_e32 v2, 3, v1
	s_addc_u32 s5, s5, s7
	v_lshl_add_u64 v[4:5], s[4:5], 0, v[2:3]
	s_ashr_i32 s4, s30, 31
	s_lshr_b32 s4, s4, 22
	s_add_i32 s4, s30, s4
	s_and_b32 s4, s4, 0xfffffc00
	v_cmp_gt_i32_e32 vcc, s4, v0
	v_mov_b64_e32 v[2:3], 0
	s_and_saveexec_b64 s[6:7], vcc
	s_cbranch_execz .LBB87_12
; %bb.9:
	v_mad_u64_u32 v[2:3], s[10:11], s16, v0, 0
	v_mov_b32_e32 v6, v3
	v_mad_u64_u32 v[6:7], s[10:11], s17, v0, v[6:7]
	s_lshl_b64 s[8:9], s[0:1], 3
	s_lshl_b64 s[10:11], s[14:15], 3
	s_add_u32 s5, s12, s10
	s_addc_u32 s10, s13, s11
	s_add_u32 s8, s5, s8
	v_mov_b32_e32 v3, v6
	s_addc_u32 s9, s10, s9
	v_lshl_add_u64 v[6:7], v[2:3], 3, s[8:9]
	s_lshl_b64 s[10:11], s[16:17], 13
	s_mov_b64 s[8:9], 0
	v_mov_b64_e32 v[2:3], 0
	s_mov_b64 s[18:19], 0x2000
	v_mov_b64_e32 v[8:9], v[4:5]
	v_mov_b32_e32 v1, v0
.LBB87_10:                              ; =>This Inner Loop Header: Depth=1
	global_load_dwordx2 v[10:11], v[8:9], off
	global_load_dwordx2 v[12:13], v[6:7], off
	v_add_u32_e32 v1, 0x400, v1
	v_cmp_le_i32_e32 vcc, s4, v1
	v_lshl_add_u64 v[8:9], v[8:9], 0, s[18:19]
	v_lshl_add_u64 v[6:7], v[6:7], 0, s[10:11]
	s_or_b64 s[8:9], vcc, s[8:9]
	s_waitcnt vmcnt(0)
	v_fmac_f64_e32 v[2:3], v[10:11], v[12:13]
	s_andn2_b64 exec, exec, s[8:9]
	s_cbranch_execnz .LBB87_10
; %bb.11:
	s_or_b64 exec, exec, s[8:9]
.LBB87_12:
	s_or_b64 exec, exec, s[6:7]
	v_or_b32_e32 v1, s4, v0
	v_cmp_gt_i32_e32 vcc, s30, v1
	s_and_saveexec_b64 s[6:7], vcc
	s_cbranch_execz .LBB87_14
; %bb.13:
	s_lshl_b64 s[0:1], s[0:1], 3
	s_add_u32 s5, s12, s0
	s_addc_u32 s8, s13, s1
	s_lshl_b64 s[0:1], s[14:15], 3
	s_add_u32 s0, s5, s0
	s_addc_u32 s1, s8, s1
	s_ashr_i32 s5, s4, 31
	v_ashrrev_i32_e32 v6, 31, v1
	v_lshl_add_u64 v[4:5], s[4:5], 3, v[4:5]
	v_mul_lo_u32 v8, v1, s17
	v_mul_lo_u32 v9, v6, s16
	v_mad_u64_u32 v[6:7], s[4:5], v1, s16, 0
	v_add3_u32 v7, v7, v8, v9
	v_lshl_add_u64 v[6:7], v[6:7], 3, s[0:1]
	global_load_dwordx2 v[4:5], v[4:5], off
	s_nop 0
	global_load_dwordx2 v[6:7], v[6:7], off
	s_waitcnt vmcnt(0)
	v_fmac_f64_e32 v[2:3], v[4:5], v[6:7]
.LBB87_14:
	s_or_b64 exec, exec, s[6:7]
	v_and_b32_e32 v6, 63, v0
	v_cmp_gt_u32_e32 vcc, 64, v0
	v_lshlrev_b32_e32 v1, 3, v6
	s_and_saveexec_b64 s[0:1], vcc
	s_cbranch_execz .LBB87_16
; %bb.15:
	v_mov_b32_e32 v4, 0
	v_mov_b32_e32 v5, v4
	ds_write_b64 v1, v[4:5]
.LBB87_16:
	s_or_b64 exec, exec, s[0:1]
	v_mbcnt_lo_u32_b32 v4, -1, 0
	v_mbcnt_hi_u32_b32 v10, -1, v4
	v_and_b32_e32 v11, 63, v10
	v_cmp_gt_u32_e64 s[0:1], 32, v11
	s_waitcnt lgkmcnt(0)
	s_barrier
	v_cndmask_b32_e64 v4, 0, 1, s[0:1]
	v_lshlrev_b32_e32 v4, 5, v4
	v_add_lshl_u32 v5, v4, v10, 2
	ds_bpermute_b32 v4, v5, v2
	ds_bpermute_b32 v5, v5, v3
	v_cmp_gt_u32_e64 s[0:1], 48, v11
	s_waitcnt lgkmcnt(0)
	v_add_f64 v[2:3], v[2:3], v[4:5]
	v_cndmask_b32_e64 v7, 0, 1, s[0:1]
	v_lshlrev_b32_e32 v4, 4, v7
	v_add_lshl_u32 v5, v4, v10, 2
	ds_bpermute_b32 v4, v5, v2
	ds_bpermute_b32 v5, v5, v3
	v_cmp_gt_u32_e64 s[0:1], 56, v11
	s_waitcnt lgkmcnt(0)
	v_add_f64 v[2:3], v[2:3], v[4:5]
	v_cndmask_b32_e64 v4, 0, 1, s[0:1]
	v_lshlrev_b32_e32 v4, 3, v4
	v_add_lshl_u32 v7, v4, v10, 2
	ds_bpermute_b32 v4, v7, v2
	ds_bpermute_b32 v5, v7, v3
	v_cmp_gt_u32_e64 s[0:1], 60, v11
	s_waitcnt lgkmcnt(0)
	v_add_f64 v[2:3], v[2:3], v[4:5]
	v_cndmask_b32_e64 v4, 0, 1, s[0:1]
	v_lshlrev_b32_e32 v4, 2, v4
	v_add_lshl_u32 v8, v4, v10, 2
	ds_bpermute_b32 v4, v8, v2
	ds_bpermute_b32 v5, v8, v3
	v_cmp_gt_u32_e64 s[0:1], 62, v11
	s_waitcnt lgkmcnt(0)
	v_add_f64 v[2:3], v[2:3], v[4:5]
	v_cndmask_b32_e64 v4, 0, 1, s[0:1]
	v_lshlrev_b32_e32 v4, 1, v4
	v_add_lshl_u32 v9, v4, v10, 2
	ds_bpermute_b32 v4, v9, v2
	ds_bpermute_b32 v5, v9, v3
	v_cmp_ne_u32_e64 s[0:1], 63, v11
	s_waitcnt lgkmcnt(0)
	v_add_f64 v[2:3], v[2:3], v[4:5]
	v_addc_co_u32_e64 v4, s[0:1], 0, v10, s[0:1]
	v_lshlrev_b32_e32 v10, 2, v4
	ds_bpermute_b32 v4, v10, v2
	ds_bpermute_b32 v5, v10, v3
	v_cmp_eq_u32_e64 s[0:1], 0, v6
	s_and_saveexec_b64 s[4:5], s[0:1]
	s_cbranch_execz .LBB87_18
; %bb.17:
	v_lshrrev_b32_e32 v6, 3, v0
	v_and_b32_e32 v6, 0x78, v6
	s_waitcnt lgkmcnt(0)
	v_add_f64 v[2:3], v[2:3], v[4:5]
	ds_write_b64 v6, v[2:3]
.LBB87_18:
	s_or_b64 exec, exec, s[4:5]
	v_cmp_gt_u32_e64 s[0:1], 16, v0
	s_waitcnt lgkmcnt(0)
	v_mov_b64_e32 v[4:5], 0
	s_barrier
	s_and_saveexec_b64 s[4:5], s[0:1]
	s_cbranch_execz .LBB87_20
; %bb.19:
	ds_read_b64 v[4:5], v1
	s_or_b64 exec, exec, s[4:5]
	s_and_saveexec_b64 s[0:1], vcc
	s_cbranch_execz .LBB87_22
	s_branch .LBB87_21
.LBB87_20:
	s_or_b64 exec, exec, s[4:5]
	s_and_saveexec_b64 s[0:1], vcc
	s_cbranch_execz .LBB87_22
.LBB87_21:
	s_waitcnt lgkmcnt(0)
	ds_bpermute_b32 v2, v7, v4
	ds_bpermute_b32 v3, v7, v5
	s_waitcnt lgkmcnt(0)
	v_add_f64 v[2:3], v[4:5], v[2:3]
	ds_bpermute_b32 v4, v8, v2
	ds_bpermute_b32 v5, v8, v3
	s_waitcnt lgkmcnt(0)
	v_add_f64 v[2:3], v[2:3], v[4:5]
	ds_bpermute_b32 v4, v9, v2
	ds_bpermute_b32 v5, v9, v3
	s_waitcnt lgkmcnt(0)
	v_add_f64 v[2:3], v[2:3], v[4:5]
	ds_bpermute_b32 v4, v10, v2
	ds_bpermute_b32 v5, v10, v3
	s_waitcnt lgkmcnt(0)
	v_add_f64 v[4:5], v[2:3], v[4:5]
.LBB87_22:
	s_or_b64 exec, exec, s[0:1]
	v_cmp_eq_u32_e32 vcc, 0, v0
                                        ; implicit-def: $vgpr2_vgpr3
                                        ; implicit-def: $sgpr6_sgpr7
	s_and_saveexec_b64 s[0:1], vcc
	s_cbranch_execz .LBB87_26
; %bb.23:
	s_mul_i32 s6, s2, s21
	s_mul_hi_u32 s7, s2, s20
	v_cmp_eq_f64_e64 s[4:5], s[24:25], 0
	s_add_i32 s6, s7, s6
	s_mul_i32 s3, s3, s20
	s_waitcnt lgkmcnt(0)
	v_mul_f64 v[2:3], v[4:5], s[26:27]
	s_add_i32 s7, s6, s3
	s_mul_i32 s6, s2, s20
	s_and_b64 vcc, exec, s[4:5]
	s_cbranch_vccnz .LBB87_25
; %bb.24:
	s_lshl_b64 s[2:3], s[6:7], 3
	s_add_u32 s2, s22, s2
	s_addc_u32 s3, s23, s3
	s_load_dwordx2 s[2:3], s[2:3], 0x0
	v_mov_b64_e32 v[0:1], s[24:25]
	s_waitcnt lgkmcnt(0)
	v_fmac_f64_e32 v[2:3], s[2:3], v[0:1]
.LBB87_25:
	s_or_b64 s[28:29], s[28:29], exec
.LBB87_26:
	s_or_b64 exec, exec, s[0:1]
.LBB87_27:
	s_and_saveexec_b64 s[0:1], s[28:29]
	s_cbranch_execz .LBB87_29
; %bb.28:
	s_lshl_b64 s[0:1], s[6:7], 3
	s_add_u32 s0, s22, s0
	s_addc_u32 s1, s23, s1
	v_mov_b32_e32 v0, 0
	global_store_dwordx2 v0, v[2:3], s[0:1]
.LBB87_29:
	s_endpgm
	.section	.rodata,"a",@progbits
	.p2align	6, 0x0
	.amdhsa_kernel _ZL32rocblas_gemvt_warp_reduce_kernelILb0ELi1024EldddEviiT3_lPKT2_lT1_lS3_lS4_lS0_lPT4_lS4_li
		.amdhsa_group_segment_fixed_size 512
		.amdhsa_private_segment_fixed_size 0
		.amdhsa_kernarg_size 140
		.amdhsa_user_sgpr_count 2
		.amdhsa_user_sgpr_dispatch_ptr 0
		.amdhsa_user_sgpr_queue_ptr 0
		.amdhsa_user_sgpr_kernarg_segment_ptr 1
		.amdhsa_user_sgpr_dispatch_id 0
		.amdhsa_user_sgpr_kernarg_preload_length 0
		.amdhsa_user_sgpr_kernarg_preload_offset 0
		.amdhsa_user_sgpr_private_segment_size 0
		.amdhsa_uses_dynamic_stack 0
		.amdhsa_enable_private_segment 0
		.amdhsa_system_sgpr_workgroup_id_x 1
		.amdhsa_system_sgpr_workgroup_id_y 0
		.amdhsa_system_sgpr_workgroup_id_z 1
		.amdhsa_system_sgpr_workgroup_info 0
		.amdhsa_system_vgpr_workitem_id 0
		.amdhsa_next_free_vgpr 14
		.amdhsa_next_free_sgpr 31
		.amdhsa_accum_offset 16
		.amdhsa_reserve_vcc 1
		.amdhsa_float_round_mode_32 0
		.amdhsa_float_round_mode_16_64 0
		.amdhsa_float_denorm_mode_32 3
		.amdhsa_float_denorm_mode_16_64 3
		.amdhsa_dx10_clamp 1
		.amdhsa_ieee_mode 1
		.amdhsa_fp16_overflow 0
		.amdhsa_tg_split 0
		.amdhsa_exception_fp_ieee_invalid_op 0
		.amdhsa_exception_fp_denorm_src 0
		.amdhsa_exception_fp_ieee_div_zero 0
		.amdhsa_exception_fp_ieee_overflow 0
		.amdhsa_exception_fp_ieee_underflow 0
		.amdhsa_exception_fp_ieee_inexact 0
		.amdhsa_exception_int_div_zero 0
	.end_amdhsa_kernel
	.section	.text._ZL32rocblas_gemvt_warp_reduce_kernelILb0ELi1024EldddEviiT3_lPKT2_lT1_lS3_lS4_lS0_lPT4_lS4_li,"axG",@progbits,_ZL32rocblas_gemvt_warp_reduce_kernelILb0ELi1024EldddEviiT3_lPKT2_lT1_lS3_lS4_lS0_lPT4_lS4_li,comdat
.Lfunc_end87:
	.size	_ZL32rocblas_gemvt_warp_reduce_kernelILb0ELi1024EldddEviiT3_lPKT2_lT1_lS3_lS4_lS0_lPT4_lS4_li, .Lfunc_end87-_ZL32rocblas_gemvt_warp_reduce_kernelILb0ELi1024EldddEviiT3_lPKT2_lT1_lS3_lS4_lS0_lPT4_lS4_li
                                        ; -- End function
	.section	.AMDGPU.csdata,"",@progbits
; Kernel info:
; codeLenInByte = 1484
; NumSgprs: 37
; NumVgprs: 14
; NumAgprs: 0
; TotalNumVgprs: 14
; ScratchSize: 0
; MemoryBound: 0
; FloatMode: 240
; IeeeMode: 1
; LDSByteSize: 512 bytes/workgroup (compile time only)
; SGPRBlocks: 4
; VGPRBlocks: 1
; NumSGPRsForWavesPerEU: 37
; NumVGPRsForWavesPerEU: 14
; AccumOffset: 16
; Occupancy: 8
; WaveLimiterHint : 1
; COMPUTE_PGM_RSRC2:SCRATCH_EN: 0
; COMPUTE_PGM_RSRC2:USER_SGPR: 2
; COMPUTE_PGM_RSRC2:TRAP_HANDLER: 0
; COMPUTE_PGM_RSRC2:TGID_X_EN: 1
; COMPUTE_PGM_RSRC2:TGID_Y_EN: 0
; COMPUTE_PGM_RSRC2:TGID_Z_EN: 1
; COMPUTE_PGM_RSRC2:TIDIG_COMP_CNT: 0
; COMPUTE_PGM_RSRC3_GFX90A:ACCUM_OFFSET: 3
; COMPUTE_PGM_RSRC3_GFX90A:TG_SPLIT: 0
	.section	.text._ZL22rocblas_gemvtsm_kernelILb1ELi256EdPKddEviiT2_lPKT1_lilS5_lilS2_lPT3_lil,"axG",@progbits,_ZL22rocblas_gemvtsm_kernelILb1ELi256EdPKddEviiT2_lPKT1_lilS5_lilS2_lPT3_lil,comdat
	.globl	_ZL22rocblas_gemvtsm_kernelILb1ELi256EdPKddEviiT2_lPKT1_lilS5_lilS2_lPT3_lil ; -- Begin function _ZL22rocblas_gemvtsm_kernelILb1ELi256EdPKddEviiT2_lPKT1_lilS5_lilS2_lPT3_lil
	.p2align	8
	.type	_ZL22rocblas_gemvtsm_kernelILb1ELi256EdPKddEviiT2_lPKT1_lilS5_lilS2_lPT3_lil,@function
_ZL22rocblas_gemvtsm_kernelILb1ELi256EdPKddEviiT2_lPKT1_lilS5_lilS2_lPT3_lil: ; @_ZL22rocblas_gemvtsm_kernelILb1ELi256EdPKddEviiT2_lPKT1_lilS5_lilS2_lPT3_lil
; %bb.0:
	s_load_dwordx8 s[4:11], s[0:1], 0x8
	s_load_dwordx8 s[12:19], s[0:1], 0x50
	s_waitcnt lgkmcnt(0)
	s_mul_i32 s3, s2, s7
	s_mul_hi_u32 s7, s2, s6
	s_add_i32 s7, s7, s3
	s_mul_i32 s6, s2, s6
	s_lshl_b64 s[6:7], s[6:7], 3
	s_add_u32 s4, s4, s6
	s_addc_u32 s5, s5, s7
	s_load_dwordx2 s[22:23], s[4:5], 0x0
	s_mul_i32 s3, s2, s17
	s_mul_hi_u32 s4, s2, s16
	s_add_i32 s5, s4, s3
	s_mul_i32 s4, s2, s16
	s_lshl_b64 s[4:5], s[4:5], 3
	s_add_u32 s4, s14, s4
	s_addc_u32 s5, s15, s5
	s_load_dwordx2 s[14:15], s[4:5], 0x0
	s_waitcnt lgkmcnt(0)
	v_cmp_eq_f64_e64 s[4:5], s[22:23], 0
	v_cmp_eq_f64_e64 s[6:7], s[14:15], 1.0
	s_and_b64 s[4:5], s[4:5], s[6:7]
	s_and_b64 vcc, exec, s[4:5]
	s_cbranch_vccnz .LBB88_34
; %bb.1:
	s_load_dwordx2 s[4:5], s[0:1], 0x80
	s_load_dword s16, s[0:1], 0x78
	s_load_dwordx2 s[24:25], s[0:1], 0x70
	s_load_dwordx2 s[20:21], s[0:1], 0x0
	s_waitcnt lgkmcnt(0)
	s_mul_i32 s3, s2, s5
	s_mul_hi_u32 s5, s2, s4
	s_add_i32 s27, s5, s3
	s_mul_i32 s26, s2, s4
	v_cmp_neq_f64_e64 s[4:5], s[22:23], 0
	s_and_b64 vcc, exec, s[4:5]
	s_cbranch_vccnz .LBB88_9
; %bb.2:
	s_cmp_gt_i32 s21, 0
	s_cselect_b64 s[6:7], -1, 0
	v_cmp_neq_f64_e64 s[4:5], s[14:15], 0
	v_cndmask_b32_e64 v1, 0, 1, s[6:7]
	s_and_b64 vcc, exec, s[4:5]
	v_cmp_ne_u32_e64 s[4:5], 1, v1
	s_cbranch_vccnz .LBB88_10
; %bb.3:
	s_and_b64 vcc, exec, s[4:5]
	s_cbranch_vccnz .LBB88_8
; %bb.4:
	v_mad_i64_i32 v[2:3], s[28:29], s16, v0, 0
	s_ashr_i32 s17, s16, 31
	s_lshl_b64 s[6:7], s[26:27], 3
	s_lshl_b64 s[28:29], s[24:25], 3
	s_add_u32 s3, s18, s28
	s_addc_u32 s28, s19, s29
	s_add_u32 s6, s3, s6
	s_addc_u32 s7, s28, s7
	v_lshl_add_u64 v[2:3], v[2:3], 3, s[6:7]
	s_lshl_b64 s[6:7], s[16:17], 11
	s_mov_b32 s3, 0
	v_mov_b32_e32 v4, 0
	s_branch .LBB88_6
.LBB88_5:                               ;   in Loop: Header=BB88_6 Depth=1
	s_or_b64 exec, exec, s[28:29]
	s_addk_i32 s3, 0x100
	s_cmp_ge_i32 s3, s21
	v_lshl_add_u64 v[2:3], v[2:3], 0, s[6:7]
	s_cbranch_scc1 .LBB88_8
.LBB88_6:                               ; =>This Inner Loop Header: Depth=1
	v_add_u32_e32 v1, s3, v0
	v_cmp_gt_i32_e32 vcc, s21, v1
	s_and_saveexec_b64 s[28:29], vcc
	s_cbranch_execz .LBB88_5
; %bb.7:                                ;   in Loop: Header=BB88_6 Depth=1
	v_mov_b32_e32 v5, v4
	global_store_dwordx2 v[2:3], v[4:5], off
	s_branch .LBB88_5
.LBB88_8:
	s_cbranch_execz .LBB88_11
	s_branch .LBB88_16
.LBB88_9:
	s_branch .LBB88_17
.LBB88_10:
.LBB88_11:
	s_and_b64 vcc, exec, s[4:5]
	s_cbranch_vccnz .LBB88_16
; %bb.12:
	v_mad_i64_i32 v[2:3], s[6:7], s16, v0, 0
	s_ashr_i32 s17, s16, 31
	s_lshl_b64 s[4:5], s[26:27], 3
	s_lshl_b64 s[6:7], s[24:25], 3
	s_add_u32 s3, s18, s6
	s_addc_u32 s6, s19, s7
	s_add_u32 s4, s3, s4
	s_addc_u32 s5, s6, s5
	v_lshl_add_u64 v[2:3], v[2:3], 3, s[4:5]
	s_lshl_b64 s[4:5], s[16:17], 11
	s_mov_b32 s3, 0
	s_branch .LBB88_14
.LBB88_13:                              ;   in Loop: Header=BB88_14 Depth=1
	s_or_b64 exec, exec, s[6:7]
	s_addk_i32 s3, 0x100
	s_cmp_ge_i32 s3, s21
	v_lshl_add_u64 v[2:3], v[2:3], 0, s[4:5]
	s_cbranch_scc1 .LBB88_16
.LBB88_14:                              ; =>This Inner Loop Header: Depth=1
	v_add_u32_e32 v1, s3, v0
	v_cmp_gt_i32_e32 vcc, s21, v1
	s_and_saveexec_b64 s[6:7], vcc
	s_cbranch_execz .LBB88_13
; %bb.15:                               ;   in Loop: Header=BB88_14 Depth=1
	global_load_dwordx2 v[4:5], v[2:3], off
	s_waitcnt vmcnt(0)
	v_mul_f64 v[4:5], s[14:15], v[4:5]
	global_store_dwordx2 v[2:3], v[4:5], off
	s_branch .LBB88_13
.LBB88_16:
	s_cbranch_execnz .LBB88_34
.LBB88_17:
	s_load_dwordx4 s[4:7], s[0:1], 0x30
	s_load_dwordx2 s[30:31], s[0:1], 0x40
	v_cmp_gt_i32_e32 vcc, s20, v0
	s_and_saveexec_b64 s[28:29], vcc
	s_cbranch_execz .LBB88_19
; %bb.18:
	s_mul_i32 s3, s2, s13
	s_mul_hi_u32 s13, s2, s12
	s_add_i32 s13, s13, s3
	s_mul_i32 s12, s2, s12
	s_lshl_b64 s[12:13], s[12:13], 3
	s_waitcnt lgkmcnt(0)
	s_add_u32 s3, s6, s12
	s_addc_u32 s12, s7, s13
	s_load_dword s13, s[0:1], 0x48
	s_lshl_b64 s[6:7], s[30:31], 3
	s_add_u32 s6, s3, s6
	s_addc_u32 s7, s12, s7
	v_lshlrev_b32_e32 v1, 3, v0
	s_waitcnt lgkmcnt(0)
	v_mad_i64_i32 v[2:3], s[12:13], s13, v0, 0
	v_lshl_add_u64 v[2:3], v[2:3], 3, s[6:7]
	global_load_dwordx2 v[2:3], v[2:3], off
	s_waitcnt vmcnt(0)
	v_mul_f64 v[2:3], s[22:23], v[2:3]
	ds_write_b64 v1, v[2:3]
.LBB88_19:
	s_or_b64 exec, exec, s[28:29]
	s_cmp_lt_i32 s21, 1
	s_waitcnt lgkmcnt(0)
	s_barrier
	s_cbranch_scc1 .LBB88_34
; %bb.20:
	s_load_dword s0, s[0:1], 0x28
	s_lshl_b64 s[6:7], s[26:27], 3
	s_add_u32 s3, s18, s6
	s_addc_u32 s1, s19, s7
	s_lshl_b64 s[6:7], s[24:25], 3
	s_add_u32 s6, s3, s6
	s_addc_u32 s7, s1, s7
	s_waitcnt lgkmcnt(0)
	s_ashr_i32 s1, s0, 31
	s_ashr_i32 s17, s16, 31
	s_cmp_gt_i32 s20, 0
	s_cselect_b64 s[24:25], -1, 0
	s_and_b32 s22, s20, 7
	s_cmp_gt_u32 s20, 7
	s_cselect_b64 s[26:27], -1, 0
	s_and_b32 s20, s20, 0x7ffffff8
	s_cmp_lg_u32 s22, 0
	s_mul_i32 s3, s5, s2
	s_mul_hi_u32 s5, s4, s2
	s_cselect_b64 s[18:19], -1, 0
	s_add_i32 s3, s5, s3
	s_mul_i32 s2, s4, s2
	v_mad_i64_i32 v[2:3], s[4:5], s0, v0, 0
	s_lshl_b64 s[2:3], s[2:3], 3
	s_lshl_b64 s[4:5], s[10:11], 3
	s_add_u32 s4, s8, s4
	s_addc_u32 s5, s9, s5
	s_add_u32 s2, s4, s2
	s_addc_u32 s3, s5, s3
	s_lshl_b64 s[8:9], s[0:1], 11
	v_cmp_neq_f64_e64 s[0:1], s[14:15], 0
	v_lshl_add_u64 v[2:3], v[2:3], 3, s[2:3]
	v_cndmask_b32_e64 v6, 0, 1, s[26:27]
	v_cndmask_b32_e64 v1, 0, 1, s[0:1]
	v_cmp_ne_u32_e64 s[0:1], 1, v1
	v_cndmask_b32_e64 v1, 0, 1, s[24:25]
	s_mov_b32 s13, 0
	v_lshl_add_u64 v[4:5], v[2:3], 0, 56
	v_cmp_ne_u32_e64 s[2:3], 1, v6
	v_cmp_ne_u32_e64 s[4:5], 1, v1
	s_mov_b32 s23, 0
	s_branch .LBB88_23
.LBB88_21:                              ;   in Loop: Header=BB88_23 Depth=1
	global_store_dwordx2 v[6:7], v[8:9], off
.LBB88_22:                              ;   in Loop: Header=BB88_23 Depth=1
	s_or_b64 exec, exec, s[10:11]
	s_addk_i32 s23, 0x100
	v_lshl_add_u64 v[4:5], v[4:5], 0, s[8:9]
	s_cmp_ge_i32 s23, s21
	v_lshl_add_u64 v[2:3], v[2:3], 0, s[8:9]
	s_cbranch_scc1 .LBB88_34
.LBB88_23:                              ; =>This Loop Header: Depth=1
                                        ;     Child Loop BB88_29 Depth 2
                                        ;     Child Loop BB88_33 Depth 2
	v_add_u32_e32 v1, s23, v0
	v_cmp_gt_i32_e32 vcc, s21, v1
	s_and_saveexec_b64 s[10:11], vcc
	s_cbranch_execz .LBB88_22
; %bb.24:                               ;   in Loop: Header=BB88_23 Depth=1
	v_mad_u64_u32 v[6:7], s[24:25], v1, s16, 0
	v_mov_b32_e32 v8, v7
	v_mad_u64_u32 v[8:9], s[24:25], v1, s17, v[8:9]
	v_mov_b32_e32 v7, v8
	s_and_b64 vcc, exec, s[0:1]
	v_lshl_add_u64 v[6:7], v[6:7], 3, s[6:7]
	s_cbranch_vccnz .LBB88_26
; %bb.25:                               ;   in Loop: Header=BB88_23 Depth=1
	global_load_dwordx2 v[8:9], v[6:7], off
	s_waitcnt vmcnt(0)
	v_mul_f64 v[8:9], s[14:15], v[8:9]
	s_and_b64 vcc, exec, s[4:5]
	s_cbranch_vccz .LBB88_27
	s_branch .LBB88_21
.LBB88_26:                              ;   in Loop: Header=BB88_23 Depth=1
	v_mov_b64_e32 v[8:9], 0
	s_and_b64 vcc, exec, s[4:5]
	s_cbranch_vccnz .LBB88_21
.LBB88_27:                              ;   in Loop: Header=BB88_23 Depth=1
	s_mov_b32 s12, 0
	s_and_b64 vcc, exec, s[2:3]
	s_cbranch_vccnz .LBB88_31
; %bb.28:                               ;   in Loop: Header=BB88_23 Depth=1
	s_mov_b32 s24, 0
	v_mov_b64_e32 v[10:11], v[4:5]
.LBB88_29:                              ;   Parent Loop BB88_23 Depth=1
                                        ; =>  This Inner Loop Header: Depth=2
	global_load_dwordx4 v[12:15], v[10:11], off offset:-56
	global_load_dwordx4 v[16:19], v[10:11], off offset:-40
	;; [unrolled: 1-line block ×4, first 2 shown]
	v_mov_b32_e32 v1, s12
	ds_read_b128 v[28:31], v1
	ds_read_b128 v[32:35], v1 offset:16
	ds_read_b128 v[36:39], v1 offset:32
	;; [unrolled: 1-line block ×3, first 2 shown]
	s_add_i32 s24, s24, 8
	s_add_i32 s12, s12, 64
	v_lshl_add_u64 v[10:11], v[10:11], 0, 64
	s_cmp_eq_u32 s20, s24
	s_waitcnt vmcnt(3) lgkmcnt(3)
	v_fmac_f64_e32 v[8:9], v[28:29], v[12:13]
	v_fmac_f64_e32 v[8:9], v[30:31], v[14:15]
	s_waitcnt vmcnt(2) lgkmcnt(2)
	v_fmac_f64_e32 v[8:9], v[32:33], v[16:17]
	v_fmac_f64_e32 v[8:9], v[34:35], v[18:19]
	;; [unrolled: 3-line block ×4, first 2 shown]
	s_cbranch_scc0 .LBB88_29
; %bb.30:                               ;   in Loop: Header=BB88_23 Depth=1
	s_mov_b32 s12, s20
.LBB88_31:                              ;   in Loop: Header=BB88_23 Depth=1
	s_andn2_b64 vcc, exec, s[18:19]
	s_cbranch_vccnz .LBB88_21
; %bb.32:                               ;   in Loop: Header=BB88_23 Depth=1
	s_lshl_b32 s24, s12, 3
	v_lshl_add_u64 v[10:11], s[12:13], 3, v[2:3]
	s_mov_b32 s12, s22
.LBB88_33:                              ;   Parent Loop BB88_23 Depth=1
                                        ; =>  This Inner Loop Header: Depth=2
	global_load_dwordx2 v[12:13], v[10:11], off
	v_mov_b32_e32 v1, s24
	ds_read_b64 v[14:15], v1
	s_add_i32 s24, s24, 8
	s_add_i32 s12, s12, -1
	v_lshl_add_u64 v[10:11], v[10:11], 0, 8
	s_cmp_lg_u32 s12, 0
	s_waitcnt vmcnt(0) lgkmcnt(0)
	v_fmac_f64_e32 v[8:9], v[14:15], v[12:13]
	s_cbranch_scc1 .LBB88_33
	s_branch .LBB88_21
.LBB88_34:
	s_endpgm
	.section	.rodata,"a",@progbits
	.p2align	6, 0x0
	.amdhsa_kernel _ZL22rocblas_gemvtsm_kernelILb1ELi256EdPKddEviiT2_lPKT1_lilS5_lilS2_lPT3_lil
		.amdhsa_group_segment_fixed_size 512
		.amdhsa_private_segment_fixed_size 0
		.amdhsa_kernarg_size 136
		.amdhsa_user_sgpr_count 2
		.amdhsa_user_sgpr_dispatch_ptr 0
		.amdhsa_user_sgpr_queue_ptr 0
		.amdhsa_user_sgpr_kernarg_segment_ptr 1
		.amdhsa_user_sgpr_dispatch_id 0
		.amdhsa_user_sgpr_kernarg_preload_length 0
		.amdhsa_user_sgpr_kernarg_preload_offset 0
		.amdhsa_user_sgpr_private_segment_size 0
		.amdhsa_uses_dynamic_stack 0
		.amdhsa_enable_private_segment 0
		.amdhsa_system_sgpr_workgroup_id_x 1
		.amdhsa_system_sgpr_workgroup_id_y 0
		.amdhsa_system_sgpr_workgroup_id_z 0
		.amdhsa_system_sgpr_workgroup_info 0
		.amdhsa_system_vgpr_workitem_id 0
		.amdhsa_next_free_vgpr 44
		.amdhsa_next_free_sgpr 32
		.amdhsa_accum_offset 44
		.amdhsa_reserve_vcc 1
		.amdhsa_float_round_mode_32 0
		.amdhsa_float_round_mode_16_64 0
		.amdhsa_float_denorm_mode_32 3
		.amdhsa_float_denorm_mode_16_64 3
		.amdhsa_dx10_clamp 1
		.amdhsa_ieee_mode 1
		.amdhsa_fp16_overflow 0
		.amdhsa_tg_split 0
		.amdhsa_exception_fp_ieee_invalid_op 0
		.amdhsa_exception_fp_denorm_src 0
		.amdhsa_exception_fp_ieee_div_zero 0
		.amdhsa_exception_fp_ieee_overflow 0
		.amdhsa_exception_fp_ieee_underflow 0
		.amdhsa_exception_fp_ieee_inexact 0
		.amdhsa_exception_int_div_zero 0
	.end_amdhsa_kernel
	.section	.text._ZL22rocblas_gemvtsm_kernelILb1ELi256EdPKddEviiT2_lPKT1_lilS5_lilS2_lPT3_lil,"axG",@progbits,_ZL22rocblas_gemvtsm_kernelILb1ELi256EdPKddEviiT2_lPKT1_lilS5_lilS2_lPT3_lil,comdat
.Lfunc_end88:
	.size	_ZL22rocblas_gemvtsm_kernelILb1ELi256EdPKddEviiT2_lPKT1_lilS5_lilS2_lPT3_lil, .Lfunc_end88-_ZL22rocblas_gemvtsm_kernelILb1ELi256EdPKddEviiT2_lPKT1_lilS5_lilS2_lPT3_lil
                                        ; -- End function
	.section	.AMDGPU.csdata,"",@progbits
; Kernel info:
; codeLenInByte = 1264
; NumSgprs: 38
; NumVgprs: 44
; NumAgprs: 0
; TotalNumVgprs: 44
; ScratchSize: 0
; MemoryBound: 0
; FloatMode: 240
; IeeeMode: 1
; LDSByteSize: 512 bytes/workgroup (compile time only)
; SGPRBlocks: 4
; VGPRBlocks: 5
; NumSGPRsForWavesPerEU: 38
; NumVGPRsForWavesPerEU: 44
; AccumOffset: 44
; Occupancy: 8
; WaveLimiterHint : 1
; COMPUTE_PGM_RSRC2:SCRATCH_EN: 0
; COMPUTE_PGM_RSRC2:USER_SGPR: 2
; COMPUTE_PGM_RSRC2:TRAP_HANDLER: 0
; COMPUTE_PGM_RSRC2:TGID_X_EN: 1
; COMPUTE_PGM_RSRC2:TGID_Y_EN: 0
; COMPUTE_PGM_RSRC2:TGID_Z_EN: 0
; COMPUTE_PGM_RSRC2:TIDIG_COMP_CNT: 0
; COMPUTE_PGM_RSRC3_GFX90A:ACCUM_OFFSET: 10
; COMPUTE_PGM_RSRC3_GFX90A:TG_SPLIT: 0
	.section	.text._ZL22rocblas_gemvtsm_kernelILb1ELi256EdddEviiT2_lPKT1_lilS3_lilS0_lPT3_lil,"axG",@progbits,_ZL22rocblas_gemvtsm_kernelILb1ELi256EdddEviiT2_lPKT1_lilS3_lilS0_lPT3_lil,comdat
	.globl	_ZL22rocblas_gemvtsm_kernelILb1ELi256EdddEviiT2_lPKT1_lilS3_lilS0_lPT3_lil ; -- Begin function _ZL22rocblas_gemvtsm_kernelILb1ELi256EdddEviiT2_lPKT1_lilS3_lilS0_lPT3_lil
	.p2align	8
	.type	_ZL22rocblas_gemvtsm_kernelILb1ELi256EdddEviiT2_lPKT1_lilS3_lilS0_lPT3_lil,@function
_ZL22rocblas_gemvtsm_kernelILb1ELi256EdddEviiT2_lPKT1_lilS3_lilS0_lPT3_lil: ; @_ZL22rocblas_gemvtsm_kernelILb1ELi256EdddEviiT2_lPKT1_lilS3_lilS0_lPT3_lil
; %bb.0:
	s_load_dwordx2 s[20:21], s[0:1], 0x8
	s_load_dwordx4 s[8:11], s[0:1], 0x50
	s_waitcnt lgkmcnt(0)
	v_cmp_eq_f64_e64 s[4:5], s[20:21], 0
	v_cmp_eq_f64_e64 s[6:7], s[10:11], 1.0
	s_and_b64 s[4:5], s[4:5], s[6:7]
	s_and_b64 vcc, exec, s[4:5]
	s_cbranch_vccnz .LBB89_34
; %bb.1:
	s_load_dwordx2 s[4:5], s[0:1], 0x80
	s_load_dword s16, s[0:1], 0x78
	s_load_dwordx2 s[18:19], s[0:1], 0x0
	s_load_dwordx4 s[12:15], s[0:1], 0x68
	s_waitcnt lgkmcnt(0)
	s_mul_i32 s3, s2, s5
	s_mul_hi_u32 s5, s2, s4
	s_add_i32 s23, s5, s3
	s_mul_i32 s22, s2, s4
	v_cmp_neq_f64_e64 s[4:5], s[20:21], 0
	s_and_b64 vcc, exec, s[4:5]
	s_cbranch_vccnz .LBB89_9
; %bb.2:
	s_cmp_gt_i32 s19, 0
	s_cselect_b64 s[6:7], -1, 0
	v_cmp_neq_f64_e64 s[4:5], s[10:11], 0
	v_cndmask_b32_e64 v1, 0, 1, s[6:7]
	s_and_b64 vcc, exec, s[4:5]
	v_cmp_ne_u32_e64 s[4:5], 1, v1
	s_cbranch_vccnz .LBB89_10
; %bb.3:
	s_and_b64 vcc, exec, s[4:5]
	s_cbranch_vccnz .LBB89_8
; %bb.4:
	v_mad_i64_i32 v[2:3], s[24:25], s16, v0, 0
	s_ashr_i32 s17, s16, 31
	s_lshl_b64 s[6:7], s[22:23], 3
	s_lshl_b64 s[24:25], s[14:15], 3
	s_add_u32 s3, s12, s24
	s_addc_u32 s24, s13, s25
	s_add_u32 s6, s3, s6
	s_addc_u32 s7, s24, s7
	v_lshl_add_u64 v[2:3], v[2:3], 3, s[6:7]
	s_lshl_b64 s[6:7], s[16:17], 11
	s_mov_b32 s3, 0
	v_mov_b32_e32 v4, 0
	s_branch .LBB89_6
.LBB89_5:                               ;   in Loop: Header=BB89_6 Depth=1
	s_or_b64 exec, exec, s[24:25]
	s_addk_i32 s3, 0x100
	s_cmp_ge_i32 s3, s19
	v_lshl_add_u64 v[2:3], v[2:3], 0, s[6:7]
	s_cbranch_scc1 .LBB89_8
.LBB89_6:                               ; =>This Inner Loop Header: Depth=1
	v_add_u32_e32 v1, s3, v0
	v_cmp_gt_i32_e32 vcc, s19, v1
	s_and_saveexec_b64 s[24:25], vcc
	s_cbranch_execz .LBB89_5
; %bb.7:                                ;   in Loop: Header=BB89_6 Depth=1
	v_mov_b32_e32 v5, v4
	global_store_dwordx2 v[2:3], v[4:5], off
	s_branch .LBB89_5
.LBB89_8:
	s_cbranch_execz .LBB89_11
	s_branch .LBB89_16
.LBB89_9:
	s_branch .LBB89_17
.LBB89_10:
.LBB89_11:
	s_and_b64 vcc, exec, s[4:5]
	s_cbranch_vccnz .LBB89_16
; %bb.12:
	v_mad_i64_i32 v[2:3], s[6:7], s16, v0, 0
	s_ashr_i32 s17, s16, 31
	s_lshl_b64 s[4:5], s[22:23], 3
	s_lshl_b64 s[6:7], s[14:15], 3
	s_add_u32 s3, s12, s6
	s_addc_u32 s6, s13, s7
	s_add_u32 s4, s3, s4
	s_addc_u32 s5, s6, s5
	v_lshl_add_u64 v[2:3], v[2:3], 3, s[4:5]
	s_lshl_b64 s[4:5], s[16:17], 11
	s_mov_b32 s3, 0
	s_branch .LBB89_14
.LBB89_13:                              ;   in Loop: Header=BB89_14 Depth=1
	s_or_b64 exec, exec, s[6:7]
	s_addk_i32 s3, 0x100
	s_cmp_ge_i32 s3, s19
	v_lshl_add_u64 v[2:3], v[2:3], 0, s[4:5]
	s_cbranch_scc1 .LBB89_16
.LBB89_14:                              ; =>This Inner Loop Header: Depth=1
	v_add_u32_e32 v1, s3, v0
	v_cmp_gt_i32_e32 vcc, s19, v1
	s_and_saveexec_b64 s[6:7], vcc
	s_cbranch_execz .LBB89_13
; %bb.15:                               ;   in Loop: Header=BB89_14 Depth=1
	global_load_dwordx2 v[4:5], v[2:3], off
	s_waitcnt vmcnt(0)
	v_mul_f64 v[4:5], v[4:5], s[10:11]
	global_store_dwordx2 v[2:3], v[4:5], off
	s_branch .LBB89_13
.LBB89_16:
	s_cbranch_execnz .LBB89_34
.LBB89_17:
	s_load_dwordx4 s[4:7], s[0:1], 0x30
	s_load_dwordx2 s[26:27], s[0:1], 0x40
	v_cmp_gt_i32_e32 vcc, s18, v0
	s_and_saveexec_b64 s[24:25], vcc
	s_cbranch_execz .LBB89_19
; %bb.18:
	s_mul_i32 s3, s2, s9
	s_mul_hi_u32 s9, s2, s8
	s_add_i32 s9, s9, s3
	s_mul_i32 s8, s2, s8
	s_lshl_b64 s[8:9], s[8:9], 3
	s_waitcnt lgkmcnt(0)
	s_add_u32 s3, s6, s8
	s_addc_u32 s8, s7, s9
	s_load_dword s9, s[0:1], 0x48
	s_lshl_b64 s[6:7], s[26:27], 3
	s_add_u32 s6, s3, s6
	s_addc_u32 s7, s8, s7
	v_lshlrev_b32_e32 v1, 3, v0
	s_waitcnt lgkmcnt(0)
	v_mad_i64_i32 v[2:3], s[8:9], s9, v0, 0
	v_lshl_add_u64 v[2:3], v[2:3], 3, s[6:7]
	global_load_dwordx2 v[2:3], v[2:3], off
	s_waitcnt vmcnt(0)
	v_mul_f64 v[2:3], v[2:3], s[20:21]
	ds_write_b64 v1, v[2:3]
.LBB89_19:
	s_or_b64 exec, exec, s[24:25]
	s_cmp_lt_i32 s19, 1
	s_waitcnt lgkmcnt(0)
	s_barrier
	s_cbranch_scc1 .LBB89_34
; %bb.20:
	s_load_dwordx4 s[24:27], s[0:1], 0x18
	s_load_dword s20, s[0:1], 0x28
	s_lshl_b64 s[6:7], s[22:23], 3
	s_add_u32 s3, s12, s6
	s_addc_u32 s7, s13, s7
	s_lshl_b64 s[0:1], s[14:15], 3
	s_add_u32 s6, s3, s0
	s_addc_u32 s7, s7, s1
	s_waitcnt lgkmcnt(0)
	s_ashr_i32 s21, s20, 31
	s_ashr_i32 s17, s16, 31
	s_cmp_gt_i32 s18, 0
	s_cselect_b64 s[28:29], -1, 0
	s_and_b32 s22, s18, 7
	s_cmp_gt_u32 s18, 7
	s_cselect_b64 s[30:31], -1, 0
	s_and_b32 s18, s18, 0x7ffffff8
	s_cmp_lg_u32 s22, 0
	s_mul_i32 s0, s5, s2
	s_mul_hi_u32 s1, s4, s2
	s_cselect_b64 s[12:13], -1, 0
	s_add_i32 s1, s1, s0
	s_mul_i32 s0, s4, s2
	v_mad_i64_i32 v[2:3], s[2:3], s20, v0, 0
	s_lshl_b64 s[0:1], s[0:1], 3
	s_lshl_b64 s[2:3], s[26:27], 3
	s_add_u32 s2, s24, s2
	s_addc_u32 s3, s25, s3
	s_add_u32 s0, s2, s0
	s_addc_u32 s1, s3, s1
	v_lshl_add_u64 v[2:3], v[2:3], 3, s[0:1]
	v_cmp_neq_f64_e64 s[0:1], s[10:11], 0
	s_mov_b32 s9, 0
	v_lshl_add_u64 v[4:5], v[2:3], 0, 56
	v_cndmask_b32_e64 v1, 0, 1, s[0:1]
	v_cmp_ne_u32_e64 s[0:1], 1, v1
	v_cndmask_b32_e64 v1, 0, 1, s[28:29]
	v_cmp_ne_u32_e64 s[2:3], 1, v1
	v_cndmask_b32_e64 v1, 0, 1, s[30:31]
	s_lshl_b64 s[14:15], s[20:21], 11
	v_cmp_ne_u32_e64 s[4:5], 1, v1
	s_mov_b32 s23, 0
	s_branch .LBB89_23
.LBB89_21:                              ;   in Loop: Header=BB89_23 Depth=1
	global_store_dwordx2 v[6:7], v[8:9], off
.LBB89_22:                              ;   in Loop: Header=BB89_23 Depth=1
	s_or_b64 exec, exec, s[20:21]
	s_addk_i32 s23, 0x100
	v_lshl_add_u64 v[4:5], v[4:5], 0, s[14:15]
	s_cmp_ge_i32 s23, s19
	v_lshl_add_u64 v[2:3], v[2:3], 0, s[14:15]
	s_cbranch_scc1 .LBB89_34
.LBB89_23:                              ; =>This Loop Header: Depth=1
                                        ;     Child Loop BB89_29 Depth 2
                                        ;     Child Loop BB89_33 Depth 2
	v_add_u32_e32 v1, s23, v0
	v_cmp_gt_i32_e32 vcc, s19, v1
	s_and_saveexec_b64 s[20:21], vcc
	s_cbranch_execz .LBB89_22
; %bb.24:                               ;   in Loop: Header=BB89_23 Depth=1
	v_mad_u64_u32 v[6:7], s[24:25], v1, s16, 0
	v_mov_b32_e32 v8, v7
	v_mad_u64_u32 v[8:9], s[24:25], v1, s17, v[8:9]
	v_mov_b32_e32 v7, v8
	s_and_b64 vcc, exec, s[0:1]
	v_lshl_add_u64 v[6:7], v[6:7], 3, s[6:7]
	s_cbranch_vccnz .LBB89_26
; %bb.25:                               ;   in Loop: Header=BB89_23 Depth=1
	global_load_dwordx2 v[8:9], v[6:7], off
	s_waitcnt vmcnt(0)
	v_mul_f64 v[8:9], v[8:9], s[10:11]
	s_and_b64 vcc, exec, s[2:3]
	s_cbranch_vccz .LBB89_27
	s_branch .LBB89_21
.LBB89_26:                              ;   in Loop: Header=BB89_23 Depth=1
	v_mov_b64_e32 v[8:9], 0
	s_and_b64 vcc, exec, s[2:3]
	s_cbranch_vccnz .LBB89_21
.LBB89_27:                              ;   in Loop: Header=BB89_23 Depth=1
	s_mov_b32 s8, 0
	s_and_b64 vcc, exec, s[4:5]
	s_cbranch_vccnz .LBB89_31
; %bb.28:                               ;   in Loop: Header=BB89_23 Depth=1
	s_mov_b32 s24, 0
	v_mov_b64_e32 v[10:11], v[4:5]
.LBB89_29:                              ;   Parent Loop BB89_23 Depth=1
                                        ; =>  This Inner Loop Header: Depth=2
	global_load_dwordx4 v[12:15], v[10:11], off offset:-56
	global_load_dwordx4 v[16:19], v[10:11], off offset:-40
	;; [unrolled: 1-line block ×4, first 2 shown]
	v_mov_b32_e32 v1, s8
	ds_read_b128 v[28:31], v1
	ds_read_b128 v[32:35], v1 offset:16
	ds_read_b128 v[36:39], v1 offset:32
	;; [unrolled: 1-line block ×3, first 2 shown]
	s_add_i32 s24, s24, 8
	s_add_i32 s8, s8, 64
	v_lshl_add_u64 v[10:11], v[10:11], 0, 64
	s_cmp_eq_u32 s18, s24
	s_waitcnt vmcnt(3) lgkmcnt(3)
	v_fmac_f64_e32 v[8:9], v[28:29], v[12:13]
	v_fmac_f64_e32 v[8:9], v[30:31], v[14:15]
	s_waitcnt vmcnt(2) lgkmcnt(2)
	v_fmac_f64_e32 v[8:9], v[32:33], v[16:17]
	v_fmac_f64_e32 v[8:9], v[34:35], v[18:19]
	;; [unrolled: 3-line block ×4, first 2 shown]
	s_cbranch_scc0 .LBB89_29
; %bb.30:                               ;   in Loop: Header=BB89_23 Depth=1
	s_mov_b32 s8, s18
.LBB89_31:                              ;   in Loop: Header=BB89_23 Depth=1
	s_andn2_b64 vcc, exec, s[12:13]
	s_cbranch_vccnz .LBB89_21
; %bb.32:                               ;   in Loop: Header=BB89_23 Depth=1
	s_lshl_b32 s24, s8, 3
	v_lshl_add_u64 v[10:11], s[8:9], 3, v[2:3]
	s_mov_b32 s8, s22
.LBB89_33:                              ;   Parent Loop BB89_23 Depth=1
                                        ; =>  This Inner Loop Header: Depth=2
	global_load_dwordx2 v[12:13], v[10:11], off
	v_mov_b32_e32 v1, s24
	ds_read_b64 v[14:15], v1
	s_add_i32 s24, s24, 8
	s_add_i32 s8, s8, -1
	v_lshl_add_u64 v[10:11], v[10:11], 0, 8
	s_cmp_lg_u32 s8, 0
	s_waitcnt vmcnt(0) lgkmcnt(0)
	v_fmac_f64_e32 v[8:9], v[14:15], v[12:13]
	s_cbranch_scc1 .LBB89_33
	s_branch .LBB89_21
.LBB89_34:
	s_endpgm
	.section	.rodata,"a",@progbits
	.p2align	6, 0x0
	.amdhsa_kernel _ZL22rocblas_gemvtsm_kernelILb1ELi256EdddEviiT2_lPKT1_lilS3_lilS0_lPT3_lil
		.amdhsa_group_segment_fixed_size 512
		.amdhsa_private_segment_fixed_size 0
		.amdhsa_kernarg_size 136
		.amdhsa_user_sgpr_count 2
		.amdhsa_user_sgpr_dispatch_ptr 0
		.amdhsa_user_sgpr_queue_ptr 0
		.amdhsa_user_sgpr_kernarg_segment_ptr 1
		.amdhsa_user_sgpr_dispatch_id 0
		.amdhsa_user_sgpr_kernarg_preload_length 0
		.amdhsa_user_sgpr_kernarg_preload_offset 0
		.amdhsa_user_sgpr_private_segment_size 0
		.amdhsa_uses_dynamic_stack 0
		.amdhsa_enable_private_segment 0
		.amdhsa_system_sgpr_workgroup_id_x 1
		.amdhsa_system_sgpr_workgroup_id_y 0
		.amdhsa_system_sgpr_workgroup_id_z 0
		.amdhsa_system_sgpr_workgroup_info 0
		.amdhsa_system_vgpr_workitem_id 0
		.amdhsa_next_free_vgpr 44
		.amdhsa_next_free_sgpr 32
		.amdhsa_accum_offset 44
		.amdhsa_reserve_vcc 1
		.amdhsa_float_round_mode_32 0
		.amdhsa_float_round_mode_16_64 0
		.amdhsa_float_denorm_mode_32 3
		.amdhsa_float_denorm_mode_16_64 3
		.amdhsa_dx10_clamp 1
		.amdhsa_ieee_mode 1
		.amdhsa_fp16_overflow 0
		.amdhsa_tg_split 0
		.amdhsa_exception_fp_ieee_invalid_op 0
		.amdhsa_exception_fp_denorm_src 0
		.amdhsa_exception_fp_ieee_div_zero 0
		.amdhsa_exception_fp_ieee_overflow 0
		.amdhsa_exception_fp_ieee_underflow 0
		.amdhsa_exception_fp_ieee_inexact 0
		.amdhsa_exception_int_div_zero 0
	.end_amdhsa_kernel
	.section	.text._ZL22rocblas_gemvtsm_kernelILb1ELi256EdddEviiT2_lPKT1_lilS3_lilS0_lPT3_lil,"axG",@progbits,_ZL22rocblas_gemvtsm_kernelILb1ELi256EdddEviiT2_lPKT1_lilS3_lilS0_lPT3_lil,comdat
.Lfunc_end89:
	.size	_ZL22rocblas_gemvtsm_kernelILb1ELi256EdddEviiT2_lPKT1_lilS3_lilS0_lPT3_lil, .Lfunc_end89-_ZL22rocblas_gemvtsm_kernelILb1ELi256EdddEviiT2_lPKT1_lilS3_lilS0_lPT3_lil
                                        ; -- End function
	.section	.AMDGPU.csdata,"",@progbits
; Kernel info:
; codeLenInByte = 1196
; NumSgprs: 38
; NumVgprs: 44
; NumAgprs: 0
; TotalNumVgprs: 44
; ScratchSize: 0
; MemoryBound: 0
; FloatMode: 240
; IeeeMode: 1
; LDSByteSize: 512 bytes/workgroup (compile time only)
; SGPRBlocks: 4
; VGPRBlocks: 5
; NumSGPRsForWavesPerEU: 38
; NumVGPRsForWavesPerEU: 44
; AccumOffset: 44
; Occupancy: 8
; WaveLimiterHint : 1
; COMPUTE_PGM_RSRC2:SCRATCH_EN: 0
; COMPUTE_PGM_RSRC2:USER_SGPR: 2
; COMPUTE_PGM_RSRC2:TRAP_HANDLER: 0
; COMPUTE_PGM_RSRC2:TGID_X_EN: 1
; COMPUTE_PGM_RSRC2:TGID_Y_EN: 0
; COMPUTE_PGM_RSRC2:TGID_Z_EN: 0
; COMPUTE_PGM_RSRC2:TIDIG_COMP_CNT: 0
; COMPUTE_PGM_RSRC3_GFX90A:ACCUM_OFFSET: 10
; COMPUTE_PGM_RSRC3_GFX90A:TG_SPLIT: 0
	.section	.text._ZL23rocblas_gemvt_sn_kernelILb1ELi256ELi4EidPKddEviiT4_lPKT3_lilS5_lilPT5_i,"axG",@progbits,_ZL23rocblas_gemvt_sn_kernelILb1ELi256ELi4EidPKddEviiT4_lPKT3_lilS5_lilPT5_i,comdat
	.globl	_ZL23rocblas_gemvt_sn_kernelILb1ELi256ELi4EidPKddEviiT4_lPKT3_lilS5_lilPT5_i ; -- Begin function _ZL23rocblas_gemvt_sn_kernelILb1ELi256ELi4EidPKddEviiT4_lPKT3_lilS5_lilPT5_i
	.p2align	8
	.type	_ZL23rocblas_gemvt_sn_kernelILb1ELi256ELi4EidPKddEviiT4_lPKT3_lilS5_lilPT5_i,@function
_ZL23rocblas_gemvt_sn_kernelILb1ELi256ELi4EidPKddEviiT4_lPKT3_lilS5_lilPT5_i: ; @_ZL23rocblas_gemvt_sn_kernelILb1ELi256ELi4EidPKddEviiT4_lPKT3_lilS5_lilPT5_i
; %bb.0:
	s_load_dwordx8 s[20:27], s[0:1], 0x8
	s_load_dwordx2 s[28:29], s[0:1], 0x0
	s_mov_b32 s31, 0
	s_waitcnt lgkmcnt(0)
	s_mul_i32 s4, s3, s23
	s_mul_hi_u32 s5, s3, s22
	s_add_i32 s5, s5, s4
	s_mul_i32 s4, s3, s22
	s_lshl_b64 s[4:5], s[4:5], 3
	s_add_u32 s4, s20, s4
	s_addc_u32 s5, s21, s5
	s_load_dwordx2 s[22:23], s[4:5], 0x0
	s_load_dwordx4 s[8:11], s[0:1], 0x50
	s_load_dword s30, s[0:1], 0x68
	s_ashr_i32 s12, s29, 31
	s_mul_hi_u32 s4, s29, s3
	s_mul_i32 s5, s12, s3
	s_add_i32 s4, s4, s5
	s_mul_i32 s6, s29, s3
	s_waitcnt lgkmcnt(0)
	s_mul_i32 s4, s4, s30
	s_mul_hi_u32 s5, s6, s30
	s_add_i32 s5, s5, s4
	s_mul_i32 s4, s6, s30
	s_lshl_b64 s[4:5], s[4:5], 3
	s_add_u32 s56, s10, s4
	s_addc_u32 s57, s11, s5
	v_cmp_neq_f64_e64 s[4:5], s[22:23], 0
	s_and_b64 vcc, exec, s[4:5]
	v_cmp_eq_u32_e64 s[4:5], 0, v0
	s_cbranch_vccnz .LBB90_5
; %bb.1:
	s_cmp_gt_i32 s29, 0
	s_cselect_b64 s[6:7], -1, 0
	s_and_b64 s[6:7], s[4:5], s[6:7]
	s_and_saveexec_b64 s[4:5], s[6:7]
	s_cbranch_execz .LBB90_4
; %bb.2:
	s_mov_b32 s6, s3
	s_mov_b32 s3, 0
	s_lshl_b64 s[10:11], s[2:3], 3
	s_mov_b32 s3, s6
	s_add_u32 s6, s56, s10
	v_mov_b32_e32 v2, 0
	s_addc_u32 s7, s57, s11
	s_lshl_b64 s[10:11], s[30:31], 3
	v_mov_b32_e32 v3, v2
	s_mov_b32 s13, s29
.LBB90_3:                               ; =>This Inner Loop Header: Depth=1
	s_add_i32 s13, s13, -1
	global_store_dwordx2 v2, v[2:3], s[6:7]
	s_add_u32 s6, s6, s10
	s_addc_u32 s7, s7, s11
	s_cmp_eq_u32 s13, 0
	s_cbranch_scc0 .LBB90_3
.LBB90_4:
	s_or_b64 exec, exec, s[4:5]
	s_cbranch_execz .LBB90_6
	s_branch .LBB90_79
.LBB90_5:
.LBB90_6:
	s_load_dword s34, s[0:1], 0x28
	s_load_dwordx4 s[4:7], s[0:1], 0x30
	s_load_dwordx2 s[10:11], s[0:1], 0x40
	s_load_dword s31, s[0:1], 0x48
	s_mul_i32 s0, s3, s9
	s_mul_hi_u32 s1, s3, s8
	s_add_i32 s1, s1, s0
	s_mul_i32 s0, s3, s8
	s_lshl_b64 s[0:1], s[0:1], 3
	s_waitcnt lgkmcnt(0)
	s_add_u32 s6, s6, s0
	s_addc_u32 s7, s7, s1
	s_lshl_b64 s[0:1], s[10:11], 3
	s_add_u32 s36, s6, s0
	s_addc_u32 s37, s7, s1
	s_mul_i32 s0, s3, s5
	s_mul_hi_u32 s1, s3, s4
	s_add_i32 s1, s1, s0
	s_mul_i32 s0, s3, s4
	s_lshl_b64 s[38:39], s[0:1], 3
	s_add_u32 s0, s24, s38
	s_addc_u32 s1, s25, s39
	s_lshl_b64 s[26:27], s[26:27], 3
	s_add_u32 s0, s0, s26
	s_addc_u32 s1, s1, s27
	s_lshl_b32 s3, s2, 10
	v_lshl_or_b32 v14, v0, 2, s3
	v_ashrrev_i32_e32 v15, 31, v14
	v_lshl_add_u64 v[10:11], v[14:15], 3, s[0:1]
	s_lshr_b32 s0, s12, 30
	s_add_i32 s0, s29, s0
	s_and_b32 s3, s0, -4
	s_ashr_i32 s0, s28, 31
	s_lshr_b32 s0, s0, 30
	s_add_i32 s0, s28, s0
	s_and_b32 s0, s0, -4
	s_sub_i32 s33, s28, s0
	s_cmp_lt_i32 s3, 1
	v_add_u32_e32 v41, 4, v14
	v_add_u32_e32 v42, s33, v14
	v_and_b32_e32 v1, 63, v0
	v_cmp_gt_u32_e64 s[0:1], 64, v0
	v_mbcnt_lo_u32_b32 v40, -1, 0
	v_cmp_gt_u32_e64 s[4:5], 4, v0
	v_lshrrev_b32_e32 v13, 3, v0
	v_mul_lo_u32 v12, v14, s31
	s_cbranch_scc1 .LBB90_54
; %bb.7:
	v_mbcnt_hi_u32_b32 v2, -1, v40
	v_and_b32_e32 v3, 63, v2
	v_cmp_gt_u32_e32 vcc, 32, v3
	v_mul_lo_u32 v16, v14, s31
	s_cmp_gt_i32 s33, 0
	v_cndmask_b32_e64 v4, 0, 1, vcc
	v_lshlrev_b32_e32 v4, 5, v4
	v_cmp_gt_u32_e32 vcc, 48, v3
	v_add_lshl_u32 v43, v4, v2, 2
	s_cselect_b64 s[42:43], -1, 0
	v_cndmask_b32_e64 v4, 0, 1, vcc
	v_lshlrev_b32_e32 v4, 4, v4
	v_cmp_gt_u32_e32 vcc, 56, v3
	v_add_lshl_u32 v44, v4, v2, 2
	s_lshl_b32 s58, s34, 2
	v_cndmask_b32_e64 v4, 0, 1, vcc
	v_lshlrev_b32_e32 v4, 3, v4
	v_cmp_gt_u32_e32 vcc, 60, v3
	v_add_lshl_u32 v45, v4, v2, 2
	s_lshl_b32 s40, s34, 1
	v_cndmask_b32_e64 v4, 0, 1, vcc
	v_lshlrev_b32_e32 v4, 2, v4
	v_cmp_gt_u32_e32 vcc, 62, v3
	v_add_lshl_u32 v46, v4, v2, 2
	s_add_u32 s14, s38, s26
	v_cndmask_b32_e64 v4, 0, 1, vcc
	v_lshlrev_b32_e32 v4, 1, v4
	v_cmp_ne_u32_e32 vcc, 63, v3
	v_add_lshl_u32 v47, v4, v2, 2
	s_addc_u32 s15, s39, s27
	v_addc_co_u32_e32 v2, vcc, 0, v2, vcc
	v_lshlrev_b32_e32 v48, 2, v2
	v_add_u32_e32 v2, s31, v16
	v_ashrrev_i32_e32 v3, 31, v2
	v_lshl_add_u64 v[20:21], v[2:3], 3, s[36:37]
	v_add_u32_e32 v2, s31, v2
	v_ashrrev_i32_e32 v3, 31, v2
	s_mov_b32 s41, 0
	v_lshl_add_u64 v[22:23], v[2:3], 3, s[36:37]
	v_add_u32_e32 v2, s31, v2
	s_add_u32 s14, s24, s14
	v_ashrrev_i32_e32 v17, 31, v16
	v_ashrrev_i32_e32 v3, 31, v2
	s_mov_b32 s35, s41
	s_addc_u32 s15, s25, s15
	v_cmp_ge_i32_e64 s[6:7], s28, v41
	v_cmp_ge_i32_e64 s[8:9], s28, v42
	v_cmp_eq_u32_e64 s[10:11], 0, v1
	v_lshlrev_b32_e32 v49, 3, v1
	v_and_b32_e32 v50, 24, v13
	v_cmp_eq_u32_e64 s[12:13], 0, v0
	v_lshl_add_u64 v[18:19], v[16:17], 3, s[36:37]
	v_lshl_add_u64 v[24:25], v[2:3], 3, s[36:37]
	s_mul_i32 s59, s34, 3
	s_mov_b32 s60, s41
	v_lshl_add_u64 v[26:27], v[14:15], 3, s[14:15]
	v_mov_b32_e32 v28, 0
	s_mov_b32 s44, s41
	s_mov_b64 s[46:47], s[40:41]
	s_mov_b64 s[48:49], s[34:35]
	s_mov_b32 s35, 0
                                        ; implicit-def: $vgpr2_vgpr3_vgpr4_vgpr5_vgpr6_vgpr7_vgpr8_vgpr9
	s_branch .LBB90_9
.LBB90_8:                               ;   in Loop: Header=BB90_9 Depth=1
	s_or_b64 exec, exec, s[14:15]
	s_add_i32 s35, s35, 4
	s_add_u32 s48, s48, s58
	s_addc_u32 s49, s49, 0
	s_add_u32 s46, s46, s58
	s_addc_u32 s47, s47, 0
	;; [unrolled: 2-line block ×3, first 2 shown]
	s_add_i32 s44, s44, s58
	s_cmp_ge_i32 s35, s3
	s_cbranch_scc1 .LBB90_55
.LBB90_9:                               ; =>This Loop Header: Depth=1
                                        ;     Child Loop BB90_40 Depth 2
                                        ;     Child Loop BB90_43 Depth 2
                                        ; implicit-def: $vgpr30_vgpr31
                                        ; implicit-def: $vgpr32_vgpr33
                                        ; implicit-def: $vgpr34_vgpr35
                                        ; implicit-def: $vgpr36_vgpr37
	s_and_saveexec_b64 s[14:15], s[6:7]
	s_xor_b64 s[14:15], exec, s[14:15]
	s_cbranch_execnz .LBB90_36
; %bb.10:                               ;   in Loop: Header=BB90_9 Depth=1
	s_andn2_saveexec_b64 s[50:51], s[14:15]
	s_cbranch_execnz .LBB90_37
.LBB90_11:                              ;   in Loop: Header=BB90_9 Depth=1
	s_or_b64 exec, exec, s[50:51]
	s_and_saveexec_b64 s[14:15], s[0:1]
	s_cbranch_execz .LBB90_13
.LBB90_12:                              ;   in Loop: Header=BB90_9 Depth=1
	v_mov_b32_e32 v29, v28
	ds_write_b64 v49, v[28:29]
.LBB90_13:                              ;   in Loop: Header=BB90_9 Depth=1
	s_or_b64 exec, exec, s[14:15]
	ds_bpermute_b32 v38, v43, v36
	ds_bpermute_b32 v39, v43, v37
	s_waitcnt lgkmcnt(0)
	s_barrier
	v_add_f64 v[36:37], v[36:37], v[38:39]
	ds_bpermute_b32 v38, v44, v36
	ds_bpermute_b32 v39, v44, v37
	s_waitcnt lgkmcnt(0)
	v_add_f64 v[36:37], v[36:37], v[38:39]
	ds_bpermute_b32 v38, v45, v36
	ds_bpermute_b32 v39, v45, v37
	s_waitcnt lgkmcnt(0)
	;; [unrolled: 4-line block ×4, first 2 shown]
	v_add_f64 v[36:37], v[36:37], v[38:39]
	ds_bpermute_b32 v38, v48, v36
	ds_bpermute_b32 v39, v48, v37
	s_and_saveexec_b64 s[14:15], s[10:11]
	s_cbranch_execz .LBB90_15
; %bb.14:                               ;   in Loop: Header=BB90_9 Depth=1
	s_waitcnt lgkmcnt(0)
	v_add_f64 v[36:37], v[36:37], v[38:39]
	ds_write_b64 v50, v[36:37]
.LBB90_15:                              ;   in Loop: Header=BB90_9 Depth=1
	s_or_b64 exec, exec, s[14:15]
	v_mov_b64_e32 v[36:37], 0
	s_waitcnt lgkmcnt(0)
	s_barrier
	s_and_saveexec_b64 s[14:15], s[4:5]
	s_cbranch_execnz .LBB90_45
; %bb.16:                               ;   in Loop: Header=BB90_9 Depth=1
	s_or_b64 exec, exec, s[14:15]
	s_and_saveexec_b64 s[14:15], s[0:1]
	s_cbranch_execnz .LBB90_46
.LBB90_17:                              ;   in Loop: Header=BB90_9 Depth=1
	s_or_b64 exec, exec, s[14:15]
	s_and_saveexec_b64 s[14:15], s[0:1]
	s_cbranch_execz .LBB90_19
.LBB90_18:                              ;   in Loop: Header=BB90_9 Depth=1
	v_mov_b32_e32 v29, v28
	ds_write_b64 v49, v[28:29]
.LBB90_19:                              ;   in Loop: Header=BB90_9 Depth=1
	s_or_b64 exec, exec, s[14:15]
	ds_bpermute_b32 v38, v43, v34
	ds_bpermute_b32 v39, v43, v35
	s_waitcnt lgkmcnt(0)
	s_barrier
	v_add_f64 v[34:35], v[34:35], v[38:39]
	ds_bpermute_b32 v38, v44, v34
	ds_bpermute_b32 v39, v44, v35
	s_waitcnt lgkmcnt(0)
	v_add_f64 v[34:35], v[34:35], v[38:39]
	ds_bpermute_b32 v38, v45, v34
	ds_bpermute_b32 v39, v45, v35
	s_waitcnt lgkmcnt(0)
	;; [unrolled: 4-line block ×4, first 2 shown]
	v_add_f64 v[34:35], v[34:35], v[38:39]
	ds_bpermute_b32 v38, v48, v34
	ds_bpermute_b32 v39, v48, v35
	s_and_saveexec_b64 s[14:15], s[10:11]
	s_cbranch_execz .LBB90_21
; %bb.20:                               ;   in Loop: Header=BB90_9 Depth=1
	s_waitcnt lgkmcnt(0)
	v_add_f64 v[34:35], v[34:35], v[38:39]
	ds_write_b64 v50, v[34:35]
.LBB90_21:                              ;   in Loop: Header=BB90_9 Depth=1
	s_or_b64 exec, exec, s[14:15]
	v_mov_b64_e32 v[34:35], 0
	s_waitcnt lgkmcnt(0)
	s_barrier
	s_and_saveexec_b64 s[14:15], s[4:5]
	s_cbranch_execnz .LBB90_47
; %bb.22:                               ;   in Loop: Header=BB90_9 Depth=1
	s_or_b64 exec, exec, s[14:15]
	s_and_saveexec_b64 s[14:15], s[0:1]
	s_cbranch_execnz .LBB90_48
.LBB90_23:                              ;   in Loop: Header=BB90_9 Depth=1
	s_or_b64 exec, exec, s[14:15]
	s_and_saveexec_b64 s[14:15], s[0:1]
	s_cbranch_execz .LBB90_25
.LBB90_24:                              ;   in Loop: Header=BB90_9 Depth=1
	v_mov_b32_e32 v29, v28
	ds_write_b64 v49, v[28:29]
.LBB90_25:                              ;   in Loop: Header=BB90_9 Depth=1
	s_or_b64 exec, exec, s[14:15]
	ds_bpermute_b32 v38, v43, v32
	ds_bpermute_b32 v39, v43, v33
	s_waitcnt lgkmcnt(0)
	s_barrier
	v_add_f64 v[32:33], v[32:33], v[38:39]
	ds_bpermute_b32 v38, v44, v32
	ds_bpermute_b32 v39, v44, v33
	s_waitcnt lgkmcnt(0)
	v_add_f64 v[32:33], v[32:33], v[38:39]
	ds_bpermute_b32 v38, v45, v32
	ds_bpermute_b32 v39, v45, v33
	s_waitcnt lgkmcnt(0)
	;; [unrolled: 4-line block ×4, first 2 shown]
	v_add_f64 v[32:33], v[32:33], v[38:39]
	ds_bpermute_b32 v38, v48, v32
	ds_bpermute_b32 v39, v48, v33
	s_and_saveexec_b64 s[14:15], s[10:11]
	s_cbranch_execz .LBB90_27
; %bb.26:                               ;   in Loop: Header=BB90_9 Depth=1
	s_waitcnt lgkmcnt(0)
	v_add_f64 v[32:33], v[32:33], v[38:39]
	ds_write_b64 v50, v[32:33]
.LBB90_27:                              ;   in Loop: Header=BB90_9 Depth=1
	s_or_b64 exec, exec, s[14:15]
	v_mov_b64_e32 v[32:33], 0
	s_waitcnt lgkmcnt(0)
	s_barrier
	s_and_saveexec_b64 s[14:15], s[4:5]
	s_cbranch_execnz .LBB90_49
; %bb.28:                               ;   in Loop: Header=BB90_9 Depth=1
	s_or_b64 exec, exec, s[14:15]
	s_and_saveexec_b64 s[14:15], s[0:1]
	s_cbranch_execnz .LBB90_50
.LBB90_29:                              ;   in Loop: Header=BB90_9 Depth=1
	s_or_b64 exec, exec, s[14:15]
	s_and_saveexec_b64 s[14:15], s[0:1]
	s_cbranch_execz .LBB90_31
.LBB90_30:                              ;   in Loop: Header=BB90_9 Depth=1
	v_mov_b32_e32 v29, v28
	ds_write_b64 v49, v[28:29]
.LBB90_31:                              ;   in Loop: Header=BB90_9 Depth=1
	s_or_b64 exec, exec, s[14:15]
	ds_bpermute_b32 v38, v43, v30
	ds_bpermute_b32 v39, v43, v31
	s_waitcnt lgkmcnt(0)
	s_barrier
	v_add_f64 v[30:31], v[30:31], v[38:39]
	ds_bpermute_b32 v38, v44, v30
	ds_bpermute_b32 v39, v44, v31
	s_waitcnt lgkmcnt(0)
	v_add_f64 v[30:31], v[30:31], v[38:39]
	ds_bpermute_b32 v38, v45, v30
	ds_bpermute_b32 v39, v45, v31
	s_waitcnt lgkmcnt(0)
	;; [unrolled: 4-line block ×4, first 2 shown]
	v_add_f64 v[30:31], v[30:31], v[38:39]
	ds_bpermute_b32 v38, v48, v30
	ds_bpermute_b32 v39, v48, v31
	s_and_saveexec_b64 s[14:15], s[10:11]
	s_cbranch_execz .LBB90_33
; %bb.32:                               ;   in Loop: Header=BB90_9 Depth=1
	s_waitcnt lgkmcnt(0)
	v_add_f64 v[30:31], v[30:31], v[38:39]
	ds_write_b64 v50, v[30:31]
.LBB90_33:                              ;   in Loop: Header=BB90_9 Depth=1
	s_or_b64 exec, exec, s[14:15]
	v_mov_b64_e32 v[30:31], 0
	s_waitcnt lgkmcnt(0)
	s_barrier
	s_and_saveexec_b64 s[14:15], s[4:5]
	s_cbranch_execnz .LBB90_51
; %bb.34:                               ;   in Loop: Header=BB90_9 Depth=1
	s_or_b64 exec, exec, s[14:15]
	s_and_saveexec_b64 s[14:15], s[0:1]
	s_cbranch_execnz .LBB90_52
.LBB90_35:                              ;   in Loop: Header=BB90_9 Depth=1
	s_or_b64 exec, exec, s[14:15]
	s_and_saveexec_b64 s[14:15], s[12:13]
	s_cbranch_execz .LBB90_8
	s_branch .LBB90_53
.LBB90_36:                              ;   in Loop: Header=BB90_9 Depth=1
	s_mul_i32 s16, s35, s34
	s_ashr_i32 s17, s16, 31
	v_lshl_add_u64 v[8:9], s[16:17], 3, v[10:11]
	s_add_i32 s16, s16, s34
	s_ashr_i32 s17, s16, 31
	v_lshl_add_u64 v[34:35], s[16:17], 3, v[10:11]
	s_add_i32 s16, s16, s34
	s_ashr_i32 s17, s16, 31
	global_load_dwordx2 v[2:3], v[18:19], off
	global_load_dwordx2 v[4:5], v[20:21], off
	;; [unrolled: 1-line block ×3, first 2 shown]
	global_load_dwordx4 v[52:55], v[8:9], off offset:16
	s_waitcnt lgkmcnt(0)
	global_load_dwordx4 v[30:33], v[8:9], off
	v_lshl_add_u64 v[36:37], s[16:17], 3, v[10:11]
	s_add_i32 s16, s16, s34
	global_load_dwordx4 v[56:59], v[34:35], off
	global_load_dwordx4 v[60:63], v[36:37], off
	s_ashr_i32 s17, s16, 31
	v_lshl_add_u64 v[38:39], s[16:17], 3, v[10:11]
	global_load_dwordx4 v[64:67], v[38:39], off
	global_load_dwordx4 v[68:71], v[34:35], off offset:16
	global_load_dwordx2 v[8:9], v[24:25], off
	global_load_dwordx4 v[72:75], v[36:37], off offset:16
	global_load_dwordx4 v[76:79], v[38:39], off offset:16
	s_waitcnt vmcnt(7)
	v_fma_f64 v[36:37], v[2:3], v[30:31], 0
	v_fmac_f64_e32 v[36:37], v[4:5], v[32:33]
	v_fmac_f64_e32 v[36:37], v[6:7], v[52:53]
	s_waitcnt vmcnt(6)
	v_fma_f64 v[34:35], v[2:3], v[56:57], 0
	s_waitcnt vmcnt(5)
	v_fma_f64 v[32:33], v[2:3], v[60:61], 0
	;; [unrolled: 2-line block ×3, first 2 shown]
	v_fmac_f64_e32 v[34:35], v[4:5], v[58:59]
	v_fmac_f64_e32 v[32:33], v[4:5], v[62:63]
	;; [unrolled: 1-line block ×3, first 2 shown]
	s_waitcnt vmcnt(3)
	v_fmac_f64_e32 v[34:35], v[6:7], v[68:69]
	s_waitcnt vmcnt(1)
	v_fmac_f64_e32 v[32:33], v[6:7], v[72:73]
	s_waitcnt vmcnt(0)
	v_fmac_f64_e32 v[30:31], v[6:7], v[76:77]
	v_fmac_f64_e32 v[36:37], v[8:9], v[54:55]
	v_fmac_f64_e32 v[34:35], v[8:9], v[70:71]
	;; [unrolled: 1-line block ×4, first 2 shown]
	s_andn2_saveexec_b64 s[50:51], s[14:15]
	s_cbranch_execz .LBB90_11
.LBB90_37:                              ;   in Loop: Header=BB90_9 Depth=1
	s_waitcnt lgkmcnt(0)
	v_mov_b64_e32 v[30:31], 0
	v_mov_b64_e32 v[32:33], v[30:31]
	;; [unrolled: 1-line block ×4, first 2 shown]
	s_and_saveexec_b64 s[52:53], s[8:9]
	s_cbranch_execz .LBB90_44
; %bb.38:                               ;   in Loop: Header=BB90_9 Depth=1
	v_cndmask_b32_e64 v17, 0, 1, s[42:43]
	v_cmp_ne_u32_e64 s[14:15], 1, v17
	s_andn2_b64 vcc, exec, s[42:43]
	s_cbranch_vccnz .LBB90_41
; %bb.39:                               ;   in Loop: Header=BB90_9 Depth=1
	s_mov_b64 s[54:55], 0
	v_mov_b32_e32 v30, v16
.LBB90_40:                              ;   Parent Loop BB90_9 Depth=1
                                        ; =>  This Inner Loop Header: Depth=2
	v_ashrrev_i32_e32 v31, 31, v30
	v_lshl_add_u64 v[32:33], v[30:31], 3, s[36:37]
	global_load_dwordx2 v[32:33], v[32:33], off
	s_cmp_eq_u32 s54, 3
	s_cselect_b64 vcc, -1, 0
	s_cmp_eq_u32 s54, 2
	s_cselect_b64 s[16:17], -1, 0
	s_cmp_eq_u32 s54, 1
	s_cselect_b64 s[18:19], -1, 0
	;; [unrolled: 2-line block ×3, first 2 shown]
	s_add_u32 s54, s54, 1
	s_addc_u32 s55, s55, 0
	v_add_u32_e32 v30, s31, v30
	s_cmp_eq_u32 s33, s54
	s_waitcnt vmcnt(0)
	v_cndmask_b32_e32 v9, v9, v33, vcc
	v_cndmask_b32_e32 v8, v8, v32, vcc
	v_cndmask_b32_e64 v7, v7, v33, s[16:17]
	v_cndmask_b32_e64 v6, v6, v32, s[16:17]
	;; [unrolled: 1-line block ×6, first 2 shown]
	s_cbranch_scc0 .LBB90_40
.LBB90_41:                              ;   in Loop: Header=BB90_9 Depth=1
	v_mov_b64_e32 v[30:31], 0
	s_and_b64 vcc, exec, s[14:15]
	v_mov_b64_e32 v[32:33], v[30:31]
	v_mov_b64_e32 v[34:35], v[30:31]
	;; [unrolled: 1-line block ×3, first 2 shown]
	s_cbranch_vccnz .LBB90_44
; %bb.42:                               ;   in Loop: Header=BB90_9 Depth=1
	s_ashr_i32 s45, s44, 31
	v_mov_b64_e32 v[36:37], 0
	v_lshl_add_u64 v[38:39], s[44:45], 3, v[26:27]
	s_mov_b64 s[18:19], 0
	v_mov_b64_e32 v[34:35], v[36:37]
	v_mov_b64_e32 v[32:33], v[36:37]
	;; [unrolled: 1-line block ×3, first 2 shown]
.LBB90_43:                              ;   Parent Loop BB90_9 Depth=1
                                        ; =>  This Inner Loop Header: Depth=2
	s_cmp_eq_u32 s18, 1
	s_cselect_b64 vcc, -1, 0
	s_cmp_eq_u32 s18, 2
	s_cselect_b64 s[14:15], -1, 0
	s_cmp_eq_u32 s18, 3
	s_cselect_b64 s[16:17], -1, 0
	s_add_i32 s20, s48, s18
	s_add_i32 s54, s46, s18
	;; [unrolled: 1-line block ×3, first 2 shown]
	s_ashr_i32 s21, s20, 31
	s_ashr_i32 s55, s54, 31
	;; [unrolled: 1-line block ×3, first 2 shown]
	v_lshl_add_u64 v[54:55], s[20:21], 3, v[10:11]
	v_lshl_add_u64 v[56:57], s[54:55], 3, v[10:11]
	;; [unrolled: 1-line block ×3, first 2 shown]
	global_load_dwordx2 v[52:53], v[38:39], off
	s_nop 0
	global_load_dwordx2 v[54:55], v[54:55], off
	s_nop 0
	;; [unrolled: 2-line block ×3, first 2 shown]
	global_load_dwordx2 v[58:59], v[58:59], off
	v_cndmask_b32_e32 v17, v3, v5, vcc
	v_cndmask_b32_e64 v17, v17, v7, s[14:15]
	v_cndmask_b32_e32 v29, v2, v4, vcc
	v_cndmask_b32_e64 v61, v17, v9, s[16:17]
	v_cndmask_b32_e64 v17, v29, v6, s[14:15]
	s_add_u32 s18, s18, 1
	v_cndmask_b32_e64 v60, v17, v8, s[16:17]
	s_addc_u32 s19, s19, 0
	v_lshl_add_u64 v[38:39], v[38:39], 0, 8
	s_cmp_lg_u32 s33, s18
	s_waitcnt vmcnt(2)
	v_fmac_f64_e32 v[34:35], v[60:61], v[54:55]
	v_fmac_f64_e32 v[36:37], v[60:61], v[52:53]
	s_waitcnt vmcnt(1)
	v_fmac_f64_e32 v[32:33], v[60:61], v[56:57]
	s_waitcnt vmcnt(0)
	v_fmac_f64_e32 v[30:31], v[60:61], v[58:59]
	s_cbranch_scc1 .LBB90_43
.LBB90_44:                              ;   in Loop: Header=BB90_9 Depth=1
	s_or_b64 exec, exec, s[52:53]
	s_or_b64 exec, exec, s[50:51]
	s_and_saveexec_b64 s[14:15], s[0:1]
	s_cbranch_execnz .LBB90_12
	s_branch .LBB90_13
.LBB90_45:                              ;   in Loop: Header=BB90_9 Depth=1
	ds_read_b64 v[36:37], v49
	s_or_b64 exec, exec, s[14:15]
	s_and_saveexec_b64 s[14:15], s[0:1]
	s_cbranch_execz .LBB90_17
.LBB90_46:                              ;   in Loop: Header=BB90_9 Depth=1
	s_waitcnt lgkmcnt(0)
	ds_bpermute_b32 v38, v47, v36
	ds_bpermute_b32 v39, v47, v37
	s_waitcnt lgkmcnt(0)
	v_add_f64 v[36:37], v[36:37], v[38:39]
	ds_bpermute_b32 v38, v48, v36
	ds_bpermute_b32 v39, v48, v37
	s_waitcnt lgkmcnt(0)
	v_add_f64 v[36:37], v[36:37], v[38:39]
	s_or_b64 exec, exec, s[14:15]
	s_and_saveexec_b64 s[14:15], s[0:1]
	s_cbranch_execnz .LBB90_18
	s_branch .LBB90_19
.LBB90_47:                              ;   in Loop: Header=BB90_9 Depth=1
	ds_read_b64 v[34:35], v49
	s_or_b64 exec, exec, s[14:15]
	s_and_saveexec_b64 s[14:15], s[0:1]
	s_cbranch_execz .LBB90_23
.LBB90_48:                              ;   in Loop: Header=BB90_9 Depth=1
	s_waitcnt lgkmcnt(0)
	ds_bpermute_b32 v38, v47, v34
	ds_bpermute_b32 v39, v47, v35
	s_waitcnt lgkmcnt(0)
	v_add_f64 v[34:35], v[34:35], v[38:39]
	ds_bpermute_b32 v38, v48, v34
	ds_bpermute_b32 v39, v48, v35
	s_waitcnt lgkmcnt(0)
	v_add_f64 v[34:35], v[34:35], v[38:39]
	s_or_b64 exec, exec, s[14:15]
	s_and_saveexec_b64 s[14:15], s[0:1]
	s_cbranch_execnz .LBB90_24
	s_branch .LBB90_25
.LBB90_49:                              ;   in Loop: Header=BB90_9 Depth=1
	ds_read_b64 v[32:33], v49
	s_or_b64 exec, exec, s[14:15]
	s_and_saveexec_b64 s[14:15], s[0:1]
	s_cbranch_execz .LBB90_29
.LBB90_50:                              ;   in Loop: Header=BB90_9 Depth=1
	s_waitcnt lgkmcnt(0)
	ds_bpermute_b32 v38, v47, v32
	ds_bpermute_b32 v39, v47, v33
	s_waitcnt lgkmcnt(0)
	v_add_f64 v[32:33], v[32:33], v[38:39]
	ds_bpermute_b32 v38, v48, v32
	ds_bpermute_b32 v39, v48, v33
	s_waitcnt lgkmcnt(0)
	v_add_f64 v[32:33], v[32:33], v[38:39]
	s_or_b64 exec, exec, s[14:15]
	s_and_saveexec_b64 s[14:15], s[0:1]
	s_cbranch_execnz .LBB90_30
	s_branch .LBB90_31
.LBB90_51:                              ;   in Loop: Header=BB90_9 Depth=1
	ds_read_b64 v[30:31], v49
	s_or_b64 exec, exec, s[14:15]
	s_and_saveexec_b64 s[14:15], s[0:1]
	s_cbranch_execz .LBB90_35
.LBB90_52:                              ;   in Loop: Header=BB90_9 Depth=1
	s_waitcnt lgkmcnt(0)
	ds_bpermute_b32 v38, v47, v30
	ds_bpermute_b32 v39, v47, v31
	s_waitcnt lgkmcnt(0)
	v_add_f64 v[30:31], v[30:31], v[38:39]
	ds_bpermute_b32 v38, v48, v30
	ds_bpermute_b32 v39, v48, v31
	s_waitcnt lgkmcnt(0)
	v_add_f64 v[30:31], v[30:31], v[38:39]
	s_or_b64 exec, exec, s[14:15]
	s_and_saveexec_b64 s[14:15], s[12:13]
	s_cbranch_execz .LBB90_8
.LBB90_53:                              ;   in Loop: Header=BB90_9 Depth=1
	s_mul_i32 s16, s35, s30
	s_add_i32 s40, s16, s2
	s_lshl_b64 s[16:17], s[40:41], 3
	s_add_u32 s16, s56, s16
	v_mul_f64 v[36:37], s[22:23], v[36:37]
	s_addc_u32 s17, s57, s17
	s_add_i32 s40, s40, s30
	global_store_dwordx2 v28, v[36:37], s[16:17]
	s_lshl_b64 s[16:17], s[40:41], 3
	s_add_u32 s16, s56, s16
	v_mul_f64 v[34:35], s[22:23], v[34:35]
	s_addc_u32 s17, s57, s17
	s_add_i32 s40, s40, s30
	global_store_dwordx2 v28, v[34:35], s[16:17]
	s_lshl_b64 s[16:17], s[40:41], 3
	s_add_u32 s16, s56, s16
	v_mul_f64 v[32:33], s[22:23], v[32:33]
	s_addc_u32 s17, s57, s17
	s_add_i32 s40, s40, s30
	global_store_dwordx2 v28, v[32:33], s[16:17]
	s_lshl_b64 s[16:17], s[40:41], 3
	s_add_u32 s16, s56, s16
	s_waitcnt lgkmcnt(0)
	v_mul_f64 v[30:31], s[22:23], v[30:31]
	s_addc_u32 s17, s57, s17
	global_store_dwordx2 v28, v[30:31], s[16:17]
	s_branch .LBB90_8
.LBB90_54:
	s_mov_b32 s35, 0
                                        ; implicit-def: $vgpr2_vgpr3_vgpr4_vgpr5_vgpr6_vgpr7_vgpr8_vgpr9
.LBB90_55:
	s_cmp_ge_i32 s35, s29
	s_cbranch_scc1 .LBB90_79
; %bb.56:
	v_mbcnt_hi_u32_b32 v16, -1, v40
	v_and_b32_e32 v17, 63, v16
	v_cmp_gt_u32_e32 vcc, 32, v17
	s_mov_b32 s3, 0
	s_cmp_gt_i32 s33, 0
	v_cndmask_b32_e64 v18, 0, 1, vcc
	v_lshlrev_b32_e32 v18, 5, v18
	v_cmp_gt_u32_e32 vcc, 48, v17
	v_add_lshl_u32 v29, v18, v16, 2
	s_cselect_b64 s[40:41], -1, 0
	v_cndmask_b32_e64 v18, 0, 1, vcc
	v_lshlrev_b32_e32 v18, 4, v18
	v_cmp_gt_u32_e32 vcc, 56, v17
	s_waitcnt lgkmcnt(0)
	v_add_lshl_u32 v30, v18, v16, 2
	s_lshl_b64 s[14:15], s[2:3], 3
	v_cndmask_b32_e64 v18, 0, 1, vcc
	v_lshlrev_b32_e32 v18, 3, v18
	v_cmp_gt_u32_e32 vcc, 60, v17
	v_add_lshl_u32 v31, v18, v16, 2
	s_add_u32 s2, s56, s14
	v_cndmask_b32_e64 v18, 0, 1, vcc
	v_lshlrev_b32_e32 v18, 2, v18
	v_cmp_gt_u32_e32 vcc, 62, v17
	v_add_lshl_u32 v32, v18, v16, 2
	v_cmp_ge_i32_e64 s[0:1], s28, v41
	v_cndmask_b32_e64 v18, 0, 1, vcc
	v_lshlrev_b32_e32 v18, 1, v18
	v_cmp_ge_i32_e64 s[4:5], s28, v42
	v_add_lshl_u32 v33, v18, v16, 2
	s_addc_u32 s28, s57, s15
	v_add_u32_e32 v18, s31, v12
	v_cmp_ne_u32_e32 vcc, 63, v17
	v_add_u32_e32 v20, s31, v18
	s_add_u32 s14, s38, s26
	v_addc_co_u32_e32 v16, vcc, 0, v16, vcc
	v_ashrrev_i32_e32 v19, 31, v18
	v_ashrrev_i32_e32 v21, 31, v20
	s_addc_u32 s15, s39, s27
	v_lshlrev_b32_e32 v34, 2, v16
	v_lshl_add_u64 v[16:17], v[18:19], 3, s[36:37]
	v_lshl_add_u64 v[18:19], v[20:21], 3, s[36:37]
	v_add_u32_e32 v20, s31, v20
	s_add_u32 s14, s24, s14
	v_and_b32_e32 v35, 24, v13
	v_ashrrev_i32_e32 v13, 31, v12
	v_ashrrev_i32_e32 v21, 31, v20
	s_addc_u32 s15, s25, s15
	v_cmp_gt_u32_e64 s[6:7], 64, v0
	v_lshlrev_b32_e32 v28, 3, v1
	v_cmp_eq_u32_e64 s[8:9], 0, v1
	v_cmp_gt_u32_e64 s[10:11], 4, v0
	v_cmp_eq_u32_e64 s[12:13], 0, v0
	v_lshl_add_u64 v[0:1], v[12:13], 3, s[36:37]
	v_lshl_add_u64 v[20:21], v[20:21], 3, s[36:37]
	;; [unrolled: 1-line block ×3, first 2 shown]
	s_mul_i32 s24, s35, s34
	v_mov_b32_e32 v22, 0
	s_branch .LBB90_58
.LBB90_57:                              ;   in Loop: Header=BB90_58 Depth=1
	s_or_b64 exec, exec, s[14:15]
	s_add_i32 s35, s35, 1
	s_add_i32 s24, s24, s34
	s_cmp_ge_i32 s35, s29
	s_cbranch_scc1 .LBB90_79
.LBB90_58:                              ; =>This Loop Header: Depth=1
                                        ;     Child Loop BB90_71 Depth 2
                                        ;     Child Loop BB90_74 Depth 2
	s_waitcnt lgkmcnt(0)
	v_mov_b32_e32 v24, s3
	v_mov_b32_e32 v25, s3
	s_and_saveexec_b64 s[14:15], s[0:1]
	s_xor_b64 s[14:15], exec, s[14:15]
	s_cbranch_execnz .LBB90_67
; %bb.59:                               ;   in Loop: Header=BB90_58 Depth=1
	s_andn2_saveexec_b64 s[26:27], s[14:15]
	s_cbranch_execnz .LBB90_68
.LBB90_60:                              ;   in Loop: Header=BB90_58 Depth=1
	s_or_b64 exec, exec, s[26:27]
	s_and_saveexec_b64 s[14:15], s[6:7]
	s_cbranch_execz .LBB90_62
.LBB90_61:                              ;   in Loop: Header=BB90_58 Depth=1
	v_mov_b32_e32 v23, v22
	ds_write_b64 v28, v[22:23]
.LBB90_62:                              ;   in Loop: Header=BB90_58 Depth=1
	s_or_b64 exec, exec, s[14:15]
	ds_bpermute_b32 v26, v29, v24
	ds_bpermute_b32 v27, v29, v25
	s_waitcnt lgkmcnt(0)
	s_barrier
	v_add_f64 v[24:25], v[24:25], v[26:27]
	ds_bpermute_b32 v26, v30, v24
	ds_bpermute_b32 v27, v30, v25
	s_waitcnt lgkmcnt(0)
	v_add_f64 v[24:25], v[24:25], v[26:27]
	ds_bpermute_b32 v26, v31, v24
	ds_bpermute_b32 v27, v31, v25
	s_waitcnt lgkmcnt(0)
	;; [unrolled: 4-line block ×4, first 2 shown]
	v_add_f64 v[24:25], v[24:25], v[26:27]
	ds_bpermute_b32 v26, v34, v24
	ds_bpermute_b32 v27, v34, v25
	s_and_saveexec_b64 s[14:15], s[8:9]
	s_cbranch_execz .LBB90_64
; %bb.63:                               ;   in Loop: Header=BB90_58 Depth=1
	s_waitcnt lgkmcnt(0)
	v_add_f64 v[24:25], v[24:25], v[26:27]
	ds_write_b64 v35, v[24:25]
.LBB90_64:                              ;   in Loop: Header=BB90_58 Depth=1
	s_or_b64 exec, exec, s[14:15]
	v_mov_b64_e32 v[24:25], 0
	s_waitcnt lgkmcnt(0)
	s_barrier
	s_and_saveexec_b64 s[14:15], s[10:11]
	s_cbranch_execnz .LBB90_76
; %bb.65:                               ;   in Loop: Header=BB90_58 Depth=1
	s_or_b64 exec, exec, s[14:15]
	s_and_saveexec_b64 s[14:15], s[6:7]
	s_cbranch_execnz .LBB90_77
.LBB90_66:                              ;   in Loop: Header=BB90_58 Depth=1
	s_or_b64 exec, exec, s[14:15]
	s_and_saveexec_b64 s[14:15], s[12:13]
	s_cbranch_execz .LBB90_57
	s_branch .LBB90_78
.LBB90_67:                              ;   in Loop: Header=BB90_58 Depth=1
	s_mul_i32 s16, s35, s34
	s_ashr_i32 s17, s16, 31
	v_lshl_add_u64 v[40:41], s[16:17], 3, v[10:11]
	global_load_dwordx4 v[36:39], v[40:41], off offset:16
	global_load_dwordx4 v[24:27], v[40:41], off
	global_load_dwordx2 v[2:3], v[0:1], off
	global_load_dwordx2 v[4:5], v[16:17], off
	;; [unrolled: 1-line block ×4, first 2 shown]
	s_waitcnt vmcnt(3)
	v_fma_f64 v[24:25], v[2:3], v[24:25], 0
	s_waitcnt vmcnt(2)
	v_fmac_f64_e32 v[24:25], v[4:5], v[26:27]
	s_waitcnt vmcnt(1)
	v_fmac_f64_e32 v[24:25], v[6:7], v[36:37]
	;; [unrolled: 2-line block ×3, first 2 shown]
	s_andn2_saveexec_b64 s[26:27], s[14:15]
	s_cbranch_execz .LBB90_60
.LBB90_68:                              ;   in Loop: Header=BB90_58 Depth=1
	s_and_saveexec_b64 s[38:39], s[4:5]
	s_cbranch_execz .LBB90_75
; %bb.69:                               ;   in Loop: Header=BB90_58 Depth=1
	v_cndmask_b32_e64 v13, 0, 1, s[40:41]
	v_cmp_ne_u32_e64 s[14:15], 1, v13
	s_andn2_b64 vcc, exec, s[40:41]
	s_cbranch_vccnz .LBB90_72
; %bb.70:                               ;   in Loop: Header=BB90_58 Depth=1
	s_mov_b64 s[42:43], 0
	v_mov_b32_e32 v26, v12
.LBB90_71:                              ;   Parent Loop BB90_58 Depth=1
                                        ; =>  This Inner Loop Header: Depth=2
	v_ashrrev_i32_e32 v27, 31, v26
	v_lshl_add_u64 v[36:37], v[26:27], 3, s[36:37]
	global_load_dwordx2 v[36:37], v[36:37], off
	s_cmp_eq_u32 s42, 3
	s_cselect_b64 vcc, -1, 0
	s_cmp_eq_u32 s42, 2
	s_cselect_b64 s[16:17], -1, 0
	s_cmp_eq_u32 s42, 1
	s_cselect_b64 s[18:19], -1, 0
	;; [unrolled: 2-line block ×3, first 2 shown]
	s_add_u32 s42, s42, 1
	s_addc_u32 s43, s43, 0
	v_add_u32_e32 v26, s31, v26
	s_cmp_eq_u32 s33, s42
	s_waitcnt vmcnt(0)
	v_cndmask_b32_e32 v9, v9, v37, vcc
	v_cndmask_b32_e32 v8, v8, v36, vcc
	v_cndmask_b32_e64 v7, v7, v37, s[16:17]
	v_cndmask_b32_e64 v6, v6, v36, s[16:17]
	v_cndmask_b32_e64 v5, v5, v37, s[18:19]
	v_cndmask_b32_e64 v4, v4, v36, s[18:19]
	v_cndmask_b32_e64 v3, v3, v37, s[20:21]
	v_cndmask_b32_e64 v2, v2, v36, s[20:21]
	s_cbranch_scc0 .LBB90_71
.LBB90_72:                              ;   in Loop: Header=BB90_58 Depth=1
	s_and_b64 vcc, exec, s[14:15]
	s_cbranch_vccnz .LBB90_75
; %bb.73:                               ;   in Loop: Header=BB90_58 Depth=1
	s_ashr_i32 s25, s24, 31
	v_lshl_add_u64 v[26:27], s[24:25], 3, v[14:15]
	s_mov_b64 s[16:17], 0
.LBB90_74:                              ;   Parent Loop BB90_58 Depth=1
                                        ; =>  This Inner Loop Header: Depth=2
	global_load_dwordx2 v[36:37], v[26:27], off
	s_cmp_eq_u32 s16, 1
	s_cselect_b64 vcc, -1, 0
	s_cmp_eq_u32 s16, 2
	v_cndmask_b32_e32 v13, v3, v5, vcc
	s_cselect_b64 s[14:15], -1, 0
	s_cmp_eq_u32 s16, 3
	v_cndmask_b32_e64 v13, v13, v7, s[14:15]
	v_cndmask_b32_e32 v23, v2, v4, vcc
	s_cselect_b64 vcc, -1, 0
	v_cndmask_b32_e32 v39, v13, v9, vcc
	v_cndmask_b32_e64 v13, v23, v6, s[14:15]
	s_add_u32 s16, s16, 1
	v_cndmask_b32_e32 v38, v13, v8, vcc
	s_addc_u32 s17, s17, 0
	v_lshl_add_u64 v[26:27], v[26:27], 0, 8
	s_cmp_lg_u32 s33, s16
	s_waitcnt vmcnt(0)
	v_fmac_f64_e32 v[24:25], v[38:39], v[36:37]
	s_cbranch_scc1 .LBB90_74
.LBB90_75:                              ;   in Loop: Header=BB90_58 Depth=1
	s_or_b64 exec, exec, s[38:39]
	s_or_b64 exec, exec, s[26:27]
	s_and_saveexec_b64 s[14:15], s[6:7]
	s_cbranch_execnz .LBB90_61
	s_branch .LBB90_62
.LBB90_76:                              ;   in Loop: Header=BB90_58 Depth=1
	ds_read_b64 v[24:25], v28
	s_or_b64 exec, exec, s[14:15]
	s_and_saveexec_b64 s[14:15], s[6:7]
	s_cbranch_execz .LBB90_66
.LBB90_77:                              ;   in Loop: Header=BB90_58 Depth=1
	s_waitcnt lgkmcnt(0)
	ds_bpermute_b32 v26, v33, v24
	ds_bpermute_b32 v27, v33, v25
	s_waitcnt lgkmcnt(0)
	v_add_f64 v[24:25], v[24:25], v[26:27]
	ds_bpermute_b32 v26, v34, v24
	ds_bpermute_b32 v27, v34, v25
	s_waitcnt lgkmcnt(0)
	v_add_f64 v[24:25], v[24:25], v[26:27]
	s_or_b64 exec, exec, s[14:15]
	s_and_saveexec_b64 s[14:15], s[12:13]
	s_cbranch_execz .LBB90_57
.LBB90_78:                              ;   in Loop: Header=BB90_58 Depth=1
	s_mul_hi_u32 s17, s35, s30
	s_mul_i32 s16, s35, s30
	s_lshl_b64 s[16:17], s[16:17], 3
	s_add_u32 s16, s2, s16
	s_waitcnt lgkmcnt(0)
	v_mul_f64 v[24:25], s[22:23], v[24:25]
	s_addc_u32 s17, s28, s17
	global_store_dwordx2 v22, v[24:25], s[16:17]
	s_branch .LBB90_57
.LBB90_79:
	s_endpgm
	.section	.rodata,"a",@progbits
	.p2align	6, 0x0
	.amdhsa_kernel _ZL23rocblas_gemvt_sn_kernelILb1ELi256ELi4EidPKddEviiT4_lPKT3_lilS5_lilPT5_i
		.amdhsa_group_segment_fixed_size 512
		.amdhsa_private_segment_fixed_size 0
		.amdhsa_kernarg_size 360
		.amdhsa_user_sgpr_count 2
		.amdhsa_user_sgpr_dispatch_ptr 0
		.amdhsa_user_sgpr_queue_ptr 0
		.amdhsa_user_sgpr_kernarg_segment_ptr 1
		.amdhsa_user_sgpr_dispatch_id 0
		.amdhsa_user_sgpr_kernarg_preload_length 0
		.amdhsa_user_sgpr_kernarg_preload_offset 0
		.amdhsa_user_sgpr_private_segment_size 0
		.amdhsa_uses_dynamic_stack 0
		.amdhsa_enable_private_segment 0
		.amdhsa_system_sgpr_workgroup_id_x 1
		.amdhsa_system_sgpr_workgroup_id_y 0
		.amdhsa_system_sgpr_workgroup_id_z 1
		.amdhsa_system_sgpr_workgroup_info 0
		.amdhsa_system_vgpr_workitem_id 0
		.amdhsa_next_free_vgpr 80
		.amdhsa_next_free_sgpr 64
		.amdhsa_accum_offset 80
		.amdhsa_reserve_vcc 1
		.amdhsa_float_round_mode_32 0
		.amdhsa_float_round_mode_16_64 0
		.amdhsa_float_denorm_mode_32 3
		.amdhsa_float_denorm_mode_16_64 3
		.amdhsa_dx10_clamp 1
		.amdhsa_ieee_mode 1
		.amdhsa_fp16_overflow 0
		.amdhsa_tg_split 0
		.amdhsa_exception_fp_ieee_invalid_op 0
		.amdhsa_exception_fp_denorm_src 0
		.amdhsa_exception_fp_ieee_div_zero 0
		.amdhsa_exception_fp_ieee_overflow 0
		.amdhsa_exception_fp_ieee_underflow 0
		.amdhsa_exception_fp_ieee_inexact 0
		.amdhsa_exception_int_div_zero 0
	.end_amdhsa_kernel
	.section	.text._ZL23rocblas_gemvt_sn_kernelILb1ELi256ELi4EidPKddEviiT4_lPKT3_lilS5_lilPT5_i,"axG",@progbits,_ZL23rocblas_gemvt_sn_kernelILb1ELi256ELi4EidPKddEviiT4_lPKT3_lilS5_lilPT5_i,comdat
.Lfunc_end90:
	.size	_ZL23rocblas_gemvt_sn_kernelILb1ELi256ELi4EidPKddEviiT4_lPKT3_lilS5_lilPT5_i, .Lfunc_end90-_ZL23rocblas_gemvt_sn_kernelILb1ELi256ELi4EidPKddEviiT4_lPKT3_lilS5_lilPT5_i
                                        ; -- End function
	.section	.AMDGPU.csdata,"",@progbits
; Kernel info:
; codeLenInByte = 4392
; NumSgprs: 70
; NumVgprs: 80
; NumAgprs: 0
; TotalNumVgprs: 80
; ScratchSize: 0
; MemoryBound: 1
; FloatMode: 240
; IeeeMode: 1
; LDSByteSize: 512 bytes/workgroup (compile time only)
; SGPRBlocks: 8
; VGPRBlocks: 9
; NumSGPRsForWavesPerEU: 70
; NumVGPRsForWavesPerEU: 80
; AccumOffset: 80
; Occupancy: 6
; WaveLimiterHint : 1
; COMPUTE_PGM_RSRC2:SCRATCH_EN: 0
; COMPUTE_PGM_RSRC2:USER_SGPR: 2
; COMPUTE_PGM_RSRC2:TRAP_HANDLER: 0
; COMPUTE_PGM_RSRC2:TGID_X_EN: 1
; COMPUTE_PGM_RSRC2:TGID_Y_EN: 0
; COMPUTE_PGM_RSRC2:TGID_Z_EN: 1
; COMPUTE_PGM_RSRC2:TIDIG_COMP_CNT: 0
; COMPUTE_PGM_RSRC3_GFX90A:ACCUM_OFFSET: 19
; COMPUTE_PGM_RSRC3_GFX90A:TG_SPLIT: 0
	.section	.text._ZL23rocblas_gemvt_sn_kernelILb1ELi256ELi4EldPKddEviiT4_lPKT3_lilS5_lilPT5_i,"axG",@progbits,_ZL23rocblas_gemvt_sn_kernelILb1ELi256ELi4EldPKddEviiT4_lPKT3_lilS5_lilPT5_i,comdat
	.globl	_ZL23rocblas_gemvt_sn_kernelILb1ELi256ELi4EldPKddEviiT4_lPKT3_lilS5_lilPT5_i ; -- Begin function _ZL23rocblas_gemvt_sn_kernelILb1ELi256ELi4EldPKddEviiT4_lPKT3_lilS5_lilPT5_i
	.p2align	8
	.type	_ZL23rocblas_gemvt_sn_kernelILb1ELi256ELi4EldPKddEviiT4_lPKT3_lilS5_lilPT5_i,@function
_ZL23rocblas_gemvt_sn_kernelILb1ELi256ELi4EldPKddEviiT4_lPKT3_lilS5_lilPT5_i: ; @_ZL23rocblas_gemvt_sn_kernelILb1ELi256ELi4EldPKddEviiT4_lPKT3_lilS5_lilPT5_i
; %bb.0:
	s_load_dwordx8 s[20:27], s[0:1], 0x8
	s_load_dwordx2 s[28:29], s[0:1], 0x0
	s_mov_b32 s31, 0
	s_waitcnt lgkmcnt(0)
	s_mul_i32 s4, s3, s23
	s_mul_hi_u32 s5, s3, s22
	s_add_i32 s5, s5, s4
	s_mul_i32 s4, s3, s22
	s_lshl_b64 s[4:5], s[4:5], 3
	s_add_u32 s4, s20, s4
	s_addc_u32 s5, s21, s5
	s_load_dwordx2 s[34:35], s[4:5], 0x0
	s_load_dwordx4 s[8:11], s[0:1], 0x50
	s_load_dword s30, s[0:1], 0x68
	s_ashr_i32 s12, s29, 31
	s_mul_hi_u32 s4, s29, s3
	s_mul_i32 s5, s12, s3
	s_add_i32 s4, s4, s5
	s_mul_i32 s6, s29, s3
	s_waitcnt lgkmcnt(0)
	s_mul_i32 s4, s4, s30
	s_mul_hi_u32 s5, s6, s30
	s_add_i32 s5, s5, s4
	s_mul_i32 s4, s6, s30
	s_lshl_b64 s[4:5], s[4:5], 3
	s_add_u32 s33, s10, s4
	s_addc_u32 s66, s11, s5
	v_cmp_neq_f64_e64 s[4:5], s[34:35], 0
	s_and_b64 vcc, exec, s[4:5]
	v_cmp_eq_u32_e64 s[4:5], 0, v0
	s_cbranch_vccnz .LBB91_5
; %bb.1:
	s_cmp_gt_i32 s29, 0
	s_cselect_b64 s[6:7], -1, 0
	s_and_b64 s[6:7], s[4:5], s[6:7]
	s_and_saveexec_b64 s[4:5], s[6:7]
	s_cbranch_execz .LBB91_4
; %bb.2:
	s_mov_b32 s6, s3
	s_mov_b32 s3, 0
	s_lshl_b64 s[10:11], s[2:3], 3
	s_mov_b32 s3, s6
	s_add_u32 s6, s33, s10
	v_mov_b32_e32 v2, 0
	s_addc_u32 s7, s66, s11
	s_lshl_b64 s[10:11], s[30:31], 3
	v_mov_b32_e32 v3, v2
	s_mov_b32 s13, s29
.LBB91_3:                               ; =>This Inner Loop Header: Depth=1
	s_add_i32 s13, s13, -1
	global_store_dwordx2 v2, v[2:3], s[6:7]
	s_add_u32 s6, s6, s10
	s_addc_u32 s7, s7, s11
	s_cmp_eq_u32 s13, 0
	s_cbranch_scc0 .LBB91_3
.LBB91_4:
	s_or_b64 exec, exec, s[4:5]
	s_cbranch_execz .LBB91_6
	s_branch .LBB91_79
.LBB91_5:
.LBB91_6:
	s_load_dword s36, s[0:1], 0x28
	s_load_dword s38, s[0:1], 0x48
	s_load_dwordx2 s[4:5], s[0:1], 0x40
	s_load_dwordx4 s[20:23], s[0:1], 0x30
	s_mul_i32 s0, s3, s9
	s_mul_hi_u32 s1, s3, s8
	s_add_i32 s1, s1, s0
	s_mul_i32 s0, s3, s8
	s_waitcnt lgkmcnt(0)
	s_ashr_i32 s37, s36, 31
	s_ashr_i32 s39, s38, 31
	s_lshl_b64 s[40:41], s[0:1], 3
	s_add_u32 s0, s22, s40
	s_addc_u32 s1, s23, s41
	s_lshl_b64 s[44:45], s[4:5], 3
	s_add_u32 s46, s0, s44
	s_addc_u32 s47, s1, s45
	s_mul_i32 s0, s3, s21
	s_mul_hi_u32 s1, s3, s20
	s_add_i32 s1, s1, s0
	s_mul_i32 s0, s3, s20
	s_lshl_b64 s[42:43], s[0:1], 3
	s_add_u32 s0, s24, s42
	s_addc_u32 s1, s25, s43
	s_lshl_b64 s[26:27], s[26:27], 3
	s_add_u32 s0, s0, s26
	s_addc_u32 s1, s1, s27
	s_lshl_b32 s3, s2, 10
	v_lshl_or_b32 v12, v0, 2, s3
	v_ashrrev_i32_e32 v13, 31, v12
	v_lshl_add_u64 v[10:11], v[12:13], 3, s[0:1]
	s_lshr_b32 s0, s12, 30
	s_add_i32 s0, s29, s0
	s_and_b32 s67, s0, -4
	s_ashr_i32 s0, s28, 31
	s_lshr_b32 s0, s0, 30
	s_add_i32 s0, s28, s0
	s_and_b32 s0, s0, -4
	s_sub_i32 s31, s28, s0
	s_cmp_lt_i32 s67, 1
	v_add_u32_e32 v43, 4, v12
	v_add_u32_e32 v44, s31, v12
	v_and_b32_e32 v1, 63, v0
	v_cmp_gt_u32_e64 s[0:1], 64, v0
	v_mbcnt_lo_u32_b32 v42, -1, 0
	v_cmp_gt_u32_e64 s[4:5], 4, v0
	v_lshrrev_b32_e32 v41, 3, v0
	v_or_b32_e32 v40, 1, v12
	v_or_b32_e32 v39, 2, v12
	;; [unrolled: 1-line block ×3, first 2 shown]
	s_cbranch_scc1 .LBB91_54
; %bb.7:
	v_mbcnt_hi_u32_b32 v2, -1, v42
	v_and_b32_e32 v3, 63, v2
	v_cmp_gt_u32_e32 vcc, 32, v3
	s_mov_b32 s3, 0
	s_cmp_gt_i32 s31, 0
	v_cndmask_b32_e64 v4, 0, 1, vcc
	v_lshlrev_b32_e32 v4, 5, v4
	v_cmp_gt_u32_e32 vcc, 48, v3
	v_add_lshl_u32 v45, v4, v2, 2
	s_cselect_b64 s[48:49], -1, 0
	v_cndmask_b32_e64 v4, 0, 1, vcc
	v_lshlrev_b32_e32 v4, 4, v4
	v_cmp_gt_u32_e32 vcc, 56, v3
	v_add_lshl_u32 v46, v4, v2, 2
	s_lshl_b64 s[14:15], s[2:3], 3
	v_cndmask_b32_e64 v4, 0, 1, vcc
	v_lshlrev_b32_e32 v4, 3, v4
	v_cmp_gt_u32_e32 vcc, 60, v3
	v_add_lshl_u32 v47, v4, v2, 2
	s_add_u32 s68, s33, s14
	v_cndmask_b32_e64 v4, 0, 1, vcc
	v_lshlrev_b32_e32 v4, 2, v4
	v_cmp_gt_u32_e32 vcc, 62, v3
	v_add_lshl_u32 v48, v4, v2, 2
	s_addc_u32 s69, s66, s15
	v_cndmask_b32_e64 v4, 0, 1, vcc
	v_lshlrev_b32_e32 v4, 1, v4
	v_add_lshl_u32 v49, v4, v2, 2
	v_cmp_ne_u32_e32 vcc, 63, v3
	v_mad_i64_i32 v[4:5], s[14:15], s38, v40, 0
	s_nop 0
	v_addc_co_u32_e32 v2, vcc, 0, v2, vcc
	v_lshl_add_u64 v[16:17], v[4:5], 3, s[46:47]
	v_mad_i64_i32 v[4:5], s[14:15], s38, v39, 0
	v_lshlrev_b32_e32 v50, 2, v2
	v_mad_i64_i32 v[2:3], s[14:15], s38, v12, 0
	v_lshl_add_u64 v[18:19], v[4:5], 3, s[46:47]
	v_mad_i64_i32 v[4:5], s[14:15], s38, v38, 0
	s_add_u32 s14, s22, s44
	s_addc_u32 s15, s23, s45
	s_add_u32 s14, s14, s40
	v_lshlrev_b64 v[2:3], 3, v[2:3]
	s_addc_u32 s15, s15, s41
	v_cmp_ge_i32_e64 s[6:7], s28, v43
	v_cmp_ge_i32_e64 s[8:9], s28, v44
	v_cmp_eq_u32_e64 s[10:11], 0, v1
	v_lshlrev_b32_e32 v51, 3, v1
	v_and_b32_e32 v52, 24, v41
	v_cmp_eq_u32_e64 s[12:13], 0, v0
	v_lshl_add_u64 v[14:15], s[46:47], 0, v[2:3]
	v_lshl_add_u64 v[20:21], v[4:5], 3, s[46:47]
	;; [unrolled: 1-line block ×3, first 2 shown]
	s_lshl_b64 s[50:51], s[38:39], 3
	s_lshl_b64 s[52:53], s[36:37], 5
	;; [unrolled: 1-line block ×4, first 2 shown]
	s_mul_hi_i32 s59, s36, 24
	s_mul_i32 s58, s36, 24
	v_mov_b32_e32 v24, 0
	v_mov_b64_e32 v[26:27], v[10:11]
                                        ; implicit-def: $vgpr2_vgpr3_vgpr4_vgpr5_vgpr6_vgpr7_vgpr8_vgpr9
	s_branch .LBB91_9
.LBB91_8:                               ;   in Loop: Header=BB91_9 Depth=1
	s_or_b64 exec, exec, s[14:15]
	s_add_i32 s3, s3, 4
	s_cmp_ge_i32 s3, s67
	v_lshl_add_u64 v[26:27], v[26:27], 0, s[52:53]
	s_cbranch_scc1 .LBB91_55
.LBB91_9:                               ; =>This Loop Header: Depth=1
                                        ;     Child Loop BB91_40 Depth 2
                                        ;     Child Loop BB91_43 Depth 2
                                        ; implicit-def: $vgpr28_vgpr29
                                        ; implicit-def: $vgpr30_vgpr31
                                        ; implicit-def: $vgpr34_vgpr35
                                        ; implicit-def: $vgpr32_vgpr33
	s_and_saveexec_b64 s[14:15], s[6:7]
	s_xor_b64 s[14:15], exec, s[14:15]
	s_cbranch_execnz .LBB91_36
; %bb.10:                               ;   in Loop: Header=BB91_9 Depth=1
	s_andn2_saveexec_b64 s[60:61], s[14:15]
	s_cbranch_execnz .LBB91_37
.LBB91_11:                              ;   in Loop: Header=BB91_9 Depth=1
	s_or_b64 exec, exec, s[60:61]
	s_and_saveexec_b64 s[14:15], s[0:1]
	s_cbranch_execz .LBB91_13
.LBB91_12:                              ;   in Loop: Header=BB91_9 Depth=1
	v_mov_b32_e32 v25, v24
	ds_write_b64 v51, v[24:25]
.LBB91_13:                              ;   in Loop: Header=BB91_9 Depth=1
	s_or_b64 exec, exec, s[14:15]
	ds_bpermute_b32 v36, v45, v32
	ds_bpermute_b32 v37, v45, v33
	s_waitcnt lgkmcnt(0)
	s_barrier
	v_add_f64 v[32:33], v[32:33], v[36:37]
	ds_bpermute_b32 v36, v46, v32
	ds_bpermute_b32 v37, v46, v33
	s_waitcnt lgkmcnt(0)
	v_add_f64 v[32:33], v[32:33], v[36:37]
	ds_bpermute_b32 v36, v47, v32
	ds_bpermute_b32 v37, v47, v33
	s_waitcnt lgkmcnt(0)
	v_add_f64 v[32:33], v[32:33], v[36:37]
	ds_bpermute_b32 v36, v48, v32
	ds_bpermute_b32 v37, v48, v33
	s_waitcnt lgkmcnt(0)
	v_add_f64 v[32:33], v[32:33], v[36:37]
	ds_bpermute_b32 v36, v49, v32
	ds_bpermute_b32 v37, v49, v33
	s_waitcnt lgkmcnt(0)
	v_add_f64 v[32:33], v[32:33], v[36:37]
	ds_bpermute_b32 v36, v50, v32
	ds_bpermute_b32 v37, v50, v33
	s_and_saveexec_b64 s[14:15], s[10:11]
	s_cbranch_execz .LBB91_15
; %bb.14:                               ;   in Loop: Header=BB91_9 Depth=1
	s_waitcnt lgkmcnt(0)
	v_add_f64 v[32:33], v[32:33], v[36:37]
	ds_write_b64 v52, v[32:33]
.LBB91_15:                              ;   in Loop: Header=BB91_9 Depth=1
	s_or_b64 exec, exec, s[14:15]
	v_mov_b64_e32 v[32:33], 0
	s_waitcnt lgkmcnt(0)
	s_barrier
	s_and_saveexec_b64 s[14:15], s[4:5]
	s_cbranch_execnz .LBB91_45
; %bb.16:                               ;   in Loop: Header=BB91_9 Depth=1
	s_or_b64 exec, exec, s[14:15]
	s_and_saveexec_b64 s[14:15], s[0:1]
	s_cbranch_execnz .LBB91_46
.LBB91_17:                              ;   in Loop: Header=BB91_9 Depth=1
	s_or_b64 exec, exec, s[14:15]
	s_and_saveexec_b64 s[14:15], s[0:1]
	s_cbranch_execz .LBB91_19
.LBB91_18:                              ;   in Loop: Header=BB91_9 Depth=1
	v_mov_b32_e32 v25, v24
	ds_write_b64 v51, v[24:25]
.LBB91_19:                              ;   in Loop: Header=BB91_9 Depth=1
	s_or_b64 exec, exec, s[14:15]
	ds_bpermute_b32 v36, v45, v34
	ds_bpermute_b32 v37, v45, v35
	s_waitcnt lgkmcnt(0)
	s_barrier
	v_add_f64 v[34:35], v[34:35], v[36:37]
	ds_bpermute_b32 v36, v46, v34
	ds_bpermute_b32 v37, v46, v35
	s_waitcnt lgkmcnt(0)
	v_add_f64 v[34:35], v[34:35], v[36:37]
	ds_bpermute_b32 v36, v47, v34
	ds_bpermute_b32 v37, v47, v35
	s_waitcnt lgkmcnt(0)
	;; [unrolled: 4-line block ×4, first 2 shown]
	v_add_f64 v[34:35], v[34:35], v[36:37]
	ds_bpermute_b32 v36, v50, v34
	ds_bpermute_b32 v37, v50, v35
	s_and_saveexec_b64 s[14:15], s[10:11]
	s_cbranch_execz .LBB91_21
; %bb.20:                               ;   in Loop: Header=BB91_9 Depth=1
	s_waitcnt lgkmcnt(0)
	v_add_f64 v[34:35], v[34:35], v[36:37]
	ds_write_b64 v52, v[34:35]
.LBB91_21:                              ;   in Loop: Header=BB91_9 Depth=1
	s_or_b64 exec, exec, s[14:15]
	v_mov_b64_e32 v[34:35], 0
	s_waitcnt lgkmcnt(0)
	s_barrier
	s_and_saveexec_b64 s[14:15], s[4:5]
	s_cbranch_execnz .LBB91_47
; %bb.22:                               ;   in Loop: Header=BB91_9 Depth=1
	s_or_b64 exec, exec, s[14:15]
	s_and_saveexec_b64 s[14:15], s[0:1]
	s_cbranch_execnz .LBB91_48
.LBB91_23:                              ;   in Loop: Header=BB91_9 Depth=1
	s_or_b64 exec, exec, s[14:15]
	s_and_saveexec_b64 s[14:15], s[0:1]
	s_cbranch_execz .LBB91_25
.LBB91_24:                              ;   in Loop: Header=BB91_9 Depth=1
	v_mov_b32_e32 v25, v24
	ds_write_b64 v51, v[24:25]
.LBB91_25:                              ;   in Loop: Header=BB91_9 Depth=1
	s_or_b64 exec, exec, s[14:15]
	ds_bpermute_b32 v36, v45, v30
	ds_bpermute_b32 v37, v45, v31
	s_waitcnt lgkmcnt(0)
	s_barrier
	v_add_f64 v[30:31], v[30:31], v[36:37]
	ds_bpermute_b32 v36, v46, v30
	ds_bpermute_b32 v37, v46, v31
	s_waitcnt lgkmcnt(0)
	v_add_f64 v[30:31], v[30:31], v[36:37]
	ds_bpermute_b32 v36, v47, v30
	ds_bpermute_b32 v37, v47, v31
	s_waitcnt lgkmcnt(0)
	;; [unrolled: 4-line block ×4, first 2 shown]
	v_add_f64 v[30:31], v[30:31], v[36:37]
	ds_bpermute_b32 v36, v50, v30
	ds_bpermute_b32 v37, v50, v31
	s_and_saveexec_b64 s[14:15], s[10:11]
	s_cbranch_execz .LBB91_27
; %bb.26:                               ;   in Loop: Header=BB91_9 Depth=1
	s_waitcnt lgkmcnt(0)
	v_add_f64 v[30:31], v[30:31], v[36:37]
	ds_write_b64 v52, v[30:31]
.LBB91_27:                              ;   in Loop: Header=BB91_9 Depth=1
	s_or_b64 exec, exec, s[14:15]
	v_mov_b64_e32 v[30:31], 0
	s_waitcnt lgkmcnt(0)
	s_barrier
	s_and_saveexec_b64 s[14:15], s[4:5]
	s_cbranch_execnz .LBB91_49
; %bb.28:                               ;   in Loop: Header=BB91_9 Depth=1
	s_or_b64 exec, exec, s[14:15]
	s_and_saveexec_b64 s[14:15], s[0:1]
	s_cbranch_execnz .LBB91_50
.LBB91_29:                              ;   in Loop: Header=BB91_9 Depth=1
	s_or_b64 exec, exec, s[14:15]
	s_and_saveexec_b64 s[14:15], s[0:1]
	s_cbranch_execz .LBB91_31
.LBB91_30:                              ;   in Loop: Header=BB91_9 Depth=1
	v_mov_b32_e32 v25, v24
	ds_write_b64 v51, v[24:25]
.LBB91_31:                              ;   in Loop: Header=BB91_9 Depth=1
	s_or_b64 exec, exec, s[14:15]
	ds_bpermute_b32 v36, v45, v28
	ds_bpermute_b32 v37, v45, v29
	s_waitcnt lgkmcnt(0)
	s_barrier
	v_add_f64 v[28:29], v[28:29], v[36:37]
	ds_bpermute_b32 v36, v46, v28
	ds_bpermute_b32 v37, v46, v29
	s_waitcnt lgkmcnt(0)
	v_add_f64 v[28:29], v[28:29], v[36:37]
	ds_bpermute_b32 v36, v47, v28
	ds_bpermute_b32 v37, v47, v29
	s_waitcnt lgkmcnt(0)
	;; [unrolled: 4-line block ×4, first 2 shown]
	v_add_f64 v[28:29], v[28:29], v[36:37]
	ds_bpermute_b32 v36, v50, v28
	ds_bpermute_b32 v37, v50, v29
	s_and_saveexec_b64 s[14:15], s[10:11]
	s_cbranch_execz .LBB91_33
; %bb.32:                               ;   in Loop: Header=BB91_9 Depth=1
	s_waitcnt lgkmcnt(0)
	v_add_f64 v[28:29], v[28:29], v[36:37]
	ds_write_b64 v52, v[28:29]
.LBB91_33:                              ;   in Loop: Header=BB91_9 Depth=1
	s_or_b64 exec, exec, s[14:15]
	v_mov_b64_e32 v[28:29], 0
	s_waitcnt lgkmcnt(0)
	s_barrier
	s_and_saveexec_b64 s[14:15], s[4:5]
	s_cbranch_execnz .LBB91_51
; %bb.34:                               ;   in Loop: Header=BB91_9 Depth=1
	s_or_b64 exec, exec, s[14:15]
	s_and_saveexec_b64 s[14:15], s[0:1]
	s_cbranch_execnz .LBB91_52
.LBB91_35:                              ;   in Loop: Header=BB91_9 Depth=1
	s_or_b64 exec, exec, s[14:15]
	s_and_saveexec_b64 s[14:15], s[12:13]
	s_cbranch_execz .LBB91_8
	s_branch .LBB91_53
.LBB91_36:                              ;   in Loop: Header=BB91_9 Depth=1
	s_mul_i32 s16, s3, s37
	s_mul_hi_u32 s17, s3, s36
	s_add_i32 s17, s17, s16
	s_mul_i32 s16, s3, s36
	v_lshl_add_u64 v[6:7], s[16:17], 3, v[10:11]
	s_or_b32 s16, s3, 1
	s_mul_i32 s17, s16, s37
	s_mul_hi_u32 s18, s16, s36
	s_add_i32 s17, s18, s17
	s_mul_i32 s16, s16, s36
	v_lshl_add_u64 v[8:9], s[16:17], 3, v[10:11]
	s_or_b32 s16, s3, 2
	s_mul_i32 s17, s16, s37
	s_mul_hi_u32 s18, s16, s36
	s_add_i32 s17, s18, s17
	s_mul_i32 s16, s16, s36
	s_waitcnt lgkmcnt(0)
	v_lshl_add_u64 v[28:29], s[16:17], 3, v[10:11]
	s_or_b32 s16, s3, 3
	global_load_dwordx2 v[2:3], v[14:15], off
	global_load_dwordx4 v[34:37], v[6:7], off
	global_load_dwordx4 v[54:57], v[8:9], off
	;; [unrolled: 1-line block ×3, first 2 shown]
	s_mul_i32 s17, s16, s37
	s_mul_hi_u32 s18, s16, s36
	s_add_i32 s17, s18, s17
	s_mul_i32 s16, s16, s36
	v_lshl_add_u64 v[30:31], s[16:17], 3, v[10:11]
	global_load_dwordx4 v[62:65], v[30:31], off
	global_load_dwordx2 v[4:5], v[16:17], off
	global_load_dwordx4 v[66:69], v[6:7], off offset:16
	s_nop 0
	global_load_dwordx2 v[6:7], v[18:19], off
	global_load_dwordx4 v[70:73], v[8:9], off offset:16
	global_load_dwordx4 v[74:77], v[28:29], off offset:16
	;; [unrolled: 1-line block ×3, first 2 shown]
	s_nop 0
	global_load_dwordx2 v[8:9], v[20:21], off
	s_waitcnt vmcnt(10)
	v_fma_f64 v[32:33], v[2:3], v[34:35], 0
	s_waitcnt vmcnt(9)
	v_fma_f64 v[34:35], v[2:3], v[54:55], 0
	;; [unrolled: 2-line block ×4, first 2 shown]
	s_waitcnt vmcnt(6)
	v_fmac_f64_e32 v[32:33], v[4:5], v[36:37]
	v_fmac_f64_e32 v[34:35], v[4:5], v[56:57]
	;; [unrolled: 1-line block ×4, first 2 shown]
	s_waitcnt vmcnt(4)
	v_fmac_f64_e32 v[32:33], v[6:7], v[66:67]
	s_waitcnt vmcnt(3)
	v_fmac_f64_e32 v[34:35], v[6:7], v[70:71]
	;; [unrolled: 2-line block ×5, first 2 shown]
	v_fmac_f64_e32 v[34:35], v[8:9], v[72:73]
	v_fmac_f64_e32 v[30:31], v[8:9], v[76:77]
	;; [unrolled: 1-line block ×3, first 2 shown]
	s_andn2_saveexec_b64 s[60:61], s[14:15]
	s_cbranch_execz .LBB91_11
.LBB91_37:                              ;   in Loop: Header=BB91_9 Depth=1
	s_waitcnt lgkmcnt(0)
	v_mov_b64_e32 v[28:29], 0
	v_mov_b64_e32 v[30:31], v[28:29]
	;; [unrolled: 1-line block ×4, first 2 shown]
	s_and_saveexec_b64 s[62:63], s[8:9]
	s_cbranch_execz .LBB91_44
; %bb.38:                               ;   in Loop: Header=BB91_9 Depth=1
	v_cndmask_b32_e64 v25, 0, 1, s[48:49]
	v_cmp_ne_u32_e64 s[14:15], 1, v25
	s_andn2_b64 vcc, exec, s[48:49]
	s_cbranch_vccnz .LBB91_41
; %bb.39:                               ;   in Loop: Header=BB91_9 Depth=1
	s_mov_b64 s[64:65], 0
	v_mov_b64_e32 v[28:29], v[22:23]
.LBB91_40:                              ;   Parent Loop BB91_9 Depth=1
                                        ; =>  This Inner Loop Header: Depth=2
	global_load_dwordx2 v[30:31], v[28:29], off
	s_cmp_eq_u32 s64, 3
	s_cselect_b64 vcc, -1, 0
	s_cmp_eq_u32 s64, 2
	s_cselect_b64 s[16:17], -1, 0
	s_cmp_eq_u32 s64, 1
	s_cselect_b64 s[18:19], -1, 0
	;; [unrolled: 2-line block ×3, first 2 shown]
	s_add_u32 s64, s64, 1
	s_addc_u32 s65, s65, 0
	v_lshl_add_u64 v[28:29], v[28:29], 0, s[50:51]
	s_cmp_eq_u32 s31, s64
	s_waitcnt vmcnt(0)
	v_cndmask_b32_e32 v9, v9, v31, vcc
	v_cndmask_b32_e32 v8, v8, v30, vcc
	v_cndmask_b32_e64 v7, v7, v31, s[16:17]
	v_cndmask_b32_e64 v6, v6, v30, s[16:17]
	;; [unrolled: 1-line block ×6, first 2 shown]
	s_cbranch_scc0 .LBB91_40
.LBB91_41:                              ;   in Loop: Header=BB91_9 Depth=1
	v_mov_b64_e32 v[28:29], 0
	s_and_b64 vcc, exec, s[14:15]
	v_mov_b64_e32 v[30:31], v[28:29]
	v_mov_b64_e32 v[34:35], v[28:29]
	;; [unrolled: 1-line block ×3, first 2 shown]
	s_cbranch_vccnz .LBB91_44
; %bb.42:                               ;   in Loop: Header=BB91_9 Depth=1
	v_mov_b64_e32 v[32:33], 0
	s_mov_b64 s[16:17], 0
	v_mov_b64_e32 v[36:37], v[26:27]
	v_mov_b64_e32 v[34:35], v[32:33]
	;; [unrolled: 1-line block ×4, first 2 shown]
.LBB91_43:                              ;   Parent Loop BB91_9 Depth=1
                                        ; =>  This Inner Loop Header: Depth=2
	v_lshl_add_u64 v[56:57], v[36:37], 0, s[54:55]
	v_lshl_add_u64 v[58:59], v[36:37], 0, s[56:57]
	;; [unrolled: 1-line block ×3, first 2 shown]
	global_load_dwordx2 v[54:55], v[36:37], off
	s_nop 0
	global_load_dwordx2 v[56:57], v[56:57], off
	s_nop 0
	;; [unrolled: 2-line block ×3, first 2 shown]
	global_load_dwordx2 v[60:61], v[60:61], off
	s_cmp_eq_u32 s16, 1
	s_cselect_b64 vcc, -1, 0
	s_cmp_eq_u32 s16, 2
	v_cndmask_b32_e32 v25, v3, v5, vcc
	s_cselect_b64 s[14:15], -1, 0
	s_cmp_eq_u32 s16, 3
	v_cndmask_b32_e64 v25, v25, v7, s[14:15]
	v_cndmask_b32_e32 v53, v2, v4, vcc
	s_cselect_b64 vcc, -1, 0
	v_cndmask_b32_e32 v63, v25, v9, vcc
	v_cndmask_b32_e64 v25, v53, v6, s[14:15]
	s_add_u32 s16, s16, 1
	v_cndmask_b32_e32 v62, v25, v8, vcc
	s_addc_u32 s17, s17, 0
	v_lshl_add_u64 v[36:37], v[36:37], 0, 8
	s_cmp_lg_u32 s31, s16
	s_waitcnt vmcnt(2)
	v_fmac_f64_e32 v[34:35], v[62:63], v[56:57]
	v_fmac_f64_e32 v[32:33], v[62:63], v[54:55]
	s_waitcnt vmcnt(1)
	v_fmac_f64_e32 v[30:31], v[62:63], v[58:59]
	s_waitcnt vmcnt(0)
	v_fmac_f64_e32 v[28:29], v[62:63], v[60:61]
	s_cbranch_scc1 .LBB91_43
.LBB91_44:                              ;   in Loop: Header=BB91_9 Depth=1
	s_or_b64 exec, exec, s[62:63]
	s_or_b64 exec, exec, s[60:61]
	s_and_saveexec_b64 s[14:15], s[0:1]
	s_cbranch_execnz .LBB91_12
	s_branch .LBB91_13
.LBB91_45:                              ;   in Loop: Header=BB91_9 Depth=1
	ds_read_b64 v[32:33], v51
	s_or_b64 exec, exec, s[14:15]
	s_and_saveexec_b64 s[14:15], s[0:1]
	s_cbranch_execz .LBB91_17
.LBB91_46:                              ;   in Loop: Header=BB91_9 Depth=1
	s_waitcnt lgkmcnt(0)
	ds_bpermute_b32 v36, v49, v32
	ds_bpermute_b32 v37, v49, v33
	s_waitcnt lgkmcnt(0)
	v_add_f64 v[32:33], v[32:33], v[36:37]
	ds_bpermute_b32 v36, v50, v32
	ds_bpermute_b32 v37, v50, v33
	s_waitcnt lgkmcnt(0)
	v_add_f64 v[32:33], v[32:33], v[36:37]
	s_or_b64 exec, exec, s[14:15]
	s_and_saveexec_b64 s[14:15], s[0:1]
	s_cbranch_execnz .LBB91_18
	s_branch .LBB91_19
.LBB91_47:                              ;   in Loop: Header=BB91_9 Depth=1
	ds_read_b64 v[34:35], v51
	s_or_b64 exec, exec, s[14:15]
	s_and_saveexec_b64 s[14:15], s[0:1]
	s_cbranch_execz .LBB91_23
.LBB91_48:                              ;   in Loop: Header=BB91_9 Depth=1
	s_waitcnt lgkmcnt(0)
	ds_bpermute_b32 v36, v49, v34
	ds_bpermute_b32 v37, v49, v35
	s_waitcnt lgkmcnt(0)
	v_add_f64 v[34:35], v[34:35], v[36:37]
	ds_bpermute_b32 v36, v50, v34
	ds_bpermute_b32 v37, v50, v35
	s_waitcnt lgkmcnt(0)
	v_add_f64 v[34:35], v[34:35], v[36:37]
	s_or_b64 exec, exec, s[14:15]
	s_and_saveexec_b64 s[14:15], s[0:1]
	s_cbranch_execnz .LBB91_24
	s_branch .LBB91_25
.LBB91_49:                              ;   in Loop: Header=BB91_9 Depth=1
	ds_read_b64 v[30:31], v51
	s_or_b64 exec, exec, s[14:15]
	s_and_saveexec_b64 s[14:15], s[0:1]
	s_cbranch_execz .LBB91_29
.LBB91_50:                              ;   in Loop: Header=BB91_9 Depth=1
	s_waitcnt lgkmcnt(0)
	ds_bpermute_b32 v36, v49, v30
	ds_bpermute_b32 v37, v49, v31
	s_waitcnt lgkmcnt(0)
	v_add_f64 v[30:31], v[30:31], v[36:37]
	ds_bpermute_b32 v36, v50, v30
	ds_bpermute_b32 v37, v50, v31
	s_waitcnt lgkmcnt(0)
	v_add_f64 v[30:31], v[30:31], v[36:37]
	s_or_b64 exec, exec, s[14:15]
	s_and_saveexec_b64 s[14:15], s[0:1]
	s_cbranch_execnz .LBB91_30
	s_branch .LBB91_31
.LBB91_51:                              ;   in Loop: Header=BB91_9 Depth=1
	ds_read_b64 v[28:29], v51
	s_or_b64 exec, exec, s[14:15]
	s_and_saveexec_b64 s[14:15], s[0:1]
	s_cbranch_execz .LBB91_35
.LBB91_52:                              ;   in Loop: Header=BB91_9 Depth=1
	s_waitcnt lgkmcnt(0)
	ds_bpermute_b32 v36, v49, v28
	ds_bpermute_b32 v37, v49, v29
	s_waitcnt lgkmcnt(0)
	v_add_f64 v[28:29], v[28:29], v[36:37]
	ds_bpermute_b32 v36, v50, v28
	ds_bpermute_b32 v37, v50, v29
	s_waitcnt lgkmcnt(0)
	v_add_f64 v[28:29], v[28:29], v[36:37]
	s_or_b64 exec, exec, s[14:15]
	s_and_saveexec_b64 s[14:15], s[12:13]
	s_cbranch_execz .LBB91_8
.LBB91_53:                              ;   in Loop: Header=BB91_9 Depth=1
	s_mul_hi_u32 s17, s3, s30
	s_mul_i32 s16, s3, s30
	s_lshl_b64 s[16:17], s[16:17], 3
	s_add_u32 s16, s68, s16
	v_mul_f64 v[32:33], s[34:35], v[32:33]
	s_addc_u32 s17, s69, s17
	global_store_dwordx2 v24, v[32:33], s[16:17]
	s_or_b32 s16, s3, 1
	s_mul_hi_u32 s17, s16, s30
	s_mul_i32 s16, s16, s30
	s_lshl_b64 s[16:17], s[16:17], 3
	s_add_u32 s16, s68, s16
	v_mul_f64 v[32:33], s[34:35], v[34:35]
	s_addc_u32 s17, s69, s17
	global_store_dwordx2 v24, v[32:33], s[16:17]
	s_or_b32 s16, s3, 2
	s_mul_hi_u32 s17, s16, s30
	s_mul_i32 s16, s16, s30
	s_lshl_b64 s[16:17], s[16:17], 3
	s_add_u32 s16, s68, s16
	v_mul_f64 v[30:31], s[34:35], v[30:31]
	s_addc_u32 s17, s69, s17
	global_store_dwordx2 v24, v[30:31], s[16:17]
	s_or_b32 s16, s3, 3
	s_mul_hi_u32 s17, s16, s30
	s_mul_i32 s16, s16, s30
	s_lshl_b64 s[16:17], s[16:17], 3
	s_add_u32 s16, s68, s16
	s_waitcnt lgkmcnt(0)
	v_mul_f64 v[28:29], s[34:35], v[28:29]
	s_addc_u32 s17, s69, s17
	global_store_dwordx2 v24, v[28:29], s[16:17]
	s_branch .LBB91_8
.LBB91_54:
	s_mov_b32 s3, 0
                                        ; implicit-def: $vgpr2_vgpr3_vgpr4_vgpr5_vgpr6_vgpr7_vgpr8_vgpr9
.LBB91_55:
	s_cmp_ge_i32 s3, s29
	s_cbranch_scc1 .LBB91_79
; %bb.56:
	v_mbcnt_hi_u32_b32 v14, -1, v42
	v_and_b32_e32 v15, 63, v14
	v_cmp_gt_u32_e32 vcc, 32, v15
	s_mov_b32 s49, 0
	s_cmp_gt_i32 s31, 0
	v_cndmask_b32_e64 v16, 0, 1, vcc
	v_lshlrev_b32_e32 v16, 5, v16
	v_cmp_gt_u32_e32 vcc, 48, v15
	s_waitcnt lgkmcnt(0)
	v_add_lshl_u32 v29, v16, v14, 2
	s_mov_b32 s48, s2
	v_cndmask_b32_e64 v16, 0, 1, vcc
	v_lshlrev_b32_e32 v16, 4, v16
	v_cmp_gt_u32_e32 vcc, 56, v15
	v_add_lshl_u32 v30, v16, v14, 2
	s_cselect_b64 s[50:51], -1, 0
	v_cndmask_b32_e64 v16, 0, 1, vcc
	v_lshlrev_b32_e32 v16, 3, v16
	v_cmp_gt_u32_e32 vcc, 60, v15
	v_add_lshl_u32 v31, v16, v14, 2
	s_lshl_b64 s[14:15], s[48:49], 3
	v_cndmask_b32_e64 v16, 0, 1, vcc
	v_lshlrev_b32_e32 v16, 2, v16
	v_cmp_gt_u32_e32 vcc, 62, v15
	v_add_lshl_u32 v32, v16, v14, 2
	s_add_u32 s2, s33, s14
	v_cndmask_b32_e64 v16, 0, 1, vcc
	v_lshlrev_b32_e32 v16, 1, v16
	v_cmp_ne_u32_e32 vcc, 63, v15
	v_add_lshl_u32 v33, v16, v14, 2
	v_cmp_ge_i32_e64 s[0:1], s28, v43
	v_addc_co_u32_e32 v14, vcc, 0, v14, vcc
	v_cmp_ge_i32_e64 s[4:5], s28, v44
	v_cmp_gt_u32_e64 s[6:7], 64, v0
	v_lshlrev_b32_e32 v28, 3, v1
	v_lshlrev_b32_e32 v34, 2, v14
	v_cmp_eq_u32_e64 s[8:9], 0, v1
	v_cmp_gt_u32_e64 s[10:11], 4, v0
	v_cmp_eq_u32_e64 s[12:13], 0, v0
	s_addc_u32 s28, s66, s15
	v_mad_i64_i32 v[0:1], s[14:15], s38, v12, 0
	v_mad_i64_i32 v[14:15], s[14:15], s38, v40, 0
	;; [unrolled: 1-line block ×4, first 2 shown]
	s_add_u32 s14, s22, s44
	s_addc_u32 s15, s23, s45
	s_add_u32 s14, s14, s40
	v_lshlrev_b64 v[20:21], 3, v[0:1]
	s_addc_u32 s15, s15, s41
	v_lshl_add_u64 v[0:1], s[46:47], 0, v[20:21]
	v_lshl_add_u64 v[20:21], s[14:15], 0, v[20:21]
	s_mul_i32 s14, s37, s3
	s_mul_hi_u32 s15, s36, s3
	s_add_i32 s15, s15, s14
	s_mul_i32 s14, s36, s3
	s_lshl_b64 s[22:23], s[38:39], 3
	s_lshl_b64 s[14:15], s[14:15], 3
	s_add_u32 s14, s42, s14
	s_addc_u32 s15, s43, s15
	s_add_u32 s14, s14, s26
	s_addc_u32 s15, s15, s27
	;; [unrolled: 2-line block ×3, first 2 shown]
	v_and_b32_e32 v35, 24, v41
	v_lshl_add_u64 v[14:15], v[14:15], 3, s[46:47]
	v_lshl_add_u64 v[16:17], v[16:17], 3, s[46:47]
	;; [unrolled: 1-line block ×4, first 2 shown]
	s_lshl_b64 s[24:25], s[36:37], 3
	v_mov_b32_e32 v22, 0
	s_branch .LBB91_58
.LBB91_57:                              ;   in Loop: Header=BB91_58 Depth=1
	s_or_b64 exec, exec, s[14:15]
	s_add_i32 s3, s3, 1
	s_cmp_ge_i32 s3, s29
	v_lshl_add_u64 v[12:13], v[12:13], 0, s[24:25]
	s_cbranch_scc1 .LBB91_79
.LBB91_58:                              ; =>This Loop Header: Depth=1
                                        ;     Child Loop BB91_71 Depth 2
                                        ;     Child Loop BB91_74 Depth 2
	s_waitcnt lgkmcnt(0)
	v_mov_b32_e32 v24, s49
	v_mov_b32_e32 v25, s49
	s_and_saveexec_b64 s[14:15], s[0:1]
	s_xor_b64 s[14:15], exec, s[14:15]
	s_cbranch_execnz .LBB91_67
; %bb.59:                               ;   in Loop: Header=BB91_58 Depth=1
	s_andn2_saveexec_b64 s[26:27], s[14:15]
	s_cbranch_execnz .LBB91_68
.LBB91_60:                              ;   in Loop: Header=BB91_58 Depth=1
	s_or_b64 exec, exec, s[26:27]
	s_and_saveexec_b64 s[14:15], s[6:7]
	s_cbranch_execz .LBB91_62
.LBB91_61:                              ;   in Loop: Header=BB91_58 Depth=1
	v_mov_b32_e32 v23, v22
	ds_write_b64 v28, v[22:23]
.LBB91_62:                              ;   in Loop: Header=BB91_58 Depth=1
	s_or_b64 exec, exec, s[14:15]
	ds_bpermute_b32 v26, v29, v24
	ds_bpermute_b32 v27, v29, v25
	s_waitcnt lgkmcnt(0)
	s_barrier
	v_add_f64 v[24:25], v[24:25], v[26:27]
	ds_bpermute_b32 v26, v30, v24
	ds_bpermute_b32 v27, v30, v25
	s_waitcnt lgkmcnt(0)
	v_add_f64 v[24:25], v[24:25], v[26:27]
	ds_bpermute_b32 v26, v31, v24
	ds_bpermute_b32 v27, v31, v25
	s_waitcnt lgkmcnt(0)
	;; [unrolled: 4-line block ×4, first 2 shown]
	v_add_f64 v[24:25], v[24:25], v[26:27]
	ds_bpermute_b32 v26, v34, v24
	ds_bpermute_b32 v27, v34, v25
	s_and_saveexec_b64 s[14:15], s[8:9]
	s_cbranch_execz .LBB91_64
; %bb.63:                               ;   in Loop: Header=BB91_58 Depth=1
	s_waitcnt lgkmcnt(0)
	v_add_f64 v[24:25], v[24:25], v[26:27]
	ds_write_b64 v35, v[24:25]
.LBB91_64:                              ;   in Loop: Header=BB91_58 Depth=1
	s_or_b64 exec, exec, s[14:15]
	v_mov_b64_e32 v[24:25], 0
	s_waitcnt lgkmcnt(0)
	s_barrier
	s_and_saveexec_b64 s[14:15], s[10:11]
	s_cbranch_execnz .LBB91_76
; %bb.65:                               ;   in Loop: Header=BB91_58 Depth=1
	s_or_b64 exec, exec, s[14:15]
	s_and_saveexec_b64 s[14:15], s[6:7]
	s_cbranch_execnz .LBB91_77
.LBB91_66:                              ;   in Loop: Header=BB91_58 Depth=1
	s_or_b64 exec, exec, s[14:15]
	s_and_saveexec_b64 s[14:15], s[12:13]
	s_cbranch_execz .LBB91_57
	s_branch .LBB91_78
.LBB91_67:                              ;   in Loop: Header=BB91_58 Depth=1
	s_mul_i32 s16, s3, s37
	s_mul_hi_u32 s17, s3, s36
	s_add_i32 s17, s17, s16
	s_mul_i32 s16, s3, s36
	v_lshl_add_u64 v[40:41], s[16:17], 3, v[10:11]
	global_load_dwordx4 v[36:39], v[40:41], off offset:16
	global_load_dwordx4 v[24:27], v[40:41], off
	global_load_dwordx2 v[2:3], v[0:1], off
	global_load_dwordx2 v[4:5], v[14:15], off
	;; [unrolled: 1-line block ×4, first 2 shown]
	s_waitcnt vmcnt(3)
	v_fma_f64 v[24:25], v[2:3], v[24:25], 0
	s_waitcnt vmcnt(2)
	v_fmac_f64_e32 v[24:25], v[4:5], v[26:27]
	s_waitcnt vmcnt(1)
	v_fmac_f64_e32 v[24:25], v[6:7], v[36:37]
	;; [unrolled: 2-line block ×3, first 2 shown]
	s_andn2_saveexec_b64 s[26:27], s[14:15]
	s_cbranch_execz .LBB91_60
.LBB91_68:                              ;   in Loop: Header=BB91_58 Depth=1
	s_and_saveexec_b64 s[38:39], s[4:5]
	s_cbranch_execz .LBB91_75
; %bb.69:                               ;   in Loop: Header=BB91_58 Depth=1
	v_cndmask_b32_e64 v23, 0, 1, s[50:51]
	v_cmp_ne_u32_e64 s[14:15], 1, v23
	s_andn2_b64 vcc, exec, s[50:51]
	s_cbranch_vccnz .LBB91_72
; %bb.70:                               ;   in Loop: Header=BB91_58 Depth=1
	s_mov_b64 s[40:41], 0
	v_mov_b64_e32 v[26:27], v[20:21]
.LBB91_71:                              ;   Parent Loop BB91_58 Depth=1
                                        ; =>  This Inner Loop Header: Depth=2
	global_load_dwordx2 v[36:37], v[26:27], off
	s_cmp_eq_u32 s40, 3
	s_cselect_b64 vcc, -1, 0
	s_cmp_eq_u32 s40, 2
	s_cselect_b64 s[16:17], -1, 0
	s_cmp_eq_u32 s40, 1
	s_cselect_b64 s[18:19], -1, 0
	;; [unrolled: 2-line block ×3, first 2 shown]
	s_add_u32 s40, s40, 1
	s_addc_u32 s41, s41, 0
	v_lshl_add_u64 v[26:27], v[26:27], 0, s[22:23]
	s_cmp_eq_u32 s31, s40
	s_waitcnt vmcnt(0)
	v_cndmask_b32_e32 v9, v9, v37, vcc
	v_cndmask_b32_e32 v8, v8, v36, vcc
	v_cndmask_b32_e64 v7, v7, v37, s[16:17]
	v_cndmask_b32_e64 v6, v6, v36, s[16:17]
	v_cndmask_b32_e64 v5, v5, v37, s[18:19]
	v_cndmask_b32_e64 v4, v4, v36, s[18:19]
	v_cndmask_b32_e64 v3, v3, v37, s[20:21]
	v_cndmask_b32_e64 v2, v2, v36, s[20:21]
	s_cbranch_scc0 .LBB91_71
.LBB91_72:                              ;   in Loop: Header=BB91_58 Depth=1
	s_and_b64 vcc, exec, s[14:15]
	s_cbranch_vccnz .LBB91_75
; %bb.73:                               ;   in Loop: Header=BB91_58 Depth=1
	s_mov_b64 s[16:17], 0
	v_mov_b64_e32 v[26:27], v[12:13]
.LBB91_74:                              ;   Parent Loop BB91_58 Depth=1
                                        ; =>  This Inner Loop Header: Depth=2
	global_load_dwordx2 v[36:37], v[26:27], off
	s_cmp_eq_u32 s16, 1
	s_cselect_b64 vcc, -1, 0
	s_cmp_eq_u32 s16, 2
	v_cndmask_b32_e32 v23, v3, v5, vcc
	s_cselect_b64 s[14:15], -1, 0
	s_cmp_eq_u32 s16, 3
	v_cndmask_b32_e64 v23, v23, v7, s[14:15]
	v_cndmask_b32_e32 v38, v2, v4, vcc
	s_cselect_b64 vcc, -1, 0
	v_cndmask_b32_e32 v39, v23, v9, vcc
	v_cndmask_b32_e64 v23, v38, v6, s[14:15]
	s_add_u32 s16, s16, 1
	v_cndmask_b32_e32 v38, v23, v8, vcc
	s_addc_u32 s17, s17, 0
	v_lshl_add_u64 v[26:27], v[26:27], 0, 8
	s_cmp_lg_u32 s31, s16
	s_waitcnt vmcnt(0)
	v_fmac_f64_e32 v[24:25], v[38:39], v[36:37]
	s_cbranch_scc1 .LBB91_74
.LBB91_75:                              ;   in Loop: Header=BB91_58 Depth=1
	s_or_b64 exec, exec, s[38:39]
	s_or_b64 exec, exec, s[26:27]
	s_and_saveexec_b64 s[14:15], s[6:7]
	s_cbranch_execnz .LBB91_61
	s_branch .LBB91_62
.LBB91_76:                              ;   in Loop: Header=BB91_58 Depth=1
	ds_read_b64 v[24:25], v28
	s_or_b64 exec, exec, s[14:15]
	s_and_saveexec_b64 s[14:15], s[6:7]
	s_cbranch_execz .LBB91_66
.LBB91_77:                              ;   in Loop: Header=BB91_58 Depth=1
	s_waitcnt lgkmcnt(0)
	ds_bpermute_b32 v26, v33, v24
	ds_bpermute_b32 v27, v33, v25
	s_waitcnt lgkmcnt(0)
	v_add_f64 v[24:25], v[24:25], v[26:27]
	ds_bpermute_b32 v26, v34, v24
	ds_bpermute_b32 v27, v34, v25
	s_waitcnt lgkmcnt(0)
	v_add_f64 v[24:25], v[24:25], v[26:27]
	s_or_b64 exec, exec, s[14:15]
	s_and_saveexec_b64 s[14:15], s[12:13]
	s_cbranch_execz .LBB91_57
.LBB91_78:                              ;   in Loop: Header=BB91_58 Depth=1
	s_mul_hi_u32 s17, s3, s30
	s_mul_i32 s16, s3, s30
	s_lshl_b64 s[16:17], s[16:17], 3
	s_add_u32 s16, s2, s16
	s_waitcnt lgkmcnt(0)
	v_mul_f64 v[24:25], s[34:35], v[24:25]
	s_addc_u32 s17, s28, s17
	global_store_dwordx2 v22, v[24:25], s[16:17]
	s_branch .LBB91_57
.LBB91_79:
	s_endpgm
	.section	.rodata,"a",@progbits
	.p2align	6, 0x0
	.amdhsa_kernel _ZL23rocblas_gemvt_sn_kernelILb1ELi256ELi4EldPKddEviiT4_lPKT3_lilS5_lilPT5_i
		.amdhsa_group_segment_fixed_size 512
		.amdhsa_private_segment_fixed_size 0
		.amdhsa_kernarg_size 360
		.amdhsa_user_sgpr_count 2
		.amdhsa_user_sgpr_dispatch_ptr 0
		.amdhsa_user_sgpr_queue_ptr 0
		.amdhsa_user_sgpr_kernarg_segment_ptr 1
		.amdhsa_user_sgpr_dispatch_id 0
		.amdhsa_user_sgpr_kernarg_preload_length 0
		.amdhsa_user_sgpr_kernarg_preload_offset 0
		.amdhsa_user_sgpr_private_segment_size 0
		.amdhsa_uses_dynamic_stack 0
		.amdhsa_enable_private_segment 0
		.amdhsa_system_sgpr_workgroup_id_x 1
		.amdhsa_system_sgpr_workgroup_id_y 0
		.amdhsa_system_sgpr_workgroup_id_z 1
		.amdhsa_system_sgpr_workgroup_info 0
		.amdhsa_system_vgpr_workitem_id 0
		.amdhsa_next_free_vgpr 82
		.amdhsa_next_free_sgpr 70
		.amdhsa_accum_offset 84
		.amdhsa_reserve_vcc 1
		.amdhsa_float_round_mode_32 0
		.amdhsa_float_round_mode_16_64 0
		.amdhsa_float_denorm_mode_32 3
		.amdhsa_float_denorm_mode_16_64 3
		.amdhsa_dx10_clamp 1
		.amdhsa_ieee_mode 1
		.amdhsa_fp16_overflow 0
		.amdhsa_tg_split 0
		.amdhsa_exception_fp_ieee_invalid_op 0
		.amdhsa_exception_fp_denorm_src 0
		.amdhsa_exception_fp_ieee_div_zero 0
		.amdhsa_exception_fp_ieee_overflow 0
		.amdhsa_exception_fp_ieee_underflow 0
		.amdhsa_exception_fp_ieee_inexact 0
		.amdhsa_exception_int_div_zero 0
	.end_amdhsa_kernel
	.section	.text._ZL23rocblas_gemvt_sn_kernelILb1ELi256ELi4EldPKddEviiT4_lPKT3_lilS5_lilPT5_i,"axG",@progbits,_ZL23rocblas_gemvt_sn_kernelILb1ELi256ELi4EldPKddEviiT4_lPKT3_lilS5_lilPT5_i,comdat
.Lfunc_end91:
	.size	_ZL23rocblas_gemvt_sn_kernelILb1ELi256ELi4EldPKddEviiT4_lPKT3_lilS5_lilPT5_i, .Lfunc_end91-_ZL23rocblas_gemvt_sn_kernelILb1ELi256ELi4EldPKddEviiT4_lPKT3_lilS5_lilPT5_i
                                        ; -- End function
	.section	.AMDGPU.csdata,"",@progbits
; Kernel info:
; codeLenInByte = 4504
; NumSgprs: 76
; NumVgprs: 82
; NumAgprs: 0
; TotalNumVgprs: 82
; ScratchSize: 0
; MemoryBound: 1
; FloatMode: 240
; IeeeMode: 1
; LDSByteSize: 512 bytes/workgroup (compile time only)
; SGPRBlocks: 9
; VGPRBlocks: 10
; NumSGPRsForWavesPerEU: 76
; NumVGPRsForWavesPerEU: 82
; AccumOffset: 84
; Occupancy: 5
; WaveLimiterHint : 1
; COMPUTE_PGM_RSRC2:SCRATCH_EN: 0
; COMPUTE_PGM_RSRC2:USER_SGPR: 2
; COMPUTE_PGM_RSRC2:TRAP_HANDLER: 0
; COMPUTE_PGM_RSRC2:TGID_X_EN: 1
; COMPUTE_PGM_RSRC2:TGID_Y_EN: 0
; COMPUTE_PGM_RSRC2:TGID_Z_EN: 1
; COMPUTE_PGM_RSRC2:TIDIG_COMP_CNT: 0
; COMPUTE_PGM_RSRC3_GFX90A:ACCUM_OFFSET: 20
; COMPUTE_PGM_RSRC3_GFX90A:TG_SPLIT: 0
	.section	.text._ZL23rocblas_gemvt_sn_kernelILb1ELi256ELi4EidddEviiT4_lPKT3_lilS3_lilPT5_i,"axG",@progbits,_ZL23rocblas_gemvt_sn_kernelILb1ELi256ELi4EidddEviiT4_lPKT3_lilS3_lilPT5_i,comdat
	.globl	_ZL23rocblas_gemvt_sn_kernelILb1ELi256ELi4EidddEviiT4_lPKT3_lilS3_lilPT5_i ; -- Begin function _ZL23rocblas_gemvt_sn_kernelILb1ELi256ELi4EidddEviiT4_lPKT3_lilS3_lilPT5_i
	.p2align	8
	.type	_ZL23rocblas_gemvt_sn_kernelILb1ELi256ELi4EidddEviiT4_lPKT3_lilS3_lilPT5_i,@function
_ZL23rocblas_gemvt_sn_kernelILb1ELi256ELi4EidddEviiT4_lPKT3_lilS3_lilPT5_i: ; @_ZL23rocblas_gemvt_sn_kernelILb1ELi256ELi4EidddEviiT4_lPKT3_lilS3_lilPT5_i
; %bb.0:
	s_load_dwordx4 s[24:27], s[0:1], 0x0
	s_load_dwordx4 s[8:11], s[0:1], 0x50
	s_load_dword s22, s[0:1], 0x68
	s_mov_b32 s23, 0
	s_waitcnt lgkmcnt(0)
	s_ashr_i32 s12, s25, 31
	s_mul_hi_u32 s4, s25, s3
	s_mul_i32 s5, s12, s3
	s_add_i32 s4, s4, s5
	s_mul_i32 s6, s25, s3
	s_mul_i32 s4, s4, s22
	s_mul_hi_u32 s5, s6, s22
	s_add_i32 s5, s5, s4
	s_mul_i32 s4, s6, s22
	s_lshl_b64 s[4:5], s[4:5], 3
	s_add_u32 s56, s10, s4
	s_addc_u32 s57, s11, s5
	v_cmp_neq_f64_e64 s[4:5], s[26:27], 0
	s_and_b64 vcc, exec, s[4:5]
	v_cmp_eq_u32_e64 s[4:5], 0, v0
	s_cbranch_vccnz .LBB92_5
; %bb.1:
	s_cmp_gt_i32 s25, 0
	s_cselect_b64 s[6:7], -1, 0
	s_and_b64 s[6:7], s[4:5], s[6:7]
	s_and_saveexec_b64 s[4:5], s[6:7]
	s_cbranch_execz .LBB92_4
; %bb.2:
	s_mov_b32 s6, s3
	s_mov_b32 s3, 0
	s_lshl_b64 s[10:11], s[2:3], 3
	s_mov_b32 s3, s6
	s_add_u32 s6, s56, s10
	v_mov_b32_e32 v2, 0
	s_addc_u32 s7, s57, s11
	s_lshl_b64 s[10:11], s[22:23], 3
	v_mov_b32_e32 v3, v2
	s_mov_b32 s13, s25
.LBB92_3:                               ; =>This Inner Loop Header: Depth=1
	s_add_i32 s13, s13, -1
	global_store_dwordx2 v2, v[2:3], s[6:7]
	s_add_u32 s6, s6, s10
	s_addc_u32 s7, s7, s11
	s_cmp_eq_u32 s13, 0
	s_cbranch_scc0 .LBB92_3
.LBB92_4:
	s_or_b64 exec, exec, s[4:5]
	s_cbranch_execz .LBB92_6
	s_branch .LBB92_79
.LBB92_5:
.LBB92_6:
	s_load_dwordx4 s[28:31], s[0:1], 0x18
	s_load_dword s34, s[0:1], 0x28
	s_load_dwordx4 s[4:7], s[0:1], 0x30
	s_load_dwordx2 s[10:11], s[0:1], 0x40
	s_load_dword s23, s[0:1], 0x48
	s_mul_i32 s0, s3, s9
	s_mul_hi_u32 s1, s3, s8
	s_add_i32 s1, s1, s0
	s_mul_i32 s0, s3, s8
	s_lshl_b64 s[0:1], s[0:1], 3
	s_waitcnt lgkmcnt(0)
	s_add_u32 s6, s6, s0
	s_addc_u32 s7, s7, s1
	s_lshl_b64 s[0:1], s[10:11], 3
	s_add_u32 s36, s6, s0
	s_addc_u32 s37, s7, s1
	s_mul_i32 s0, s3, s5
	s_mul_hi_u32 s1, s3, s4
	s_add_i32 s1, s1, s0
	s_mul_i32 s0, s3, s4
	s_lshl_b64 s[38:39], s[0:1], 3
	s_add_u32 s0, s28, s38
	s_addc_u32 s1, s29, s39
	s_lshl_b64 s[30:31], s[30:31], 3
	s_add_u32 s0, s0, s30
	s_addc_u32 s1, s1, s31
	s_lshl_b32 s3, s2, 10
	v_lshl_or_b32 v14, v0, 2, s3
	v_ashrrev_i32_e32 v15, 31, v14
	v_lshl_add_u64 v[10:11], v[14:15], 3, s[0:1]
	s_lshr_b32 s0, s12, 30
	s_add_i32 s0, s25, s0
	s_and_b32 s3, s0, -4
	s_ashr_i32 s0, s24, 31
	s_lshr_b32 s0, s0, 30
	s_add_i32 s0, s24, s0
	s_and_b32 s0, s0, -4
	s_sub_i32 s33, s24, s0
	s_cmp_lt_i32 s3, 1
	v_add_u32_e32 v41, 4, v14
	v_add_u32_e32 v42, s33, v14
	v_and_b32_e32 v1, 63, v0
	v_cmp_gt_u32_e64 s[0:1], 64, v0
	v_mbcnt_lo_u32_b32 v40, -1, 0
	v_cmp_gt_u32_e64 s[4:5], 4, v0
	v_lshrrev_b32_e32 v13, 3, v0
	v_mul_lo_u32 v12, v14, s23
	s_cbranch_scc1 .LBB92_54
; %bb.7:
	v_mbcnt_hi_u32_b32 v2, -1, v40
	v_and_b32_e32 v3, 63, v2
	v_cmp_gt_u32_e32 vcc, 32, v3
	v_mul_lo_u32 v16, v14, s23
	s_cmp_gt_i32 s33, 0
	v_cndmask_b32_e64 v4, 0, 1, vcc
	v_lshlrev_b32_e32 v4, 5, v4
	v_cmp_gt_u32_e32 vcc, 48, v3
	v_add_lshl_u32 v43, v4, v2, 2
	s_cselect_b64 s[42:43], -1, 0
	v_cndmask_b32_e64 v4, 0, 1, vcc
	v_lshlrev_b32_e32 v4, 4, v4
	v_cmp_gt_u32_e32 vcc, 56, v3
	v_add_lshl_u32 v44, v4, v2, 2
	s_lshl_b32 s58, s34, 2
	v_cndmask_b32_e64 v4, 0, 1, vcc
	v_lshlrev_b32_e32 v4, 3, v4
	v_cmp_gt_u32_e32 vcc, 60, v3
	v_add_lshl_u32 v45, v4, v2, 2
	s_lshl_b32 s40, s34, 1
	v_cndmask_b32_e64 v4, 0, 1, vcc
	v_lshlrev_b32_e32 v4, 2, v4
	v_cmp_gt_u32_e32 vcc, 62, v3
	v_add_lshl_u32 v46, v4, v2, 2
	s_add_u32 s14, s38, s30
	v_cndmask_b32_e64 v4, 0, 1, vcc
	v_lshlrev_b32_e32 v4, 1, v4
	v_cmp_ne_u32_e32 vcc, 63, v3
	v_add_lshl_u32 v47, v4, v2, 2
	s_addc_u32 s15, s39, s31
	v_addc_co_u32_e32 v2, vcc, 0, v2, vcc
	v_lshlrev_b32_e32 v48, 2, v2
	v_add_u32_e32 v2, s23, v16
	v_ashrrev_i32_e32 v3, 31, v2
	v_lshl_add_u64 v[20:21], v[2:3], 3, s[36:37]
	v_add_u32_e32 v2, s23, v2
	v_ashrrev_i32_e32 v3, 31, v2
	s_mov_b32 s41, 0
	v_lshl_add_u64 v[22:23], v[2:3], 3, s[36:37]
	v_add_u32_e32 v2, s23, v2
	s_add_u32 s14, s28, s14
	v_ashrrev_i32_e32 v17, 31, v16
	v_ashrrev_i32_e32 v3, 31, v2
	s_mov_b32 s35, s41
	s_addc_u32 s15, s29, s15
	v_cmp_ge_i32_e64 s[6:7], s24, v41
	v_cmp_ge_i32_e64 s[8:9], s24, v42
	v_cmp_eq_u32_e64 s[10:11], 0, v1
	v_lshlrev_b32_e32 v49, 3, v1
	v_and_b32_e32 v50, 24, v13
	v_cmp_eq_u32_e64 s[12:13], 0, v0
	v_lshl_add_u64 v[18:19], v[16:17], 3, s[36:37]
	v_lshl_add_u64 v[24:25], v[2:3], 3, s[36:37]
	s_mul_i32 s59, s34, 3
	s_mov_b32 s60, s41
	v_lshl_add_u64 v[26:27], v[14:15], 3, s[14:15]
	v_mov_b32_e32 v28, 0
	s_mov_b32 s44, s41
	s_mov_b64 s[46:47], s[40:41]
	s_mov_b64 s[48:49], s[34:35]
	s_mov_b32 s35, 0
                                        ; implicit-def: $vgpr2_vgpr3_vgpr4_vgpr5_vgpr6_vgpr7_vgpr8_vgpr9
	s_branch .LBB92_9
.LBB92_8:                               ;   in Loop: Header=BB92_9 Depth=1
	s_or_b64 exec, exec, s[14:15]
	s_add_i32 s35, s35, 4
	s_add_u32 s48, s48, s58
	s_addc_u32 s49, s49, 0
	s_add_u32 s46, s46, s58
	s_addc_u32 s47, s47, 0
	;; [unrolled: 2-line block ×3, first 2 shown]
	s_add_i32 s44, s44, s58
	s_cmp_ge_i32 s35, s3
	s_cbranch_scc1 .LBB92_55
.LBB92_9:                               ; =>This Loop Header: Depth=1
                                        ;     Child Loop BB92_40 Depth 2
                                        ;     Child Loop BB92_43 Depth 2
                                        ; implicit-def: $vgpr30_vgpr31
                                        ; implicit-def: $vgpr32_vgpr33
                                        ; implicit-def: $vgpr34_vgpr35
                                        ; implicit-def: $vgpr36_vgpr37
	s_and_saveexec_b64 s[14:15], s[6:7]
	s_xor_b64 s[14:15], exec, s[14:15]
	s_cbranch_execnz .LBB92_36
; %bb.10:                               ;   in Loop: Header=BB92_9 Depth=1
	s_andn2_saveexec_b64 s[50:51], s[14:15]
	s_cbranch_execnz .LBB92_37
.LBB92_11:                              ;   in Loop: Header=BB92_9 Depth=1
	s_or_b64 exec, exec, s[50:51]
	s_and_saveexec_b64 s[14:15], s[0:1]
	s_cbranch_execz .LBB92_13
.LBB92_12:                              ;   in Loop: Header=BB92_9 Depth=1
	v_mov_b32_e32 v29, v28
	ds_write_b64 v49, v[28:29]
.LBB92_13:                              ;   in Loop: Header=BB92_9 Depth=1
	s_or_b64 exec, exec, s[14:15]
	ds_bpermute_b32 v38, v43, v36
	ds_bpermute_b32 v39, v43, v37
	s_waitcnt lgkmcnt(0)
	s_barrier
	v_add_f64 v[36:37], v[36:37], v[38:39]
	ds_bpermute_b32 v38, v44, v36
	ds_bpermute_b32 v39, v44, v37
	s_waitcnt lgkmcnt(0)
	v_add_f64 v[36:37], v[36:37], v[38:39]
	ds_bpermute_b32 v38, v45, v36
	ds_bpermute_b32 v39, v45, v37
	s_waitcnt lgkmcnt(0)
	;; [unrolled: 4-line block ×4, first 2 shown]
	v_add_f64 v[36:37], v[36:37], v[38:39]
	ds_bpermute_b32 v38, v48, v36
	ds_bpermute_b32 v39, v48, v37
	s_and_saveexec_b64 s[14:15], s[10:11]
	s_cbranch_execz .LBB92_15
; %bb.14:                               ;   in Loop: Header=BB92_9 Depth=1
	s_waitcnt lgkmcnt(0)
	v_add_f64 v[36:37], v[36:37], v[38:39]
	ds_write_b64 v50, v[36:37]
.LBB92_15:                              ;   in Loop: Header=BB92_9 Depth=1
	s_or_b64 exec, exec, s[14:15]
	v_mov_b64_e32 v[36:37], 0
	s_waitcnt lgkmcnt(0)
	s_barrier
	s_and_saveexec_b64 s[14:15], s[4:5]
	s_cbranch_execnz .LBB92_45
; %bb.16:                               ;   in Loop: Header=BB92_9 Depth=1
	s_or_b64 exec, exec, s[14:15]
	s_and_saveexec_b64 s[14:15], s[0:1]
	s_cbranch_execnz .LBB92_46
.LBB92_17:                              ;   in Loop: Header=BB92_9 Depth=1
	s_or_b64 exec, exec, s[14:15]
	s_and_saveexec_b64 s[14:15], s[0:1]
	s_cbranch_execz .LBB92_19
.LBB92_18:                              ;   in Loop: Header=BB92_9 Depth=1
	v_mov_b32_e32 v29, v28
	ds_write_b64 v49, v[28:29]
.LBB92_19:                              ;   in Loop: Header=BB92_9 Depth=1
	s_or_b64 exec, exec, s[14:15]
	ds_bpermute_b32 v38, v43, v34
	ds_bpermute_b32 v39, v43, v35
	s_waitcnt lgkmcnt(0)
	s_barrier
	v_add_f64 v[34:35], v[34:35], v[38:39]
	ds_bpermute_b32 v38, v44, v34
	ds_bpermute_b32 v39, v44, v35
	s_waitcnt lgkmcnt(0)
	v_add_f64 v[34:35], v[34:35], v[38:39]
	ds_bpermute_b32 v38, v45, v34
	ds_bpermute_b32 v39, v45, v35
	s_waitcnt lgkmcnt(0)
	v_add_f64 v[34:35], v[34:35], v[38:39]
	ds_bpermute_b32 v38, v46, v34
	ds_bpermute_b32 v39, v46, v35
	s_waitcnt lgkmcnt(0)
	v_add_f64 v[34:35], v[34:35], v[38:39]
	ds_bpermute_b32 v38, v47, v34
	ds_bpermute_b32 v39, v47, v35
	s_waitcnt lgkmcnt(0)
	v_add_f64 v[34:35], v[34:35], v[38:39]
	ds_bpermute_b32 v38, v48, v34
	ds_bpermute_b32 v39, v48, v35
	s_and_saveexec_b64 s[14:15], s[10:11]
	s_cbranch_execz .LBB92_21
; %bb.20:                               ;   in Loop: Header=BB92_9 Depth=1
	s_waitcnt lgkmcnt(0)
	v_add_f64 v[34:35], v[34:35], v[38:39]
	ds_write_b64 v50, v[34:35]
.LBB92_21:                              ;   in Loop: Header=BB92_9 Depth=1
	s_or_b64 exec, exec, s[14:15]
	v_mov_b64_e32 v[34:35], 0
	s_waitcnt lgkmcnt(0)
	s_barrier
	s_and_saveexec_b64 s[14:15], s[4:5]
	s_cbranch_execnz .LBB92_47
; %bb.22:                               ;   in Loop: Header=BB92_9 Depth=1
	s_or_b64 exec, exec, s[14:15]
	s_and_saveexec_b64 s[14:15], s[0:1]
	s_cbranch_execnz .LBB92_48
.LBB92_23:                              ;   in Loop: Header=BB92_9 Depth=1
	s_or_b64 exec, exec, s[14:15]
	s_and_saveexec_b64 s[14:15], s[0:1]
	s_cbranch_execz .LBB92_25
.LBB92_24:                              ;   in Loop: Header=BB92_9 Depth=1
	v_mov_b32_e32 v29, v28
	ds_write_b64 v49, v[28:29]
.LBB92_25:                              ;   in Loop: Header=BB92_9 Depth=1
	s_or_b64 exec, exec, s[14:15]
	ds_bpermute_b32 v38, v43, v32
	ds_bpermute_b32 v39, v43, v33
	s_waitcnt lgkmcnt(0)
	s_barrier
	v_add_f64 v[32:33], v[32:33], v[38:39]
	ds_bpermute_b32 v38, v44, v32
	ds_bpermute_b32 v39, v44, v33
	s_waitcnt lgkmcnt(0)
	v_add_f64 v[32:33], v[32:33], v[38:39]
	ds_bpermute_b32 v38, v45, v32
	ds_bpermute_b32 v39, v45, v33
	s_waitcnt lgkmcnt(0)
	;; [unrolled: 4-line block ×4, first 2 shown]
	v_add_f64 v[32:33], v[32:33], v[38:39]
	ds_bpermute_b32 v38, v48, v32
	ds_bpermute_b32 v39, v48, v33
	s_and_saveexec_b64 s[14:15], s[10:11]
	s_cbranch_execz .LBB92_27
; %bb.26:                               ;   in Loop: Header=BB92_9 Depth=1
	s_waitcnt lgkmcnt(0)
	v_add_f64 v[32:33], v[32:33], v[38:39]
	ds_write_b64 v50, v[32:33]
.LBB92_27:                              ;   in Loop: Header=BB92_9 Depth=1
	s_or_b64 exec, exec, s[14:15]
	v_mov_b64_e32 v[32:33], 0
	s_waitcnt lgkmcnt(0)
	s_barrier
	s_and_saveexec_b64 s[14:15], s[4:5]
	s_cbranch_execnz .LBB92_49
; %bb.28:                               ;   in Loop: Header=BB92_9 Depth=1
	s_or_b64 exec, exec, s[14:15]
	s_and_saveexec_b64 s[14:15], s[0:1]
	s_cbranch_execnz .LBB92_50
.LBB92_29:                              ;   in Loop: Header=BB92_9 Depth=1
	s_or_b64 exec, exec, s[14:15]
	s_and_saveexec_b64 s[14:15], s[0:1]
	s_cbranch_execz .LBB92_31
.LBB92_30:                              ;   in Loop: Header=BB92_9 Depth=1
	v_mov_b32_e32 v29, v28
	ds_write_b64 v49, v[28:29]
.LBB92_31:                              ;   in Loop: Header=BB92_9 Depth=1
	s_or_b64 exec, exec, s[14:15]
	ds_bpermute_b32 v38, v43, v30
	ds_bpermute_b32 v39, v43, v31
	s_waitcnt lgkmcnt(0)
	s_barrier
	v_add_f64 v[30:31], v[30:31], v[38:39]
	ds_bpermute_b32 v38, v44, v30
	ds_bpermute_b32 v39, v44, v31
	s_waitcnt lgkmcnt(0)
	v_add_f64 v[30:31], v[30:31], v[38:39]
	ds_bpermute_b32 v38, v45, v30
	ds_bpermute_b32 v39, v45, v31
	s_waitcnt lgkmcnt(0)
	;; [unrolled: 4-line block ×4, first 2 shown]
	v_add_f64 v[30:31], v[30:31], v[38:39]
	ds_bpermute_b32 v38, v48, v30
	ds_bpermute_b32 v39, v48, v31
	s_and_saveexec_b64 s[14:15], s[10:11]
	s_cbranch_execz .LBB92_33
; %bb.32:                               ;   in Loop: Header=BB92_9 Depth=1
	s_waitcnt lgkmcnt(0)
	v_add_f64 v[30:31], v[30:31], v[38:39]
	ds_write_b64 v50, v[30:31]
.LBB92_33:                              ;   in Loop: Header=BB92_9 Depth=1
	s_or_b64 exec, exec, s[14:15]
	v_mov_b64_e32 v[30:31], 0
	s_waitcnt lgkmcnt(0)
	s_barrier
	s_and_saveexec_b64 s[14:15], s[4:5]
	s_cbranch_execnz .LBB92_51
; %bb.34:                               ;   in Loop: Header=BB92_9 Depth=1
	s_or_b64 exec, exec, s[14:15]
	s_and_saveexec_b64 s[14:15], s[0:1]
	s_cbranch_execnz .LBB92_52
.LBB92_35:                              ;   in Loop: Header=BB92_9 Depth=1
	s_or_b64 exec, exec, s[14:15]
	s_and_saveexec_b64 s[14:15], s[12:13]
	s_cbranch_execz .LBB92_8
	s_branch .LBB92_53
.LBB92_36:                              ;   in Loop: Header=BB92_9 Depth=1
	s_mul_i32 s16, s35, s34
	s_ashr_i32 s17, s16, 31
	v_lshl_add_u64 v[8:9], s[16:17], 3, v[10:11]
	s_add_i32 s16, s16, s34
	s_ashr_i32 s17, s16, 31
	v_lshl_add_u64 v[34:35], s[16:17], 3, v[10:11]
	s_add_i32 s16, s16, s34
	s_ashr_i32 s17, s16, 31
	global_load_dwordx2 v[2:3], v[18:19], off
	global_load_dwordx2 v[4:5], v[20:21], off
	;; [unrolled: 1-line block ×3, first 2 shown]
	global_load_dwordx4 v[52:55], v[8:9], off offset:16
	s_waitcnt lgkmcnt(0)
	global_load_dwordx4 v[30:33], v[8:9], off
	v_lshl_add_u64 v[36:37], s[16:17], 3, v[10:11]
	s_add_i32 s16, s16, s34
	global_load_dwordx4 v[56:59], v[34:35], off
	global_load_dwordx4 v[60:63], v[36:37], off
	s_ashr_i32 s17, s16, 31
	v_lshl_add_u64 v[38:39], s[16:17], 3, v[10:11]
	global_load_dwordx4 v[64:67], v[38:39], off
	global_load_dwordx4 v[68:71], v[34:35], off offset:16
	global_load_dwordx2 v[8:9], v[24:25], off
	global_load_dwordx4 v[72:75], v[36:37], off offset:16
	global_load_dwordx4 v[76:79], v[38:39], off offset:16
	s_waitcnt vmcnt(7)
	v_fma_f64 v[36:37], v[2:3], v[30:31], 0
	v_fmac_f64_e32 v[36:37], v[4:5], v[32:33]
	v_fmac_f64_e32 v[36:37], v[6:7], v[52:53]
	s_waitcnt vmcnt(6)
	v_fma_f64 v[34:35], v[2:3], v[56:57], 0
	s_waitcnt vmcnt(5)
	v_fma_f64 v[32:33], v[2:3], v[60:61], 0
	;; [unrolled: 2-line block ×3, first 2 shown]
	v_fmac_f64_e32 v[34:35], v[4:5], v[58:59]
	v_fmac_f64_e32 v[32:33], v[4:5], v[62:63]
	;; [unrolled: 1-line block ×3, first 2 shown]
	s_waitcnt vmcnt(3)
	v_fmac_f64_e32 v[34:35], v[6:7], v[68:69]
	s_waitcnt vmcnt(1)
	v_fmac_f64_e32 v[32:33], v[6:7], v[72:73]
	s_waitcnt vmcnt(0)
	v_fmac_f64_e32 v[30:31], v[6:7], v[76:77]
	v_fmac_f64_e32 v[36:37], v[8:9], v[54:55]
	v_fmac_f64_e32 v[34:35], v[8:9], v[70:71]
	v_fmac_f64_e32 v[32:33], v[8:9], v[74:75]
	v_fmac_f64_e32 v[30:31], v[8:9], v[78:79]
	s_andn2_saveexec_b64 s[50:51], s[14:15]
	s_cbranch_execz .LBB92_11
.LBB92_37:                              ;   in Loop: Header=BB92_9 Depth=1
	s_waitcnt lgkmcnt(0)
	v_mov_b64_e32 v[30:31], 0
	v_mov_b64_e32 v[32:33], v[30:31]
	;; [unrolled: 1-line block ×4, first 2 shown]
	s_and_saveexec_b64 s[52:53], s[8:9]
	s_cbranch_execz .LBB92_44
; %bb.38:                               ;   in Loop: Header=BB92_9 Depth=1
	v_cndmask_b32_e64 v17, 0, 1, s[42:43]
	v_cmp_ne_u32_e64 s[14:15], 1, v17
	s_andn2_b64 vcc, exec, s[42:43]
	s_cbranch_vccnz .LBB92_41
; %bb.39:                               ;   in Loop: Header=BB92_9 Depth=1
	s_mov_b64 s[54:55], 0
	v_mov_b32_e32 v30, v16
.LBB92_40:                              ;   Parent Loop BB92_9 Depth=1
                                        ; =>  This Inner Loop Header: Depth=2
	v_ashrrev_i32_e32 v31, 31, v30
	v_lshl_add_u64 v[32:33], v[30:31], 3, s[36:37]
	global_load_dwordx2 v[32:33], v[32:33], off
	s_cmp_eq_u32 s54, 3
	s_cselect_b64 vcc, -1, 0
	s_cmp_eq_u32 s54, 2
	s_cselect_b64 s[16:17], -1, 0
	s_cmp_eq_u32 s54, 1
	s_cselect_b64 s[18:19], -1, 0
	;; [unrolled: 2-line block ×3, first 2 shown]
	s_add_u32 s54, s54, 1
	s_addc_u32 s55, s55, 0
	v_add_u32_e32 v30, s23, v30
	s_cmp_eq_u32 s33, s54
	s_waitcnt vmcnt(0)
	v_cndmask_b32_e32 v9, v9, v33, vcc
	v_cndmask_b32_e32 v8, v8, v32, vcc
	v_cndmask_b32_e64 v7, v7, v33, s[16:17]
	v_cndmask_b32_e64 v6, v6, v32, s[16:17]
	v_cndmask_b32_e64 v5, v5, v33, s[18:19]
	v_cndmask_b32_e64 v4, v4, v32, s[18:19]
	v_cndmask_b32_e64 v3, v3, v33, s[20:21]
	v_cndmask_b32_e64 v2, v2, v32, s[20:21]
	s_cbranch_scc0 .LBB92_40
.LBB92_41:                              ;   in Loop: Header=BB92_9 Depth=1
	v_mov_b64_e32 v[30:31], 0
	s_and_b64 vcc, exec, s[14:15]
	v_mov_b64_e32 v[32:33], v[30:31]
	v_mov_b64_e32 v[34:35], v[30:31]
	;; [unrolled: 1-line block ×3, first 2 shown]
	s_cbranch_vccnz .LBB92_44
; %bb.42:                               ;   in Loop: Header=BB92_9 Depth=1
	s_ashr_i32 s45, s44, 31
	v_mov_b64_e32 v[36:37], 0
	v_lshl_add_u64 v[38:39], s[44:45], 3, v[26:27]
	s_mov_b64 s[18:19], 0
	v_mov_b64_e32 v[34:35], v[36:37]
	v_mov_b64_e32 v[32:33], v[36:37]
	;; [unrolled: 1-line block ×3, first 2 shown]
.LBB92_43:                              ;   Parent Loop BB92_9 Depth=1
                                        ; =>  This Inner Loop Header: Depth=2
	s_cmp_eq_u32 s18, 1
	s_cselect_b64 vcc, -1, 0
	s_cmp_eq_u32 s18, 2
	s_cselect_b64 s[14:15], -1, 0
	s_cmp_eq_u32 s18, 3
	s_cselect_b64 s[16:17], -1, 0
	s_add_i32 s20, s48, s18
	s_add_i32 s54, s46, s18
	;; [unrolled: 1-line block ×3, first 2 shown]
	s_ashr_i32 s21, s20, 31
	s_ashr_i32 s55, s54, 31
	;; [unrolled: 1-line block ×3, first 2 shown]
	v_lshl_add_u64 v[54:55], s[20:21], 3, v[10:11]
	v_lshl_add_u64 v[56:57], s[54:55], 3, v[10:11]
	;; [unrolled: 1-line block ×3, first 2 shown]
	global_load_dwordx2 v[52:53], v[38:39], off
	s_nop 0
	global_load_dwordx2 v[54:55], v[54:55], off
	s_nop 0
	;; [unrolled: 2-line block ×3, first 2 shown]
	global_load_dwordx2 v[58:59], v[58:59], off
	v_cndmask_b32_e32 v17, v3, v5, vcc
	v_cndmask_b32_e64 v17, v17, v7, s[14:15]
	v_cndmask_b32_e32 v29, v2, v4, vcc
	v_cndmask_b32_e64 v61, v17, v9, s[16:17]
	v_cndmask_b32_e64 v17, v29, v6, s[14:15]
	s_add_u32 s18, s18, 1
	v_cndmask_b32_e64 v60, v17, v8, s[16:17]
	s_addc_u32 s19, s19, 0
	v_lshl_add_u64 v[38:39], v[38:39], 0, 8
	s_cmp_lg_u32 s33, s18
	s_waitcnt vmcnt(2)
	v_fmac_f64_e32 v[34:35], v[60:61], v[54:55]
	v_fmac_f64_e32 v[36:37], v[60:61], v[52:53]
	s_waitcnt vmcnt(1)
	v_fmac_f64_e32 v[32:33], v[60:61], v[56:57]
	s_waitcnt vmcnt(0)
	v_fmac_f64_e32 v[30:31], v[60:61], v[58:59]
	s_cbranch_scc1 .LBB92_43
.LBB92_44:                              ;   in Loop: Header=BB92_9 Depth=1
	s_or_b64 exec, exec, s[52:53]
	s_or_b64 exec, exec, s[50:51]
	s_and_saveexec_b64 s[14:15], s[0:1]
	s_cbranch_execnz .LBB92_12
	s_branch .LBB92_13
.LBB92_45:                              ;   in Loop: Header=BB92_9 Depth=1
	ds_read_b64 v[36:37], v49
	s_or_b64 exec, exec, s[14:15]
	s_and_saveexec_b64 s[14:15], s[0:1]
	s_cbranch_execz .LBB92_17
.LBB92_46:                              ;   in Loop: Header=BB92_9 Depth=1
	s_waitcnt lgkmcnt(0)
	ds_bpermute_b32 v38, v47, v36
	ds_bpermute_b32 v39, v47, v37
	s_waitcnt lgkmcnt(0)
	v_add_f64 v[36:37], v[36:37], v[38:39]
	ds_bpermute_b32 v38, v48, v36
	ds_bpermute_b32 v39, v48, v37
	s_waitcnt lgkmcnt(0)
	v_add_f64 v[36:37], v[36:37], v[38:39]
	s_or_b64 exec, exec, s[14:15]
	s_and_saveexec_b64 s[14:15], s[0:1]
	s_cbranch_execnz .LBB92_18
	s_branch .LBB92_19
.LBB92_47:                              ;   in Loop: Header=BB92_9 Depth=1
	ds_read_b64 v[34:35], v49
	s_or_b64 exec, exec, s[14:15]
	s_and_saveexec_b64 s[14:15], s[0:1]
	s_cbranch_execz .LBB92_23
.LBB92_48:                              ;   in Loop: Header=BB92_9 Depth=1
	s_waitcnt lgkmcnt(0)
	ds_bpermute_b32 v38, v47, v34
	ds_bpermute_b32 v39, v47, v35
	s_waitcnt lgkmcnt(0)
	v_add_f64 v[34:35], v[34:35], v[38:39]
	ds_bpermute_b32 v38, v48, v34
	ds_bpermute_b32 v39, v48, v35
	s_waitcnt lgkmcnt(0)
	v_add_f64 v[34:35], v[34:35], v[38:39]
	s_or_b64 exec, exec, s[14:15]
	s_and_saveexec_b64 s[14:15], s[0:1]
	s_cbranch_execnz .LBB92_24
	s_branch .LBB92_25
.LBB92_49:                              ;   in Loop: Header=BB92_9 Depth=1
	ds_read_b64 v[32:33], v49
	s_or_b64 exec, exec, s[14:15]
	s_and_saveexec_b64 s[14:15], s[0:1]
	s_cbranch_execz .LBB92_29
.LBB92_50:                              ;   in Loop: Header=BB92_9 Depth=1
	s_waitcnt lgkmcnt(0)
	ds_bpermute_b32 v38, v47, v32
	ds_bpermute_b32 v39, v47, v33
	s_waitcnt lgkmcnt(0)
	v_add_f64 v[32:33], v[32:33], v[38:39]
	ds_bpermute_b32 v38, v48, v32
	ds_bpermute_b32 v39, v48, v33
	s_waitcnt lgkmcnt(0)
	v_add_f64 v[32:33], v[32:33], v[38:39]
	s_or_b64 exec, exec, s[14:15]
	s_and_saveexec_b64 s[14:15], s[0:1]
	s_cbranch_execnz .LBB92_30
	s_branch .LBB92_31
.LBB92_51:                              ;   in Loop: Header=BB92_9 Depth=1
	ds_read_b64 v[30:31], v49
	s_or_b64 exec, exec, s[14:15]
	s_and_saveexec_b64 s[14:15], s[0:1]
	s_cbranch_execz .LBB92_35
.LBB92_52:                              ;   in Loop: Header=BB92_9 Depth=1
	s_waitcnt lgkmcnt(0)
	ds_bpermute_b32 v38, v47, v30
	ds_bpermute_b32 v39, v47, v31
	s_waitcnt lgkmcnt(0)
	v_add_f64 v[30:31], v[30:31], v[38:39]
	ds_bpermute_b32 v38, v48, v30
	ds_bpermute_b32 v39, v48, v31
	s_waitcnt lgkmcnt(0)
	v_add_f64 v[30:31], v[30:31], v[38:39]
	s_or_b64 exec, exec, s[14:15]
	s_and_saveexec_b64 s[14:15], s[12:13]
	s_cbranch_execz .LBB92_8
.LBB92_53:                              ;   in Loop: Header=BB92_9 Depth=1
	s_mul_i32 s16, s35, s22
	s_add_i32 s40, s16, s2
	s_lshl_b64 s[16:17], s[40:41], 3
	s_add_u32 s16, s56, s16
	v_mul_f64 v[36:37], v[36:37], s[26:27]
	s_addc_u32 s17, s57, s17
	s_add_i32 s40, s40, s22
	global_store_dwordx2 v28, v[36:37], s[16:17]
	s_lshl_b64 s[16:17], s[40:41], 3
	s_add_u32 s16, s56, s16
	v_mul_f64 v[34:35], v[34:35], s[26:27]
	s_addc_u32 s17, s57, s17
	s_add_i32 s40, s40, s22
	global_store_dwordx2 v28, v[34:35], s[16:17]
	;; [unrolled: 6-line block ×3, first 2 shown]
	s_lshl_b64 s[16:17], s[40:41], 3
	s_add_u32 s16, s56, s16
	s_waitcnt lgkmcnt(0)
	v_mul_f64 v[30:31], v[30:31], s[26:27]
	s_addc_u32 s17, s57, s17
	global_store_dwordx2 v28, v[30:31], s[16:17]
	s_branch .LBB92_8
.LBB92_54:
	s_mov_b32 s35, 0
                                        ; implicit-def: $vgpr2_vgpr3_vgpr4_vgpr5_vgpr6_vgpr7_vgpr8_vgpr9
.LBB92_55:
	s_cmp_ge_i32 s35, s25
	s_cbranch_scc1 .LBB92_79
; %bb.56:
	v_mbcnt_hi_u32_b32 v16, -1, v40
	v_and_b32_e32 v17, 63, v16
	v_cmp_gt_u32_e32 vcc, 32, v17
	s_mov_b32 s3, 0
	s_cmp_gt_i32 s33, 0
	v_cndmask_b32_e64 v18, 0, 1, vcc
	v_lshlrev_b32_e32 v18, 5, v18
	v_cmp_gt_u32_e32 vcc, 48, v17
	v_add_lshl_u32 v29, v18, v16, 2
	s_cselect_b64 s[40:41], -1, 0
	v_cndmask_b32_e64 v18, 0, 1, vcc
	v_lshlrev_b32_e32 v18, 4, v18
	v_cmp_gt_u32_e32 vcc, 56, v17
	s_waitcnt lgkmcnt(0)
	v_add_lshl_u32 v30, v18, v16, 2
	s_lshl_b64 s[14:15], s[2:3], 3
	v_cndmask_b32_e64 v18, 0, 1, vcc
	v_lshlrev_b32_e32 v18, 3, v18
	v_cmp_gt_u32_e32 vcc, 60, v17
	v_add_lshl_u32 v31, v18, v16, 2
	s_add_u32 s2, s56, s14
	v_cndmask_b32_e64 v18, 0, 1, vcc
	v_lshlrev_b32_e32 v18, 2, v18
	v_cmp_gt_u32_e32 vcc, 62, v17
	v_add_lshl_u32 v32, v18, v16, 2
	v_cmp_ge_i32_e64 s[0:1], s24, v41
	v_cndmask_b32_e64 v18, 0, 1, vcc
	v_lshlrev_b32_e32 v18, 1, v18
	v_cmp_ge_i32_e64 s[4:5], s24, v42
	v_add_lshl_u32 v33, v18, v16, 2
	s_addc_u32 s24, s57, s15
	v_add_u32_e32 v18, s23, v12
	v_cmp_ne_u32_e32 vcc, 63, v17
	v_add_u32_e32 v20, s23, v18
	s_add_u32 s14, s38, s30
	v_addc_co_u32_e32 v16, vcc, 0, v16, vcc
	v_ashrrev_i32_e32 v19, 31, v18
	v_ashrrev_i32_e32 v21, 31, v20
	s_addc_u32 s15, s39, s31
	v_lshlrev_b32_e32 v34, 2, v16
	v_lshl_add_u64 v[16:17], v[18:19], 3, s[36:37]
	v_lshl_add_u64 v[18:19], v[20:21], 3, s[36:37]
	v_add_u32_e32 v20, s23, v20
	s_add_u32 s14, s28, s14
	v_and_b32_e32 v35, 24, v13
	v_ashrrev_i32_e32 v13, 31, v12
	v_ashrrev_i32_e32 v21, 31, v20
	s_addc_u32 s15, s29, s15
	v_cmp_gt_u32_e64 s[6:7], 64, v0
	v_lshlrev_b32_e32 v28, 3, v1
	v_cmp_eq_u32_e64 s[8:9], 0, v1
	v_cmp_gt_u32_e64 s[10:11], 4, v0
	v_cmp_eq_u32_e64 s[12:13], 0, v0
	v_lshl_add_u64 v[0:1], v[12:13], 3, s[36:37]
	v_lshl_add_u64 v[20:21], v[20:21], 3, s[36:37]
	v_lshl_add_u64 v[14:15], v[14:15], 3, s[14:15]
	s_mul_i32 s28, s35, s34
	v_mov_b32_e32 v22, 0
	s_branch .LBB92_58
.LBB92_57:                              ;   in Loop: Header=BB92_58 Depth=1
	s_or_b64 exec, exec, s[14:15]
	s_add_i32 s35, s35, 1
	s_add_i32 s28, s28, s34
	s_cmp_ge_i32 s35, s25
	s_cbranch_scc1 .LBB92_79
.LBB92_58:                              ; =>This Loop Header: Depth=1
                                        ;     Child Loop BB92_71 Depth 2
                                        ;     Child Loop BB92_74 Depth 2
	s_waitcnt lgkmcnt(0)
	v_mov_b32_e32 v24, s3
	v_mov_b32_e32 v25, s3
	s_and_saveexec_b64 s[14:15], s[0:1]
	s_xor_b64 s[14:15], exec, s[14:15]
	s_cbranch_execnz .LBB92_67
; %bb.59:                               ;   in Loop: Header=BB92_58 Depth=1
	s_andn2_saveexec_b64 s[30:31], s[14:15]
	s_cbranch_execnz .LBB92_68
.LBB92_60:                              ;   in Loop: Header=BB92_58 Depth=1
	s_or_b64 exec, exec, s[30:31]
	s_and_saveexec_b64 s[14:15], s[6:7]
	s_cbranch_execz .LBB92_62
.LBB92_61:                              ;   in Loop: Header=BB92_58 Depth=1
	v_mov_b32_e32 v23, v22
	ds_write_b64 v28, v[22:23]
.LBB92_62:                              ;   in Loop: Header=BB92_58 Depth=1
	s_or_b64 exec, exec, s[14:15]
	ds_bpermute_b32 v26, v29, v24
	ds_bpermute_b32 v27, v29, v25
	s_waitcnt lgkmcnt(0)
	s_barrier
	v_add_f64 v[24:25], v[24:25], v[26:27]
	ds_bpermute_b32 v26, v30, v24
	ds_bpermute_b32 v27, v30, v25
	s_waitcnt lgkmcnt(0)
	v_add_f64 v[24:25], v[24:25], v[26:27]
	ds_bpermute_b32 v26, v31, v24
	ds_bpermute_b32 v27, v31, v25
	s_waitcnt lgkmcnt(0)
	;; [unrolled: 4-line block ×4, first 2 shown]
	v_add_f64 v[24:25], v[24:25], v[26:27]
	ds_bpermute_b32 v26, v34, v24
	ds_bpermute_b32 v27, v34, v25
	s_and_saveexec_b64 s[14:15], s[8:9]
	s_cbranch_execz .LBB92_64
; %bb.63:                               ;   in Loop: Header=BB92_58 Depth=1
	s_waitcnt lgkmcnt(0)
	v_add_f64 v[24:25], v[24:25], v[26:27]
	ds_write_b64 v35, v[24:25]
.LBB92_64:                              ;   in Loop: Header=BB92_58 Depth=1
	s_or_b64 exec, exec, s[14:15]
	v_mov_b64_e32 v[24:25], 0
	s_waitcnt lgkmcnt(0)
	s_barrier
	s_and_saveexec_b64 s[14:15], s[10:11]
	s_cbranch_execnz .LBB92_76
; %bb.65:                               ;   in Loop: Header=BB92_58 Depth=1
	s_or_b64 exec, exec, s[14:15]
	s_and_saveexec_b64 s[14:15], s[6:7]
	s_cbranch_execnz .LBB92_77
.LBB92_66:                              ;   in Loop: Header=BB92_58 Depth=1
	s_or_b64 exec, exec, s[14:15]
	s_and_saveexec_b64 s[14:15], s[12:13]
	s_cbranch_execz .LBB92_57
	s_branch .LBB92_78
.LBB92_67:                              ;   in Loop: Header=BB92_58 Depth=1
	s_mul_i32 s16, s35, s34
	s_ashr_i32 s17, s16, 31
	v_lshl_add_u64 v[40:41], s[16:17], 3, v[10:11]
	global_load_dwordx4 v[36:39], v[40:41], off offset:16
	global_load_dwordx4 v[24:27], v[40:41], off
	global_load_dwordx2 v[2:3], v[0:1], off
	global_load_dwordx2 v[4:5], v[16:17], off
	;; [unrolled: 1-line block ×4, first 2 shown]
	s_waitcnt vmcnt(3)
	v_fma_f64 v[24:25], v[2:3], v[24:25], 0
	s_waitcnt vmcnt(2)
	v_fmac_f64_e32 v[24:25], v[4:5], v[26:27]
	s_waitcnt vmcnt(1)
	v_fmac_f64_e32 v[24:25], v[6:7], v[36:37]
	;; [unrolled: 2-line block ×3, first 2 shown]
	s_andn2_saveexec_b64 s[30:31], s[14:15]
	s_cbranch_execz .LBB92_60
.LBB92_68:                              ;   in Loop: Header=BB92_58 Depth=1
	s_and_saveexec_b64 s[38:39], s[4:5]
	s_cbranch_execz .LBB92_75
; %bb.69:                               ;   in Loop: Header=BB92_58 Depth=1
	v_cndmask_b32_e64 v13, 0, 1, s[40:41]
	v_cmp_ne_u32_e64 s[14:15], 1, v13
	s_andn2_b64 vcc, exec, s[40:41]
	s_cbranch_vccnz .LBB92_72
; %bb.70:                               ;   in Loop: Header=BB92_58 Depth=1
	s_mov_b64 s[42:43], 0
	v_mov_b32_e32 v26, v12
.LBB92_71:                              ;   Parent Loop BB92_58 Depth=1
                                        ; =>  This Inner Loop Header: Depth=2
	v_ashrrev_i32_e32 v27, 31, v26
	v_lshl_add_u64 v[36:37], v[26:27], 3, s[36:37]
	global_load_dwordx2 v[36:37], v[36:37], off
	s_cmp_eq_u32 s42, 3
	s_cselect_b64 vcc, -1, 0
	s_cmp_eq_u32 s42, 2
	s_cselect_b64 s[16:17], -1, 0
	s_cmp_eq_u32 s42, 1
	s_cselect_b64 s[18:19], -1, 0
	;; [unrolled: 2-line block ×3, first 2 shown]
	s_add_u32 s42, s42, 1
	s_addc_u32 s43, s43, 0
	v_add_u32_e32 v26, s23, v26
	s_cmp_eq_u32 s33, s42
	s_waitcnt vmcnt(0)
	v_cndmask_b32_e32 v9, v9, v37, vcc
	v_cndmask_b32_e32 v8, v8, v36, vcc
	v_cndmask_b32_e64 v7, v7, v37, s[16:17]
	v_cndmask_b32_e64 v6, v6, v36, s[16:17]
	;; [unrolled: 1-line block ×6, first 2 shown]
	s_cbranch_scc0 .LBB92_71
.LBB92_72:                              ;   in Loop: Header=BB92_58 Depth=1
	s_and_b64 vcc, exec, s[14:15]
	s_cbranch_vccnz .LBB92_75
; %bb.73:                               ;   in Loop: Header=BB92_58 Depth=1
	s_ashr_i32 s29, s28, 31
	v_lshl_add_u64 v[26:27], s[28:29], 3, v[14:15]
	s_mov_b64 s[16:17], 0
.LBB92_74:                              ;   Parent Loop BB92_58 Depth=1
                                        ; =>  This Inner Loop Header: Depth=2
	global_load_dwordx2 v[36:37], v[26:27], off
	s_cmp_eq_u32 s16, 1
	s_cselect_b64 vcc, -1, 0
	s_cmp_eq_u32 s16, 2
	v_cndmask_b32_e32 v13, v3, v5, vcc
	s_cselect_b64 s[14:15], -1, 0
	s_cmp_eq_u32 s16, 3
	v_cndmask_b32_e64 v13, v13, v7, s[14:15]
	v_cndmask_b32_e32 v23, v2, v4, vcc
	s_cselect_b64 vcc, -1, 0
	v_cndmask_b32_e32 v39, v13, v9, vcc
	v_cndmask_b32_e64 v13, v23, v6, s[14:15]
	s_add_u32 s16, s16, 1
	v_cndmask_b32_e32 v38, v13, v8, vcc
	s_addc_u32 s17, s17, 0
	v_lshl_add_u64 v[26:27], v[26:27], 0, 8
	s_cmp_lg_u32 s33, s16
	s_waitcnt vmcnt(0)
	v_fmac_f64_e32 v[24:25], v[38:39], v[36:37]
	s_cbranch_scc1 .LBB92_74
.LBB92_75:                              ;   in Loop: Header=BB92_58 Depth=1
	s_or_b64 exec, exec, s[38:39]
	s_or_b64 exec, exec, s[30:31]
	s_and_saveexec_b64 s[14:15], s[6:7]
	s_cbranch_execnz .LBB92_61
	s_branch .LBB92_62
.LBB92_76:                              ;   in Loop: Header=BB92_58 Depth=1
	ds_read_b64 v[24:25], v28
	s_or_b64 exec, exec, s[14:15]
	s_and_saveexec_b64 s[14:15], s[6:7]
	s_cbranch_execz .LBB92_66
.LBB92_77:                              ;   in Loop: Header=BB92_58 Depth=1
	s_waitcnt lgkmcnt(0)
	ds_bpermute_b32 v26, v33, v24
	ds_bpermute_b32 v27, v33, v25
	s_waitcnt lgkmcnt(0)
	v_add_f64 v[24:25], v[24:25], v[26:27]
	ds_bpermute_b32 v26, v34, v24
	ds_bpermute_b32 v27, v34, v25
	s_waitcnt lgkmcnt(0)
	v_add_f64 v[24:25], v[24:25], v[26:27]
	s_or_b64 exec, exec, s[14:15]
	s_and_saveexec_b64 s[14:15], s[12:13]
	s_cbranch_execz .LBB92_57
.LBB92_78:                              ;   in Loop: Header=BB92_58 Depth=1
	s_mul_hi_u32 s17, s35, s22
	s_mul_i32 s16, s35, s22
	s_lshl_b64 s[16:17], s[16:17], 3
	s_add_u32 s16, s2, s16
	s_waitcnt lgkmcnt(0)
	v_mul_f64 v[24:25], v[24:25], s[26:27]
	s_addc_u32 s17, s24, s17
	global_store_dwordx2 v22, v[24:25], s[16:17]
	s_branch .LBB92_57
.LBB92_79:
	s_endpgm
	.section	.rodata,"a",@progbits
	.p2align	6, 0x0
	.amdhsa_kernel _ZL23rocblas_gemvt_sn_kernelILb1ELi256ELi4EidddEviiT4_lPKT3_lilS3_lilPT5_i
		.amdhsa_group_segment_fixed_size 512
		.amdhsa_private_segment_fixed_size 0
		.amdhsa_kernarg_size 360
		.amdhsa_user_sgpr_count 2
		.amdhsa_user_sgpr_dispatch_ptr 0
		.amdhsa_user_sgpr_queue_ptr 0
		.amdhsa_user_sgpr_kernarg_segment_ptr 1
		.amdhsa_user_sgpr_dispatch_id 0
		.amdhsa_user_sgpr_kernarg_preload_length 0
		.amdhsa_user_sgpr_kernarg_preload_offset 0
		.amdhsa_user_sgpr_private_segment_size 0
		.amdhsa_uses_dynamic_stack 0
		.amdhsa_enable_private_segment 0
		.amdhsa_system_sgpr_workgroup_id_x 1
		.amdhsa_system_sgpr_workgroup_id_y 0
		.amdhsa_system_sgpr_workgroup_id_z 1
		.amdhsa_system_sgpr_workgroup_info 0
		.amdhsa_system_vgpr_workitem_id 0
		.amdhsa_next_free_vgpr 80
		.amdhsa_next_free_sgpr 64
		.amdhsa_accum_offset 80
		.amdhsa_reserve_vcc 1
		.amdhsa_float_round_mode_32 0
		.amdhsa_float_round_mode_16_64 0
		.amdhsa_float_denorm_mode_32 3
		.amdhsa_float_denorm_mode_16_64 3
		.amdhsa_dx10_clamp 1
		.amdhsa_ieee_mode 1
		.amdhsa_fp16_overflow 0
		.amdhsa_tg_split 0
		.amdhsa_exception_fp_ieee_invalid_op 0
		.amdhsa_exception_fp_denorm_src 0
		.amdhsa_exception_fp_ieee_div_zero 0
		.amdhsa_exception_fp_ieee_overflow 0
		.amdhsa_exception_fp_ieee_underflow 0
		.amdhsa_exception_fp_ieee_inexact 0
		.amdhsa_exception_int_div_zero 0
	.end_amdhsa_kernel
	.section	.text._ZL23rocblas_gemvt_sn_kernelILb1ELi256ELi4EidddEviiT4_lPKT3_lilS3_lilPT5_i,"axG",@progbits,_ZL23rocblas_gemvt_sn_kernelILb1ELi256ELi4EidddEviiT4_lPKT3_lilS3_lilPT5_i,comdat
.Lfunc_end92:
	.size	_ZL23rocblas_gemvt_sn_kernelILb1ELi256ELi4EidddEviiT4_lPKT3_lilS3_lilPT5_i, .Lfunc_end92-_ZL23rocblas_gemvt_sn_kernelILb1ELi256ELi4EidddEviiT4_lPKT3_lilS3_lilPT5_i
                                        ; -- End function
	.section	.AMDGPU.csdata,"",@progbits
; Kernel info:
; codeLenInByte = 4352
; NumSgprs: 70
; NumVgprs: 80
; NumAgprs: 0
; TotalNumVgprs: 80
; ScratchSize: 0
; MemoryBound: 1
; FloatMode: 240
; IeeeMode: 1
; LDSByteSize: 512 bytes/workgroup (compile time only)
; SGPRBlocks: 8
; VGPRBlocks: 9
; NumSGPRsForWavesPerEU: 70
; NumVGPRsForWavesPerEU: 80
; AccumOffset: 80
; Occupancy: 6
; WaveLimiterHint : 1
; COMPUTE_PGM_RSRC2:SCRATCH_EN: 0
; COMPUTE_PGM_RSRC2:USER_SGPR: 2
; COMPUTE_PGM_RSRC2:TRAP_HANDLER: 0
; COMPUTE_PGM_RSRC2:TGID_X_EN: 1
; COMPUTE_PGM_RSRC2:TGID_Y_EN: 0
; COMPUTE_PGM_RSRC2:TGID_Z_EN: 1
; COMPUTE_PGM_RSRC2:TIDIG_COMP_CNT: 0
; COMPUTE_PGM_RSRC3_GFX90A:ACCUM_OFFSET: 19
; COMPUTE_PGM_RSRC3_GFX90A:TG_SPLIT: 0
	.section	.text._ZL23rocblas_gemvt_sn_kernelILb1ELi256ELi4EldddEviiT4_lPKT3_lilS3_lilPT5_i,"axG",@progbits,_ZL23rocblas_gemvt_sn_kernelILb1ELi256ELi4EldddEviiT4_lPKT3_lilS3_lilPT5_i,comdat
	.globl	_ZL23rocblas_gemvt_sn_kernelILb1ELi256ELi4EldddEviiT4_lPKT3_lilS3_lilPT5_i ; -- Begin function _ZL23rocblas_gemvt_sn_kernelILb1ELi256ELi4EldddEviiT4_lPKT3_lilS3_lilPT5_i
	.p2align	8
	.type	_ZL23rocblas_gemvt_sn_kernelILb1ELi256ELi4EldddEviiT4_lPKT3_lilS3_lilPT5_i,@function
_ZL23rocblas_gemvt_sn_kernelILb1ELi256ELi4EldddEviiT4_lPKT3_lilS3_lilPT5_i: ; @_ZL23rocblas_gemvt_sn_kernelILb1ELi256ELi4EldddEviiT4_lPKT3_lilS3_lilPT5_i
; %bb.0:
	s_load_dwordx4 s[24:27], s[0:1], 0x0
	s_load_dwordx4 s[8:11], s[0:1], 0x50
	s_load_dword s34, s[0:1], 0x68
	s_mov_b32 s35, 0
	s_waitcnt lgkmcnt(0)
	s_ashr_i32 s12, s25, 31
	s_mul_hi_u32 s4, s25, s3
	s_mul_i32 s5, s12, s3
	s_add_i32 s4, s4, s5
	s_mul_i32 s6, s25, s3
	s_mul_i32 s4, s4, s34
	s_mul_hi_u32 s5, s6, s34
	s_add_i32 s5, s5, s4
	s_mul_i32 s4, s6, s34
	s_lshl_b64 s[4:5], s[4:5], 3
	s_add_u32 s66, s10, s4
	s_addc_u32 s67, s11, s5
	v_cmp_neq_f64_e64 s[4:5], s[26:27], 0
	s_and_b64 vcc, exec, s[4:5]
	v_cmp_eq_u32_e64 s[4:5], 0, v0
	s_cbranch_vccnz .LBB93_5
; %bb.1:
	s_cmp_gt_i32 s25, 0
	s_cselect_b64 s[6:7], -1, 0
	s_and_b64 s[6:7], s[4:5], s[6:7]
	s_and_saveexec_b64 s[4:5], s[6:7]
	s_cbranch_execz .LBB93_4
; %bb.2:
	s_mov_b32 s6, s3
	s_mov_b32 s3, 0
	s_lshl_b64 s[10:11], s[2:3], 3
	s_mov_b32 s3, s6
	s_add_u32 s6, s66, s10
	v_mov_b32_e32 v2, 0
	s_addc_u32 s7, s67, s11
	s_lshl_b64 s[10:11], s[34:35], 3
	v_mov_b32_e32 v3, v2
	s_mov_b32 s13, s25
.LBB93_3:                               ; =>This Inner Loop Header: Depth=1
	s_add_i32 s13, s13, -1
	global_store_dwordx2 v2, v[2:3], s[6:7]
	s_add_u32 s6, s6, s10
	s_addc_u32 s7, s7, s11
	s_cmp_eq_u32 s13, 0
	s_cbranch_scc0 .LBB93_3
.LBB93_4:
	s_or_b64 exec, exec, s[4:5]
	s_cbranch_execz .LBB93_6
	s_branch .LBB93_79
.LBB93_5:
.LBB93_6:
	s_load_dword s36, s[0:1], 0x28
	s_load_dword s38, s[0:1], 0x48
	s_load_dwordx4 s[28:31], s[0:1], 0x18
	s_load_dwordx4 s[20:23], s[0:1], 0x30
	s_load_dwordx2 s[4:5], s[0:1], 0x40
	s_mul_i32 s0, s3, s9
	s_mul_hi_u32 s1, s3, s8
	s_add_i32 s1, s1, s0
	s_mul_i32 s0, s3, s8
	s_waitcnt lgkmcnt(0)
	s_ashr_i32 s37, s36, 31
	s_ashr_i32 s39, s38, 31
	s_lshl_b64 s[40:41], s[0:1], 3
	s_add_u32 s0, s22, s40
	s_addc_u32 s1, s23, s41
	s_lshl_b64 s[44:45], s[4:5], 3
	s_add_u32 s46, s0, s44
	s_addc_u32 s47, s1, s45
	s_mul_i32 s0, s3, s21
	s_mul_hi_u32 s1, s3, s20
	s_add_i32 s1, s1, s0
	s_mul_i32 s0, s3, s20
	s_lshl_b64 s[42:43], s[0:1], 3
	s_add_u32 s0, s28, s42
	s_addc_u32 s1, s29, s43
	s_lshl_b64 s[30:31], s[30:31], 3
	s_add_u32 s0, s0, s30
	s_addc_u32 s1, s1, s31
	s_lshl_b32 s3, s2, 10
	v_lshl_or_b32 v12, v0, 2, s3
	v_ashrrev_i32_e32 v13, 31, v12
	v_lshl_add_u64 v[10:11], v[12:13], 3, s[0:1]
	s_lshr_b32 s0, s12, 30
	s_add_i32 s0, s25, s0
	s_and_b32 s35, s0, -4
	s_ashr_i32 s0, s24, 31
	s_lshr_b32 s0, s0, 30
	s_add_i32 s0, s24, s0
	s_and_b32 s0, s0, -4
	s_sub_i32 s33, s24, s0
	s_cmp_lt_i32 s35, 1
	v_add_u32_e32 v43, 4, v12
	v_add_u32_e32 v44, s33, v12
	v_and_b32_e32 v1, 63, v0
	v_cmp_gt_u32_e64 s[0:1], 64, v0
	v_mbcnt_lo_u32_b32 v42, -1, 0
	v_cmp_gt_u32_e64 s[4:5], 4, v0
	v_lshrrev_b32_e32 v41, 3, v0
	v_or_b32_e32 v40, 1, v12
	v_or_b32_e32 v39, 2, v12
	;; [unrolled: 1-line block ×3, first 2 shown]
	s_cbranch_scc1 .LBB93_54
; %bb.7:
	v_mbcnt_hi_u32_b32 v2, -1, v42
	v_and_b32_e32 v3, 63, v2
	v_cmp_gt_u32_e32 vcc, 32, v3
	s_mov_b32 s3, 0
	s_cmp_gt_i32 s33, 0
	v_cndmask_b32_e64 v4, 0, 1, vcc
	v_lshlrev_b32_e32 v4, 5, v4
	v_cmp_gt_u32_e32 vcc, 48, v3
	v_add_lshl_u32 v45, v4, v2, 2
	s_cselect_b64 s[48:49], -1, 0
	v_cndmask_b32_e64 v4, 0, 1, vcc
	v_lshlrev_b32_e32 v4, 4, v4
	v_cmp_gt_u32_e32 vcc, 56, v3
	v_add_lshl_u32 v46, v4, v2, 2
	s_lshl_b64 s[14:15], s[2:3], 3
	v_cndmask_b32_e64 v4, 0, 1, vcc
	v_lshlrev_b32_e32 v4, 3, v4
	v_cmp_gt_u32_e32 vcc, 60, v3
	v_add_lshl_u32 v47, v4, v2, 2
	s_add_u32 s68, s66, s14
	v_cndmask_b32_e64 v4, 0, 1, vcc
	v_lshlrev_b32_e32 v4, 2, v4
	v_cmp_gt_u32_e32 vcc, 62, v3
	v_add_lshl_u32 v48, v4, v2, 2
	s_addc_u32 s69, s67, s15
	v_cndmask_b32_e64 v4, 0, 1, vcc
	v_lshlrev_b32_e32 v4, 1, v4
	v_add_lshl_u32 v49, v4, v2, 2
	v_cmp_ne_u32_e32 vcc, 63, v3
	v_mad_i64_i32 v[4:5], s[14:15], s38, v40, 0
	s_nop 0
	v_addc_co_u32_e32 v2, vcc, 0, v2, vcc
	v_lshl_add_u64 v[16:17], v[4:5], 3, s[46:47]
	v_mad_i64_i32 v[4:5], s[14:15], s38, v39, 0
	v_lshlrev_b32_e32 v50, 2, v2
	v_mad_i64_i32 v[2:3], s[14:15], s38, v12, 0
	v_lshl_add_u64 v[18:19], v[4:5], 3, s[46:47]
	v_mad_i64_i32 v[4:5], s[14:15], s38, v38, 0
	s_add_u32 s14, s22, s44
	s_addc_u32 s15, s23, s45
	s_add_u32 s14, s14, s40
	v_lshlrev_b64 v[2:3], 3, v[2:3]
	s_addc_u32 s15, s15, s41
	v_cmp_ge_i32_e64 s[6:7], s24, v43
	v_cmp_ge_i32_e64 s[8:9], s24, v44
	v_cmp_eq_u32_e64 s[10:11], 0, v1
	v_lshlrev_b32_e32 v51, 3, v1
	v_and_b32_e32 v52, 24, v41
	v_cmp_eq_u32_e64 s[12:13], 0, v0
	v_lshl_add_u64 v[14:15], s[46:47], 0, v[2:3]
	v_lshl_add_u64 v[20:21], v[4:5], 3, s[46:47]
	;; [unrolled: 1-line block ×3, first 2 shown]
	s_lshl_b64 s[50:51], s[38:39], 3
	s_lshl_b64 s[52:53], s[36:37], 5
	s_lshl_b64 s[54:55], s[36:37], 3
	s_lshl_b64 s[56:57], s[36:37], 4
	s_mul_hi_i32 s59, s36, 24
	s_mul_i32 s58, s36, 24
	v_mov_b32_e32 v24, 0
	v_mov_b64_e32 v[26:27], v[10:11]
                                        ; implicit-def: $vgpr2_vgpr3_vgpr4_vgpr5_vgpr6_vgpr7_vgpr8_vgpr9
	s_branch .LBB93_9
.LBB93_8:                               ;   in Loop: Header=BB93_9 Depth=1
	s_or_b64 exec, exec, s[14:15]
	s_add_i32 s3, s3, 4
	s_cmp_ge_i32 s3, s35
	v_lshl_add_u64 v[26:27], v[26:27], 0, s[52:53]
	s_cbranch_scc1 .LBB93_55
.LBB93_9:                               ; =>This Loop Header: Depth=1
                                        ;     Child Loop BB93_40 Depth 2
                                        ;     Child Loop BB93_43 Depth 2
                                        ; implicit-def: $vgpr28_vgpr29
                                        ; implicit-def: $vgpr30_vgpr31
                                        ; implicit-def: $vgpr34_vgpr35
                                        ; implicit-def: $vgpr32_vgpr33
	s_and_saveexec_b64 s[14:15], s[6:7]
	s_xor_b64 s[14:15], exec, s[14:15]
	s_cbranch_execnz .LBB93_36
; %bb.10:                               ;   in Loop: Header=BB93_9 Depth=1
	s_andn2_saveexec_b64 s[60:61], s[14:15]
	s_cbranch_execnz .LBB93_37
.LBB93_11:                              ;   in Loop: Header=BB93_9 Depth=1
	s_or_b64 exec, exec, s[60:61]
	s_and_saveexec_b64 s[14:15], s[0:1]
	s_cbranch_execz .LBB93_13
.LBB93_12:                              ;   in Loop: Header=BB93_9 Depth=1
	v_mov_b32_e32 v25, v24
	ds_write_b64 v51, v[24:25]
.LBB93_13:                              ;   in Loop: Header=BB93_9 Depth=1
	s_or_b64 exec, exec, s[14:15]
	ds_bpermute_b32 v36, v45, v32
	ds_bpermute_b32 v37, v45, v33
	s_waitcnt lgkmcnt(0)
	s_barrier
	v_add_f64 v[32:33], v[32:33], v[36:37]
	ds_bpermute_b32 v36, v46, v32
	ds_bpermute_b32 v37, v46, v33
	s_waitcnt lgkmcnt(0)
	v_add_f64 v[32:33], v[32:33], v[36:37]
	ds_bpermute_b32 v36, v47, v32
	ds_bpermute_b32 v37, v47, v33
	s_waitcnt lgkmcnt(0)
	;; [unrolled: 4-line block ×4, first 2 shown]
	v_add_f64 v[32:33], v[32:33], v[36:37]
	ds_bpermute_b32 v36, v50, v32
	ds_bpermute_b32 v37, v50, v33
	s_and_saveexec_b64 s[14:15], s[10:11]
	s_cbranch_execz .LBB93_15
; %bb.14:                               ;   in Loop: Header=BB93_9 Depth=1
	s_waitcnt lgkmcnt(0)
	v_add_f64 v[32:33], v[32:33], v[36:37]
	ds_write_b64 v52, v[32:33]
.LBB93_15:                              ;   in Loop: Header=BB93_9 Depth=1
	s_or_b64 exec, exec, s[14:15]
	v_mov_b64_e32 v[32:33], 0
	s_waitcnt lgkmcnt(0)
	s_barrier
	s_and_saveexec_b64 s[14:15], s[4:5]
	s_cbranch_execnz .LBB93_45
; %bb.16:                               ;   in Loop: Header=BB93_9 Depth=1
	s_or_b64 exec, exec, s[14:15]
	s_and_saveexec_b64 s[14:15], s[0:1]
	s_cbranch_execnz .LBB93_46
.LBB93_17:                              ;   in Loop: Header=BB93_9 Depth=1
	s_or_b64 exec, exec, s[14:15]
	s_and_saveexec_b64 s[14:15], s[0:1]
	s_cbranch_execz .LBB93_19
.LBB93_18:                              ;   in Loop: Header=BB93_9 Depth=1
	v_mov_b32_e32 v25, v24
	ds_write_b64 v51, v[24:25]
.LBB93_19:                              ;   in Loop: Header=BB93_9 Depth=1
	s_or_b64 exec, exec, s[14:15]
	ds_bpermute_b32 v36, v45, v34
	ds_bpermute_b32 v37, v45, v35
	s_waitcnt lgkmcnt(0)
	s_barrier
	v_add_f64 v[34:35], v[34:35], v[36:37]
	ds_bpermute_b32 v36, v46, v34
	ds_bpermute_b32 v37, v46, v35
	s_waitcnt lgkmcnt(0)
	v_add_f64 v[34:35], v[34:35], v[36:37]
	ds_bpermute_b32 v36, v47, v34
	ds_bpermute_b32 v37, v47, v35
	s_waitcnt lgkmcnt(0)
	;; [unrolled: 4-line block ×4, first 2 shown]
	v_add_f64 v[34:35], v[34:35], v[36:37]
	ds_bpermute_b32 v36, v50, v34
	ds_bpermute_b32 v37, v50, v35
	s_and_saveexec_b64 s[14:15], s[10:11]
	s_cbranch_execz .LBB93_21
; %bb.20:                               ;   in Loop: Header=BB93_9 Depth=1
	s_waitcnt lgkmcnt(0)
	v_add_f64 v[34:35], v[34:35], v[36:37]
	ds_write_b64 v52, v[34:35]
.LBB93_21:                              ;   in Loop: Header=BB93_9 Depth=1
	s_or_b64 exec, exec, s[14:15]
	v_mov_b64_e32 v[34:35], 0
	s_waitcnt lgkmcnt(0)
	s_barrier
	s_and_saveexec_b64 s[14:15], s[4:5]
	s_cbranch_execnz .LBB93_47
; %bb.22:                               ;   in Loop: Header=BB93_9 Depth=1
	s_or_b64 exec, exec, s[14:15]
	s_and_saveexec_b64 s[14:15], s[0:1]
	s_cbranch_execnz .LBB93_48
.LBB93_23:                              ;   in Loop: Header=BB93_9 Depth=1
	s_or_b64 exec, exec, s[14:15]
	s_and_saveexec_b64 s[14:15], s[0:1]
	s_cbranch_execz .LBB93_25
.LBB93_24:                              ;   in Loop: Header=BB93_9 Depth=1
	v_mov_b32_e32 v25, v24
	ds_write_b64 v51, v[24:25]
.LBB93_25:                              ;   in Loop: Header=BB93_9 Depth=1
	s_or_b64 exec, exec, s[14:15]
	ds_bpermute_b32 v36, v45, v30
	ds_bpermute_b32 v37, v45, v31
	s_waitcnt lgkmcnt(0)
	s_barrier
	v_add_f64 v[30:31], v[30:31], v[36:37]
	ds_bpermute_b32 v36, v46, v30
	ds_bpermute_b32 v37, v46, v31
	s_waitcnt lgkmcnt(0)
	v_add_f64 v[30:31], v[30:31], v[36:37]
	ds_bpermute_b32 v36, v47, v30
	ds_bpermute_b32 v37, v47, v31
	s_waitcnt lgkmcnt(0)
	;; [unrolled: 4-line block ×4, first 2 shown]
	v_add_f64 v[30:31], v[30:31], v[36:37]
	ds_bpermute_b32 v36, v50, v30
	ds_bpermute_b32 v37, v50, v31
	s_and_saveexec_b64 s[14:15], s[10:11]
	s_cbranch_execz .LBB93_27
; %bb.26:                               ;   in Loop: Header=BB93_9 Depth=1
	s_waitcnt lgkmcnt(0)
	v_add_f64 v[30:31], v[30:31], v[36:37]
	ds_write_b64 v52, v[30:31]
.LBB93_27:                              ;   in Loop: Header=BB93_9 Depth=1
	s_or_b64 exec, exec, s[14:15]
	v_mov_b64_e32 v[30:31], 0
	s_waitcnt lgkmcnt(0)
	s_barrier
	s_and_saveexec_b64 s[14:15], s[4:5]
	s_cbranch_execnz .LBB93_49
; %bb.28:                               ;   in Loop: Header=BB93_9 Depth=1
	s_or_b64 exec, exec, s[14:15]
	s_and_saveexec_b64 s[14:15], s[0:1]
	s_cbranch_execnz .LBB93_50
.LBB93_29:                              ;   in Loop: Header=BB93_9 Depth=1
	s_or_b64 exec, exec, s[14:15]
	s_and_saveexec_b64 s[14:15], s[0:1]
	s_cbranch_execz .LBB93_31
.LBB93_30:                              ;   in Loop: Header=BB93_9 Depth=1
	v_mov_b32_e32 v25, v24
	ds_write_b64 v51, v[24:25]
.LBB93_31:                              ;   in Loop: Header=BB93_9 Depth=1
	s_or_b64 exec, exec, s[14:15]
	ds_bpermute_b32 v36, v45, v28
	ds_bpermute_b32 v37, v45, v29
	s_waitcnt lgkmcnt(0)
	s_barrier
	v_add_f64 v[28:29], v[28:29], v[36:37]
	ds_bpermute_b32 v36, v46, v28
	ds_bpermute_b32 v37, v46, v29
	s_waitcnt lgkmcnt(0)
	v_add_f64 v[28:29], v[28:29], v[36:37]
	ds_bpermute_b32 v36, v47, v28
	ds_bpermute_b32 v37, v47, v29
	s_waitcnt lgkmcnt(0)
	;; [unrolled: 4-line block ×4, first 2 shown]
	v_add_f64 v[28:29], v[28:29], v[36:37]
	ds_bpermute_b32 v36, v50, v28
	ds_bpermute_b32 v37, v50, v29
	s_and_saveexec_b64 s[14:15], s[10:11]
	s_cbranch_execz .LBB93_33
; %bb.32:                               ;   in Loop: Header=BB93_9 Depth=1
	s_waitcnt lgkmcnt(0)
	v_add_f64 v[28:29], v[28:29], v[36:37]
	ds_write_b64 v52, v[28:29]
.LBB93_33:                              ;   in Loop: Header=BB93_9 Depth=1
	s_or_b64 exec, exec, s[14:15]
	v_mov_b64_e32 v[28:29], 0
	s_waitcnt lgkmcnt(0)
	s_barrier
	s_and_saveexec_b64 s[14:15], s[4:5]
	s_cbranch_execnz .LBB93_51
; %bb.34:                               ;   in Loop: Header=BB93_9 Depth=1
	s_or_b64 exec, exec, s[14:15]
	s_and_saveexec_b64 s[14:15], s[0:1]
	s_cbranch_execnz .LBB93_52
.LBB93_35:                              ;   in Loop: Header=BB93_9 Depth=1
	s_or_b64 exec, exec, s[14:15]
	s_and_saveexec_b64 s[14:15], s[12:13]
	s_cbranch_execz .LBB93_8
	s_branch .LBB93_53
.LBB93_36:                              ;   in Loop: Header=BB93_9 Depth=1
	s_mul_i32 s16, s3, s37
	s_mul_hi_u32 s17, s3, s36
	s_add_i32 s17, s17, s16
	s_mul_i32 s16, s3, s36
	v_lshl_add_u64 v[6:7], s[16:17], 3, v[10:11]
	s_or_b32 s16, s3, 1
	s_mul_i32 s17, s16, s37
	s_mul_hi_u32 s18, s16, s36
	s_add_i32 s17, s18, s17
	s_mul_i32 s16, s16, s36
	v_lshl_add_u64 v[8:9], s[16:17], 3, v[10:11]
	s_or_b32 s16, s3, 2
	s_mul_i32 s17, s16, s37
	s_mul_hi_u32 s18, s16, s36
	s_add_i32 s17, s18, s17
	s_mul_i32 s16, s16, s36
	s_waitcnt lgkmcnt(0)
	v_lshl_add_u64 v[28:29], s[16:17], 3, v[10:11]
	s_or_b32 s16, s3, 3
	global_load_dwordx2 v[2:3], v[14:15], off
	global_load_dwordx4 v[34:37], v[6:7], off
	global_load_dwordx4 v[54:57], v[8:9], off
	;; [unrolled: 1-line block ×3, first 2 shown]
	s_mul_i32 s17, s16, s37
	s_mul_hi_u32 s18, s16, s36
	s_add_i32 s17, s18, s17
	s_mul_i32 s16, s16, s36
	v_lshl_add_u64 v[30:31], s[16:17], 3, v[10:11]
	global_load_dwordx4 v[62:65], v[30:31], off
	global_load_dwordx2 v[4:5], v[16:17], off
	global_load_dwordx4 v[66:69], v[6:7], off offset:16
	s_nop 0
	global_load_dwordx2 v[6:7], v[18:19], off
	global_load_dwordx4 v[70:73], v[8:9], off offset:16
	global_load_dwordx4 v[74:77], v[28:29], off offset:16
	;; [unrolled: 1-line block ×3, first 2 shown]
	s_nop 0
	global_load_dwordx2 v[8:9], v[20:21], off
	s_waitcnt vmcnt(10)
	v_fma_f64 v[32:33], v[2:3], v[34:35], 0
	s_waitcnt vmcnt(9)
	v_fma_f64 v[34:35], v[2:3], v[54:55], 0
	;; [unrolled: 2-line block ×4, first 2 shown]
	s_waitcnt vmcnt(6)
	v_fmac_f64_e32 v[32:33], v[4:5], v[36:37]
	v_fmac_f64_e32 v[34:35], v[4:5], v[56:57]
	;; [unrolled: 1-line block ×4, first 2 shown]
	s_waitcnt vmcnt(4)
	v_fmac_f64_e32 v[32:33], v[6:7], v[66:67]
	s_waitcnt vmcnt(3)
	v_fmac_f64_e32 v[34:35], v[6:7], v[70:71]
	;; [unrolled: 2-line block ×5, first 2 shown]
	v_fmac_f64_e32 v[34:35], v[8:9], v[72:73]
	v_fmac_f64_e32 v[30:31], v[8:9], v[76:77]
	v_fmac_f64_e32 v[28:29], v[8:9], v[80:81]
	s_andn2_saveexec_b64 s[60:61], s[14:15]
	s_cbranch_execz .LBB93_11
.LBB93_37:                              ;   in Loop: Header=BB93_9 Depth=1
	s_waitcnt lgkmcnt(0)
	v_mov_b64_e32 v[28:29], 0
	v_mov_b64_e32 v[30:31], v[28:29]
	;; [unrolled: 1-line block ×4, first 2 shown]
	s_and_saveexec_b64 s[62:63], s[8:9]
	s_cbranch_execz .LBB93_44
; %bb.38:                               ;   in Loop: Header=BB93_9 Depth=1
	v_cndmask_b32_e64 v25, 0, 1, s[48:49]
	v_cmp_ne_u32_e64 s[14:15], 1, v25
	s_andn2_b64 vcc, exec, s[48:49]
	s_cbranch_vccnz .LBB93_41
; %bb.39:                               ;   in Loop: Header=BB93_9 Depth=1
	s_mov_b64 s[64:65], 0
	v_mov_b64_e32 v[28:29], v[22:23]
.LBB93_40:                              ;   Parent Loop BB93_9 Depth=1
                                        ; =>  This Inner Loop Header: Depth=2
	global_load_dwordx2 v[30:31], v[28:29], off
	s_cmp_eq_u32 s64, 3
	s_cselect_b64 vcc, -1, 0
	s_cmp_eq_u32 s64, 2
	s_cselect_b64 s[16:17], -1, 0
	s_cmp_eq_u32 s64, 1
	s_cselect_b64 s[18:19], -1, 0
	;; [unrolled: 2-line block ×3, first 2 shown]
	s_add_u32 s64, s64, 1
	s_addc_u32 s65, s65, 0
	v_lshl_add_u64 v[28:29], v[28:29], 0, s[50:51]
	s_cmp_eq_u32 s33, s64
	s_waitcnt vmcnt(0)
	v_cndmask_b32_e32 v9, v9, v31, vcc
	v_cndmask_b32_e32 v8, v8, v30, vcc
	v_cndmask_b32_e64 v7, v7, v31, s[16:17]
	v_cndmask_b32_e64 v6, v6, v30, s[16:17]
	;; [unrolled: 1-line block ×6, first 2 shown]
	s_cbranch_scc0 .LBB93_40
.LBB93_41:                              ;   in Loop: Header=BB93_9 Depth=1
	v_mov_b64_e32 v[28:29], 0
	s_and_b64 vcc, exec, s[14:15]
	v_mov_b64_e32 v[30:31], v[28:29]
	v_mov_b64_e32 v[34:35], v[28:29]
	v_mov_b64_e32 v[32:33], v[28:29]
	s_cbranch_vccnz .LBB93_44
; %bb.42:                               ;   in Loop: Header=BB93_9 Depth=1
	v_mov_b64_e32 v[32:33], 0
	s_mov_b64 s[16:17], 0
	v_mov_b64_e32 v[36:37], v[26:27]
	v_mov_b64_e32 v[34:35], v[32:33]
	;; [unrolled: 1-line block ×4, first 2 shown]
.LBB93_43:                              ;   Parent Loop BB93_9 Depth=1
                                        ; =>  This Inner Loop Header: Depth=2
	v_lshl_add_u64 v[56:57], v[36:37], 0, s[54:55]
	v_lshl_add_u64 v[58:59], v[36:37], 0, s[56:57]
	;; [unrolled: 1-line block ×3, first 2 shown]
	global_load_dwordx2 v[54:55], v[36:37], off
	s_nop 0
	global_load_dwordx2 v[56:57], v[56:57], off
	s_nop 0
	;; [unrolled: 2-line block ×3, first 2 shown]
	global_load_dwordx2 v[60:61], v[60:61], off
	s_cmp_eq_u32 s16, 1
	s_cselect_b64 vcc, -1, 0
	s_cmp_eq_u32 s16, 2
	v_cndmask_b32_e32 v25, v3, v5, vcc
	s_cselect_b64 s[14:15], -1, 0
	s_cmp_eq_u32 s16, 3
	v_cndmask_b32_e64 v25, v25, v7, s[14:15]
	v_cndmask_b32_e32 v53, v2, v4, vcc
	s_cselect_b64 vcc, -1, 0
	v_cndmask_b32_e32 v63, v25, v9, vcc
	v_cndmask_b32_e64 v25, v53, v6, s[14:15]
	s_add_u32 s16, s16, 1
	v_cndmask_b32_e32 v62, v25, v8, vcc
	s_addc_u32 s17, s17, 0
	v_lshl_add_u64 v[36:37], v[36:37], 0, 8
	s_cmp_lg_u32 s33, s16
	s_waitcnt vmcnt(2)
	v_fmac_f64_e32 v[34:35], v[62:63], v[56:57]
	v_fmac_f64_e32 v[32:33], v[62:63], v[54:55]
	s_waitcnt vmcnt(1)
	v_fmac_f64_e32 v[30:31], v[62:63], v[58:59]
	s_waitcnt vmcnt(0)
	v_fmac_f64_e32 v[28:29], v[62:63], v[60:61]
	s_cbranch_scc1 .LBB93_43
.LBB93_44:                              ;   in Loop: Header=BB93_9 Depth=1
	s_or_b64 exec, exec, s[62:63]
	s_or_b64 exec, exec, s[60:61]
	s_and_saveexec_b64 s[14:15], s[0:1]
	s_cbranch_execnz .LBB93_12
	s_branch .LBB93_13
.LBB93_45:                              ;   in Loop: Header=BB93_9 Depth=1
	ds_read_b64 v[32:33], v51
	s_or_b64 exec, exec, s[14:15]
	s_and_saveexec_b64 s[14:15], s[0:1]
	s_cbranch_execz .LBB93_17
.LBB93_46:                              ;   in Loop: Header=BB93_9 Depth=1
	s_waitcnt lgkmcnt(0)
	ds_bpermute_b32 v36, v49, v32
	ds_bpermute_b32 v37, v49, v33
	s_waitcnt lgkmcnt(0)
	v_add_f64 v[32:33], v[32:33], v[36:37]
	ds_bpermute_b32 v36, v50, v32
	ds_bpermute_b32 v37, v50, v33
	s_waitcnt lgkmcnt(0)
	v_add_f64 v[32:33], v[32:33], v[36:37]
	s_or_b64 exec, exec, s[14:15]
	s_and_saveexec_b64 s[14:15], s[0:1]
	s_cbranch_execnz .LBB93_18
	s_branch .LBB93_19
.LBB93_47:                              ;   in Loop: Header=BB93_9 Depth=1
	ds_read_b64 v[34:35], v51
	s_or_b64 exec, exec, s[14:15]
	s_and_saveexec_b64 s[14:15], s[0:1]
	s_cbranch_execz .LBB93_23
.LBB93_48:                              ;   in Loop: Header=BB93_9 Depth=1
	s_waitcnt lgkmcnt(0)
	ds_bpermute_b32 v36, v49, v34
	ds_bpermute_b32 v37, v49, v35
	s_waitcnt lgkmcnt(0)
	v_add_f64 v[34:35], v[34:35], v[36:37]
	ds_bpermute_b32 v36, v50, v34
	ds_bpermute_b32 v37, v50, v35
	s_waitcnt lgkmcnt(0)
	v_add_f64 v[34:35], v[34:35], v[36:37]
	s_or_b64 exec, exec, s[14:15]
	s_and_saveexec_b64 s[14:15], s[0:1]
	s_cbranch_execnz .LBB93_24
	s_branch .LBB93_25
.LBB93_49:                              ;   in Loop: Header=BB93_9 Depth=1
	ds_read_b64 v[30:31], v51
	s_or_b64 exec, exec, s[14:15]
	s_and_saveexec_b64 s[14:15], s[0:1]
	s_cbranch_execz .LBB93_29
.LBB93_50:                              ;   in Loop: Header=BB93_9 Depth=1
	s_waitcnt lgkmcnt(0)
	ds_bpermute_b32 v36, v49, v30
	ds_bpermute_b32 v37, v49, v31
	s_waitcnt lgkmcnt(0)
	v_add_f64 v[30:31], v[30:31], v[36:37]
	ds_bpermute_b32 v36, v50, v30
	ds_bpermute_b32 v37, v50, v31
	s_waitcnt lgkmcnt(0)
	v_add_f64 v[30:31], v[30:31], v[36:37]
	s_or_b64 exec, exec, s[14:15]
	s_and_saveexec_b64 s[14:15], s[0:1]
	s_cbranch_execnz .LBB93_30
	s_branch .LBB93_31
.LBB93_51:                              ;   in Loop: Header=BB93_9 Depth=1
	ds_read_b64 v[28:29], v51
	s_or_b64 exec, exec, s[14:15]
	s_and_saveexec_b64 s[14:15], s[0:1]
	s_cbranch_execz .LBB93_35
.LBB93_52:                              ;   in Loop: Header=BB93_9 Depth=1
	s_waitcnt lgkmcnt(0)
	ds_bpermute_b32 v36, v49, v28
	ds_bpermute_b32 v37, v49, v29
	s_waitcnt lgkmcnt(0)
	v_add_f64 v[28:29], v[28:29], v[36:37]
	ds_bpermute_b32 v36, v50, v28
	ds_bpermute_b32 v37, v50, v29
	s_waitcnt lgkmcnt(0)
	v_add_f64 v[28:29], v[28:29], v[36:37]
	s_or_b64 exec, exec, s[14:15]
	s_and_saveexec_b64 s[14:15], s[12:13]
	s_cbranch_execz .LBB93_8
.LBB93_53:                              ;   in Loop: Header=BB93_9 Depth=1
	s_mul_hi_u32 s17, s3, s34
	s_mul_i32 s16, s3, s34
	s_lshl_b64 s[16:17], s[16:17], 3
	s_add_u32 s16, s68, s16
	v_mul_f64 v[32:33], v[32:33], s[26:27]
	s_addc_u32 s17, s69, s17
	global_store_dwordx2 v24, v[32:33], s[16:17]
	s_or_b32 s16, s3, 1
	s_mul_hi_u32 s17, s16, s34
	s_mul_i32 s16, s16, s34
	s_lshl_b64 s[16:17], s[16:17], 3
	s_add_u32 s16, s68, s16
	v_mul_f64 v[32:33], v[34:35], s[26:27]
	s_addc_u32 s17, s69, s17
	global_store_dwordx2 v24, v[32:33], s[16:17]
	s_or_b32 s16, s3, 2
	;; [unrolled: 8-line block ×3, first 2 shown]
	s_mul_hi_u32 s17, s16, s34
	s_mul_i32 s16, s16, s34
	s_lshl_b64 s[16:17], s[16:17], 3
	s_add_u32 s16, s68, s16
	s_waitcnt lgkmcnt(0)
	v_mul_f64 v[28:29], v[28:29], s[26:27]
	s_addc_u32 s17, s69, s17
	global_store_dwordx2 v24, v[28:29], s[16:17]
	s_branch .LBB93_8
.LBB93_54:
	s_mov_b32 s3, 0
                                        ; implicit-def: $vgpr2_vgpr3_vgpr4_vgpr5_vgpr6_vgpr7_vgpr8_vgpr9
.LBB93_55:
	s_cmp_ge_i32 s3, s25
	s_cbranch_scc1 .LBB93_79
; %bb.56:
	v_mbcnt_hi_u32_b32 v14, -1, v42
	v_and_b32_e32 v15, 63, v14
	v_cmp_gt_u32_e32 vcc, 32, v15
	s_mov_b32 s49, 0
	s_cmp_gt_i32 s33, 0
	v_cndmask_b32_e64 v16, 0, 1, vcc
	v_lshlrev_b32_e32 v16, 5, v16
	v_cmp_gt_u32_e32 vcc, 48, v15
	s_waitcnt lgkmcnt(0)
	v_add_lshl_u32 v29, v16, v14, 2
	s_mov_b32 s48, s2
	v_cndmask_b32_e64 v16, 0, 1, vcc
	v_lshlrev_b32_e32 v16, 4, v16
	v_cmp_gt_u32_e32 vcc, 56, v15
	v_add_lshl_u32 v30, v16, v14, 2
	s_cselect_b64 s[50:51], -1, 0
	v_cndmask_b32_e64 v16, 0, 1, vcc
	v_lshlrev_b32_e32 v16, 3, v16
	v_cmp_gt_u32_e32 vcc, 60, v15
	v_add_lshl_u32 v31, v16, v14, 2
	s_lshl_b64 s[14:15], s[48:49], 3
	v_cndmask_b32_e64 v16, 0, 1, vcc
	v_lshlrev_b32_e32 v16, 2, v16
	v_cmp_gt_u32_e32 vcc, 62, v15
	v_add_lshl_u32 v32, v16, v14, 2
	s_add_u32 s2, s66, s14
	v_cndmask_b32_e64 v16, 0, 1, vcc
	v_lshlrev_b32_e32 v16, 1, v16
	v_cmp_ne_u32_e32 vcc, 63, v15
	v_add_lshl_u32 v33, v16, v14, 2
	v_cmp_ge_i32_e64 s[0:1], s24, v43
	v_addc_co_u32_e32 v14, vcc, 0, v14, vcc
	v_cmp_ge_i32_e64 s[4:5], s24, v44
	v_cmp_gt_u32_e64 s[6:7], 64, v0
	v_lshlrev_b32_e32 v28, 3, v1
	v_lshlrev_b32_e32 v34, 2, v14
	v_cmp_eq_u32_e64 s[8:9], 0, v1
	v_cmp_gt_u32_e64 s[10:11], 4, v0
	v_cmp_eq_u32_e64 s[12:13], 0, v0
	s_addc_u32 s24, s67, s15
	v_mad_i64_i32 v[0:1], s[14:15], s38, v12, 0
	v_mad_i64_i32 v[14:15], s[14:15], s38, v40, 0
	;; [unrolled: 1-line block ×4, first 2 shown]
	s_add_u32 s14, s22, s44
	s_addc_u32 s15, s23, s45
	s_add_u32 s14, s14, s40
	v_lshlrev_b64 v[20:21], 3, v[0:1]
	s_addc_u32 s15, s15, s41
	v_lshl_add_u64 v[0:1], s[46:47], 0, v[20:21]
	v_lshl_add_u64 v[20:21], s[14:15], 0, v[20:21]
	s_mul_i32 s14, s37, s3
	s_mul_hi_u32 s15, s36, s3
	s_add_i32 s15, s15, s14
	s_mul_i32 s14, s36, s3
	s_lshl_b64 s[22:23], s[38:39], 3
	s_lshl_b64 s[14:15], s[14:15], 3
	s_add_u32 s14, s42, s14
	s_addc_u32 s15, s43, s15
	s_add_u32 s14, s14, s30
	s_addc_u32 s15, s15, s31
	;; [unrolled: 2-line block ×3, first 2 shown]
	v_and_b32_e32 v35, 24, v41
	v_lshl_add_u64 v[14:15], v[14:15], 3, s[46:47]
	v_lshl_add_u64 v[16:17], v[16:17], 3, s[46:47]
	;; [unrolled: 1-line block ×4, first 2 shown]
	s_lshl_b64 s[28:29], s[36:37], 3
	v_mov_b32_e32 v22, 0
	s_branch .LBB93_58
.LBB93_57:                              ;   in Loop: Header=BB93_58 Depth=1
	s_or_b64 exec, exec, s[14:15]
	s_add_i32 s3, s3, 1
	s_cmp_ge_i32 s3, s25
	v_lshl_add_u64 v[12:13], v[12:13], 0, s[28:29]
	s_cbranch_scc1 .LBB93_79
.LBB93_58:                              ; =>This Loop Header: Depth=1
                                        ;     Child Loop BB93_71 Depth 2
                                        ;     Child Loop BB93_74 Depth 2
	s_waitcnt lgkmcnt(0)
	v_mov_b32_e32 v24, s49
	v_mov_b32_e32 v25, s49
	s_and_saveexec_b64 s[14:15], s[0:1]
	s_xor_b64 s[14:15], exec, s[14:15]
	s_cbranch_execnz .LBB93_67
; %bb.59:                               ;   in Loop: Header=BB93_58 Depth=1
	s_andn2_saveexec_b64 s[30:31], s[14:15]
	s_cbranch_execnz .LBB93_68
.LBB93_60:                              ;   in Loop: Header=BB93_58 Depth=1
	s_or_b64 exec, exec, s[30:31]
	s_and_saveexec_b64 s[14:15], s[6:7]
	s_cbranch_execz .LBB93_62
.LBB93_61:                              ;   in Loop: Header=BB93_58 Depth=1
	v_mov_b32_e32 v23, v22
	ds_write_b64 v28, v[22:23]
.LBB93_62:                              ;   in Loop: Header=BB93_58 Depth=1
	s_or_b64 exec, exec, s[14:15]
	ds_bpermute_b32 v26, v29, v24
	ds_bpermute_b32 v27, v29, v25
	s_waitcnt lgkmcnt(0)
	s_barrier
	v_add_f64 v[24:25], v[24:25], v[26:27]
	ds_bpermute_b32 v26, v30, v24
	ds_bpermute_b32 v27, v30, v25
	s_waitcnt lgkmcnt(0)
	v_add_f64 v[24:25], v[24:25], v[26:27]
	ds_bpermute_b32 v26, v31, v24
	ds_bpermute_b32 v27, v31, v25
	s_waitcnt lgkmcnt(0)
	;; [unrolled: 4-line block ×4, first 2 shown]
	v_add_f64 v[24:25], v[24:25], v[26:27]
	ds_bpermute_b32 v26, v34, v24
	ds_bpermute_b32 v27, v34, v25
	s_and_saveexec_b64 s[14:15], s[8:9]
	s_cbranch_execz .LBB93_64
; %bb.63:                               ;   in Loop: Header=BB93_58 Depth=1
	s_waitcnt lgkmcnt(0)
	v_add_f64 v[24:25], v[24:25], v[26:27]
	ds_write_b64 v35, v[24:25]
.LBB93_64:                              ;   in Loop: Header=BB93_58 Depth=1
	s_or_b64 exec, exec, s[14:15]
	v_mov_b64_e32 v[24:25], 0
	s_waitcnt lgkmcnt(0)
	s_barrier
	s_and_saveexec_b64 s[14:15], s[10:11]
	s_cbranch_execnz .LBB93_76
; %bb.65:                               ;   in Loop: Header=BB93_58 Depth=1
	s_or_b64 exec, exec, s[14:15]
	s_and_saveexec_b64 s[14:15], s[6:7]
	s_cbranch_execnz .LBB93_77
.LBB93_66:                              ;   in Loop: Header=BB93_58 Depth=1
	s_or_b64 exec, exec, s[14:15]
	s_and_saveexec_b64 s[14:15], s[12:13]
	s_cbranch_execz .LBB93_57
	s_branch .LBB93_78
.LBB93_67:                              ;   in Loop: Header=BB93_58 Depth=1
	s_mul_i32 s16, s3, s37
	s_mul_hi_u32 s17, s3, s36
	s_add_i32 s17, s17, s16
	s_mul_i32 s16, s3, s36
	v_lshl_add_u64 v[40:41], s[16:17], 3, v[10:11]
	global_load_dwordx4 v[36:39], v[40:41], off offset:16
	global_load_dwordx4 v[24:27], v[40:41], off
	global_load_dwordx2 v[2:3], v[0:1], off
	global_load_dwordx2 v[4:5], v[14:15], off
	;; [unrolled: 1-line block ×4, first 2 shown]
	s_waitcnt vmcnt(3)
	v_fma_f64 v[24:25], v[2:3], v[24:25], 0
	s_waitcnt vmcnt(2)
	v_fmac_f64_e32 v[24:25], v[4:5], v[26:27]
	s_waitcnt vmcnt(1)
	v_fmac_f64_e32 v[24:25], v[6:7], v[36:37]
	;; [unrolled: 2-line block ×3, first 2 shown]
	s_andn2_saveexec_b64 s[30:31], s[14:15]
	s_cbranch_execz .LBB93_60
.LBB93_68:                              ;   in Loop: Header=BB93_58 Depth=1
	s_and_saveexec_b64 s[38:39], s[4:5]
	s_cbranch_execz .LBB93_75
; %bb.69:                               ;   in Loop: Header=BB93_58 Depth=1
	v_cndmask_b32_e64 v23, 0, 1, s[50:51]
	v_cmp_ne_u32_e64 s[14:15], 1, v23
	s_andn2_b64 vcc, exec, s[50:51]
	s_cbranch_vccnz .LBB93_72
; %bb.70:                               ;   in Loop: Header=BB93_58 Depth=1
	s_mov_b64 s[40:41], 0
	v_mov_b64_e32 v[26:27], v[20:21]
.LBB93_71:                              ;   Parent Loop BB93_58 Depth=1
                                        ; =>  This Inner Loop Header: Depth=2
	global_load_dwordx2 v[36:37], v[26:27], off
	s_cmp_eq_u32 s40, 3
	s_cselect_b64 vcc, -1, 0
	s_cmp_eq_u32 s40, 2
	s_cselect_b64 s[16:17], -1, 0
	s_cmp_eq_u32 s40, 1
	s_cselect_b64 s[18:19], -1, 0
	;; [unrolled: 2-line block ×3, first 2 shown]
	s_add_u32 s40, s40, 1
	s_addc_u32 s41, s41, 0
	v_lshl_add_u64 v[26:27], v[26:27], 0, s[22:23]
	s_cmp_eq_u32 s33, s40
	s_waitcnt vmcnt(0)
	v_cndmask_b32_e32 v9, v9, v37, vcc
	v_cndmask_b32_e32 v8, v8, v36, vcc
	v_cndmask_b32_e64 v7, v7, v37, s[16:17]
	v_cndmask_b32_e64 v6, v6, v36, s[16:17]
	;; [unrolled: 1-line block ×6, first 2 shown]
	s_cbranch_scc0 .LBB93_71
.LBB93_72:                              ;   in Loop: Header=BB93_58 Depth=1
	s_and_b64 vcc, exec, s[14:15]
	s_cbranch_vccnz .LBB93_75
; %bb.73:                               ;   in Loop: Header=BB93_58 Depth=1
	s_mov_b64 s[16:17], 0
	v_mov_b64_e32 v[26:27], v[12:13]
.LBB93_74:                              ;   Parent Loop BB93_58 Depth=1
                                        ; =>  This Inner Loop Header: Depth=2
	global_load_dwordx2 v[36:37], v[26:27], off
	s_cmp_eq_u32 s16, 1
	s_cselect_b64 vcc, -1, 0
	s_cmp_eq_u32 s16, 2
	v_cndmask_b32_e32 v23, v3, v5, vcc
	s_cselect_b64 s[14:15], -1, 0
	s_cmp_eq_u32 s16, 3
	v_cndmask_b32_e64 v23, v23, v7, s[14:15]
	v_cndmask_b32_e32 v38, v2, v4, vcc
	s_cselect_b64 vcc, -1, 0
	v_cndmask_b32_e32 v39, v23, v9, vcc
	v_cndmask_b32_e64 v23, v38, v6, s[14:15]
	s_add_u32 s16, s16, 1
	v_cndmask_b32_e32 v38, v23, v8, vcc
	s_addc_u32 s17, s17, 0
	v_lshl_add_u64 v[26:27], v[26:27], 0, 8
	s_cmp_lg_u32 s33, s16
	s_waitcnt vmcnt(0)
	v_fmac_f64_e32 v[24:25], v[38:39], v[36:37]
	s_cbranch_scc1 .LBB93_74
.LBB93_75:                              ;   in Loop: Header=BB93_58 Depth=1
	s_or_b64 exec, exec, s[38:39]
	s_or_b64 exec, exec, s[30:31]
	s_and_saveexec_b64 s[14:15], s[6:7]
	s_cbranch_execnz .LBB93_61
	s_branch .LBB93_62
.LBB93_76:                              ;   in Loop: Header=BB93_58 Depth=1
	ds_read_b64 v[24:25], v28
	s_or_b64 exec, exec, s[14:15]
	s_and_saveexec_b64 s[14:15], s[6:7]
	s_cbranch_execz .LBB93_66
.LBB93_77:                              ;   in Loop: Header=BB93_58 Depth=1
	s_waitcnt lgkmcnt(0)
	ds_bpermute_b32 v26, v33, v24
	ds_bpermute_b32 v27, v33, v25
	s_waitcnt lgkmcnt(0)
	v_add_f64 v[24:25], v[24:25], v[26:27]
	ds_bpermute_b32 v26, v34, v24
	ds_bpermute_b32 v27, v34, v25
	s_waitcnt lgkmcnt(0)
	v_add_f64 v[24:25], v[24:25], v[26:27]
	s_or_b64 exec, exec, s[14:15]
	s_and_saveexec_b64 s[14:15], s[12:13]
	s_cbranch_execz .LBB93_57
.LBB93_78:                              ;   in Loop: Header=BB93_58 Depth=1
	s_mul_hi_u32 s17, s3, s34
	s_mul_i32 s16, s3, s34
	s_lshl_b64 s[16:17], s[16:17], 3
	s_add_u32 s16, s2, s16
	s_waitcnt lgkmcnt(0)
	v_mul_f64 v[24:25], v[24:25], s[26:27]
	s_addc_u32 s17, s24, s17
	global_store_dwordx2 v22, v[24:25], s[16:17]
	s_branch .LBB93_57
.LBB93_79:
	s_endpgm
	.section	.rodata,"a",@progbits
	.p2align	6, 0x0
	.amdhsa_kernel _ZL23rocblas_gemvt_sn_kernelILb1ELi256ELi4EldddEviiT4_lPKT3_lilS3_lilPT5_i
		.amdhsa_group_segment_fixed_size 512
		.amdhsa_private_segment_fixed_size 0
		.amdhsa_kernarg_size 360
		.amdhsa_user_sgpr_count 2
		.amdhsa_user_sgpr_dispatch_ptr 0
		.amdhsa_user_sgpr_queue_ptr 0
		.amdhsa_user_sgpr_kernarg_segment_ptr 1
		.amdhsa_user_sgpr_dispatch_id 0
		.amdhsa_user_sgpr_kernarg_preload_length 0
		.amdhsa_user_sgpr_kernarg_preload_offset 0
		.amdhsa_user_sgpr_private_segment_size 0
		.amdhsa_uses_dynamic_stack 0
		.amdhsa_enable_private_segment 0
		.amdhsa_system_sgpr_workgroup_id_x 1
		.amdhsa_system_sgpr_workgroup_id_y 0
		.amdhsa_system_sgpr_workgroup_id_z 1
		.amdhsa_system_sgpr_workgroup_info 0
		.amdhsa_system_vgpr_workitem_id 0
		.amdhsa_next_free_vgpr 82
		.amdhsa_next_free_sgpr 70
		.amdhsa_accum_offset 84
		.amdhsa_reserve_vcc 1
		.amdhsa_float_round_mode_32 0
		.amdhsa_float_round_mode_16_64 0
		.amdhsa_float_denorm_mode_32 3
		.amdhsa_float_denorm_mode_16_64 3
		.amdhsa_dx10_clamp 1
		.amdhsa_ieee_mode 1
		.amdhsa_fp16_overflow 0
		.amdhsa_tg_split 0
		.amdhsa_exception_fp_ieee_invalid_op 0
		.amdhsa_exception_fp_denorm_src 0
		.amdhsa_exception_fp_ieee_div_zero 0
		.amdhsa_exception_fp_ieee_overflow 0
		.amdhsa_exception_fp_ieee_underflow 0
		.amdhsa_exception_fp_ieee_inexact 0
		.amdhsa_exception_int_div_zero 0
	.end_amdhsa_kernel
	.section	.text._ZL23rocblas_gemvt_sn_kernelILb1ELi256ELi4EldddEviiT4_lPKT3_lilS3_lilPT5_i,"axG",@progbits,_ZL23rocblas_gemvt_sn_kernelILb1ELi256ELi4EldddEviiT4_lPKT3_lilS3_lilPT5_i,comdat
.Lfunc_end93:
	.size	_ZL23rocblas_gemvt_sn_kernelILb1ELi256ELi4EldddEviiT4_lPKT3_lilS3_lilPT5_i, .Lfunc_end93-_ZL23rocblas_gemvt_sn_kernelILb1ELi256ELi4EldddEviiT4_lPKT3_lilS3_lilPT5_i
                                        ; -- End function
	.section	.AMDGPU.csdata,"",@progbits
; Kernel info:
; codeLenInByte = 4464
; NumSgprs: 76
; NumVgprs: 82
; NumAgprs: 0
; TotalNumVgprs: 82
; ScratchSize: 0
; MemoryBound: 1
; FloatMode: 240
; IeeeMode: 1
; LDSByteSize: 512 bytes/workgroup (compile time only)
; SGPRBlocks: 9
; VGPRBlocks: 10
; NumSGPRsForWavesPerEU: 76
; NumVGPRsForWavesPerEU: 82
; AccumOffset: 84
; Occupancy: 5
; WaveLimiterHint : 1
; COMPUTE_PGM_RSRC2:SCRATCH_EN: 0
; COMPUTE_PGM_RSRC2:USER_SGPR: 2
; COMPUTE_PGM_RSRC2:TRAP_HANDLER: 0
; COMPUTE_PGM_RSRC2:TGID_X_EN: 1
; COMPUTE_PGM_RSRC2:TGID_Y_EN: 0
; COMPUTE_PGM_RSRC2:TGID_Z_EN: 1
; COMPUTE_PGM_RSRC2:TIDIG_COMP_CNT: 0
; COMPUTE_PGM_RSRC3_GFX90A:ACCUM_OFFSET: 20
; COMPUTE_PGM_RSRC3_GFX90A:TG_SPLIT: 0
	.section	.text._ZL36rocblas_gemvt_double_buffered_kernelILb1ELi128ELi4ELi16EdPKddEviiT4_lPKT3_lilS5_lilPT5_lili,"axG",@progbits,_ZL36rocblas_gemvt_double_buffered_kernelILb1ELi128ELi4ELi16EdPKddEviiT4_lPKT3_lilS5_lilPT5_lili,comdat
	.globl	_ZL36rocblas_gemvt_double_buffered_kernelILb1ELi128ELi4ELi16EdPKddEviiT4_lPKT3_lilS5_lilPT5_lili ; -- Begin function _ZL36rocblas_gemvt_double_buffered_kernelILb1ELi128ELi4ELi16EdPKddEviiT4_lPKT3_lilS5_lilPT5_lili
	.p2align	8
	.type	_ZL36rocblas_gemvt_double_buffered_kernelILb1ELi128ELi4ELi16EdPKddEviiT4_lPKT3_lilS5_lilPT5_lili,@function
_ZL36rocblas_gemvt_double_buffered_kernelILb1ELi128ELi4ELi16EdPKddEviiT4_lPKT3_lilS5_lilPT5_lili: ; @_ZL36rocblas_gemvt_double_buffered_kernelILb1ELi128ELi4ELi16EdPKddEviiT4_lPKT3_lilS5_lilPT5_lili
; %bb.0:
	s_load_dwordx8 s[8:15], s[0:1], 0x8
	s_waitcnt lgkmcnt(0)
	s_mul_i32 s5, s4, s11
	s_mul_hi_u32 s6, s4, s10
	s_add_i32 s7, s6, s5
	s_mul_i32 s6, s4, s10
	s_lshl_b64 s[6:7], s[6:7], 3
	s_add_u32 s6, s8, s6
	s_addc_u32 s7, s9, s7
	s_load_dwordx2 s[6:7], s[6:7], 0x0
	s_waitcnt lgkmcnt(0)
	v_cmp_eq_f64_e64 s[8:9], s[6:7], 0
	s_and_b64 vcc, exec, s[8:9]
	s_cbranch_vccnz .LBB94_10
; %bb.1:
	s_load_dword s5, s[0:1], 0x84
	s_load_dword s8, s[0:1], 0x0
	s_waitcnt lgkmcnt(0)
	v_cvt_f32_u32_e32 v1, s5
	s_ashr_i32 s9, s8, 31
	s_lshr_b32 s9, s9, 25
	s_sub_i32 s10, 0, s5
	v_rcp_iflag_f32_e32 v1, v1
	s_add_i32 s8, s8, s9
	s_ashr_i32 s8, s8, 7
	v_mul_f32_e32 v1, 0x4f7ffffe, v1
	v_cvt_u32_f32_e32 v1, v1
	s_nop 0
	v_readfirstlane_b32 s9, v1
	s_mul_i32 s10, s10, s9
	s_mul_hi_u32 s10, s9, s10
	s_add_i32 s9, s9, s10
	s_mul_hi_u32 s9, s8, s9
	s_mul_i32 s10, s9, s5
	s_sub_i32 s10, s8, s10
	s_add_i32 s11, s9, 1
	s_sub_i32 s16, s10, s5
	s_cmp_ge_u32 s10, s5
	s_cselect_b32 s9, s11, s9
	s_cselect_b32 s10, s16, s10
	s_add_i32 s11, s9, 1
	s_cmp_ge_u32 s10, s5
	s_cselect_b32 s30, s11, s9
	s_mul_i32 s5, s30, s5
	s_sub_i32 s29, s8, s5
	s_cmp_lt_u32 s3, s29
	s_cselect_b64 s[8:9], -1, 0
	s_cmp_lg_u64 s[8:9], 0
	s_addc_u32 s5, s30, 0
	s_cmp_eq_u32 s5, 0
	s_cbranch_scc1 .LBB94_10
; %bb.2:
	s_load_dwordx4 s[8:11], s[0:1], 0x50
	s_load_dwordx2 s[18:19], s[0:1], 0x60
	v_and_b32_e32 v172, 0x3ff, v0
	v_bfe_u32 v173, v0, 10, 10
	s_lshl_b32 s16, s2, 7
	v_lshl_add_u32 v4, v173, 7, v172
	v_and_b32_e32 v0, 63, v172
	s_ashr_i32 s17, s16, 31
	v_lshrrev_b32_e32 v174, 2, v4
	v_mov_b64_e32 v[70:71], 0
	v_and_b32_e32 v175, 0x7ff0, v174
	s_cmp_lt_i32 s5, 1
	v_lshlrev_b32_e32 v2, 3, v0
	v_mov_b64_e32 v[72:73], v[70:71]
	v_mov_b64_e32 v[76:77], v[70:71]
	;; [unrolled: 1-line block ×15, first 2 shown]
	s_cbranch_scc1 .LBB94_8
; %bb.3:
	s_load_dword s22, s[0:1], 0x28
	s_load_dwordx4 s[36:39], s[0:1], 0x30
	s_load_dwordx2 s[34:35], s[0:1], 0x40
	s_load_dword s20, s[0:1], 0x48
	v_mov_b32_e32 v1, 0
	s_waitcnt lgkmcnt(0)
	v_mad_i64_i32 v[6:7], s[24:25], s22, v175, v[0:1]
	s_mul_i32 s2, s4, s37
	s_mul_hi_u32 s24, s4, s36
	s_add_i32 s25, s24, s2
	s_mul_i32 s24, s4, s36
	s_ashr_i32 s23, s22, 31
	s_ashr_i32 s21, s20, 31
	s_lshl_b64 s[24:25], s[24:25], 3
	s_add_u32 s2, s12, s24
	s_addc_u32 s31, s13, s25
	s_lshl_b64 s[26:27], s[14:15], 3
	s_add_u32 s14, s2, s26
	s_mul_i32 s2, s4, s9
	s_mul_hi_u32 s9, s4, s8
	s_addc_u32 s15, s31, s27
	s_add_i32 s9, s9, s2
	s_mul_i32 s8, s4, s8
	s_lshl_b64 s[8:9], s[8:9], 3
	s_mul_i32 s30, s30, s3
	v_cvt_f64_i32_e32 v[10:11], s3
	v_cvt_f64_u32_e32 v[12:13], s29
	s_add_u32 s2, s38, s8
	v_cvt_f64_u32_e32 v[8:9], s30
	v_min_f64 v[10:11], v[10:11], v[12:13]
	s_addc_u32 s31, s39, s9
	s_lshl_b64 s[8:9], s[34:35], 3
	v_add_f64 v[8:9], v[10:11], v[8:9]
	s_add_u32 s8, s2, s8
	v_cvt_i32_f64_e32 v3, v[8:9]
	s_mul_hi_i32 s3, s22, s16
	s_mul_i32 s2, s22, s16
	s_addc_u32 s9, s31, s9
	s_lshl_b64 s[2:3], s[2:3], 3
	v_lshlrev_b32_e32 v8, 7, v3
	s_add_u32 s2, s14, s2
	v_ashrrev_i32_e32 v9, 31, v8
	s_addc_u32 s3, s15, s3
	v_lshlrev_b64 v[60:61], 3, v[8:9]
	v_lshl_add_u64 v[8:9], s[2:3], 0, v[60:61]
	v_lshl_add_u64 v[6:7], v[6:7], 3, v[8:9]
	v_mov_b32_e32 v3, 0x78
	v_mad_i64_i32 v[10:11], s[2:3], s22, v3, v[6:7]
	s_lshl_b64 s[2:3], s[22:23], 3
	s_nop 0
	v_mov_b32_e32 v3, s3
	v_subrev_co_u32_e32 v12, vcc, s2, v10
	v_lshlrev_b32_e32 v4, 1, v4
	s_nop 0
	v_subb_co_u32_e32 v13, vcc, v11, v3, vcc
	v_subrev_co_u32_e32 v14, vcc, s2, v12
	global_load_dwordx2 v[8:9], v[12:13], off
	s_nop 0
	v_subb_co_u32_e32 v15, vcc, v13, v3, vcc
	global_load_dwordx2 v[12:13], v[14:15], off
	v_subrev_co_u32_e32 v14, vcc, s2, v14
	v_and_b32_e32 v4, 0x7ff80, v4
	s_nop 0
	v_subb_co_u32_e32 v15, vcc, v15, v3, vcc
	global_load_dwordx2 v[16:17], v[14:15], off
	v_subrev_co_u32_e32 v14, vcc, s2, v14
	v_mov_b32_e32 v5, v1
	s_nop 0
	v_subb_co_u32_e32 v15, vcc, v15, v3, vcc
	global_load_dwordx2 v[18:19], v[14:15], off
	v_subrev_co_u32_e32 v14, vcc, s2, v14
	v_lshl_add_u64 v[70:71], s[16:17], 3, v[4:5]
	s_nop 0
	v_subb_co_u32_e32 v15, vcc, v15, v3, vcc
	global_load_dwordx2 v[22:23], v[14:15], off
	v_subrev_co_u32_e32 v14, vcc, s2, v14
	v_lshl_add_u64 v[4:5], v[70:71], 0, 8
	s_nop 0
	v_subb_co_u32_e32 v15, vcc, v15, v3, vcc
	global_load_dwordx2 v[26:27], v[14:15], off
	v_subrev_co_u32_e32 v14, vcc, s2, v14
	s_lshl_b64 s[14:15], s[20:21], 10
	s_nop 0
	v_subb_co_u32_e32 v15, vcc, v15, v3, vcc
	global_load_dwordx2 v[28:29], v[14:15], off
	v_subrev_co_u32_e32 v14, vcc, s2, v14
	s_mov_b32 s28, 0
	s_nop 0
	v_subb_co_u32_e32 v15, vcc, v15, v3, vcc
	global_load_dwordx2 v[32:33], v[14:15], off
	v_subrev_co_u32_e32 v14, vcc, s2, v14
	s_add_i32 s29, s5, -1
	s_nop 0
	v_subb_co_u32_e32 v15, vcc, v15, v3, vcc
	global_load_dwordx2 v[34:35], v[14:15], off
	v_subrev_co_u32_e32 v14, vcc, s2, v14
	s_waitcnt vmcnt(8)
	v_mov_b64_e32 v[132:133], v[8:9]
	v_subb_co_u32_e32 v15, vcc, v15, v3, vcc
	global_load_dwordx2 v[38:39], v[14:15], off
	v_subrev_co_u32_e32 v14, vcc, s2, v14
	s_waitcnt vmcnt(8)
	v_mov_b64_e32 v[130:131], v[12:13]
	;; [unrolled: 5-line block ×5, first 2 shown]
	v_subb_co_u32_e32 v15, vcc, v15, v3, vcc
	global_load_dwordx2 v[50:51], v[14:15], off
	global_load_dwordx2 v[52:53], v[10:11], off
	;; [unrolled: 1-line block ×3, first 2 shown]
	v_lshl_add_u64 v[6:7], s[12:13], 0, v[60:61]
	v_lshl_add_u64 v[6:7], v[6:7], 0, s[26:27]
	;; [unrolled: 1-line block ×3, first 2 shown]
	v_mov_b32_e32 v3, v1
	v_mad_u64_u32 v[6:7], s[12:13], v4, s22, v[68:69]
	v_mul_lo_u32 v1, v4, s23
	v_mul_lo_u32 v4, v5, s22
	v_add3_u32 v7, v4, v7, v1
	s_mov_b64 s[12:13], 0x400
	v_lshl_add_u64 v[4:5], v[6:7], 0, s[12:13]
	v_lshl_add_u64 v[6:7], v[70:71], 0, 16
	v_mad_u64_u32 v[10:11], s[24:25], v6, s22, v[68:69]
	v_mul_lo_u32 v1, v6, s23
	v_mul_lo_u32 v6, v7, s22
	v_add3_u32 v11, v6, v11, v1
	v_lshl_add_u64 v[6:7], v[10:11], 0, s[12:13]
	v_lshl_add_u64 v[10:11], v[70:71], 0, 24
	v_mad_u64_u32 v[14:15], s[24:25], v10, s22, v[68:69]
	v_mul_lo_u32 v1, v10, s23
	v_mul_lo_u32 v10, v11, s22
	v_add3_u32 v15, v10, v15, v1
	;; [unrolled: 6-line block ×7, first 2 shown]
	s_mov_b64 s[24:25], 0x48
	v_lshl_add_u64 v[36:37], v[40:41], 0, s[12:13]
	v_lshl_add_u64 v[40:41], v[70:71], 0, s[24:25]
	v_mad_u64_u32 v[46:47], s[24:25], v40, s22, v[68:69]
	v_mul_lo_u32 v1, v40, s23
	v_mul_lo_u32 v40, v41, s22
	v_add3_u32 v47, v40, v47, v1
	s_mov_b64 s[24:25], 0x50
	v_lshl_add_u64 v[40:41], v[46:47], 0, s[12:13]
	v_lshl_add_u64 v[46:47], v[70:71], 0, s[24:25]
	v_mad_u64_u32 v[56:57], s[24:25], v46, s22, v[68:69]
	v_mul_lo_u32 v1, v46, s23
	v_mul_lo_u32 v46, v47, s22
	v_add3_u32 v57, v46, v57, v1
	;; [unrolled: 7-line block ×7, first 2 shown]
	v_mad_u64_u32 v[68:69], s[24:25], v70, s22, v[68:69]
	v_mul_lo_u32 v1, v70, s23
	v_mul_lo_u32 v70, v71, s22
	v_add3_u32 v69, v70, v69, v1
	v_or_b32_e32 v1, v60, v2
	v_mul_lo_u32 v60, v61, s20
	v_mul_lo_u32 v61, v1, s21
	v_mad_u64_u32 v[78:79], s[22:23], v1, s20, 0
	v_or_b32_e32 v1, 0x200, v1
	v_add3_u32 v79, v79, v61, v60
	v_mul_lo_u32 v61, v1, s21
	v_mad_u64_u32 v[102:103], s[20:21], v1, s20, 0
	v_add3_u32 v103, v103, v61, v60
	v_mov_b64_e32 v[60:61], 0
	v_lshl_add_u64 v[66:67], v[72:73], 0, s[12:13]
	s_mov_b64 s[20:21], 0x200
	v_mov_b64_e32 v[100:101], v[60:61]
	v_mov_b64_e32 v[96:97], v[60:61]
	;; [unrolled: 1-line block ×15, first 2 shown]
	s_waitcnt vmcnt(0)
	v_mov_b64_e32 v[104:105], v[54:55]
	v_mov_b64_e32 v[106:107], v[50:51]
	;; [unrolled: 1-line block ×11, first 2 shown]
.LBB94_4:                               ; =>This Inner Loop Header: Depth=1
	v_lshl_add_u64 v[170:171], v[68:69], 0, v[2:3]
	v_lshl_add_u64 v[136:137], v[170:171], 0, s[20:21]
	;; [unrolled: 1-line block ×15, first 2 shown]
	global_load_dwordx2 v[136:137], v[170:171], off offset:512
	s_nop 0
	global_load_dwordx2 v[138:139], v[138:139], off
	s_nop 0
	global_load_dwordx2 v[140:141], v[140:141], off
	;; [unrolled: 2-line block ×3, first 2 shown]
	v_lshl_add_u64 v[166:167], v[164:165], 0, s[2:3]
	global_load_dwordx2 v[144:145], v[146:147], off
	v_lshl_add_u64 v[168:169], s[8:9], 0, v[78:79]
	global_load_dwordx2 v[146:147], v[148:149], off
	s_cmp_lg_u32 s29, s28
	global_load_dwordx2 v[148:149], v[150:151], off
	s_nop 0
	global_load_dwordx2 v[150:151], v[152:153], off
	s_nop 0
	;; [unrolled: 2-line block ×8, first 2 shown]
	global_load_dwordx2 v[164:165], v[166:167], off
	v_lshl_add_u64 v[166:167], v[166:167], 0, s[2:3]
	global_load_dwordx2 v[166:167], v[166:167], off
	s_nop 0
	global_load_dwordx2 v[168:169], v[168:169], off
	s_cbranch_scc0 .LBB94_6
; %bb.5:                                ;   in Loop: Header=BB94_4 Depth=1
	v_lshl_add_u64 v[106:107], v[4:5], 0, v[2:3]
	v_lshl_add_u64 v[108:109], v[6:7], 0, v[2:3]
	;; [unrolled: 1-line block ×15, first 2 shown]
	global_load_dwordx2 v[104:105], v[170:171], off offset:1024
	s_nop 0
	global_load_dwordx2 v[106:107], v[106:107], off
	s_nop 0
	global_load_dwordx2 v[108:109], v[108:109], off
	;; [unrolled: 2-line block ×15, first 2 shown]
.LBB94_6:                               ;   in Loop: Header=BB94_4 Depth=1
	v_lshl_add_u64 v[170:171], s[8:9], 0, v[102:103]
	global_load_dwordx2 v[170:171], v[170:171], off
	s_add_i32 s28, s28, 1
	s_add_u32 s8, s8, s14
	s_waitcnt vmcnt(1)
	v_fmac_f64_e32 v[60:61], v[54:55], v[168:169]
	v_fmac_f64_e32 v[100:101], v[50:51], v[168:169]
	v_fmac_f64_e32 v[96:97], v[48:49], v[168:169]
	v_fmac_f64_e32 v[98:99], v[44:45], v[168:169]
	v_fmac_f64_e32 v[92:93], v[42:43], v[168:169]
	v_fmac_f64_e32 v[94:95], v[38:39], v[168:169]
	v_fmac_f64_e32 v[88:89], v[34:35], v[168:169]
	v_fmac_f64_e32 v[90:91], v[32:33], v[168:169]
	v_fmac_f64_e32 v[84:85], v[28:29], v[168:169]
	v_fmac_f64_e32 v[86:87], v[26:27], v[168:169]
	v_fmac_f64_e32 v[80:81], v[22:23], v[168:169]
	v_fmac_f64_e32 v[82:83], v[18:19], v[168:169]
	v_fmac_f64_e32 v[74:75], v[16:17], v[168:169]
	v_fmac_f64_e32 v[76:77], v[12:13], v[168:169]
	v_fmac_f64_e32 v[72:73], v[8:9], v[168:169]
	v_fmac_f64_e32 v[70:71], v[52:53], v[168:169]
	s_addc_u32 s9, s9, s15
	v_lshl_add_u64 v[4:5], v[4:5], 0, s[12:13]
	v_lshl_add_u64 v[6:7], v[6:7], 0, s[12:13]
	v_lshl_add_u64 v[10:11], v[10:11], 0, s[12:13]
	v_lshl_add_u64 v[14:15], v[14:15], 0, s[12:13]
	v_lshl_add_u64 v[20:21], v[20:21], 0, s[12:13]
	v_lshl_add_u64 v[24:25], v[24:25], 0, s[12:13]
	v_lshl_add_u64 v[30:31], v[30:31], 0, s[12:13]
	v_lshl_add_u64 v[36:37], v[36:37], 0, s[12:13]
	v_lshl_add_u64 v[40:41], v[40:41], 0, s[12:13]
	v_lshl_add_u64 v[46:47], v[46:47], 0, s[12:13]
	v_lshl_add_u64 v[56:57], v[56:57], 0, s[12:13]
	v_lshl_add_u64 v[58:59], v[58:59], 0, s[12:13]
	v_lshl_add_u64 v[62:63], v[62:63], 0, s[12:13]
	v_lshl_add_u64 v[64:65], v[64:65], 0, s[12:13]
	v_lshl_add_u64 v[66:67], v[66:67], 0, s[12:13]
	s_cmp_ge_i32 s28, s5
	v_lshl_add_u64 v[68:69], v[68:69], 0, s[12:13]
	s_waitcnt vmcnt(0)
	v_fmac_f64_e32 v[60:61], v[136:137], v[170:171]
	v_fmac_f64_e32 v[100:101], v[138:139], v[170:171]
	;; [unrolled: 1-line block ×16, first 2 shown]
	s_cbranch_scc1 .LBB94_8
; %bb.7:                                ;   in Loop: Header=BB94_4 Depth=1
	v_mov_b64_e32 v[54:55], v[104:105]
	v_mov_b64_e32 v[50:51], v[106:107]
	;; [unrolled: 1-line block ×16, first 2 shown]
	s_branch .LBB94_4
.LBB94_8:
	v_lshl_or_b32 v1, v175, 9, v2
	ds_write2st64_b64 v1, v[60:61], v[100:101] offset1:1
	ds_write2st64_b64 v1, v[96:97], v[98:99] offset0:2 offset1:3
	ds_write2st64_b64 v1, v[92:93], v[94:95] offset0:4 offset1:5
	;; [unrolled: 1-line block ×6, first 2 shown]
	ds_write_b64 v1, v[72:73] offset:7168
	v_lshlrev_b32_e32 v1, 3, v172
	v_lshlrev_b32_e32 v2, 9, v174
	s_movk_i32 s2, 0x1e00
	v_or3_b32 v1, v2, v1, s2
	v_cmp_eq_u32_e32 vcc, 0, v173
	ds_write_b64 v1, v[70:71]
	s_waitcnt lgkmcnt(0)
	s_barrier
	s_and_saveexec_b64 s[2:3], vcc
	s_cbranch_execz .LBB94_10
; %bb.9:
	v_lshlrev_b32_e32 v12, 6, v172
	v_add_u32_e32 v1, 1, v172
	v_and_or_b32 v1, v1, 63, v12
	v_lshlrev_b32_e32 v2, 3, v1
	v_add_u32_e32 v1, 2, v172
	v_or_b32_e32 v13, v0, v12
	v_and_or_b32 v1, v1, 63, v12
	v_lshlrev_b32_e32 v0, 3, v13
	v_lshlrev_b32_e32 v4, 3, v1
	v_add_u32_e32 v1, 3, v172
	s_load_dwordx2 s[8:9], s[0:1], 0x70
	s_load_dword s2, s[0:1], 0x68
	v_and_or_b32 v6, v1, 63, v12
	ds_read_b64 v[0:1], v0
	ds_read_b64 v[2:3], v2
	;; [unrolled: 1-line block ×3, first 2 shown]
	v_lshlrev_b32_e32 v6, 3, v6
	ds_read_b64 v[6:7], v6
	s_waitcnt lgkmcnt(0)
	v_add_f64 v[0:1], v[0:1], 0
	v_add_f64 v[0:1], v[0:1], v[2:3]
	v_add_u32_e32 v3, 5, v172
	v_and_or_b32 v3, v3, 63, v12
	v_add_f64 v[0:1], v[0:1], v[4:5]
	v_lshlrev_b32_e32 v4, 3, v3
	v_add_u32_e32 v3, 6, v172
	v_and_or_b32 v3, v3, 63, v12
	v_add_u32_e32 v2, 4, v172
	v_lshlrev_b32_e32 v8, 3, v3
	v_add_u32_e32 v3, 7, v172
	v_and_or_b32 v2, v2, 63, v12
	v_and_or_b32 v3, v3, 63, v12
	v_lshlrev_b32_e32 v2, 3, v2
	v_lshlrev_b32_e32 v10, 3, v3
	ds_read_b64 v[2:3], v2
	ds_read_b64 v[4:5], v4
	;; [unrolled: 1-line block ×4, first 2 shown]
	v_add_f64 v[0:1], v[0:1], v[6:7]
	s_waitcnt lgkmcnt(3)
	v_add_f64 v[0:1], v[0:1], v[2:3]
	v_add_u32_e32 v3, 9, v172
	v_and_or_b32 v3, v3, 63, v12
	s_waitcnt lgkmcnt(2)
	v_add_f64 v[0:1], v[0:1], v[4:5]
	v_add_u32_e32 v2, 8, v172
	v_lshlrev_b32_e32 v4, 3, v3
	v_add_u32_e32 v3, 10, v172
	v_and_or_b32 v2, v2, 63, v12
	v_and_or_b32 v3, v3, 63, v12
	v_lshlrev_b32_e32 v2, 3, v2
	v_lshlrev_b32_e32 v6, 3, v3
	v_add_u32_e32 v3, 11, v172
	s_waitcnt lgkmcnt(1)
	v_add_f64 v[0:1], v[0:1], v[8:9]
	v_and_or_b32 v8, v3, 63, v12
	ds_read_b64 v[2:3], v2
	ds_read_b64 v[4:5], v4
	;; [unrolled: 1-line block ×3, first 2 shown]
	s_waitcnt lgkmcnt(3)
	v_add_f64 v[0:1], v[0:1], v[10:11]
	v_lshlrev_b32_e32 v8, 3, v8
	s_waitcnt lgkmcnt(2)
	v_add_f64 v[0:1], v[0:1], v[2:3]
	v_add_u32_e32 v3, 13, v172
	v_and_or_b32 v3, v3, 63, v12
	s_waitcnt lgkmcnt(1)
	v_add_f64 v[0:1], v[0:1], v[4:5]
	v_lshlrev_b32_e32 v4, 3, v3
	v_add_u32_e32 v3, 14, v172
	ds_read_b64 v[8:9], v8
	v_and_or_b32 v3, v3, 63, v12
	s_waitcnt lgkmcnt(1)
	v_add_f64 v[0:1], v[0:1], v[6:7]
	v_add_u32_e32 v2, 12, v172
	v_lshlrev_b32_e32 v6, 3, v3
	v_add_u32_e32 v3, 15, v172
	v_and_or_b32 v2, v2, 63, v12
	v_and_or_b32 v3, v3, 63, v12
	v_lshlrev_b32_e32 v2, 3, v2
	v_lshlrev_b32_e32 v10, 3, v3
	ds_read_b64 v[2:3], v2
	ds_read_b64 v[4:5], v4
	;; [unrolled: 1-line block ×4, first 2 shown]
	s_waitcnt lgkmcnt(4)
	v_add_f64 v[0:1], v[0:1], v[8:9]
	s_waitcnt lgkmcnt(3)
	v_add_f64 v[0:1], v[0:1], v[2:3]
	v_add_u32_e32 v3, 17, v172
	v_and_or_b32 v3, v3, 63, v12
	s_waitcnt lgkmcnt(2)
	v_add_f64 v[0:1], v[0:1], v[4:5]
	v_add_u32_e32 v2, 16, v172
	v_lshlrev_b32_e32 v4, 3, v3
	v_add_u32_e32 v3, 18, v172
	v_and_or_b32 v2, v2, 63, v12
	v_and_or_b32 v3, v3, 63, v12
	s_waitcnt lgkmcnt(1)
	v_add_f64 v[0:1], v[0:1], v[6:7]
	v_lshlrev_b32_e32 v2, 3, v2
	v_lshlrev_b32_e32 v6, 3, v3
	v_add_u32_e32 v3, 19, v172
	v_and_or_b32 v8, v3, 63, v12
	ds_read_b64 v[2:3], v2
	ds_read_b64 v[4:5], v4
	;; [unrolled: 1-line block ×3, first 2 shown]
	s_waitcnt lgkmcnt(3)
	v_add_f64 v[0:1], v[0:1], v[10:11]
	v_lshlrev_b32_e32 v8, 3, v8
	s_waitcnt lgkmcnt(2)
	v_add_f64 v[0:1], v[0:1], v[2:3]
	v_add_u32_e32 v3, 21, v172
	v_and_or_b32 v3, v3, 63, v12
	s_waitcnt lgkmcnt(1)
	v_add_f64 v[0:1], v[0:1], v[4:5]
	v_lshlrev_b32_e32 v4, 3, v3
	v_add_u32_e32 v3, 22, v172
	ds_read_b64 v[8:9], v8
	v_and_or_b32 v3, v3, 63, v12
	s_waitcnt lgkmcnt(1)
	v_add_f64 v[0:1], v[0:1], v[6:7]
	v_add_u32_e32 v2, 20, v172
	v_lshlrev_b32_e32 v6, 3, v3
	v_add_u32_e32 v3, 23, v172
	v_and_or_b32 v2, v2, 63, v12
	v_and_or_b32 v3, v3, 63, v12
	v_lshlrev_b32_e32 v2, 3, v2
	v_lshlrev_b32_e32 v10, 3, v3
	ds_read_b64 v[2:3], v2
	ds_read_b64 v[4:5], v4
	;; [unrolled: 1-line block ×4, first 2 shown]
	s_waitcnt lgkmcnt(4)
	v_add_f64 v[0:1], v[0:1], v[8:9]
	s_waitcnt lgkmcnt(3)
	v_add_f64 v[0:1], v[0:1], v[2:3]
	v_add_u32_e32 v3, 25, v172
	v_and_or_b32 v3, v3, 63, v12
	s_waitcnt lgkmcnt(2)
	v_add_f64 v[0:1], v[0:1], v[4:5]
	v_add_u32_e32 v2, 24, v172
	v_lshlrev_b32_e32 v4, 3, v3
	v_add_u32_e32 v3, 26, v172
	v_and_or_b32 v2, v2, 63, v12
	v_and_or_b32 v3, v3, 63, v12
	s_waitcnt lgkmcnt(1)
	v_add_f64 v[0:1], v[0:1], v[6:7]
	v_lshlrev_b32_e32 v2, 3, v2
	v_lshlrev_b32_e32 v6, 3, v3
	v_add_u32_e32 v3, 27, v172
	v_and_or_b32 v8, v3, 63, v12
	ds_read_b64 v[2:3], v2
	ds_read_b64 v[4:5], v4
	;; [unrolled: 1-line block ×3, first 2 shown]
	s_waitcnt lgkmcnt(3)
	v_add_f64 v[0:1], v[0:1], v[10:11]
	v_lshlrev_b32_e32 v8, 3, v8
	s_waitcnt lgkmcnt(2)
	v_add_f64 v[0:1], v[0:1], v[2:3]
	v_add_u32_e32 v3, 29, v172
	v_and_or_b32 v3, v3, 63, v12
	s_waitcnt lgkmcnt(1)
	v_add_f64 v[0:1], v[0:1], v[4:5]
	v_lshlrev_b32_e32 v4, 3, v3
	v_add_u32_e32 v3, 30, v172
	ds_read_b64 v[8:9], v8
	v_and_or_b32 v3, v3, 63, v12
	s_waitcnt lgkmcnt(1)
	v_add_f64 v[0:1], v[0:1], v[6:7]
	v_add_u32_e32 v2, 28, v172
	v_lshlrev_b32_e32 v6, 3, v3
	v_add_u32_e32 v3, 31, v172
	v_and_or_b32 v2, v2, 63, v12
	v_and_or_b32 v3, v3, 63, v12
	v_lshlrev_b32_e32 v2, 3, v2
	v_lshlrev_b32_e32 v10, 3, v3
	ds_read_b64 v[2:3], v2
	ds_read_b64 v[4:5], v4
	;; [unrolled: 1-line block ×4, first 2 shown]
	s_waitcnt lgkmcnt(4)
	v_add_f64 v[0:1], v[0:1], v[8:9]
	s_waitcnt lgkmcnt(3)
	v_add_f64 v[0:1], v[0:1], v[2:3]
	v_add_u32_e32 v3, 33, v172
	v_and_or_b32 v3, v3, 63, v12
	s_waitcnt lgkmcnt(2)
	v_add_f64 v[0:1], v[0:1], v[4:5]
	v_lshlrev_b32_e32 v4, 3, v3
	v_add_u32_e32 v3, 34, v172
	v_xor_b32_e32 v2, 32, v13
	v_and_or_b32 v3, v3, 63, v12
	s_waitcnt lgkmcnt(1)
	v_add_f64 v[0:1], v[0:1], v[6:7]
	v_lshlrev_b32_e32 v2, 3, v2
	v_lshlrev_b32_e32 v6, 3, v3
	v_add_u32_e32 v3, 35, v172
	v_and_or_b32 v8, v3, 63, v12
	ds_read_b64 v[2:3], v2
	ds_read_b64 v[4:5], v4
	ds_read_b64 v[6:7], v6
	s_waitcnt lgkmcnt(3)
	v_add_f64 v[0:1], v[0:1], v[10:11]
	v_lshlrev_b32_e32 v8, 3, v8
	s_waitcnt lgkmcnt(2)
	v_add_f64 v[0:1], v[0:1], v[2:3]
	v_add_u32_e32 v3, 37, v172
	v_and_or_b32 v3, v3, 63, v12
	s_waitcnt lgkmcnt(1)
	v_add_f64 v[0:1], v[0:1], v[4:5]
	v_lshlrev_b32_e32 v4, 3, v3
	v_add_u32_e32 v3, 38, v172
	ds_read_b64 v[8:9], v8
	v_and_or_b32 v3, v3, 63, v12
	s_waitcnt lgkmcnt(1)
	v_add_f64 v[0:1], v[0:1], v[6:7]
	v_add_u32_e32 v2, 36, v172
	v_lshlrev_b32_e32 v6, 3, v3
	v_add_u32_e32 v3, 39, v172
	v_and_or_b32 v2, v2, 63, v12
	v_and_or_b32 v3, v3, 63, v12
	v_lshlrev_b32_e32 v2, 3, v2
	v_lshlrev_b32_e32 v10, 3, v3
	ds_read_b64 v[2:3], v2
	ds_read_b64 v[4:5], v4
	ds_read_b64 v[6:7], v6
	ds_read_b64 v[10:11], v10
	s_waitcnt lgkmcnt(4)
	v_add_f64 v[0:1], v[0:1], v[8:9]
	s_waitcnt lgkmcnt(3)
	v_add_f64 v[0:1], v[0:1], v[2:3]
	v_add_u32_e32 v3, 41, v172
	v_and_or_b32 v3, v3, 63, v12
	s_waitcnt lgkmcnt(2)
	v_add_f64 v[0:1], v[0:1], v[4:5]
	v_add_u32_e32 v2, 40, v172
	v_lshlrev_b32_e32 v4, 3, v3
	v_add_u32_e32 v3, 42, v172
	v_and_or_b32 v2, v2, 63, v12
	v_and_or_b32 v3, v3, 63, v12
	s_waitcnt lgkmcnt(1)
	v_add_f64 v[0:1], v[0:1], v[6:7]
	v_lshlrev_b32_e32 v2, 3, v2
	v_lshlrev_b32_e32 v6, 3, v3
	v_add_u32_e32 v3, 43, v172
	v_and_or_b32 v8, v3, 63, v12
	ds_read_b64 v[2:3], v2
	ds_read_b64 v[4:5], v4
	ds_read_b64 v[6:7], v6
	s_waitcnt lgkmcnt(3)
	v_add_f64 v[0:1], v[0:1], v[10:11]
	v_lshlrev_b32_e32 v8, 3, v8
	s_waitcnt lgkmcnt(2)
	v_add_f64 v[0:1], v[0:1], v[2:3]
	v_add_u32_e32 v3, 45, v172
	v_and_or_b32 v3, v3, 63, v12
	s_waitcnt lgkmcnt(1)
	v_add_f64 v[0:1], v[0:1], v[4:5]
	v_lshlrev_b32_e32 v4, 3, v3
	v_add_u32_e32 v3, 46, v172
	ds_read_b64 v[8:9], v8
	v_and_or_b32 v3, v3, 63, v12
	s_waitcnt lgkmcnt(1)
	v_add_f64 v[0:1], v[0:1], v[6:7]
	v_add_u32_e32 v2, 44, v172
	v_lshlrev_b32_e32 v6, 3, v3
	v_add_u32_e32 v3, 47, v172
	v_and_or_b32 v2, v2, 63, v12
	v_and_or_b32 v3, v3, 63, v12
	v_lshlrev_b32_e32 v2, 3, v2
	v_lshlrev_b32_e32 v10, 3, v3
	ds_read_b64 v[2:3], v2
	ds_read_b64 v[4:5], v4
	ds_read_b64 v[6:7], v6
	ds_read_b64 v[10:11], v10
	s_waitcnt lgkmcnt(4)
	v_add_f64 v[0:1], v[0:1], v[8:9]
	s_waitcnt lgkmcnt(3)
	v_add_f64 v[0:1], v[0:1], v[2:3]
	v_add_u32_e32 v3, 49, v172
	v_and_or_b32 v3, v3, 63, v12
	s_waitcnt lgkmcnt(2)
	v_add_f64 v[0:1], v[0:1], v[4:5]
	v_add_u32_e32 v2, 48, v172
	v_lshlrev_b32_e32 v4, 3, v3
	v_add_u32_e32 v3, 50, v172
	v_and_or_b32 v2, v2, 63, v12
	;; [unrolled: 48-line block ×3, first 2 shown]
	v_and_or_b32 v3, v3, 63, v12
	s_waitcnt lgkmcnt(1)
	v_add_f64 v[0:1], v[0:1], v[6:7]
	v_lshlrev_b32_e32 v2, 3, v2
	v_lshlrev_b32_e32 v6, 3, v3
	v_add_u32_e32 v3, 59, v172
	v_and_or_b32 v8, v3, 63, v12
	ds_read_b64 v[2:3], v2
	ds_read_b64 v[4:5], v4
	;; [unrolled: 1-line block ×3, first 2 shown]
	s_waitcnt lgkmcnt(3)
	v_add_f64 v[0:1], v[0:1], v[10:11]
	v_lshlrev_b32_e32 v8, 3, v8
	s_waitcnt lgkmcnt(2)
	v_add_f64 v[0:1], v[0:1], v[2:3]
	v_add_u32_e32 v3, 61, v172
	v_and_or_b32 v3, v3, 63, v12
	s_waitcnt lgkmcnt(1)
	v_add_f64 v[0:1], v[0:1], v[4:5]
	v_lshlrev_b32_e32 v4, 3, v3
	v_add_u32_e32 v3, 62, v172
	s_mul_i32 s1, s4, s9
	s_mul_hi_u32 s3, s4, s8
	ds_read_b64 v[8:9], v8
	v_and_or_b32 v3, v3, 63, v12
	s_mul_i32 s0, s4, s8
	s_add_i32 s1, s3, s1
	s_waitcnt lgkmcnt(1)
	v_add_f64 v[0:1], v[0:1], v[6:7]
	v_add_u32_e32 v2, 60, v172
	v_lshlrev_b32_e32 v6, 3, v3
	v_add_u32_e32 v3, -1, v172
	s_lshl_b64 s[0:1], s[0:1], 3
	v_and_or_b32 v2, v2, 63, v12
	v_and_or_b32 v3, v3, 63, v12
	s_add_u32 s3, s10, s0
	v_lshlrev_b32_e32 v2, 3, v2
	v_lshlrev_b32_e32 v10, 3, v3
	s_addc_u32 s4, s11, s1
	s_lshl_b64 s[0:1], s[18:19], 3
	ds_read_b64 v[2:3], v2
	ds_read_b64 v[4:5], v4
	;; [unrolled: 1-line block ×4, first 2 shown]
	s_add_u32 s3, s3, s0
	s_waitcnt lgkmcnt(4)
	v_add_f64 v[0:1], v[0:1], v[8:9]
	s_addc_u32 s4, s4, s1
	s_mul_hi_i32 s1, s2, s16
	s_mul_i32 s0, s2, s16
	s_waitcnt lgkmcnt(3)
	v_add_f64 v[0:1], v[0:1], v[2:3]
	s_lshl_b64 s[0:1], s[0:1], 3
	s_waitcnt lgkmcnt(2)
	v_add_f64 v[0:1], v[0:1], v[4:5]
	s_add_u32 s0, s3, s0
	s_waitcnt lgkmcnt(1)
	v_add_f64 v[0:1], v[0:1], v[6:7]
	s_addc_u32 s1, s4, s1
	s_waitcnt lgkmcnt(0)
	v_add_f64 v[0:1], v[0:1], v[10:11]
	v_mad_i64_i32 v[2:3], s[2:3], s2, v172, 0
	v_lshl_add_u64 v[2:3], v[2:3], 3, s[0:1]
	v_mul_f64 v[0:1], s[6:7], v[0:1]
	global_atomic_add_f64 v[2:3], v[0:1], off
.LBB94_10:
	s_endpgm
	.section	.rodata,"a",@progbits
	.p2align	6, 0x0
	.amdhsa_kernel _ZL36rocblas_gemvt_double_buffered_kernelILb1ELi128ELi4ELi16EdPKddEviiT4_lPKT3_lilS5_lilPT5_lili
		.amdhsa_group_segment_fixed_size 65536
		.amdhsa_private_segment_fixed_size 0
		.amdhsa_kernarg_size 384
		.amdhsa_user_sgpr_count 2
		.amdhsa_user_sgpr_dispatch_ptr 0
		.amdhsa_user_sgpr_queue_ptr 0
		.amdhsa_user_sgpr_kernarg_segment_ptr 1
		.amdhsa_user_sgpr_dispatch_id 0
		.amdhsa_user_sgpr_kernarg_preload_length 0
		.amdhsa_user_sgpr_kernarg_preload_offset 0
		.amdhsa_user_sgpr_private_segment_size 0
		.amdhsa_uses_dynamic_stack 0
		.amdhsa_enable_private_segment 0
		.amdhsa_system_sgpr_workgroup_id_x 1
		.amdhsa_system_sgpr_workgroup_id_y 1
		.amdhsa_system_sgpr_workgroup_id_z 1
		.amdhsa_system_sgpr_workgroup_info 0
		.amdhsa_system_vgpr_workitem_id 1
		.amdhsa_next_free_vgpr 176
		.amdhsa_next_free_sgpr 40
		.amdhsa_accum_offset 176
		.amdhsa_reserve_vcc 1
		.amdhsa_float_round_mode_32 0
		.amdhsa_float_round_mode_16_64 0
		.amdhsa_float_denorm_mode_32 3
		.amdhsa_float_denorm_mode_16_64 3
		.amdhsa_dx10_clamp 1
		.amdhsa_ieee_mode 1
		.amdhsa_fp16_overflow 0
		.amdhsa_tg_split 0
		.amdhsa_exception_fp_ieee_invalid_op 0
		.amdhsa_exception_fp_denorm_src 0
		.amdhsa_exception_fp_ieee_div_zero 0
		.amdhsa_exception_fp_ieee_overflow 0
		.amdhsa_exception_fp_ieee_underflow 0
		.amdhsa_exception_fp_ieee_inexact 0
		.amdhsa_exception_int_div_zero 0
	.end_amdhsa_kernel
	.section	.text._ZL36rocblas_gemvt_double_buffered_kernelILb1ELi128ELi4ELi16EdPKddEviiT4_lPKT3_lilS5_lilPT5_lili,"axG",@progbits,_ZL36rocblas_gemvt_double_buffered_kernelILb1ELi128ELi4ELi16EdPKddEviiT4_lPKT3_lilS5_lilPT5_lili,comdat
.Lfunc_end94:
	.size	_ZL36rocblas_gemvt_double_buffered_kernelILb1ELi128ELi4ELi16EdPKddEviiT4_lPKT3_lilS5_lilPT5_lili, .Lfunc_end94-_ZL36rocblas_gemvt_double_buffered_kernelILb1ELi128ELi4ELi16EdPKddEviiT4_lPKT3_lilS5_lilPT5_lili
                                        ; -- End function
	.section	.AMDGPU.csdata,"",@progbits
; Kernel info:
; codeLenInByte = 5524
; NumSgprs: 46
; NumVgprs: 176
; NumAgprs: 0
; TotalNumVgprs: 176
; ScratchSize: 0
; MemoryBound: 0
; FloatMode: 240
; IeeeMode: 1
; LDSByteSize: 65536 bytes/workgroup (compile time only)
; SGPRBlocks: 5
; VGPRBlocks: 21
; NumSGPRsForWavesPerEU: 46
; NumVGPRsForWavesPerEU: 176
; AccumOffset: 176
; Occupancy: 2
; WaveLimiterHint : 0
; COMPUTE_PGM_RSRC2:SCRATCH_EN: 0
; COMPUTE_PGM_RSRC2:USER_SGPR: 2
; COMPUTE_PGM_RSRC2:TRAP_HANDLER: 0
; COMPUTE_PGM_RSRC2:TGID_X_EN: 1
; COMPUTE_PGM_RSRC2:TGID_Y_EN: 1
; COMPUTE_PGM_RSRC2:TGID_Z_EN: 1
; COMPUTE_PGM_RSRC2:TIDIG_COMP_CNT: 1
; COMPUTE_PGM_RSRC3_GFX90A:ACCUM_OFFSET: 43
; COMPUTE_PGM_RSRC3_GFX90A:TG_SPLIT: 0
	.section	.text._ZL36rocblas_gemvt_double_buffered_kernelILb1ELi128ELi4ELi16EdddEviiT4_lPKT3_lilS3_lilPT5_lili,"axG",@progbits,_ZL36rocblas_gemvt_double_buffered_kernelILb1ELi128ELi4ELi16EdddEviiT4_lPKT3_lilS3_lilPT5_lili,comdat
	.globl	_ZL36rocblas_gemvt_double_buffered_kernelILb1ELi128ELi4ELi16EdddEviiT4_lPKT3_lilS3_lilPT5_lili ; -- Begin function _ZL36rocblas_gemvt_double_buffered_kernelILb1ELi128ELi4ELi16EdddEviiT4_lPKT3_lilS3_lilPT5_lili
	.p2align	8
	.type	_ZL36rocblas_gemvt_double_buffered_kernelILb1ELi128ELi4ELi16EdddEviiT4_lPKT3_lilS3_lilPT5_lili,@function
_ZL36rocblas_gemvt_double_buffered_kernelILb1ELi128ELi4ELi16EdddEviiT4_lPKT3_lilS3_lilPT5_lili: ; @_ZL36rocblas_gemvt_double_buffered_kernelILb1ELi128ELi4ELi16EdddEviiT4_lPKT3_lilS3_lilPT5_lili
; %bb.0:
	s_load_dwordx2 s[6:7], s[0:1], 0x8
	s_waitcnt lgkmcnt(0)
	v_cmp_eq_f64_e64 s[8:9], s[6:7], 0
	s_and_b64 vcc, exec, s[8:9]
	s_cbranch_vccnz .LBB95_10
; %bb.1:
	s_load_dword s5, s[0:1], 0x84
	s_load_dword s8, s[0:1], 0x0
	s_waitcnt lgkmcnt(0)
	v_cvt_f32_u32_e32 v1, s5
	s_ashr_i32 s9, s8, 31
	s_lshr_b32 s9, s9, 25
	s_sub_i32 s10, 0, s5
	v_rcp_iflag_f32_e32 v1, v1
	s_add_i32 s8, s8, s9
	s_ashr_i32 s8, s8, 7
	v_mul_f32_e32 v1, 0x4f7ffffe, v1
	v_cvt_u32_f32_e32 v1, v1
	s_nop 0
	v_readfirstlane_b32 s9, v1
	s_mul_i32 s10, s10, s9
	s_mul_hi_u32 s10, s9, s10
	s_add_i32 s9, s9, s10
	s_mul_hi_u32 s9, s8, s9
	s_mul_i32 s10, s9, s5
	s_sub_i32 s10, s8, s10
	s_add_i32 s11, s9, 1
	s_sub_i32 s12, s10, s5
	s_cmp_ge_u32 s10, s5
	s_cselect_b32 s9, s11, s9
	s_cselect_b32 s10, s12, s10
	s_add_i32 s11, s9, 1
	s_cmp_ge_u32 s10, s5
	s_cselect_b32 s30, s11, s9
	s_mul_i32 s5, s30, s5
	s_sub_i32 s29, s8, s5
	s_cmp_lt_u32 s3, s29
	s_cselect_b64 s[8:9], -1, 0
	s_cmp_lg_u64 s[8:9], 0
	s_addc_u32 s5, s30, 0
	s_cmp_eq_u32 s5, 0
	s_cbranch_scc1 .LBB95_10
; %bb.2:
	s_load_dwordx4 s[8:11], s[0:1], 0x50
	s_load_dwordx2 s[16:17], s[0:1], 0x60
	v_and_b32_e32 v172, 0x3ff, v0
	v_bfe_u32 v173, v0, 10, 10
	s_lshl_b32 s18, s2, 7
	v_lshl_add_u32 v4, v173, 7, v172
	v_and_b32_e32 v0, 63, v172
	s_ashr_i32 s19, s18, 31
	v_lshrrev_b32_e32 v174, 2, v4
	v_mov_b64_e32 v[70:71], 0
	v_and_b32_e32 v175, 0x7ff0, v174
	s_cmp_lt_i32 s5, 1
	v_lshlrev_b32_e32 v2, 3, v0
	v_mov_b64_e32 v[72:73], v[70:71]
	v_mov_b64_e32 v[76:77], v[70:71]
	v_mov_b64_e32 v[74:75], v[70:71]
	v_mov_b64_e32 v[82:83], v[70:71]
	v_mov_b64_e32 v[80:81], v[70:71]
	v_mov_b64_e32 v[86:87], v[70:71]
	v_mov_b64_e32 v[84:85], v[70:71]
	v_mov_b64_e32 v[90:91], v[70:71]
	v_mov_b64_e32 v[88:89], v[70:71]
	v_mov_b64_e32 v[94:95], v[70:71]
	v_mov_b64_e32 v[92:93], v[70:71]
	v_mov_b64_e32 v[98:99], v[70:71]
	v_mov_b64_e32 v[96:97], v[70:71]
	v_mov_b64_e32 v[100:101], v[70:71]
	v_mov_b64_e32 v[60:61], v[70:71]
	s_cbranch_scc1 .LBB95_8
; %bb.3:
	s_load_dword s22, s[0:1], 0x28
	s_load_dwordx4 s[12:15], s[0:1], 0x18
	s_load_dwordx4 s[36:39], s[0:1], 0x30
	s_load_dwordx2 s[34:35], s[0:1], 0x40
	s_load_dword s20, s[0:1], 0x48
	v_mov_b32_e32 v1, 0
	s_waitcnt lgkmcnt(0)
	v_mad_i64_i32 v[6:7], s[24:25], s22, v175, v[0:1]
	s_mul_i32 s2, s4, s37
	s_mul_hi_u32 s24, s4, s36
	s_add_i32 s25, s24, s2
	s_mul_i32 s24, s4, s36
	s_ashr_i32 s23, s22, 31
	s_ashr_i32 s21, s20, 31
	s_lshl_b64 s[24:25], s[24:25], 3
	s_add_u32 s2, s12, s24
	s_addc_u32 s31, s13, s25
	s_lshl_b64 s[26:27], s[14:15], 3
	s_add_u32 s14, s2, s26
	s_mul_i32 s2, s4, s9
	s_mul_hi_u32 s9, s4, s8
	s_addc_u32 s15, s31, s27
	s_add_i32 s9, s9, s2
	s_mul_i32 s8, s4, s8
	s_lshl_b64 s[8:9], s[8:9], 3
	s_mul_i32 s30, s30, s3
	v_cvt_f64_i32_e32 v[10:11], s3
	v_cvt_f64_u32_e32 v[12:13], s29
	s_add_u32 s2, s38, s8
	v_cvt_f64_u32_e32 v[8:9], s30
	v_min_f64 v[10:11], v[10:11], v[12:13]
	s_addc_u32 s31, s39, s9
	s_lshl_b64 s[8:9], s[34:35], 3
	v_add_f64 v[8:9], v[10:11], v[8:9]
	s_add_u32 s8, s2, s8
	v_cvt_i32_f64_e32 v3, v[8:9]
	s_mul_hi_i32 s3, s22, s18
	s_mul_i32 s2, s22, s18
	s_addc_u32 s9, s31, s9
	s_lshl_b64 s[2:3], s[2:3], 3
	v_lshlrev_b32_e32 v8, 7, v3
	s_add_u32 s2, s14, s2
	v_ashrrev_i32_e32 v9, 31, v8
	s_addc_u32 s3, s15, s3
	v_lshlrev_b64 v[60:61], 3, v[8:9]
	v_lshl_add_u64 v[8:9], s[2:3], 0, v[60:61]
	v_lshl_add_u64 v[6:7], v[6:7], 3, v[8:9]
	v_mov_b32_e32 v3, 0x78
	v_mad_i64_i32 v[10:11], s[2:3], s22, v3, v[6:7]
	s_lshl_b64 s[2:3], s[22:23], 3
	s_nop 0
	v_mov_b32_e32 v3, s3
	v_subrev_co_u32_e32 v12, vcc, s2, v10
	v_lshlrev_b32_e32 v4, 1, v4
	s_nop 0
	v_subb_co_u32_e32 v13, vcc, v11, v3, vcc
	v_subrev_co_u32_e32 v14, vcc, s2, v12
	global_load_dwordx2 v[8:9], v[12:13], off
	s_nop 0
	v_subb_co_u32_e32 v15, vcc, v13, v3, vcc
	global_load_dwordx2 v[12:13], v[14:15], off
	v_subrev_co_u32_e32 v14, vcc, s2, v14
	v_and_b32_e32 v4, 0x7ff80, v4
	s_nop 0
	v_subb_co_u32_e32 v15, vcc, v15, v3, vcc
	global_load_dwordx2 v[16:17], v[14:15], off
	v_subrev_co_u32_e32 v14, vcc, s2, v14
	v_mov_b32_e32 v5, v1
	s_nop 0
	v_subb_co_u32_e32 v15, vcc, v15, v3, vcc
	global_load_dwordx2 v[18:19], v[14:15], off
	v_subrev_co_u32_e32 v14, vcc, s2, v14
	v_lshl_add_u64 v[70:71], s[18:19], 3, v[4:5]
	s_nop 0
	v_subb_co_u32_e32 v15, vcc, v15, v3, vcc
	global_load_dwordx2 v[22:23], v[14:15], off
	v_subrev_co_u32_e32 v14, vcc, s2, v14
	v_lshl_add_u64 v[4:5], v[70:71], 0, 8
	s_nop 0
	v_subb_co_u32_e32 v15, vcc, v15, v3, vcc
	global_load_dwordx2 v[26:27], v[14:15], off
	v_subrev_co_u32_e32 v14, vcc, s2, v14
	s_lshl_b64 s[14:15], s[20:21], 10
	s_nop 0
	v_subb_co_u32_e32 v15, vcc, v15, v3, vcc
	global_load_dwordx2 v[28:29], v[14:15], off
	v_subrev_co_u32_e32 v14, vcc, s2, v14
	s_mov_b32 s28, 0
	s_nop 0
	v_subb_co_u32_e32 v15, vcc, v15, v3, vcc
	global_load_dwordx2 v[32:33], v[14:15], off
	v_subrev_co_u32_e32 v14, vcc, s2, v14
	s_add_i32 s29, s5, -1
	s_nop 0
	v_subb_co_u32_e32 v15, vcc, v15, v3, vcc
	global_load_dwordx2 v[34:35], v[14:15], off
	v_subrev_co_u32_e32 v14, vcc, s2, v14
	s_waitcnt vmcnt(8)
	v_mov_b64_e32 v[132:133], v[8:9]
	v_subb_co_u32_e32 v15, vcc, v15, v3, vcc
	global_load_dwordx2 v[38:39], v[14:15], off
	v_subrev_co_u32_e32 v14, vcc, s2, v14
	s_waitcnt vmcnt(8)
	v_mov_b64_e32 v[130:131], v[12:13]
	;; [unrolled: 5-line block ×5, first 2 shown]
	v_subb_co_u32_e32 v15, vcc, v15, v3, vcc
	global_load_dwordx2 v[50:51], v[14:15], off
	global_load_dwordx2 v[52:53], v[10:11], off
	;; [unrolled: 1-line block ×3, first 2 shown]
	v_lshl_add_u64 v[6:7], s[12:13], 0, v[60:61]
	v_lshl_add_u64 v[6:7], v[6:7], 0, s[26:27]
	;; [unrolled: 1-line block ×3, first 2 shown]
	v_mov_b32_e32 v3, v1
	v_mad_u64_u32 v[6:7], s[12:13], v4, s22, v[68:69]
	v_mul_lo_u32 v1, v4, s23
	v_mul_lo_u32 v4, v5, s22
	v_add3_u32 v7, v4, v7, v1
	s_mov_b64 s[12:13], 0x400
	v_lshl_add_u64 v[4:5], v[6:7], 0, s[12:13]
	v_lshl_add_u64 v[6:7], v[70:71], 0, 16
	v_mad_u64_u32 v[10:11], s[24:25], v6, s22, v[68:69]
	v_mul_lo_u32 v1, v6, s23
	v_mul_lo_u32 v6, v7, s22
	v_add3_u32 v11, v6, v11, v1
	v_lshl_add_u64 v[6:7], v[10:11], 0, s[12:13]
	v_lshl_add_u64 v[10:11], v[70:71], 0, 24
	v_mad_u64_u32 v[14:15], s[24:25], v10, s22, v[68:69]
	v_mul_lo_u32 v1, v10, s23
	v_mul_lo_u32 v10, v11, s22
	v_add3_u32 v15, v10, v15, v1
	;; [unrolled: 6-line block ×7, first 2 shown]
	s_mov_b64 s[24:25], 0x48
	v_lshl_add_u64 v[36:37], v[40:41], 0, s[12:13]
	v_lshl_add_u64 v[40:41], v[70:71], 0, s[24:25]
	v_mad_u64_u32 v[46:47], s[24:25], v40, s22, v[68:69]
	v_mul_lo_u32 v1, v40, s23
	v_mul_lo_u32 v40, v41, s22
	v_add3_u32 v47, v40, v47, v1
	s_mov_b64 s[24:25], 0x50
	v_lshl_add_u64 v[40:41], v[46:47], 0, s[12:13]
	v_lshl_add_u64 v[46:47], v[70:71], 0, s[24:25]
	v_mad_u64_u32 v[56:57], s[24:25], v46, s22, v[68:69]
	v_mul_lo_u32 v1, v46, s23
	v_mul_lo_u32 v46, v47, s22
	v_add3_u32 v57, v46, v57, v1
	;; [unrolled: 7-line block ×7, first 2 shown]
	v_mad_u64_u32 v[68:69], s[24:25], v70, s22, v[68:69]
	v_mul_lo_u32 v1, v70, s23
	v_mul_lo_u32 v70, v71, s22
	v_add3_u32 v69, v70, v69, v1
	v_or_b32_e32 v1, v60, v2
	v_mul_lo_u32 v60, v61, s20
	v_mul_lo_u32 v61, v1, s21
	v_mad_u64_u32 v[78:79], s[22:23], v1, s20, 0
	v_or_b32_e32 v1, 0x200, v1
	v_add3_u32 v79, v79, v61, v60
	v_mul_lo_u32 v61, v1, s21
	v_mad_u64_u32 v[102:103], s[20:21], v1, s20, 0
	v_add3_u32 v103, v103, v61, v60
	v_mov_b64_e32 v[60:61], 0
	v_lshl_add_u64 v[66:67], v[72:73], 0, s[12:13]
	s_mov_b64 s[20:21], 0x200
	v_mov_b64_e32 v[100:101], v[60:61]
	v_mov_b64_e32 v[96:97], v[60:61]
	;; [unrolled: 1-line block ×15, first 2 shown]
	s_waitcnt vmcnt(0)
	v_mov_b64_e32 v[104:105], v[54:55]
	v_mov_b64_e32 v[106:107], v[50:51]
	;; [unrolled: 1-line block ×11, first 2 shown]
.LBB95_4:                               ; =>This Inner Loop Header: Depth=1
	v_lshl_add_u64 v[170:171], v[68:69], 0, v[2:3]
	v_lshl_add_u64 v[136:137], v[170:171], 0, s[20:21]
	v_lshl_add_u64 v[138:139], v[136:137], 0, s[2:3]
	v_lshl_add_u64 v[140:141], v[138:139], 0, s[2:3]
	v_lshl_add_u64 v[144:145], v[140:141], 0, s[2:3]
	v_lshl_add_u64 v[146:147], v[144:145], 0, s[2:3]
	v_lshl_add_u64 v[148:149], v[146:147], 0, s[2:3]
	v_lshl_add_u64 v[150:151], v[148:149], 0, s[2:3]
	v_lshl_add_u64 v[152:153], v[150:151], 0, s[2:3]
	v_lshl_add_u64 v[154:155], v[152:153], 0, s[2:3]
	v_lshl_add_u64 v[156:157], v[154:155], 0, s[2:3]
	v_lshl_add_u64 v[158:159], v[156:157], 0, s[2:3]
	v_lshl_add_u64 v[160:161], v[158:159], 0, s[2:3]
	v_lshl_add_u64 v[162:163], v[160:161], 0, s[2:3]
	v_lshl_add_u64 v[164:165], v[162:163], 0, s[2:3]
	global_load_dwordx2 v[136:137], v[170:171], off offset:512
	s_nop 0
	global_load_dwordx2 v[138:139], v[138:139], off
	s_nop 0
	global_load_dwordx2 v[140:141], v[140:141], off
	;; [unrolled: 2-line block ×3, first 2 shown]
	v_lshl_add_u64 v[166:167], v[164:165], 0, s[2:3]
	global_load_dwordx2 v[144:145], v[146:147], off
	v_lshl_add_u64 v[168:169], s[8:9], 0, v[78:79]
	global_load_dwordx2 v[146:147], v[148:149], off
	s_cmp_lg_u32 s29, s28
	global_load_dwordx2 v[148:149], v[150:151], off
	s_nop 0
	global_load_dwordx2 v[150:151], v[152:153], off
	s_nop 0
	;; [unrolled: 2-line block ×8, first 2 shown]
	global_load_dwordx2 v[164:165], v[166:167], off
	v_lshl_add_u64 v[166:167], v[166:167], 0, s[2:3]
	global_load_dwordx2 v[166:167], v[166:167], off
	s_nop 0
	global_load_dwordx2 v[168:169], v[168:169], off
	s_cbranch_scc0 .LBB95_6
; %bb.5:                                ;   in Loop: Header=BB95_4 Depth=1
	v_lshl_add_u64 v[106:107], v[4:5], 0, v[2:3]
	v_lshl_add_u64 v[108:109], v[6:7], 0, v[2:3]
	v_lshl_add_u64 v[110:111], v[10:11], 0, v[2:3]
	v_lshl_add_u64 v[112:113], v[14:15], 0, v[2:3]
	v_lshl_add_u64 v[114:115], v[20:21], 0, v[2:3]
	v_lshl_add_u64 v[116:117], v[24:25], 0, v[2:3]
	v_lshl_add_u64 v[118:119], v[30:31], 0, v[2:3]
	v_lshl_add_u64 v[120:121], v[36:37], 0, v[2:3]
	v_lshl_add_u64 v[122:123], v[40:41], 0, v[2:3]
	v_lshl_add_u64 v[124:125], v[46:47], 0, v[2:3]
	v_lshl_add_u64 v[126:127], v[56:57], 0, v[2:3]
	v_lshl_add_u64 v[128:129], v[58:59], 0, v[2:3]
	v_lshl_add_u64 v[130:131], v[62:63], 0, v[2:3]
	v_lshl_add_u64 v[132:133], v[64:65], 0, v[2:3]
	v_lshl_add_u64 v[134:135], v[66:67], 0, v[2:3]
	global_load_dwordx2 v[104:105], v[170:171], off offset:1024
	s_nop 0
	global_load_dwordx2 v[106:107], v[106:107], off
	s_nop 0
	global_load_dwordx2 v[108:109], v[108:109], off
	;; [unrolled: 2-line block ×15, first 2 shown]
.LBB95_6:                               ;   in Loop: Header=BB95_4 Depth=1
	v_lshl_add_u64 v[170:171], s[8:9], 0, v[102:103]
	global_load_dwordx2 v[170:171], v[170:171], off
	s_add_i32 s28, s28, 1
	s_add_u32 s8, s8, s14
	s_waitcnt vmcnt(1)
	v_fmac_f64_e32 v[60:61], v[54:55], v[168:169]
	v_fmac_f64_e32 v[100:101], v[50:51], v[168:169]
	;; [unrolled: 1-line block ×16, first 2 shown]
	s_addc_u32 s9, s9, s15
	v_lshl_add_u64 v[4:5], v[4:5], 0, s[12:13]
	v_lshl_add_u64 v[6:7], v[6:7], 0, s[12:13]
	;; [unrolled: 1-line block ×15, first 2 shown]
	s_cmp_ge_i32 s28, s5
	v_lshl_add_u64 v[68:69], v[68:69], 0, s[12:13]
	s_waitcnt vmcnt(0)
	v_fmac_f64_e32 v[60:61], v[136:137], v[170:171]
	v_fmac_f64_e32 v[100:101], v[138:139], v[170:171]
	;; [unrolled: 1-line block ×16, first 2 shown]
	s_cbranch_scc1 .LBB95_8
; %bb.7:                                ;   in Loop: Header=BB95_4 Depth=1
	v_mov_b64_e32 v[54:55], v[104:105]
	v_mov_b64_e32 v[50:51], v[106:107]
	;; [unrolled: 1-line block ×16, first 2 shown]
	s_branch .LBB95_4
.LBB95_8:
	v_lshl_or_b32 v1, v175, 9, v2
	ds_write2st64_b64 v1, v[60:61], v[100:101] offset1:1
	ds_write2st64_b64 v1, v[96:97], v[98:99] offset0:2 offset1:3
	ds_write2st64_b64 v1, v[92:93], v[94:95] offset0:4 offset1:5
	ds_write2st64_b64 v1, v[88:89], v[90:91] offset0:6 offset1:7
	ds_write2st64_b64 v1, v[84:85], v[86:87] offset0:8 offset1:9
	ds_write2st64_b64 v1, v[80:81], v[82:83] offset0:10 offset1:11
	ds_write2st64_b64 v1, v[74:75], v[76:77] offset0:12 offset1:13
	ds_write_b64 v1, v[72:73] offset:7168
	v_lshlrev_b32_e32 v1, 3, v172
	v_lshlrev_b32_e32 v2, 9, v174
	s_movk_i32 s2, 0x1e00
	v_or3_b32 v1, v2, v1, s2
	v_cmp_eq_u32_e32 vcc, 0, v173
	ds_write_b64 v1, v[70:71]
	s_waitcnt lgkmcnt(0)
	s_barrier
	s_and_saveexec_b64 s[2:3], vcc
	s_cbranch_execz .LBB95_10
; %bb.9:
	v_lshlrev_b32_e32 v12, 6, v172
	v_add_u32_e32 v1, 1, v172
	v_and_or_b32 v1, v1, 63, v12
	v_lshlrev_b32_e32 v2, 3, v1
	v_add_u32_e32 v1, 2, v172
	v_or_b32_e32 v13, v0, v12
	v_and_or_b32 v1, v1, 63, v12
	v_lshlrev_b32_e32 v0, 3, v13
	v_lshlrev_b32_e32 v4, 3, v1
	v_add_u32_e32 v1, 3, v172
	s_load_dwordx2 s[8:9], s[0:1], 0x70
	s_load_dword s2, s[0:1], 0x68
	v_and_or_b32 v6, v1, 63, v12
	ds_read_b64 v[0:1], v0
	ds_read_b64 v[2:3], v2
	;; [unrolled: 1-line block ×3, first 2 shown]
	v_lshlrev_b32_e32 v6, 3, v6
	ds_read_b64 v[6:7], v6
	s_waitcnt lgkmcnt(0)
	v_add_f64 v[0:1], v[0:1], 0
	v_add_f64 v[0:1], v[0:1], v[2:3]
	v_add_u32_e32 v3, 5, v172
	v_and_or_b32 v3, v3, 63, v12
	v_add_f64 v[0:1], v[0:1], v[4:5]
	v_lshlrev_b32_e32 v4, 3, v3
	v_add_u32_e32 v3, 6, v172
	v_and_or_b32 v3, v3, 63, v12
	v_add_u32_e32 v2, 4, v172
	v_lshlrev_b32_e32 v8, 3, v3
	v_add_u32_e32 v3, 7, v172
	v_and_or_b32 v2, v2, 63, v12
	v_and_or_b32 v3, v3, 63, v12
	v_lshlrev_b32_e32 v2, 3, v2
	v_lshlrev_b32_e32 v10, 3, v3
	ds_read_b64 v[2:3], v2
	ds_read_b64 v[4:5], v4
	;; [unrolled: 1-line block ×4, first 2 shown]
	v_add_f64 v[0:1], v[0:1], v[6:7]
	s_waitcnt lgkmcnt(3)
	v_add_f64 v[0:1], v[0:1], v[2:3]
	v_add_u32_e32 v3, 9, v172
	v_and_or_b32 v3, v3, 63, v12
	s_waitcnt lgkmcnt(2)
	v_add_f64 v[0:1], v[0:1], v[4:5]
	v_add_u32_e32 v2, 8, v172
	v_lshlrev_b32_e32 v4, 3, v3
	v_add_u32_e32 v3, 10, v172
	v_and_or_b32 v2, v2, 63, v12
	v_and_or_b32 v3, v3, 63, v12
	v_lshlrev_b32_e32 v2, 3, v2
	v_lshlrev_b32_e32 v6, 3, v3
	v_add_u32_e32 v3, 11, v172
	s_waitcnt lgkmcnt(1)
	v_add_f64 v[0:1], v[0:1], v[8:9]
	v_and_or_b32 v8, v3, 63, v12
	ds_read_b64 v[2:3], v2
	ds_read_b64 v[4:5], v4
	;; [unrolled: 1-line block ×3, first 2 shown]
	s_waitcnt lgkmcnt(3)
	v_add_f64 v[0:1], v[0:1], v[10:11]
	v_lshlrev_b32_e32 v8, 3, v8
	s_waitcnt lgkmcnt(2)
	v_add_f64 v[0:1], v[0:1], v[2:3]
	v_add_u32_e32 v3, 13, v172
	v_and_or_b32 v3, v3, 63, v12
	s_waitcnt lgkmcnt(1)
	v_add_f64 v[0:1], v[0:1], v[4:5]
	v_lshlrev_b32_e32 v4, 3, v3
	v_add_u32_e32 v3, 14, v172
	ds_read_b64 v[8:9], v8
	v_and_or_b32 v3, v3, 63, v12
	s_waitcnt lgkmcnt(1)
	v_add_f64 v[0:1], v[0:1], v[6:7]
	v_add_u32_e32 v2, 12, v172
	v_lshlrev_b32_e32 v6, 3, v3
	v_add_u32_e32 v3, 15, v172
	v_and_or_b32 v2, v2, 63, v12
	v_and_or_b32 v3, v3, 63, v12
	v_lshlrev_b32_e32 v2, 3, v2
	v_lshlrev_b32_e32 v10, 3, v3
	ds_read_b64 v[2:3], v2
	ds_read_b64 v[4:5], v4
	;; [unrolled: 1-line block ×4, first 2 shown]
	s_waitcnt lgkmcnt(4)
	v_add_f64 v[0:1], v[0:1], v[8:9]
	s_waitcnt lgkmcnt(3)
	v_add_f64 v[0:1], v[0:1], v[2:3]
	v_add_u32_e32 v3, 17, v172
	v_and_or_b32 v3, v3, 63, v12
	s_waitcnt lgkmcnt(2)
	v_add_f64 v[0:1], v[0:1], v[4:5]
	v_add_u32_e32 v2, 16, v172
	v_lshlrev_b32_e32 v4, 3, v3
	v_add_u32_e32 v3, 18, v172
	v_and_or_b32 v2, v2, 63, v12
	v_and_or_b32 v3, v3, 63, v12
	s_waitcnt lgkmcnt(1)
	v_add_f64 v[0:1], v[0:1], v[6:7]
	v_lshlrev_b32_e32 v2, 3, v2
	v_lshlrev_b32_e32 v6, 3, v3
	v_add_u32_e32 v3, 19, v172
	v_and_or_b32 v8, v3, 63, v12
	ds_read_b64 v[2:3], v2
	ds_read_b64 v[4:5], v4
	ds_read_b64 v[6:7], v6
	s_waitcnt lgkmcnt(3)
	v_add_f64 v[0:1], v[0:1], v[10:11]
	v_lshlrev_b32_e32 v8, 3, v8
	s_waitcnt lgkmcnt(2)
	v_add_f64 v[0:1], v[0:1], v[2:3]
	v_add_u32_e32 v3, 21, v172
	v_and_or_b32 v3, v3, 63, v12
	s_waitcnt lgkmcnt(1)
	v_add_f64 v[0:1], v[0:1], v[4:5]
	v_lshlrev_b32_e32 v4, 3, v3
	v_add_u32_e32 v3, 22, v172
	ds_read_b64 v[8:9], v8
	v_and_or_b32 v3, v3, 63, v12
	s_waitcnt lgkmcnt(1)
	v_add_f64 v[0:1], v[0:1], v[6:7]
	v_add_u32_e32 v2, 20, v172
	v_lshlrev_b32_e32 v6, 3, v3
	v_add_u32_e32 v3, 23, v172
	v_and_or_b32 v2, v2, 63, v12
	v_and_or_b32 v3, v3, 63, v12
	v_lshlrev_b32_e32 v2, 3, v2
	v_lshlrev_b32_e32 v10, 3, v3
	ds_read_b64 v[2:3], v2
	ds_read_b64 v[4:5], v4
	;; [unrolled: 1-line block ×4, first 2 shown]
	s_waitcnt lgkmcnt(4)
	v_add_f64 v[0:1], v[0:1], v[8:9]
	s_waitcnt lgkmcnt(3)
	v_add_f64 v[0:1], v[0:1], v[2:3]
	v_add_u32_e32 v3, 25, v172
	v_and_or_b32 v3, v3, 63, v12
	s_waitcnt lgkmcnt(2)
	v_add_f64 v[0:1], v[0:1], v[4:5]
	v_add_u32_e32 v2, 24, v172
	v_lshlrev_b32_e32 v4, 3, v3
	v_add_u32_e32 v3, 26, v172
	v_and_or_b32 v2, v2, 63, v12
	v_and_or_b32 v3, v3, 63, v12
	s_waitcnt lgkmcnt(1)
	v_add_f64 v[0:1], v[0:1], v[6:7]
	v_lshlrev_b32_e32 v2, 3, v2
	v_lshlrev_b32_e32 v6, 3, v3
	v_add_u32_e32 v3, 27, v172
	v_and_or_b32 v8, v3, 63, v12
	ds_read_b64 v[2:3], v2
	ds_read_b64 v[4:5], v4
	;; [unrolled: 1-line block ×3, first 2 shown]
	s_waitcnt lgkmcnt(3)
	v_add_f64 v[0:1], v[0:1], v[10:11]
	v_lshlrev_b32_e32 v8, 3, v8
	s_waitcnt lgkmcnt(2)
	v_add_f64 v[0:1], v[0:1], v[2:3]
	v_add_u32_e32 v3, 29, v172
	v_and_or_b32 v3, v3, 63, v12
	s_waitcnt lgkmcnt(1)
	v_add_f64 v[0:1], v[0:1], v[4:5]
	v_lshlrev_b32_e32 v4, 3, v3
	v_add_u32_e32 v3, 30, v172
	ds_read_b64 v[8:9], v8
	v_and_or_b32 v3, v3, 63, v12
	s_waitcnt lgkmcnt(1)
	v_add_f64 v[0:1], v[0:1], v[6:7]
	v_add_u32_e32 v2, 28, v172
	v_lshlrev_b32_e32 v6, 3, v3
	v_add_u32_e32 v3, 31, v172
	v_and_or_b32 v2, v2, 63, v12
	v_and_or_b32 v3, v3, 63, v12
	v_lshlrev_b32_e32 v2, 3, v2
	v_lshlrev_b32_e32 v10, 3, v3
	ds_read_b64 v[2:3], v2
	ds_read_b64 v[4:5], v4
	;; [unrolled: 1-line block ×4, first 2 shown]
	s_waitcnt lgkmcnt(4)
	v_add_f64 v[0:1], v[0:1], v[8:9]
	s_waitcnt lgkmcnt(3)
	v_add_f64 v[0:1], v[0:1], v[2:3]
	v_add_u32_e32 v3, 33, v172
	v_and_or_b32 v3, v3, 63, v12
	s_waitcnt lgkmcnt(2)
	v_add_f64 v[0:1], v[0:1], v[4:5]
	v_lshlrev_b32_e32 v4, 3, v3
	v_add_u32_e32 v3, 34, v172
	v_xor_b32_e32 v2, 32, v13
	v_and_or_b32 v3, v3, 63, v12
	s_waitcnt lgkmcnt(1)
	v_add_f64 v[0:1], v[0:1], v[6:7]
	v_lshlrev_b32_e32 v2, 3, v2
	v_lshlrev_b32_e32 v6, 3, v3
	v_add_u32_e32 v3, 35, v172
	v_and_or_b32 v8, v3, 63, v12
	ds_read_b64 v[2:3], v2
	ds_read_b64 v[4:5], v4
	ds_read_b64 v[6:7], v6
	s_waitcnt lgkmcnt(3)
	v_add_f64 v[0:1], v[0:1], v[10:11]
	v_lshlrev_b32_e32 v8, 3, v8
	s_waitcnt lgkmcnt(2)
	v_add_f64 v[0:1], v[0:1], v[2:3]
	v_add_u32_e32 v3, 37, v172
	v_and_or_b32 v3, v3, 63, v12
	s_waitcnt lgkmcnt(1)
	v_add_f64 v[0:1], v[0:1], v[4:5]
	v_lshlrev_b32_e32 v4, 3, v3
	v_add_u32_e32 v3, 38, v172
	ds_read_b64 v[8:9], v8
	v_and_or_b32 v3, v3, 63, v12
	s_waitcnt lgkmcnt(1)
	v_add_f64 v[0:1], v[0:1], v[6:7]
	v_add_u32_e32 v2, 36, v172
	v_lshlrev_b32_e32 v6, 3, v3
	v_add_u32_e32 v3, 39, v172
	v_and_or_b32 v2, v2, 63, v12
	v_and_or_b32 v3, v3, 63, v12
	v_lshlrev_b32_e32 v2, 3, v2
	v_lshlrev_b32_e32 v10, 3, v3
	ds_read_b64 v[2:3], v2
	ds_read_b64 v[4:5], v4
	ds_read_b64 v[6:7], v6
	ds_read_b64 v[10:11], v10
	s_waitcnt lgkmcnt(4)
	v_add_f64 v[0:1], v[0:1], v[8:9]
	s_waitcnt lgkmcnt(3)
	v_add_f64 v[0:1], v[0:1], v[2:3]
	v_add_u32_e32 v3, 41, v172
	v_and_or_b32 v3, v3, 63, v12
	s_waitcnt lgkmcnt(2)
	v_add_f64 v[0:1], v[0:1], v[4:5]
	v_add_u32_e32 v2, 40, v172
	v_lshlrev_b32_e32 v4, 3, v3
	v_add_u32_e32 v3, 42, v172
	v_and_or_b32 v2, v2, 63, v12
	v_and_or_b32 v3, v3, 63, v12
	s_waitcnt lgkmcnt(1)
	v_add_f64 v[0:1], v[0:1], v[6:7]
	v_lshlrev_b32_e32 v2, 3, v2
	v_lshlrev_b32_e32 v6, 3, v3
	v_add_u32_e32 v3, 43, v172
	v_and_or_b32 v8, v3, 63, v12
	ds_read_b64 v[2:3], v2
	ds_read_b64 v[4:5], v4
	ds_read_b64 v[6:7], v6
	s_waitcnt lgkmcnt(3)
	v_add_f64 v[0:1], v[0:1], v[10:11]
	v_lshlrev_b32_e32 v8, 3, v8
	s_waitcnt lgkmcnt(2)
	v_add_f64 v[0:1], v[0:1], v[2:3]
	v_add_u32_e32 v3, 45, v172
	v_and_or_b32 v3, v3, 63, v12
	s_waitcnt lgkmcnt(1)
	v_add_f64 v[0:1], v[0:1], v[4:5]
	v_lshlrev_b32_e32 v4, 3, v3
	v_add_u32_e32 v3, 46, v172
	ds_read_b64 v[8:9], v8
	v_and_or_b32 v3, v3, 63, v12
	s_waitcnt lgkmcnt(1)
	v_add_f64 v[0:1], v[0:1], v[6:7]
	v_add_u32_e32 v2, 44, v172
	v_lshlrev_b32_e32 v6, 3, v3
	v_add_u32_e32 v3, 47, v172
	v_and_or_b32 v2, v2, 63, v12
	v_and_or_b32 v3, v3, 63, v12
	v_lshlrev_b32_e32 v2, 3, v2
	v_lshlrev_b32_e32 v10, 3, v3
	ds_read_b64 v[2:3], v2
	ds_read_b64 v[4:5], v4
	ds_read_b64 v[6:7], v6
	ds_read_b64 v[10:11], v10
	s_waitcnt lgkmcnt(4)
	v_add_f64 v[0:1], v[0:1], v[8:9]
	s_waitcnt lgkmcnt(3)
	v_add_f64 v[0:1], v[0:1], v[2:3]
	v_add_u32_e32 v3, 49, v172
	v_and_or_b32 v3, v3, 63, v12
	s_waitcnt lgkmcnt(2)
	v_add_f64 v[0:1], v[0:1], v[4:5]
	v_add_u32_e32 v2, 48, v172
	v_lshlrev_b32_e32 v4, 3, v3
	v_add_u32_e32 v3, 50, v172
	v_and_or_b32 v2, v2, 63, v12
	;; [unrolled: 48-line block ×3, first 2 shown]
	v_and_or_b32 v3, v3, 63, v12
	s_waitcnt lgkmcnt(1)
	v_add_f64 v[0:1], v[0:1], v[6:7]
	v_lshlrev_b32_e32 v2, 3, v2
	v_lshlrev_b32_e32 v6, 3, v3
	v_add_u32_e32 v3, 59, v172
	v_and_or_b32 v8, v3, 63, v12
	ds_read_b64 v[2:3], v2
	ds_read_b64 v[4:5], v4
	;; [unrolled: 1-line block ×3, first 2 shown]
	s_waitcnt lgkmcnt(3)
	v_add_f64 v[0:1], v[0:1], v[10:11]
	v_lshlrev_b32_e32 v8, 3, v8
	s_waitcnt lgkmcnt(2)
	v_add_f64 v[0:1], v[0:1], v[2:3]
	v_add_u32_e32 v3, 61, v172
	v_and_or_b32 v3, v3, 63, v12
	s_waitcnt lgkmcnt(1)
	v_add_f64 v[0:1], v[0:1], v[4:5]
	v_lshlrev_b32_e32 v4, 3, v3
	v_add_u32_e32 v3, 62, v172
	s_mul_i32 s1, s4, s9
	s_mul_hi_u32 s3, s4, s8
	ds_read_b64 v[8:9], v8
	v_and_or_b32 v3, v3, 63, v12
	s_mul_i32 s0, s4, s8
	s_add_i32 s1, s3, s1
	s_waitcnt lgkmcnt(1)
	v_add_f64 v[0:1], v[0:1], v[6:7]
	v_add_u32_e32 v2, 60, v172
	v_lshlrev_b32_e32 v6, 3, v3
	v_add_u32_e32 v3, -1, v172
	s_lshl_b64 s[0:1], s[0:1], 3
	v_and_or_b32 v2, v2, 63, v12
	v_and_or_b32 v3, v3, 63, v12
	s_add_u32 s3, s10, s0
	v_lshlrev_b32_e32 v2, 3, v2
	v_lshlrev_b32_e32 v10, 3, v3
	s_addc_u32 s4, s11, s1
	s_lshl_b64 s[0:1], s[16:17], 3
	ds_read_b64 v[2:3], v2
	ds_read_b64 v[4:5], v4
	ds_read_b64 v[6:7], v6
	ds_read_b64 v[10:11], v10
	s_add_u32 s3, s3, s0
	s_waitcnt lgkmcnt(4)
	v_add_f64 v[0:1], v[0:1], v[8:9]
	s_addc_u32 s4, s4, s1
	s_mul_hi_i32 s1, s2, s18
	s_mul_i32 s0, s2, s18
	s_waitcnt lgkmcnt(3)
	v_add_f64 v[0:1], v[0:1], v[2:3]
	s_lshl_b64 s[0:1], s[0:1], 3
	s_waitcnt lgkmcnt(2)
	v_add_f64 v[0:1], v[0:1], v[4:5]
	s_add_u32 s0, s3, s0
	s_waitcnt lgkmcnt(1)
	v_add_f64 v[0:1], v[0:1], v[6:7]
	s_addc_u32 s1, s4, s1
	s_waitcnt lgkmcnt(0)
	v_add_f64 v[0:1], v[0:1], v[10:11]
	v_mad_i64_i32 v[2:3], s[2:3], s2, v172, 0
	v_lshl_add_u64 v[2:3], v[2:3], 3, s[0:1]
	v_mul_f64 v[0:1], v[0:1], s[6:7]
	global_atomic_add_f64 v[2:3], v[0:1], off
.LBB95_10:
	s_endpgm
	.section	.rodata,"a",@progbits
	.p2align	6, 0x0
	.amdhsa_kernel _ZL36rocblas_gemvt_double_buffered_kernelILb1ELi128ELi4ELi16EdddEviiT4_lPKT3_lilS3_lilPT5_lili
		.amdhsa_group_segment_fixed_size 65536
		.amdhsa_private_segment_fixed_size 0
		.amdhsa_kernarg_size 384
		.amdhsa_user_sgpr_count 2
		.amdhsa_user_sgpr_dispatch_ptr 0
		.amdhsa_user_sgpr_queue_ptr 0
		.amdhsa_user_sgpr_kernarg_segment_ptr 1
		.amdhsa_user_sgpr_dispatch_id 0
		.amdhsa_user_sgpr_kernarg_preload_length 0
		.amdhsa_user_sgpr_kernarg_preload_offset 0
		.amdhsa_user_sgpr_private_segment_size 0
		.amdhsa_uses_dynamic_stack 0
		.amdhsa_enable_private_segment 0
		.amdhsa_system_sgpr_workgroup_id_x 1
		.amdhsa_system_sgpr_workgroup_id_y 1
		.amdhsa_system_sgpr_workgroup_id_z 1
		.amdhsa_system_sgpr_workgroup_info 0
		.amdhsa_system_vgpr_workitem_id 1
		.amdhsa_next_free_vgpr 176
		.amdhsa_next_free_sgpr 40
		.amdhsa_accum_offset 176
		.amdhsa_reserve_vcc 1
		.amdhsa_float_round_mode_32 0
		.amdhsa_float_round_mode_16_64 0
		.amdhsa_float_denorm_mode_32 3
		.amdhsa_float_denorm_mode_16_64 3
		.amdhsa_dx10_clamp 1
		.amdhsa_ieee_mode 1
		.amdhsa_fp16_overflow 0
		.amdhsa_tg_split 0
		.amdhsa_exception_fp_ieee_invalid_op 0
		.amdhsa_exception_fp_denorm_src 0
		.amdhsa_exception_fp_ieee_div_zero 0
		.amdhsa_exception_fp_ieee_overflow 0
		.amdhsa_exception_fp_ieee_underflow 0
		.amdhsa_exception_fp_ieee_inexact 0
		.amdhsa_exception_int_div_zero 0
	.end_amdhsa_kernel
	.section	.text._ZL36rocblas_gemvt_double_buffered_kernelILb1ELi128ELi4ELi16EdddEviiT4_lPKT3_lilS3_lilPT5_lili,"axG",@progbits,_ZL36rocblas_gemvt_double_buffered_kernelILb1ELi128ELi4ELi16EdddEviiT4_lPKT3_lilS3_lilPT5_lili,comdat
.Lfunc_end95:
	.size	_ZL36rocblas_gemvt_double_buffered_kernelILb1ELi128ELi4ELi16EdddEviiT4_lPKT3_lilS3_lilPT5_lili, .Lfunc_end95-_ZL36rocblas_gemvt_double_buffered_kernelILb1ELi128ELi4ELi16EdddEviiT4_lPKT3_lilS3_lilPT5_lili
                                        ; -- End function
	.section	.AMDGPU.csdata,"",@progbits
; Kernel info:
; codeLenInByte = 5492
; NumSgprs: 46
; NumVgprs: 176
; NumAgprs: 0
; TotalNumVgprs: 176
; ScratchSize: 0
; MemoryBound: 0
; FloatMode: 240
; IeeeMode: 1
; LDSByteSize: 65536 bytes/workgroup (compile time only)
; SGPRBlocks: 5
; VGPRBlocks: 21
; NumSGPRsForWavesPerEU: 46
; NumVGPRsForWavesPerEU: 176
; AccumOffset: 176
; Occupancy: 2
; WaveLimiterHint : 0
; COMPUTE_PGM_RSRC2:SCRATCH_EN: 0
; COMPUTE_PGM_RSRC2:USER_SGPR: 2
; COMPUTE_PGM_RSRC2:TRAP_HANDLER: 0
; COMPUTE_PGM_RSRC2:TGID_X_EN: 1
; COMPUTE_PGM_RSRC2:TGID_Y_EN: 1
; COMPUTE_PGM_RSRC2:TGID_Z_EN: 1
; COMPUTE_PGM_RSRC2:TIDIG_COMP_CNT: 1
; COMPUTE_PGM_RSRC3_GFX90A:ACCUM_OFFSET: 43
; COMPUTE_PGM_RSRC3_GFX90A:TG_SPLIT: 0
	.section	.text._ZL20rocblas_gemvt_kernelILb1ELi256EdPKddEviiT2_lPKT1_lilS5_lilS2_lPT3_lili,"axG",@progbits,_ZL20rocblas_gemvt_kernelILb1ELi256EdPKddEviiT2_lPKT1_lilS5_lilS2_lPT3_lili,comdat
	.globl	_ZL20rocblas_gemvt_kernelILb1ELi256EdPKddEviiT2_lPKT1_lilS5_lilS2_lPT3_lili ; -- Begin function _ZL20rocblas_gemvt_kernelILb1ELi256EdPKddEviiT2_lPKT1_lilS5_lilS2_lPT3_lili
	.p2align	8
	.type	_ZL20rocblas_gemvt_kernelILb1ELi256EdPKddEviiT2_lPKT1_lilS5_lilS2_lPT3_lili,@function
_ZL20rocblas_gemvt_kernelILb1ELi256EdPKddEviiT2_lPKT1_lilS5_lilS2_lPT3_lili: ; @_ZL20rocblas_gemvt_kernelILb1ELi256EdPKddEviiT2_lPKT1_lilS5_lilS2_lPT3_lili
; %bb.0:
	s_load_dwordx8 s[4:11], s[0:1], 0x8
	s_load_dwordx8 s[12:19], s[0:1], 0x50
	s_waitcnt lgkmcnt(0)
	s_mul_i32 s7, s3, s7
	s_mul_hi_u32 s20, s3, s6
	s_add_i32 s7, s20, s7
	s_mul_i32 s6, s3, s6
	s_lshl_b64 s[6:7], s[6:7], 3
	s_add_u32 s4, s4, s6
	s_addc_u32 s5, s5, s7
	s_load_dwordx2 s[20:21], s[4:5], 0x0
	s_mul_i32 s4, s3, s17
	s_mul_hi_u32 s5, s3, s16
	s_add_i32 s5, s5, s4
	s_mul_i32 s4, s3, s16
	s_lshl_b64 s[4:5], s[4:5], 3
	s_add_u32 s4, s14, s4
	s_addc_u32 s5, s15, s5
	s_load_dwordx2 s[14:15], s[4:5], 0x0
	s_waitcnt lgkmcnt(0)
	v_cmp_eq_f64_e64 s[4:5], s[20:21], 0
	v_cmp_eq_f64_e64 s[6:7], s[14:15], 1.0
	s_and_b64 s[4:5], s[4:5], s[6:7]
	s_and_b64 vcc, exec, s[4:5]
	s_cbranch_vccnz .LBB96_36
; %bb.1:
	s_load_dwordx2 s[4:5], s[0:1], 0x80
	s_load_dwordx2 s[6:7], s[0:1], 0x70
	s_load_dword s26, s[0:1], 0x78
	s_waitcnt lgkmcnt(0)
	s_mul_i32 s5, s3, s5
	s_mul_hi_u32 s16, s3, s4
	s_mul_i32 s4, s3, s4
	s_add_i32 s5, s16, s5
	s_lshl_b64 s[4:5], s[4:5], 3
	s_add_u32 s16, s18, s4
	s_addc_u32 s17, s19, s5
	s_lshl_b64 s[4:5], s[6:7], 3
	s_add_u32 s24, s16, s4
	s_addc_u32 s25, s17, s5
	v_cmp_neq_f64_e64 s[4:5], s[20:21], 0
	s_mov_b64 s[16:17], 0
	s_and_b64 vcc, exec, s[4:5]
	v_cmp_eq_u32_e64 s[4:5], 0, v0
	s_cbranch_vccnz .LBB96_6
; %bb.2:
	s_mov_b64 s[18:19], 0
                                        ; implicit-def: $vgpr2_vgpr3
                                        ; implicit-def: $sgpr6_sgpr7
	s_and_saveexec_b64 s[22:23], s[4:5]
	s_cbranch_execz .LBB96_7
; %bb.3:
	v_cmp_eq_f64_e64 s[4:5], s[14:15], 0
	v_mov_b64_e32 v[2:3], 0
	s_mul_hi_i32 s7, s26, s2
	s_mul_i32 s6, s26, s2
	s_and_b64 vcc, exec, s[4:5]
	s_cbranch_vccnz .LBB96_5
; %bb.4:
	s_lshl_b64 s[4:5], s[6:7], 3
	s_add_u32 s4, s24, s4
	s_addc_u32 s5, s25, s5
	s_load_dwordx2 s[4:5], s[4:5], 0x0
	s_waitcnt lgkmcnt(0)
	v_mov_b64_e32 v[2:3], s[4:5]
	v_mul_f64 v[2:3], s[14:15], v[2:3]
.LBB96_5:
	s_mov_b64 s[16:17], exec
	s_or_b64 exec, exec, s[22:23]
	s_and_b64 vcc, exec, s[18:19]
	s_cbranch_vccnz .LBB96_8
	s_branch .LBB96_34
.LBB96_6:
                                        ; implicit-def: $vgpr2_vgpr3
                                        ; implicit-def: $sgpr6_sgpr7
	s_cbranch_execnz .LBB96_8
	s_branch .LBB96_34
.LBB96_7:
	s_or_b64 exec, exec, s[22:23]
	s_and_b64 vcc, exec, s[18:19]
	s_cbranch_vccz .LBB96_34
.LBB96_8:
	s_load_dword s22, s[0:1], 0x0
	s_load_dword s23, s[0:1], 0x28
	s_load_dwordx4 s[4:7], s[0:1], 0x30
	s_load_dwordx2 s[18:19], s[0:1], 0x40
	s_mul_i32 s13, s3, s13
	s_load_dword s0, s[0:1], 0x48
	s_mul_hi_u32 s27, s3, s12
	s_waitcnt lgkmcnt(0)
	s_mul_i32 s1, s3, s5
	s_mul_hi_u32 s5, s3, s4
	s_add_i32 s5, s5, s1
	s_mul_i32 s4, s3, s4
	s_add_i32 s13, s27, s13
	s_lshl_b64 s[4:5], s[4:5], 3
	s_add_u32 s1, s8, s4
	s_mul_i32 s12, s3, s12
	s_addc_u32 s3, s9, s5
	s_lshl_b64 s[4:5], s[10:11], 3
	s_add_u32 s1, s1, s4
	s_addc_u32 s8, s3, s5
	s_mul_hi_i32 s5, s23, s2
	s_mul_i32 s4, s23, s2
	s_lshl_b64 s[4:5], s[4:5], 3
	s_add_u32 s4, s4, s1
	v_cmp_gt_i32_e32 vcc, s22, v0
	s_addc_u32 s5, s5, s8
	s_ashr_i32 s1, s22, 31
	v_cndmask_b32_e32 v1, 0, v0, vcc
	s_lshr_b32 s1, s1, 24
	v_lshlrev_b32_e32 v2, 3, v1
	v_mov_b32_e32 v3, 0
	s_add_i32 s1, s22, s1
	v_lshl_add_u64 v[2:3], s[4:5], 0, v[2:3]
	s_and_b32 s4, s1, 0xffffff00
	s_mov_b32 s3, 0
	s_cmpk_lt_i32 s22, 0x100
	v_mov_b64_e32 v[4:5], 0
	s_cbranch_scc1 .LBB96_11
; %bb.9:
	v_mad_i64_i32 v[4:5], s[10:11], s0, v0, 0
	s_ashr_i32 s1, s0, 31
	s_lshl_b64 s[8:9], s[12:13], 3
	s_lshl_b64 s[10:11], s[18:19], 3
	s_add_u32 s5, s6, s10
	s_addc_u32 s10, s7, s11
	s_add_u32 s8, s5, s8
	s_addc_u32 s9, s10, s9
	v_lshl_add_u64 v[6:7], v[4:5], 3, s[8:9]
	s_lshl_b64 s[8:9], s[0:1], 11
	v_mov_b64_e32 v[4:5], 0
	s_mov_b64 s[10:11], 0x800
	v_mov_b64_e32 v[8:9], v[2:3]
.LBB96_10:                              ; =>This Inner Loop Header: Depth=1
	global_load_dwordx2 v[10:11], v[8:9], off
	global_load_dwordx2 v[12:13], v[6:7], off
	s_addk_i32 s3, 0x100
	v_lshl_add_u64 v[6:7], v[6:7], 0, s[8:9]
	v_lshl_add_u64 v[8:9], v[8:9], 0, s[10:11]
	s_cmp_ge_i32 s3, s4
	s_waitcnt vmcnt(0)
	v_fmac_f64_e32 v[4:5], v[10:11], v[12:13]
	s_cbranch_scc0 .LBB96_10
.LBB96_11:
	v_add_u32_e32 v1, s4, v0
	v_cmp_gt_i32_e32 vcc, s22, v1
	s_and_saveexec_b64 s[8:9], vcc
	s_cbranch_execz .LBB96_13
; %bb.12:
	s_lshl_b64 s[10:11], s[12:13], 3
	s_add_u32 s1, s6, s10
	s_addc_u32 s3, s7, s11
	s_lshl_b64 s[6:7], s[18:19], 3
	s_add_u32 s6, s1, s6
	s_addc_u32 s7, s3, s7
	s_ashr_i32 s5, s4, 31
	v_mad_i64_i32 v[6:7], s[0:1], s0, v1, 0
	v_lshl_add_u64 v[2:3], s[4:5], 3, v[2:3]
	v_lshl_add_u64 v[6:7], v[6:7], 3, s[6:7]
	global_load_dwordx2 v[2:3], v[2:3], off
	s_nop 0
	global_load_dwordx2 v[6:7], v[6:7], off
	s_waitcnt vmcnt(0)
	v_fmac_f64_e32 v[4:5], v[2:3], v[6:7]
.LBB96_13:
	s_or_b64 exec, exec, s[8:9]
	s_movk_i32 s0, 0x80
	v_lshlrev_b32_e32 v1, 3, v0
	v_cmp_gt_u32_e32 vcc, s0, v0
	ds_write_b64 v1, v[4:5]
	s_waitcnt lgkmcnt(0)
	s_barrier
	s_and_saveexec_b64 s[0:1], vcc
	s_cbranch_execz .LBB96_15
; %bb.14:
	ds_read2st64_b64 v[2:5], v1 offset1:2
	s_waitcnt lgkmcnt(0)
	v_add_f64 v[2:3], v[4:5], v[2:3]
	ds_write_b64 v1, v[2:3]
.LBB96_15:
	s_or_b64 exec, exec, s[0:1]
	v_cmp_gt_u32_e32 vcc, 64, v0
	s_waitcnt lgkmcnt(0)
	s_barrier
	s_and_saveexec_b64 s[0:1], vcc
	s_cbranch_execz .LBB96_17
; %bb.16:
	ds_read2st64_b64 v[2:5], v1 offset1:1
	s_waitcnt lgkmcnt(0)
	v_add_f64 v[2:3], v[4:5], v[2:3]
	ds_write_b64 v1, v[2:3]
.LBB96_17:
	s_or_b64 exec, exec, s[0:1]
	v_cmp_gt_u32_e32 vcc, 32, v0
	s_waitcnt lgkmcnt(0)
	s_barrier
	s_and_saveexec_b64 s[0:1], vcc
	s_cbranch_execz .LBB96_19
; %bb.18:
	ds_read2_b64 v[2:5], v1 offset1:32
	s_waitcnt lgkmcnt(0)
	v_add_f64 v[2:3], v[4:5], v[2:3]
	ds_write_b64 v1, v[2:3]
.LBB96_19:
	s_or_b64 exec, exec, s[0:1]
	v_cmp_gt_u32_e32 vcc, 16, v0
	s_waitcnt lgkmcnt(0)
	s_barrier
	s_and_saveexec_b64 s[0:1], vcc
	s_cbranch_execz .LBB96_21
; %bb.20:
	ds_read2_b64 v[2:5], v1 offset1:16
	s_waitcnt lgkmcnt(0)
	v_add_f64 v[2:3], v[4:5], v[2:3]
	ds_write_b64 v1, v[2:3]
.LBB96_21:
	;; [unrolled: 12-line block ×5, first 2 shown]
	s_or_b64 exec, exec, s[0:1]
	v_cmp_eq_u32_e32 vcc, 0, v0
	s_waitcnt lgkmcnt(0)
	s_barrier
	s_and_saveexec_b64 s[0:1], vcc
	s_cbranch_execz .LBB96_29
; %bb.28:
	v_mov_b32_e32 v4, 0
	ds_read_b128 v[0:3], v4
	s_waitcnt lgkmcnt(0)
	v_add_f64 v[0:1], v[2:3], v[0:1]
	ds_write_b64 v4, v[0:1]
.LBB96_29:
	s_or_b64 exec, exec, s[0:1]
	s_waitcnt lgkmcnt(0)
	s_barrier
	s_waitcnt lgkmcnt(0)
                                        ; implicit-def: $vgpr2_vgpr3
                                        ; implicit-def: $sgpr6_sgpr7
	s_and_saveexec_b64 s[0:1], vcc
	s_cbranch_execz .LBB96_33
; %bb.30:
	v_mov_b32_e32 v0, 0
	ds_read_b64 v[0:1], v0
	v_cmp_eq_f64_e64 s[4:5], s[14:15], 0
	s_mul_hi_i32 s7, s26, s2
	s_mul_i32 s6, s26, s2
	s_and_b64 vcc, exec, s[4:5]
	s_waitcnt lgkmcnt(0)
	v_mul_f64 v[2:3], s[20:21], v[0:1]
	s_cbranch_vccnz .LBB96_32
; %bb.31:
	s_lshl_b64 s[2:3], s[6:7], 3
	s_add_u32 s2, s24, s2
	s_addc_u32 s3, s25, s3
	s_load_dwordx2 s[2:3], s[2:3], 0x0
	s_waitcnt lgkmcnt(0)
	v_mov_b64_e32 v[0:1], s[2:3]
	v_fmac_f64_e32 v[2:3], s[14:15], v[0:1]
.LBB96_32:
	s_or_b64 s[16:17], s[16:17], exec
.LBB96_33:
	s_or_b64 exec, exec, s[0:1]
.LBB96_34:
	s_and_saveexec_b64 s[0:1], s[16:17]
	s_cbranch_execz .LBB96_36
; %bb.35:
	s_lshl_b64 s[0:1], s[6:7], 3
	s_add_u32 s0, s24, s0
	s_addc_u32 s1, s25, s1
	v_mov_b32_e32 v0, 0
	global_store_dwordx2 v0, v[2:3], s[0:1]
.LBB96_36:
	s_endpgm
	.section	.rodata,"a",@progbits
	.p2align	6, 0x0
	.amdhsa_kernel _ZL20rocblas_gemvt_kernelILb1ELi256EdPKddEviiT2_lPKT1_lilS5_lilS2_lPT3_lili
		.amdhsa_group_segment_fixed_size 2048
		.amdhsa_private_segment_fixed_size 0
		.amdhsa_kernarg_size 140
		.amdhsa_user_sgpr_count 2
		.amdhsa_user_sgpr_dispatch_ptr 0
		.amdhsa_user_sgpr_queue_ptr 0
		.amdhsa_user_sgpr_kernarg_segment_ptr 1
		.amdhsa_user_sgpr_dispatch_id 0
		.amdhsa_user_sgpr_kernarg_preload_length 0
		.amdhsa_user_sgpr_kernarg_preload_offset 0
		.amdhsa_user_sgpr_private_segment_size 0
		.amdhsa_uses_dynamic_stack 0
		.amdhsa_enable_private_segment 0
		.amdhsa_system_sgpr_workgroup_id_x 1
		.amdhsa_system_sgpr_workgroup_id_y 0
		.amdhsa_system_sgpr_workgroup_id_z 1
		.amdhsa_system_sgpr_workgroup_info 0
		.amdhsa_system_vgpr_workitem_id 0
		.amdhsa_next_free_vgpr 14
		.amdhsa_next_free_sgpr 28
		.amdhsa_accum_offset 16
		.amdhsa_reserve_vcc 1
		.amdhsa_float_round_mode_32 0
		.amdhsa_float_round_mode_16_64 0
		.amdhsa_float_denorm_mode_32 3
		.amdhsa_float_denorm_mode_16_64 3
		.amdhsa_dx10_clamp 1
		.amdhsa_ieee_mode 1
		.amdhsa_fp16_overflow 0
		.amdhsa_tg_split 0
		.amdhsa_exception_fp_ieee_invalid_op 0
		.amdhsa_exception_fp_denorm_src 0
		.amdhsa_exception_fp_ieee_div_zero 0
		.amdhsa_exception_fp_ieee_overflow 0
		.amdhsa_exception_fp_ieee_underflow 0
		.amdhsa_exception_fp_ieee_inexact 0
		.amdhsa_exception_int_div_zero 0
	.end_amdhsa_kernel
	.section	.text._ZL20rocblas_gemvt_kernelILb1ELi256EdPKddEviiT2_lPKT1_lilS5_lilS2_lPT3_lili,"axG",@progbits,_ZL20rocblas_gemvt_kernelILb1ELi256EdPKddEviiT2_lPKT1_lilS5_lilS2_lPT3_lili,comdat
.Lfunc_end96:
	.size	_ZL20rocblas_gemvt_kernelILb1ELi256EdPKddEviiT2_lPKT1_lilS5_lilS2_lPT3_lili, .Lfunc_end96-_ZL20rocblas_gemvt_kernelILb1ELi256EdPKddEviiT2_lPKT1_lilS5_lilS2_lPT3_lili
                                        ; -- End function
	.section	.AMDGPU.csdata,"",@progbits
; Kernel info:
; codeLenInByte = 1312
; NumSgprs: 34
; NumVgprs: 14
; NumAgprs: 0
; TotalNumVgprs: 14
; ScratchSize: 0
; MemoryBound: 0
; FloatMode: 240
; IeeeMode: 1
; LDSByteSize: 2048 bytes/workgroup (compile time only)
; SGPRBlocks: 4
; VGPRBlocks: 1
; NumSGPRsForWavesPerEU: 34
; NumVGPRsForWavesPerEU: 14
; AccumOffset: 16
; Occupancy: 8
; WaveLimiterHint : 1
; COMPUTE_PGM_RSRC2:SCRATCH_EN: 0
; COMPUTE_PGM_RSRC2:USER_SGPR: 2
; COMPUTE_PGM_RSRC2:TRAP_HANDLER: 0
; COMPUTE_PGM_RSRC2:TGID_X_EN: 1
; COMPUTE_PGM_RSRC2:TGID_Y_EN: 0
; COMPUTE_PGM_RSRC2:TGID_Z_EN: 1
; COMPUTE_PGM_RSRC2:TIDIG_COMP_CNT: 0
; COMPUTE_PGM_RSRC3_GFX90A:ACCUM_OFFSET: 3
; COMPUTE_PGM_RSRC3_GFX90A:TG_SPLIT: 0
	.section	.text._ZL20rocblas_gemvt_kernelILb1ELi256EdddEviiT2_lPKT1_lilS3_lilS0_lPT3_lili,"axG",@progbits,_ZL20rocblas_gemvt_kernelILb1ELi256EdddEviiT2_lPKT1_lilS3_lilS0_lPT3_lili,comdat
	.globl	_ZL20rocblas_gemvt_kernelILb1ELi256EdddEviiT2_lPKT1_lilS3_lilS0_lPT3_lili ; -- Begin function _ZL20rocblas_gemvt_kernelILb1ELi256EdddEviiT2_lPKT1_lilS3_lilS0_lPT3_lili
	.p2align	8
	.type	_ZL20rocblas_gemvt_kernelILb1ELi256EdddEviiT2_lPKT1_lilS3_lilS0_lPT3_lili,@function
_ZL20rocblas_gemvt_kernelILb1ELi256EdddEviiT2_lPKT1_lilS3_lilS0_lPT3_lili: ; @_ZL20rocblas_gemvt_kernelILb1ELi256EdddEviiT2_lPKT1_lilS3_lilS0_lPT3_lili
; %bb.0:
	s_load_dwordx2 s[12:13], s[0:1], 0x8
	s_load_dwordx4 s[8:11], s[0:1], 0x50
	s_waitcnt lgkmcnt(0)
	v_cmp_eq_f64_e64 s[4:5], s[12:13], 0
	v_cmp_eq_f64_e64 s[6:7], s[10:11], 1.0
	s_and_b64 s[4:5], s[4:5], s[6:7]
	s_and_b64 vcc, exec, s[4:5]
	s_cbranch_vccnz .LBB97_36
; %bb.1:
	s_load_dwordx2 s[14:15], s[0:1], 0x80
	s_load_dwordx4 s[4:7], s[0:1], 0x68
	s_load_dword s24, s[0:1], 0x78
	s_waitcnt lgkmcnt(0)
	s_mul_i32 s15, s3, s15
	s_mul_hi_u32 s16, s3, s14
	s_mul_i32 s14, s3, s14
	s_add_i32 s15, s16, s15
	s_lshl_b64 s[14:15], s[14:15], 3
	s_add_u32 s14, s4, s14
	s_addc_u32 s15, s5, s15
	s_lshl_b64 s[4:5], s[6:7], 3
	s_add_u32 s22, s14, s4
	s_addc_u32 s23, s15, s5
	v_cmp_neq_f64_e64 s[4:5], s[12:13], 0
	s_mov_b64 s[14:15], 0
	s_and_b64 vcc, exec, s[4:5]
	v_cmp_eq_u32_e64 s[4:5], 0, v0
	s_cbranch_vccnz .LBB97_6
; %bb.2:
	s_mov_b64 s[16:17], 0
                                        ; implicit-def: $vgpr2_vgpr3
                                        ; implicit-def: $sgpr6_sgpr7
	s_and_saveexec_b64 s[18:19], s[4:5]
	s_cbranch_execz .LBB97_7
; %bb.3:
	v_cmp_eq_f64_e64 s[4:5], s[10:11], 0
	v_mov_b64_e32 v[2:3], 0
	s_mul_hi_i32 s7, s24, s2
	s_mul_i32 s6, s24, s2
	s_and_b64 vcc, exec, s[4:5]
	s_cbranch_vccnz .LBB97_5
; %bb.4:
	s_lshl_b64 s[4:5], s[6:7], 3
	s_add_u32 s4, s22, s4
	s_addc_u32 s5, s23, s5
	s_load_dwordx2 s[4:5], s[4:5], 0x0
	v_mov_b64_e32 v[2:3], s[10:11]
	s_waitcnt lgkmcnt(0)
	v_mul_f64 v[2:3], s[4:5], v[2:3]
.LBB97_5:
	s_mov_b64 s[14:15], exec
	s_or_b64 exec, exec, s[18:19]
	s_and_b64 vcc, exec, s[16:17]
	s_cbranch_vccnz .LBB97_8
	s_branch .LBB97_34
.LBB97_6:
                                        ; implicit-def: $vgpr2_vgpr3
                                        ; implicit-def: $sgpr6_sgpr7
	s_cbranch_execnz .LBB97_8
	s_branch .LBB97_34
.LBB97_7:
	s_or_b64 exec, exec, s[18:19]
	s_and_b64 vcc, exec, s[16:17]
	s_cbranch_vccz .LBB97_34
.LBB97_8:
	s_load_dword s25, s[0:1], 0x0
	s_load_dwordx4 s[28:31], s[0:1], 0x18
	s_load_dword s18, s[0:1], 0x28
	s_load_dwordx4 s[4:7], s[0:1], 0x30
	s_load_dwordx2 s[16:17], s[0:1], 0x40
	s_mul_i32 s9, s3, s9
	s_load_dword s0, s[0:1], 0x48
	s_mul_hi_u32 s19, s3, s8
	s_waitcnt lgkmcnt(0)
	s_mul_i32 s1, s3, s5
	s_mul_hi_u32 s5, s3, s4
	s_add_i32 s5, s5, s1
	s_mul_i32 s4, s3, s4
	s_add_i32 s9, s19, s9
	s_lshl_b64 s[4:5], s[4:5], 3
	s_add_u32 s1, s28, s4
	s_mul_i32 s8, s3, s8
	s_addc_u32 s3, s29, s5
	s_lshl_b64 s[4:5], s[30:31], 3
	s_add_u32 s1, s1, s4
	s_addc_u32 s19, s3, s5
	s_mul_hi_i32 s5, s18, s2
	s_mul_i32 s4, s18, s2
	s_lshl_b64 s[4:5], s[4:5], 3
	s_add_u32 s4, s4, s1
	v_cmp_gt_i32_e32 vcc, s25, v0
	s_addc_u32 s5, s5, s19
	s_ashr_i32 s1, s25, 31
	v_cndmask_b32_e32 v1, 0, v0, vcc
	s_lshr_b32 s1, s1, 24
	v_lshlrev_b32_e32 v2, 3, v1
	v_mov_b32_e32 v3, 0
	s_add_i32 s1, s25, s1
	v_lshl_add_u64 v[2:3], s[4:5], 0, v[2:3]
	s_and_b32 s4, s1, 0xffffff00
	s_mov_b32 s3, 0
	s_cmpk_lt_i32 s25, 0x100
	v_mov_b64_e32 v[4:5], 0
	s_cbranch_scc1 .LBB97_11
; %bb.9:
	v_mad_i64_i32 v[4:5], s[20:21], s0, v0, 0
	s_ashr_i32 s1, s0, 31
	s_lshl_b64 s[18:19], s[8:9], 3
	s_lshl_b64 s[20:21], s[16:17], 3
	s_add_u32 s5, s6, s20
	s_addc_u32 s20, s7, s21
	s_add_u32 s18, s5, s18
	s_addc_u32 s19, s20, s19
	v_lshl_add_u64 v[6:7], v[4:5], 3, s[18:19]
	s_lshl_b64 s[18:19], s[0:1], 11
	v_mov_b64_e32 v[4:5], 0
	s_mov_b64 s[20:21], 0x800
	v_mov_b64_e32 v[8:9], v[2:3]
.LBB97_10:                              ; =>This Inner Loop Header: Depth=1
	global_load_dwordx2 v[10:11], v[8:9], off
	global_load_dwordx2 v[12:13], v[6:7], off
	s_addk_i32 s3, 0x100
	v_lshl_add_u64 v[6:7], v[6:7], 0, s[18:19]
	v_lshl_add_u64 v[8:9], v[8:9], 0, s[20:21]
	s_cmp_ge_i32 s3, s4
	s_waitcnt vmcnt(0)
	v_fmac_f64_e32 v[4:5], v[10:11], v[12:13]
	s_cbranch_scc0 .LBB97_10
.LBB97_11:
	v_add_u32_e32 v1, s4, v0
	v_cmp_gt_i32_e32 vcc, s25, v1
	s_and_saveexec_b64 s[18:19], vcc
	s_cbranch_execz .LBB97_13
; %bb.12:
	s_lshl_b64 s[8:9], s[8:9], 3
	s_add_u32 s1, s6, s8
	s_addc_u32 s3, s7, s9
	s_lshl_b64 s[6:7], s[16:17], 3
	s_add_u32 s6, s1, s6
	s_addc_u32 s7, s3, s7
	s_ashr_i32 s5, s4, 31
	v_mad_i64_i32 v[6:7], s[0:1], s0, v1, 0
	v_lshl_add_u64 v[2:3], s[4:5], 3, v[2:3]
	v_lshl_add_u64 v[6:7], v[6:7], 3, s[6:7]
	global_load_dwordx2 v[2:3], v[2:3], off
	s_nop 0
	global_load_dwordx2 v[6:7], v[6:7], off
	s_waitcnt vmcnt(0)
	v_fmac_f64_e32 v[4:5], v[2:3], v[6:7]
.LBB97_13:
	s_or_b64 exec, exec, s[18:19]
	s_movk_i32 s0, 0x80
	v_lshlrev_b32_e32 v1, 3, v0
	v_cmp_gt_u32_e32 vcc, s0, v0
	ds_write_b64 v1, v[4:5]
	s_waitcnt lgkmcnt(0)
	s_barrier
	s_and_saveexec_b64 s[0:1], vcc
	s_cbranch_execz .LBB97_15
; %bb.14:
	ds_read2st64_b64 v[2:5], v1 offset1:2
	s_waitcnt lgkmcnt(0)
	v_add_f64 v[2:3], v[4:5], v[2:3]
	ds_write_b64 v1, v[2:3]
.LBB97_15:
	s_or_b64 exec, exec, s[0:1]
	v_cmp_gt_u32_e32 vcc, 64, v0
	s_waitcnt lgkmcnt(0)
	s_barrier
	s_and_saveexec_b64 s[0:1], vcc
	s_cbranch_execz .LBB97_17
; %bb.16:
	ds_read2st64_b64 v[2:5], v1 offset1:1
	s_waitcnt lgkmcnt(0)
	v_add_f64 v[2:3], v[4:5], v[2:3]
	ds_write_b64 v1, v[2:3]
.LBB97_17:
	s_or_b64 exec, exec, s[0:1]
	v_cmp_gt_u32_e32 vcc, 32, v0
	s_waitcnt lgkmcnt(0)
	s_barrier
	s_and_saveexec_b64 s[0:1], vcc
	s_cbranch_execz .LBB97_19
; %bb.18:
	ds_read2_b64 v[2:5], v1 offset1:32
	s_waitcnt lgkmcnt(0)
	v_add_f64 v[2:3], v[4:5], v[2:3]
	ds_write_b64 v1, v[2:3]
.LBB97_19:
	s_or_b64 exec, exec, s[0:1]
	v_cmp_gt_u32_e32 vcc, 16, v0
	s_waitcnt lgkmcnt(0)
	s_barrier
	s_and_saveexec_b64 s[0:1], vcc
	s_cbranch_execz .LBB97_21
; %bb.20:
	ds_read2_b64 v[2:5], v1 offset1:16
	s_waitcnt lgkmcnt(0)
	v_add_f64 v[2:3], v[4:5], v[2:3]
	ds_write_b64 v1, v[2:3]
.LBB97_21:
	;; [unrolled: 12-line block ×5, first 2 shown]
	s_or_b64 exec, exec, s[0:1]
	v_cmp_eq_u32_e32 vcc, 0, v0
	s_waitcnt lgkmcnt(0)
	s_barrier
	s_and_saveexec_b64 s[0:1], vcc
	s_cbranch_execz .LBB97_29
; %bb.28:
	v_mov_b32_e32 v4, 0
	ds_read_b128 v[0:3], v4
	s_waitcnt lgkmcnt(0)
	v_add_f64 v[0:1], v[2:3], v[0:1]
	ds_write_b64 v4, v[0:1]
.LBB97_29:
	s_or_b64 exec, exec, s[0:1]
	s_waitcnt lgkmcnt(0)
	s_barrier
	s_waitcnt lgkmcnt(0)
                                        ; implicit-def: $vgpr2_vgpr3
                                        ; implicit-def: $sgpr6_sgpr7
	s_and_saveexec_b64 s[0:1], vcc
	s_cbranch_execz .LBB97_33
; %bb.30:
	v_mov_b32_e32 v0, 0
	ds_read_b64 v[0:1], v0
	v_cmp_eq_f64_e64 s[4:5], s[10:11], 0
	s_mul_hi_i32 s7, s24, s2
	s_mul_i32 s6, s24, s2
	s_and_b64 vcc, exec, s[4:5]
	s_waitcnt lgkmcnt(0)
	v_mul_f64 v[2:3], v[0:1], s[12:13]
	s_cbranch_vccnz .LBB97_32
; %bb.31:
	s_lshl_b64 s[2:3], s[6:7], 3
	s_add_u32 s2, s22, s2
	s_addc_u32 s3, s23, s3
	s_load_dwordx2 s[2:3], s[2:3], 0x0
	v_mov_b64_e32 v[0:1], s[10:11]
	s_waitcnt lgkmcnt(0)
	v_fmac_f64_e32 v[2:3], s[2:3], v[0:1]
.LBB97_32:
	s_or_b64 s[14:15], s[14:15], exec
.LBB97_33:
	s_or_b64 exec, exec, s[0:1]
.LBB97_34:
	s_and_saveexec_b64 s[0:1], s[14:15]
	s_cbranch_execz .LBB97_36
; %bb.35:
	s_lshl_b64 s[0:1], s[6:7], 3
	s_add_u32 s0, s22, s0
	s_addc_u32 s1, s23, s1
	v_mov_b32_e32 v0, 0
	global_store_dwordx2 v0, v[2:3], s[0:1]
.LBB97_36:
	s_endpgm
	.section	.rodata,"a",@progbits
	.p2align	6, 0x0
	.amdhsa_kernel _ZL20rocblas_gemvt_kernelILb1ELi256EdddEviiT2_lPKT1_lilS3_lilS0_lPT3_lili
		.amdhsa_group_segment_fixed_size 2048
		.amdhsa_private_segment_fixed_size 0
		.amdhsa_kernarg_size 140
		.amdhsa_user_sgpr_count 2
		.amdhsa_user_sgpr_dispatch_ptr 0
		.amdhsa_user_sgpr_queue_ptr 0
		.amdhsa_user_sgpr_kernarg_segment_ptr 1
		.amdhsa_user_sgpr_dispatch_id 0
		.amdhsa_user_sgpr_kernarg_preload_length 0
		.amdhsa_user_sgpr_kernarg_preload_offset 0
		.amdhsa_user_sgpr_private_segment_size 0
		.amdhsa_uses_dynamic_stack 0
		.amdhsa_enable_private_segment 0
		.amdhsa_system_sgpr_workgroup_id_x 1
		.amdhsa_system_sgpr_workgroup_id_y 0
		.amdhsa_system_sgpr_workgroup_id_z 1
		.amdhsa_system_sgpr_workgroup_info 0
		.amdhsa_system_vgpr_workitem_id 0
		.amdhsa_next_free_vgpr 14
		.amdhsa_next_free_sgpr 32
		.amdhsa_accum_offset 16
		.amdhsa_reserve_vcc 1
		.amdhsa_float_round_mode_32 0
		.amdhsa_float_round_mode_16_64 0
		.amdhsa_float_denorm_mode_32 3
		.amdhsa_float_denorm_mode_16_64 3
		.amdhsa_dx10_clamp 1
		.amdhsa_ieee_mode 1
		.amdhsa_fp16_overflow 0
		.amdhsa_tg_split 0
		.amdhsa_exception_fp_ieee_invalid_op 0
		.amdhsa_exception_fp_denorm_src 0
		.amdhsa_exception_fp_ieee_div_zero 0
		.amdhsa_exception_fp_ieee_overflow 0
		.amdhsa_exception_fp_ieee_underflow 0
		.amdhsa_exception_fp_ieee_inexact 0
		.amdhsa_exception_int_div_zero 0
	.end_amdhsa_kernel
	.section	.text._ZL20rocblas_gemvt_kernelILb1ELi256EdddEviiT2_lPKT1_lilS3_lilS0_lPT3_lili,"axG",@progbits,_ZL20rocblas_gemvt_kernelILb1ELi256EdddEviiT2_lPKT1_lilS3_lilS0_lPT3_lili,comdat
.Lfunc_end97:
	.size	_ZL20rocblas_gemvt_kernelILb1ELi256EdddEviiT2_lPKT1_lilS3_lilS0_lPT3_lili, .Lfunc_end97-_ZL20rocblas_gemvt_kernelILb1ELi256EdddEviiT2_lPKT1_lilS3_lilS0_lPT3_lili
                                        ; -- End function
	.section	.AMDGPU.csdata,"",@progbits
; Kernel info:
; codeLenInByte = 1244
; NumSgprs: 38
; NumVgprs: 14
; NumAgprs: 0
; TotalNumVgprs: 14
; ScratchSize: 0
; MemoryBound: 0
; FloatMode: 240
; IeeeMode: 1
; LDSByteSize: 2048 bytes/workgroup (compile time only)
; SGPRBlocks: 4
; VGPRBlocks: 1
; NumSGPRsForWavesPerEU: 38
; NumVGPRsForWavesPerEU: 14
; AccumOffset: 16
; Occupancy: 8
; WaveLimiterHint : 1
; COMPUTE_PGM_RSRC2:SCRATCH_EN: 0
; COMPUTE_PGM_RSRC2:USER_SGPR: 2
; COMPUTE_PGM_RSRC2:TRAP_HANDLER: 0
; COMPUTE_PGM_RSRC2:TGID_X_EN: 1
; COMPUTE_PGM_RSRC2:TGID_Y_EN: 0
; COMPUTE_PGM_RSRC2:TGID_Z_EN: 1
; COMPUTE_PGM_RSRC2:TIDIG_COMP_CNT: 0
; COMPUTE_PGM_RSRC3_GFX90A:ACCUM_OFFSET: 3
; COMPUTE_PGM_RSRC3_GFX90A:TG_SPLIT: 0
	.section	.text._ZL32rocblas_gemvt_warp_reduce_kernelILb1ELi1024EidPKddEviiT3_lPKT2_lT1_lS5_lS6_lS2_lPT4_lS6_li,"axG",@progbits,_ZL32rocblas_gemvt_warp_reduce_kernelILb1ELi1024EidPKddEviiT3_lPKT2_lT1_lS5_lS6_lS2_lPT4_lS6_li,comdat
	.globl	_ZL32rocblas_gemvt_warp_reduce_kernelILb1ELi1024EidPKddEviiT3_lPKT2_lT1_lS5_lS6_lS2_lPT4_lS6_li ; -- Begin function _ZL32rocblas_gemvt_warp_reduce_kernelILb1ELi1024EidPKddEviiT3_lPKT2_lT1_lS5_lS6_lS2_lPT4_lS6_li
	.p2align	8
	.type	_ZL32rocblas_gemvt_warp_reduce_kernelILb1ELi1024EidPKddEviiT3_lPKT2_lT1_lS5_lS6_lS2_lPT4_lS6_li,@function
_ZL32rocblas_gemvt_warp_reduce_kernelILb1ELi1024EidPKddEviiT3_lPKT2_lT1_lS5_lS6_lS2_lPT4_lS6_li: ; @_ZL32rocblas_gemvt_warp_reduce_kernelILb1ELi1024EidPKddEviiT3_lPKT2_lT1_lS5_lS6_lS2_lPT4_lS6_li
; %bb.0:
	s_load_dwordx8 s[4:11], s[0:1], 0x8
	s_load_dwordx8 s[12:19], s[0:1], 0x50
	s_waitcnt lgkmcnt(0)
	s_mul_i32 s7, s3, s7
	s_mul_hi_u32 s20, s3, s6
	s_add_i32 s7, s20, s7
	s_mul_i32 s6, s3, s6
	s_lshl_b64 s[6:7], s[6:7], 3
	s_add_u32 s4, s4, s6
	s_addc_u32 s5, s5, s7
	s_load_dwordx2 s[20:21], s[4:5], 0x0
	s_mul_i32 s4, s3, s17
	s_mul_hi_u32 s5, s3, s16
	s_add_i32 s5, s5, s4
	s_mul_i32 s4, s3, s16
	s_lshl_b64 s[4:5], s[4:5], 3
	s_add_u32 s4, s14, s4
	s_addc_u32 s5, s15, s5
	s_load_dwordx2 s[6:7], s[4:5], 0x0
	s_waitcnt lgkmcnt(0)
	v_cmp_eq_f64_e64 s[4:5], s[20:21], 0
	v_cmp_eq_f64_e64 s[14:15], s[6:7], 1.0
	s_and_b64 s[4:5], s[4:5], s[14:15]
	s_and_b64 vcc, exec, s[4:5]
	s_cbranch_vccnz .LBB98_29
; %bb.1:
	s_load_dwordx2 s[4:5], s[0:1], 0x80
	s_load_dwordx2 s[14:15], s[0:1], 0x70
	s_load_dword s26, s[0:1], 0x78
	s_waitcnt lgkmcnt(0)
	s_mul_i32 s5, s3, s5
	s_mul_hi_u32 s16, s3, s4
	s_mul_i32 s4, s3, s4
	s_add_i32 s5, s16, s5
	s_lshl_b64 s[4:5], s[4:5], 3
	s_add_u32 s16, s18, s4
	s_addc_u32 s17, s19, s5
	s_lshl_b64 s[4:5], s[14:15], 3
	s_add_u32 s24, s16, s4
	s_addc_u32 s25, s17, s5
	v_cmp_neq_f64_e64 s[4:5], s[20:21], 0
	s_mov_b64 s[14:15], 0
	s_and_b64 vcc, exec, s[4:5]
	v_cmp_eq_u32_e64 s[4:5], 0, v0
	s_cbranch_vccnz .LBB98_6
; %bb.2:
	s_mov_b64 s[18:19], 0
                                        ; implicit-def: $vgpr2_vgpr3
                                        ; implicit-def: $sgpr16_sgpr17
	s_and_saveexec_b64 s[22:23], s[4:5]
	s_cbranch_execz .LBB98_7
; %bb.3:
	v_cmp_eq_f64_e64 s[4:5], s[6:7], 0
	s_mul_i32 s16, s2, s26
	v_mov_b64_e32 v[2:3], 0
	s_ashr_i32 s17, s16, 31
	s_and_b64 vcc, exec, s[4:5]
	s_cbranch_vccnz .LBB98_5
; %bb.4:
	s_lshl_b64 s[4:5], s[16:17], 3
	s_add_u32 s4, s24, s4
	s_addc_u32 s5, s25, s5
	s_load_dwordx2 s[4:5], s[4:5], 0x0
	s_waitcnt lgkmcnt(0)
	v_mov_b64_e32 v[2:3], s[4:5]
	v_mul_f64 v[2:3], s[6:7], v[2:3]
.LBB98_5:
	s_mov_b64 s[14:15], exec
	s_or_b64 exec, exec, s[22:23]
	s_and_b64 vcc, exec, s[18:19]
	s_cbranch_vccnz .LBB98_8
	s_branch .LBB98_27
.LBB98_6:
                                        ; implicit-def: $vgpr2_vgpr3
                                        ; implicit-def: $sgpr16_sgpr17
	s_cbranch_execnz .LBB98_8
	s_branch .LBB98_27
.LBB98_7:
	s_or_b64 exec, exec, s[22:23]
	s_and_b64 vcc, exec, s[18:19]
	s_cbranch_vccz .LBB98_27
.LBB98_8:
	s_load_dword s16, s[0:1], 0x0
	s_load_dword s18, s[0:1], 0x28
	s_load_dwordx4 s[28:31], s[0:1], 0x30
	s_load_dwordx2 s[4:5], s[0:1], 0x40
	s_mul_i32 s13, s3, s13
	s_mul_hi_u32 s17, s3, s12
	s_add_i32 s13, s17, s13
	s_mul_i32 s12, s3, s12
	s_lshl_b64 s[12:13], s[12:13], 3
	s_waitcnt lgkmcnt(0)
	s_add_u32 s12, s30, s12
	s_addc_u32 s13, s31, s13
	s_lshl_b64 s[4:5], s[4:5], 3
	s_add_u32 s4, s12, s4
	s_load_dword s17, s[0:1], 0x48
	s_mul_i32 s0, s3, s29
	s_mul_hi_u32 s1, s3, s28
	s_addc_u32 s5, s13, s5
	s_add_i32 s1, s1, s0
	s_mul_i32 s0, s3, s28
	s_lshl_b64 s[0:1], s[0:1], 3
	s_add_u32 s3, s8, s0
	s_addc_u32 s8, s9, s1
	s_lshl_b64 s[0:1], s[10:11], 3
	s_add_u32 s3, s3, s0
	s_mul_i32 s0, s2, s18
	s_addc_u32 s8, s8, s1
	s_ashr_i32 s1, s0, 31
	v_cmp_gt_i32_e32 vcc, s16, v0
	s_lshl_b64 s[0:1], s[0:1], 3
	s_add_u32 s0, s0, s3
	v_cndmask_b32_e32 v1, 0, v0, vcc
	v_lshlrev_b32_e32 v2, 3, v1
	v_mov_b32_e32 v3, 0
	s_addc_u32 s1, s1, s8
	v_lshl_add_u64 v[4:5], s[0:1], 0, v[2:3]
	s_ashr_i32 s0, s16, 31
	s_lshr_b32 s0, s0, 22
	s_add_i32 s0, s16, s0
	s_and_b32 s0, s0, 0xfffffc00
	v_cmp_gt_i32_e32 vcc, s0, v0
	v_mov_b64_e32 v[2:3], 0
	s_and_saveexec_b64 s[8:9], vcc
	s_cbranch_execz .LBB98_12
; %bb.9:
	s_waitcnt lgkmcnt(0)
	v_mul_lo_u32 v6, v0, s17
	s_lshl_b32 s1, s17, 10
	s_mov_b64 s[10:11], 0
	v_mov_b64_e32 v[2:3], 0
	s_mov_b64 s[12:13], 0x2000
	v_mov_b64_e32 v[8:9], v[4:5]
	v_mov_b32_e32 v1, v0
.LBB98_10:                              ; =>This Inner Loop Header: Depth=1
	v_ashrrev_i32_e32 v7, 31, v6
	v_lshl_add_u64 v[12:13], v[6:7], 3, s[4:5]
	global_load_dwordx2 v[10:11], v[8:9], off
	v_add_u32_e32 v1, 0x400, v1
	global_load_dwordx2 v[12:13], v[12:13], off
	v_cmp_le_i32_e32 vcc, s0, v1
	v_lshl_add_u64 v[8:9], v[8:9], 0, s[12:13]
	v_add_u32_e32 v6, s1, v6
	s_or_b64 s[10:11], vcc, s[10:11]
	s_waitcnt vmcnt(0)
	v_fmac_f64_e32 v[2:3], v[10:11], v[12:13]
	s_andn2_b64 exec, exec, s[10:11]
	s_cbranch_execnz .LBB98_10
; %bb.11:
	s_or_b64 exec, exec, s[10:11]
.LBB98_12:
	s_or_b64 exec, exec, s[8:9]
	v_or_b32_e32 v1, s0, v0
	v_cmp_gt_i32_e32 vcc, s16, v1
	s_and_saveexec_b64 s[8:9], vcc
	s_cbranch_execz .LBB98_14
; %bb.13:
	s_waitcnt lgkmcnt(0)
	v_mul_lo_u32 v6, v1, s17
	s_ashr_i32 s1, s0, 31
	v_ashrrev_i32_e32 v7, 31, v6
	v_lshl_add_u64 v[4:5], s[0:1], 3, v[4:5]
	v_lshl_add_u64 v[6:7], v[6:7], 3, s[4:5]
	global_load_dwordx2 v[4:5], v[4:5], off
	s_nop 0
	global_load_dwordx2 v[6:7], v[6:7], off
	s_waitcnt vmcnt(0)
	v_fmac_f64_e32 v[2:3], v[4:5], v[6:7]
.LBB98_14:
	s_or_b64 exec, exec, s[8:9]
	v_and_b32_e32 v6, 63, v0
	v_cmp_gt_u32_e32 vcc, 64, v0
	v_lshlrev_b32_e32 v1, 3, v6
	s_and_saveexec_b64 s[0:1], vcc
	s_cbranch_execz .LBB98_16
; %bb.15:
	v_mov_b32_e32 v4, 0
	v_mov_b32_e32 v5, v4
	ds_write_b64 v1, v[4:5]
.LBB98_16:
	s_or_b64 exec, exec, s[0:1]
	v_mbcnt_lo_u32_b32 v4, -1, 0
	v_mbcnt_hi_u32_b32 v10, -1, v4
	v_and_b32_e32 v11, 63, v10
	v_cmp_gt_u32_e64 s[0:1], 32, v11
	s_waitcnt lgkmcnt(0)
	s_barrier
	v_cndmask_b32_e64 v4, 0, 1, s[0:1]
	v_lshlrev_b32_e32 v4, 5, v4
	v_add_lshl_u32 v5, v4, v10, 2
	ds_bpermute_b32 v4, v5, v2
	ds_bpermute_b32 v5, v5, v3
	v_cmp_gt_u32_e64 s[0:1], 48, v11
	s_waitcnt lgkmcnt(0)
	v_add_f64 v[2:3], v[2:3], v[4:5]
	v_cndmask_b32_e64 v7, 0, 1, s[0:1]
	v_lshlrev_b32_e32 v4, 4, v7
	v_add_lshl_u32 v5, v4, v10, 2
	ds_bpermute_b32 v4, v5, v2
	ds_bpermute_b32 v5, v5, v3
	v_cmp_gt_u32_e64 s[0:1], 56, v11
	s_waitcnt lgkmcnt(0)
	v_add_f64 v[2:3], v[2:3], v[4:5]
	;; [unrolled: 8-line block ×4, first 2 shown]
	v_cndmask_b32_e64 v4, 0, 1, s[0:1]
	v_lshlrev_b32_e32 v4, 1, v4
	v_add_lshl_u32 v9, v4, v10, 2
	ds_bpermute_b32 v4, v9, v2
	ds_bpermute_b32 v5, v9, v3
	v_cmp_ne_u32_e64 s[0:1], 63, v11
	s_waitcnt lgkmcnt(0)
	v_add_f64 v[2:3], v[2:3], v[4:5]
	v_addc_co_u32_e64 v4, s[0:1], 0, v10, s[0:1]
	v_lshlrev_b32_e32 v10, 2, v4
	ds_bpermute_b32 v4, v10, v2
	ds_bpermute_b32 v5, v10, v3
	v_cmp_eq_u32_e64 s[0:1], 0, v6
	s_and_saveexec_b64 s[4:5], s[0:1]
	s_cbranch_execz .LBB98_18
; %bb.17:
	v_lshrrev_b32_e32 v6, 3, v0
	v_and_b32_e32 v6, 0x78, v6
	s_waitcnt lgkmcnt(0)
	v_add_f64 v[2:3], v[2:3], v[4:5]
	ds_write_b64 v6, v[2:3]
.LBB98_18:
	s_or_b64 exec, exec, s[4:5]
	v_cmp_gt_u32_e64 s[0:1], 16, v0
	s_waitcnt lgkmcnt(0)
	v_mov_b64_e32 v[4:5], 0
	s_barrier
	s_and_saveexec_b64 s[4:5], s[0:1]
	s_cbranch_execz .LBB98_20
; %bb.19:
	ds_read_b64 v[4:5], v1
	s_or_b64 exec, exec, s[4:5]
	s_and_saveexec_b64 s[0:1], vcc
	s_cbranch_execz .LBB98_22
	s_branch .LBB98_21
.LBB98_20:
	s_or_b64 exec, exec, s[4:5]
	s_and_saveexec_b64 s[0:1], vcc
	s_cbranch_execz .LBB98_22
.LBB98_21:
	s_waitcnt lgkmcnt(0)
	ds_bpermute_b32 v2, v7, v4
	ds_bpermute_b32 v3, v7, v5
	s_waitcnt lgkmcnt(0)
	v_add_f64 v[2:3], v[4:5], v[2:3]
	ds_bpermute_b32 v4, v8, v2
	ds_bpermute_b32 v5, v8, v3
	s_waitcnt lgkmcnt(0)
	v_add_f64 v[2:3], v[2:3], v[4:5]
	;; [unrolled: 4-line block ×4, first 2 shown]
.LBB98_22:
	s_or_b64 exec, exec, s[0:1]
	v_cmp_eq_u32_e32 vcc, 0, v0
                                        ; implicit-def: $vgpr2_vgpr3
                                        ; implicit-def: $sgpr16_sgpr17
	s_and_saveexec_b64 s[0:1], vcc
	s_cbranch_execz .LBB98_26
; %bb.23:
	v_cmp_eq_f64_e64 s[4:5], s[6:7], 0
	s_mul_i32 s16, s2, s26
	s_waitcnt lgkmcnt(0)
	v_mul_f64 v[2:3], s[20:21], v[4:5]
	s_ashr_i32 s17, s16, 31
	s_and_b64 vcc, exec, s[4:5]
	s_cbranch_vccnz .LBB98_25
; %bb.24:
	s_lshl_b64 s[2:3], s[16:17], 3
	s_add_u32 s2, s24, s2
	s_addc_u32 s3, s25, s3
	s_load_dwordx2 s[2:3], s[2:3], 0x0
	s_waitcnt lgkmcnt(0)
	v_mov_b64_e32 v[0:1], s[2:3]
	v_fmac_f64_e32 v[2:3], s[6:7], v[0:1]
.LBB98_25:
	s_or_b64 s[14:15], s[14:15], exec
.LBB98_26:
	s_or_b64 exec, exec, s[0:1]
.LBB98_27:
	s_and_saveexec_b64 s[0:1], s[14:15]
	s_cbranch_execz .LBB98_29
; %bb.28:
	s_lshl_b64 s[0:1], s[16:17], 3
	s_add_u32 s0, s24, s0
	s_addc_u32 s1, s25, s1
	v_mov_b32_e32 v0, 0
	global_store_dwordx2 v0, v[2:3], s[0:1]
.LBB98_29:
	s_endpgm
	.section	.rodata,"a",@progbits
	.p2align	6, 0x0
	.amdhsa_kernel _ZL32rocblas_gemvt_warp_reduce_kernelILb1ELi1024EidPKddEviiT3_lPKT2_lT1_lS5_lS6_lS2_lPT4_lS6_li
		.amdhsa_group_segment_fixed_size 512
		.amdhsa_private_segment_fixed_size 0
		.amdhsa_kernarg_size 140
		.amdhsa_user_sgpr_count 2
		.amdhsa_user_sgpr_dispatch_ptr 0
		.amdhsa_user_sgpr_queue_ptr 0
		.amdhsa_user_sgpr_kernarg_segment_ptr 1
		.amdhsa_user_sgpr_dispatch_id 0
		.amdhsa_user_sgpr_kernarg_preload_length 0
		.amdhsa_user_sgpr_kernarg_preload_offset 0
		.amdhsa_user_sgpr_private_segment_size 0
		.amdhsa_uses_dynamic_stack 0
		.amdhsa_enable_private_segment 0
		.amdhsa_system_sgpr_workgroup_id_x 1
		.amdhsa_system_sgpr_workgroup_id_y 0
		.amdhsa_system_sgpr_workgroup_id_z 1
		.amdhsa_system_sgpr_workgroup_info 0
		.amdhsa_system_vgpr_workitem_id 0
		.amdhsa_next_free_vgpr 14
		.amdhsa_next_free_sgpr 32
		.amdhsa_accum_offset 16
		.amdhsa_reserve_vcc 1
		.amdhsa_float_round_mode_32 0
		.amdhsa_float_round_mode_16_64 0
		.amdhsa_float_denorm_mode_32 3
		.amdhsa_float_denorm_mode_16_64 3
		.amdhsa_dx10_clamp 1
		.amdhsa_ieee_mode 1
		.amdhsa_fp16_overflow 0
		.amdhsa_tg_split 0
		.amdhsa_exception_fp_ieee_invalid_op 0
		.amdhsa_exception_fp_denorm_src 0
		.amdhsa_exception_fp_ieee_div_zero 0
		.amdhsa_exception_fp_ieee_overflow 0
		.amdhsa_exception_fp_ieee_underflow 0
		.amdhsa_exception_fp_ieee_inexact 0
		.amdhsa_exception_int_div_zero 0
	.end_amdhsa_kernel
	.section	.text._ZL32rocblas_gemvt_warp_reduce_kernelILb1ELi1024EidPKddEviiT3_lPKT2_lT1_lS5_lS6_lS2_lPT4_lS6_li,"axG",@progbits,_ZL32rocblas_gemvt_warp_reduce_kernelILb1ELi1024EidPKddEviiT3_lPKT2_lT1_lS5_lS6_lS2_lPT4_lS6_li,comdat
.Lfunc_end98:
	.size	_ZL32rocblas_gemvt_warp_reduce_kernelILb1ELi1024EidPKddEviiT3_lPKT2_lT1_lS5_lS6_lS2_lPT4_lS6_li, .Lfunc_end98-_ZL32rocblas_gemvt_warp_reduce_kernelILb1ELi1024EidPKddEviiT3_lPKT2_lT1_lS5_lS6_lS2_lPT4_lS6_li
                                        ; -- End function
	.section	.AMDGPU.csdata,"",@progbits
; Kernel info:
; codeLenInByte = 1488
; NumSgprs: 38
; NumVgprs: 14
; NumAgprs: 0
; TotalNumVgprs: 14
; ScratchSize: 0
; MemoryBound: 0
; FloatMode: 240
; IeeeMode: 1
; LDSByteSize: 512 bytes/workgroup (compile time only)
; SGPRBlocks: 4
; VGPRBlocks: 1
; NumSGPRsForWavesPerEU: 38
; NumVGPRsForWavesPerEU: 14
; AccumOffset: 16
; Occupancy: 8
; WaveLimiterHint : 1
; COMPUTE_PGM_RSRC2:SCRATCH_EN: 0
; COMPUTE_PGM_RSRC2:USER_SGPR: 2
; COMPUTE_PGM_RSRC2:TRAP_HANDLER: 0
; COMPUTE_PGM_RSRC2:TGID_X_EN: 1
; COMPUTE_PGM_RSRC2:TGID_Y_EN: 0
; COMPUTE_PGM_RSRC2:TGID_Z_EN: 1
; COMPUTE_PGM_RSRC2:TIDIG_COMP_CNT: 0
; COMPUTE_PGM_RSRC3_GFX90A:ACCUM_OFFSET: 3
; COMPUTE_PGM_RSRC3_GFX90A:TG_SPLIT: 0
	.section	.text._ZL32rocblas_gemvt_warp_reduce_kernelILb1ELi1024EldPKddEviiT3_lPKT2_lT1_lS5_lS6_lS2_lPT4_lS6_li,"axG",@progbits,_ZL32rocblas_gemvt_warp_reduce_kernelILb1ELi1024EldPKddEviiT3_lPKT2_lT1_lS5_lS6_lS2_lPT4_lS6_li,comdat
	.globl	_ZL32rocblas_gemvt_warp_reduce_kernelILb1ELi1024EldPKddEviiT3_lPKT2_lT1_lS5_lS6_lS2_lPT4_lS6_li ; -- Begin function _ZL32rocblas_gemvt_warp_reduce_kernelILb1ELi1024EldPKddEviiT3_lPKT2_lT1_lS5_lS6_lS2_lPT4_lS6_li
	.p2align	8
	.type	_ZL32rocblas_gemvt_warp_reduce_kernelILb1ELi1024EldPKddEviiT3_lPKT2_lT1_lS5_lS6_lS2_lPT4_lS6_li,@function
_ZL32rocblas_gemvt_warp_reduce_kernelILb1ELi1024EldPKddEviiT3_lPKT2_lT1_lS5_lS6_lS2_lPT4_lS6_li: ; @_ZL32rocblas_gemvt_warp_reduce_kernelILb1ELi1024EldPKddEviiT3_lPKT2_lT1_lS5_lS6_lS2_lPT4_lS6_li
; %bb.0:
	s_load_dwordx16 s[36:51], s[0:1], 0x8
	s_load_dwordx16 s[8:23], s[0:1], 0x48
	s_waitcnt lgkmcnt(0)
	s_mul_i32 s4, s3, s39
	s_mul_hi_u32 s5, s3, s38
	s_add_i32 s5, s5, s4
	s_mul_i32 s4, s3, s38
	s_lshl_b64 s[4:5], s[4:5], 3
	s_add_u32 s4, s36, s4
	s_addc_u32 s5, s37, s5
	s_load_dwordx2 s[24:25], s[4:5], 0x0
	s_mul_i32 s4, s3, s15
	s_mul_hi_u32 s5, s3, s14
	s_add_i32 s5, s5, s4
	s_mul_i32 s4, s3, s14
	s_lshl_b64 s[4:5], s[4:5], 3
	s_add_u32 s4, s12, s4
	s_addc_u32 s5, s13, s5
	s_load_dwordx2 s[6:7], s[4:5], 0x0
	s_waitcnt lgkmcnt(0)
	v_cmp_eq_f64_e64 s[4:5], s[24:25], 0
	v_cmp_eq_f64_e64 s[12:13], s[6:7], 1.0
	s_and_b64 s[4:5], s[4:5], s[12:13]
	s_and_b64 vcc, exec, s[4:5]
	s_cbranch_vccnz .LBB99_29
; %bb.1:
	s_mul_i32 s4, s3, s23
	s_mul_hi_u32 s5, s3, s22
	s_add_i32 s5, s5, s4
	s_mul_i32 s4, s3, s22
	s_lshl_b64 s[4:5], s[4:5], 3
	s_add_u32 s12, s16, s4
	s_addc_u32 s13, s17, s5
	s_lshl_b64 s[4:5], s[18:19], 3
	s_add_u32 s22, s12, s4
	s_addc_u32 s23, s13, s5
	v_cmp_neq_f64_e64 s[4:5], s[24:25], 0
	s_mov_b64 s[12:13], 0
	s_and_b64 vcc, exec, s[4:5]
	v_cmp_eq_u32_e64 s[4:5], 0, v0
	s_cbranch_vccnz .LBB99_6
; %bb.2:
	s_mov_b64 s[16:17], 0
                                        ; implicit-def: $vgpr2_vgpr3
                                        ; implicit-def: $sgpr14_sgpr15
	s_and_saveexec_b64 s[18:19], s[4:5]
	s_cbranch_execz .LBB99_7
; %bb.3:
	s_ashr_i32 s12, s2, 31
	s_mul_i32 s13, s2, s21
	s_mul_hi_u32 s14, s2, s20
	v_cmp_eq_f64_e64 s[4:5], s[6:7], 0
	s_add_i32 s13, s14, s13
	s_mul_i32 s12, s12, s20
	v_mov_b64_e32 v[2:3], 0
	s_add_i32 s15, s13, s12
	s_mul_i32 s14, s2, s20
	s_and_b64 vcc, exec, s[4:5]
	s_cbranch_vccnz .LBB99_5
; %bb.4:
	s_lshl_b64 s[4:5], s[14:15], 3
	s_add_u32 s4, s22, s4
	s_addc_u32 s5, s23, s5
	s_load_dwordx2 s[4:5], s[4:5], 0x0
	s_waitcnt lgkmcnt(0)
	v_mov_b64_e32 v[2:3], s[4:5]
	v_mul_f64 v[2:3], s[6:7], v[2:3]
.LBB99_5:
	s_mov_b64 s[12:13], exec
	s_or_b64 exec, exec, s[18:19]
	s_and_b64 vcc, exec, s[16:17]
	s_cbranch_vccnz .LBB99_8
	s_branch .LBB99_27
.LBB99_6:
                                        ; implicit-def: $vgpr2_vgpr3
                                        ; implicit-def: $sgpr14_sgpr15
	s_cbranch_execnz .LBB99_8
	s_branch .LBB99_27
.LBB99_7:
	s_or_b64 exec, exec, s[18:19]
	s_and_b64 vcc, exec, s[16:17]
	s_cbranch_vccz .LBB99_27
.LBB99_8:
	s_mul_i32 s4, s3, s11
	s_mul_hi_u32 s5, s3, s10
	s_add_i32 s5, s5, s4
	s_mul_i32 s4, s3, s10
	s_load_dword s1, s[0:1], 0x0
	s_mul_i32 s0, s3, s47
	s_mul_hi_u32 s10, s3, s46
	s_add_i32 s11, s10, s0
	s_mul_i32 s10, s3, s46
	s_lshl_b64 s[10:11], s[10:11], 3
	s_add_u32 s0, s40, s10
	s_addc_u32 s3, s41, s11
	s_lshl_b64 s[10:11], s[42:43], 3
	s_add_u32 s0, s0, s10
	s_addc_u32 s14, s3, s11
	s_ashr_i32 s3, s2, 31
	s_mul_i32 s10, s2, s45
	s_mul_hi_u32 s11, s2, s44
	s_add_i32 s10, s11, s10
	s_mul_i32 s11, s3, s44
	s_add_i32 s11, s10, s11
	s_mul_i32 s10, s2, s44
	s_lshl_b64 s[10:11], s[10:11], 3
	s_add_u32 s10, s10, s0
	s_addc_u32 s11, s11, s14
	s_waitcnt lgkmcnt(0)
	s_ashr_i32 s0, s1, 31
	v_cmp_gt_i32_e32 vcc, s1, v0
	s_lshr_b32 s0, s0, 22
	s_add_i32 s0, s1, s0
	v_cndmask_b32_e32 v1, 0, v0, vcc
	v_lshlrev_b32_e32 v2, 3, v1
	v_mov_b32_e32 v3, 0
	s_and_b32 s0, s0, 0xfffffc00
	v_lshl_add_u64 v[4:5], s[10:11], 0, v[2:3]
	v_cmp_gt_i32_e32 vcc, s0, v0
	v_mov_b64_e32 v[2:3], 0
	s_and_saveexec_b64 s[10:11], vcc
	s_cbranch_execz .LBB99_12
; %bb.9:
	v_mad_u64_u32 v[2:3], s[16:17], s8, v0, 0
	v_mov_b32_e32 v6, v3
	v_mad_u64_u32 v[6:7], s[16:17], s9, v0, v[6:7]
	s_lshl_b64 s[14:15], s[4:5], 3
	s_lshl_b64 s[16:17], s[50:51], 3
	s_add_u32 s16, s48, s16
	s_addc_u32 s17, s49, s17
	s_add_u32 s14, s16, s14
	v_mov_b32_e32 v3, v6
	s_addc_u32 s15, s17, s15
	v_lshl_add_u64 v[6:7], v[2:3], 3, s[14:15]
	s_lshl_b64 s[16:17], s[8:9], 13
	s_mov_b64 s[14:15], 0
	v_mov_b64_e32 v[2:3], 0
	s_mov_b64 s[18:19], 0x2000
	v_mov_b64_e32 v[8:9], v[4:5]
	v_mov_b32_e32 v1, v0
.LBB99_10:                              ; =>This Inner Loop Header: Depth=1
	global_load_dwordx2 v[10:11], v[8:9], off
	global_load_dwordx2 v[12:13], v[6:7], off
	v_add_u32_e32 v1, 0x400, v1
	v_cmp_le_i32_e32 vcc, s0, v1
	v_lshl_add_u64 v[8:9], v[8:9], 0, s[18:19]
	v_lshl_add_u64 v[6:7], v[6:7], 0, s[16:17]
	s_or_b64 s[14:15], vcc, s[14:15]
	s_waitcnt vmcnt(0)
	v_fmac_f64_e32 v[2:3], v[10:11], v[12:13]
	s_andn2_b64 exec, exec, s[14:15]
	s_cbranch_execnz .LBB99_10
; %bb.11:
	s_or_b64 exec, exec, s[14:15]
.LBB99_12:
	s_or_b64 exec, exec, s[10:11]
	v_or_b32_e32 v1, s0, v0
	v_cmp_gt_i32_e32 vcc, s1, v1
	s_and_saveexec_b64 s[10:11], vcc
	s_cbranch_execz .LBB99_14
; %bb.13:
	s_lshl_b64 s[4:5], s[4:5], 3
	s_add_u32 s1, s48, s4
	s_addc_u32 s14, s49, s5
	s_lshl_b64 s[4:5], s[50:51], 3
	s_add_u32 s4, s1, s4
	s_addc_u32 s5, s14, s5
	s_ashr_i32 s1, s0, 31
	v_ashrrev_i32_e32 v6, 31, v1
	v_lshl_add_u64 v[4:5], s[0:1], 3, v[4:5]
	v_mul_lo_u32 v8, v1, s9
	v_mul_lo_u32 v9, v6, s8
	v_mad_u64_u32 v[6:7], s[0:1], v1, s8, 0
	v_add3_u32 v7, v7, v8, v9
	v_lshl_add_u64 v[6:7], v[6:7], 3, s[4:5]
	global_load_dwordx2 v[4:5], v[4:5], off
	s_nop 0
	global_load_dwordx2 v[6:7], v[6:7], off
	s_waitcnt vmcnt(0)
	v_fmac_f64_e32 v[2:3], v[4:5], v[6:7]
.LBB99_14:
	s_or_b64 exec, exec, s[10:11]
	v_and_b32_e32 v6, 63, v0
	v_cmp_gt_u32_e32 vcc, 64, v0
	v_lshlrev_b32_e32 v1, 3, v6
	s_and_saveexec_b64 s[0:1], vcc
	s_cbranch_execz .LBB99_16
; %bb.15:
	v_mov_b32_e32 v4, 0
	v_mov_b32_e32 v5, v4
	ds_write_b64 v1, v[4:5]
.LBB99_16:
	s_or_b64 exec, exec, s[0:1]
	v_mbcnt_lo_u32_b32 v4, -1, 0
	v_mbcnt_hi_u32_b32 v10, -1, v4
	v_and_b32_e32 v11, 63, v10
	v_cmp_gt_u32_e64 s[0:1], 32, v11
	s_waitcnt lgkmcnt(0)
	s_barrier
	v_cndmask_b32_e64 v4, 0, 1, s[0:1]
	v_lshlrev_b32_e32 v4, 5, v4
	v_add_lshl_u32 v5, v4, v10, 2
	ds_bpermute_b32 v4, v5, v2
	ds_bpermute_b32 v5, v5, v3
	v_cmp_gt_u32_e64 s[0:1], 48, v11
	s_waitcnt lgkmcnt(0)
	v_add_f64 v[2:3], v[2:3], v[4:5]
	v_cndmask_b32_e64 v7, 0, 1, s[0:1]
	v_lshlrev_b32_e32 v4, 4, v7
	v_add_lshl_u32 v5, v4, v10, 2
	ds_bpermute_b32 v4, v5, v2
	ds_bpermute_b32 v5, v5, v3
	v_cmp_gt_u32_e64 s[0:1], 56, v11
	s_waitcnt lgkmcnt(0)
	v_add_f64 v[2:3], v[2:3], v[4:5]
	;; [unrolled: 8-line block ×4, first 2 shown]
	v_cndmask_b32_e64 v4, 0, 1, s[0:1]
	v_lshlrev_b32_e32 v4, 1, v4
	v_add_lshl_u32 v9, v4, v10, 2
	ds_bpermute_b32 v4, v9, v2
	ds_bpermute_b32 v5, v9, v3
	v_cmp_ne_u32_e64 s[0:1], 63, v11
	s_waitcnt lgkmcnt(0)
	v_add_f64 v[2:3], v[2:3], v[4:5]
	v_addc_co_u32_e64 v4, s[0:1], 0, v10, s[0:1]
	v_lshlrev_b32_e32 v10, 2, v4
	ds_bpermute_b32 v4, v10, v2
	ds_bpermute_b32 v5, v10, v3
	v_cmp_eq_u32_e64 s[0:1], 0, v6
	s_and_saveexec_b64 s[4:5], s[0:1]
	s_cbranch_execz .LBB99_18
; %bb.17:
	v_lshrrev_b32_e32 v6, 3, v0
	v_and_b32_e32 v6, 0x78, v6
	s_waitcnt lgkmcnt(0)
	v_add_f64 v[2:3], v[2:3], v[4:5]
	ds_write_b64 v6, v[2:3]
.LBB99_18:
	s_or_b64 exec, exec, s[4:5]
	v_cmp_gt_u32_e64 s[0:1], 16, v0
	s_waitcnt lgkmcnt(0)
	v_mov_b64_e32 v[4:5], 0
	s_barrier
	s_and_saveexec_b64 s[4:5], s[0:1]
	s_cbranch_execz .LBB99_20
; %bb.19:
	ds_read_b64 v[4:5], v1
	s_or_b64 exec, exec, s[4:5]
	s_and_saveexec_b64 s[0:1], vcc
	s_cbranch_execz .LBB99_22
	s_branch .LBB99_21
.LBB99_20:
	s_or_b64 exec, exec, s[4:5]
	s_and_saveexec_b64 s[0:1], vcc
	s_cbranch_execz .LBB99_22
.LBB99_21:
	s_waitcnt lgkmcnt(0)
	ds_bpermute_b32 v2, v7, v4
	ds_bpermute_b32 v3, v7, v5
	s_waitcnt lgkmcnt(0)
	v_add_f64 v[2:3], v[4:5], v[2:3]
	ds_bpermute_b32 v4, v8, v2
	ds_bpermute_b32 v5, v8, v3
	s_waitcnt lgkmcnt(0)
	v_add_f64 v[2:3], v[2:3], v[4:5]
	;; [unrolled: 4-line block ×4, first 2 shown]
.LBB99_22:
	s_or_b64 exec, exec, s[0:1]
	v_cmp_eq_u32_e32 vcc, 0, v0
                                        ; implicit-def: $vgpr2_vgpr3
                                        ; implicit-def: $sgpr14_sgpr15
	s_and_saveexec_b64 s[0:1], vcc
	s_cbranch_execz .LBB99_26
; %bb.23:
	s_mul_i32 s8, s2, s21
	s_mul_hi_u32 s9, s2, s20
	v_cmp_eq_f64_e64 s[4:5], s[6:7], 0
	s_add_i32 s8, s9, s8
	s_mul_i32 s3, s3, s20
	s_waitcnt lgkmcnt(0)
	v_mul_f64 v[2:3], s[24:25], v[4:5]
	s_add_i32 s15, s8, s3
	s_mul_i32 s14, s2, s20
	s_and_b64 vcc, exec, s[4:5]
	s_cbranch_vccnz .LBB99_25
; %bb.24:
	s_lshl_b64 s[2:3], s[14:15], 3
	s_add_u32 s2, s22, s2
	s_addc_u32 s3, s23, s3
	s_load_dwordx2 s[2:3], s[2:3], 0x0
	s_waitcnt lgkmcnt(0)
	v_mov_b64_e32 v[0:1], s[2:3]
	v_fmac_f64_e32 v[2:3], s[6:7], v[0:1]
.LBB99_25:
	s_or_b64 s[12:13], s[12:13], exec
.LBB99_26:
	s_or_b64 exec, exec, s[0:1]
.LBB99_27:
	s_and_saveexec_b64 s[0:1], s[12:13]
	s_cbranch_execz .LBB99_29
; %bb.28:
	s_lshl_b64 s[0:1], s[14:15], 3
	s_add_u32 s0, s22, s0
	s_addc_u32 s1, s23, s1
	v_mov_b32_e32 v0, 0
	global_store_dwordx2 v0, v[2:3], s[0:1]
.LBB99_29:
	s_endpgm
	.section	.rodata,"a",@progbits
	.p2align	6, 0x0
	.amdhsa_kernel _ZL32rocblas_gemvt_warp_reduce_kernelILb1ELi1024EldPKddEviiT3_lPKT2_lT1_lS5_lS6_lS2_lPT4_lS6_li
		.amdhsa_group_segment_fixed_size 512
		.amdhsa_private_segment_fixed_size 0
		.amdhsa_kernarg_size 140
		.amdhsa_user_sgpr_count 2
		.amdhsa_user_sgpr_dispatch_ptr 0
		.amdhsa_user_sgpr_queue_ptr 0
		.amdhsa_user_sgpr_kernarg_segment_ptr 1
		.amdhsa_user_sgpr_dispatch_id 0
		.amdhsa_user_sgpr_kernarg_preload_length 0
		.amdhsa_user_sgpr_kernarg_preload_offset 0
		.amdhsa_user_sgpr_private_segment_size 0
		.amdhsa_uses_dynamic_stack 0
		.amdhsa_enable_private_segment 0
		.amdhsa_system_sgpr_workgroup_id_x 1
		.amdhsa_system_sgpr_workgroup_id_y 0
		.amdhsa_system_sgpr_workgroup_id_z 1
		.amdhsa_system_sgpr_workgroup_info 0
		.amdhsa_system_vgpr_workitem_id 0
		.amdhsa_next_free_vgpr 14
		.amdhsa_next_free_sgpr 52
		.amdhsa_accum_offset 16
		.amdhsa_reserve_vcc 1
		.amdhsa_float_round_mode_32 0
		.amdhsa_float_round_mode_16_64 0
		.amdhsa_float_denorm_mode_32 3
		.amdhsa_float_denorm_mode_16_64 3
		.amdhsa_dx10_clamp 1
		.amdhsa_ieee_mode 1
		.amdhsa_fp16_overflow 0
		.amdhsa_tg_split 0
		.amdhsa_exception_fp_ieee_invalid_op 0
		.amdhsa_exception_fp_denorm_src 0
		.amdhsa_exception_fp_ieee_div_zero 0
		.amdhsa_exception_fp_ieee_overflow 0
		.amdhsa_exception_fp_ieee_underflow 0
		.amdhsa_exception_fp_ieee_inexact 0
		.amdhsa_exception_int_div_zero 0
	.end_amdhsa_kernel
	.section	.text._ZL32rocblas_gemvt_warp_reduce_kernelILb1ELi1024EldPKddEviiT3_lPKT2_lT1_lS5_lS6_lS2_lPT4_lS6_li,"axG",@progbits,_ZL32rocblas_gemvt_warp_reduce_kernelILb1ELi1024EldPKddEviiT3_lPKT2_lT1_lS5_lS6_lS2_lPT4_lS6_li,comdat
.Lfunc_end99:
	.size	_ZL32rocblas_gemvt_warp_reduce_kernelILb1ELi1024EldPKddEviiT3_lPKT2_lT1_lS5_lS6_lS2_lPT4_lS6_li, .Lfunc_end99-_ZL32rocblas_gemvt_warp_reduce_kernelILb1ELi1024EldPKddEviiT3_lPKT2_lT1_lS5_lS6_lS2_lPT4_lS6_li
                                        ; -- End function
	.section	.AMDGPU.csdata,"",@progbits
; Kernel info:
; codeLenInByte = 1540
; NumSgprs: 58
; NumVgprs: 14
; NumAgprs: 0
; TotalNumVgprs: 14
; ScratchSize: 0
; MemoryBound: 0
; FloatMode: 240
; IeeeMode: 1
; LDSByteSize: 512 bytes/workgroup (compile time only)
; SGPRBlocks: 7
; VGPRBlocks: 1
; NumSGPRsForWavesPerEU: 58
; NumVGPRsForWavesPerEU: 14
; AccumOffset: 16
; Occupancy: 8
; WaveLimiterHint : 0
; COMPUTE_PGM_RSRC2:SCRATCH_EN: 0
; COMPUTE_PGM_RSRC2:USER_SGPR: 2
; COMPUTE_PGM_RSRC2:TRAP_HANDLER: 0
; COMPUTE_PGM_RSRC2:TGID_X_EN: 1
; COMPUTE_PGM_RSRC2:TGID_Y_EN: 0
; COMPUTE_PGM_RSRC2:TGID_Z_EN: 1
; COMPUTE_PGM_RSRC2:TIDIG_COMP_CNT: 0
; COMPUTE_PGM_RSRC3_GFX90A:ACCUM_OFFSET: 3
; COMPUTE_PGM_RSRC3_GFX90A:TG_SPLIT: 0
	.section	.text._ZL32rocblas_gemvt_warp_reduce_kernelILb1ELi1024EidddEviiT3_lPKT2_lT1_lS3_lS4_lS0_lPT4_lS4_li,"axG",@progbits,_ZL32rocblas_gemvt_warp_reduce_kernelILb1ELi1024EidddEviiT3_lPKT2_lT1_lS3_lS4_lS0_lPT4_lS4_li,comdat
	.globl	_ZL32rocblas_gemvt_warp_reduce_kernelILb1ELi1024EidddEviiT3_lPKT2_lT1_lS3_lS4_lS0_lPT4_lS4_li ; -- Begin function _ZL32rocblas_gemvt_warp_reduce_kernelILb1ELi1024EidddEviiT3_lPKT2_lT1_lS3_lS4_lS0_lPT4_lS4_li
	.p2align	8
	.type	_ZL32rocblas_gemvt_warp_reduce_kernelILb1ELi1024EidddEviiT3_lPKT2_lT1_lS3_lS4_lS0_lPT4_lS4_li,@function
_ZL32rocblas_gemvt_warp_reduce_kernelILb1ELi1024EidddEviiT3_lPKT2_lT1_lS3_lS4_lS0_lPT4_lS4_li: ; @_ZL32rocblas_gemvt_warp_reduce_kernelILb1ELi1024EidddEviiT3_lPKT2_lT1_lS3_lS4_lS0_lPT4_lS4_li
; %bb.0:
	s_load_dwordx2 s[6:7], s[0:1], 0x8
	s_load_dwordx4 s[8:11], s[0:1], 0x50
	s_waitcnt lgkmcnt(0)
	v_cmp_eq_f64_e64 s[4:5], s[6:7], 0
	v_cmp_eq_f64_e64 s[12:13], s[10:11], 1.0
	s_and_b64 s[4:5], s[4:5], s[12:13]
	s_and_b64 vcc, exec, s[4:5]
	s_cbranch_vccnz .LBB100_29
; %bb.1:
	s_load_dwordx2 s[4:5], s[0:1], 0x80
	s_load_dwordx4 s[12:15], s[0:1], 0x68
	s_load_dword s22, s[0:1], 0x78
	s_waitcnt lgkmcnt(0)
	s_mul_i32 s5, s3, s5
	s_mul_hi_u32 s16, s3, s4
	s_mul_i32 s4, s3, s4
	s_add_i32 s5, s16, s5
	s_lshl_b64 s[4:5], s[4:5], 3
	s_add_u32 s12, s12, s4
	s_addc_u32 s13, s13, s5
	s_lshl_b64 s[4:5], s[14:15], 3
	s_add_u32 s20, s12, s4
	s_addc_u32 s21, s13, s5
	v_cmp_neq_f64_e64 s[4:5], s[6:7], 0
	s_mov_b64 s[12:13], 0
	s_and_b64 vcc, exec, s[4:5]
	v_cmp_eq_u32_e64 s[4:5], 0, v0
	s_cbranch_vccnz .LBB100_6
; %bb.2:
	s_mov_b64 s[16:17], 0
                                        ; implicit-def: $vgpr2_vgpr3
                                        ; implicit-def: $sgpr14_sgpr15
	s_and_saveexec_b64 s[18:19], s[4:5]
	s_cbranch_execz .LBB100_7
; %bb.3:
	v_cmp_eq_f64_e64 s[4:5], s[10:11], 0
	s_mul_i32 s14, s2, s22
	v_mov_b64_e32 v[2:3], 0
	s_ashr_i32 s15, s14, 31
	s_and_b64 vcc, exec, s[4:5]
	s_cbranch_vccnz .LBB100_5
; %bb.4:
	s_lshl_b64 s[4:5], s[14:15], 3
	s_add_u32 s4, s20, s4
	s_addc_u32 s5, s21, s5
	s_load_dwordx2 s[4:5], s[4:5], 0x0
	v_mov_b64_e32 v[2:3], s[10:11]
	s_waitcnt lgkmcnt(0)
	v_mul_f64 v[2:3], s[4:5], v[2:3]
.LBB100_5:
	s_mov_b64 s[12:13], exec
	s_or_b64 exec, exec, s[18:19]
	s_and_b64 vcc, exec, s[16:17]
	s_cbranch_vccnz .LBB100_8
	s_branch .LBB100_27
.LBB100_6:
                                        ; implicit-def: $vgpr2_vgpr3
                                        ; implicit-def: $sgpr14_sgpr15
	s_cbranch_execnz .LBB100_8
	s_branch .LBB100_27
.LBB100_7:
	s_or_b64 exec, exec, s[18:19]
	s_and_b64 vcc, exec, s[16:17]
	s_cbranch_vccz .LBB100_27
.LBB100_8:
	s_load_dword s18, s[0:1], 0x0
	s_load_dwordx4 s[24:27], s[0:1], 0x18
	s_load_dword s14, s[0:1], 0x28
	s_load_dwordx4 s[28:31], s[0:1], 0x30
	s_load_dwordx2 s[4:5], s[0:1], 0x40
	s_mul_i32 s9, s3, s9
	s_mul_hi_u32 s15, s3, s8
	s_add_i32 s9, s15, s9
	s_mul_i32 s8, s3, s8
	s_lshl_b64 s[8:9], s[8:9], 3
	s_waitcnt lgkmcnt(0)
	s_add_u32 s8, s30, s8
	s_addc_u32 s9, s31, s9
	s_lshl_b64 s[4:5], s[4:5], 3
	s_add_u32 s4, s8, s4
	s_load_dword s19, s[0:1], 0x48
	s_mul_i32 s0, s3, s29
	s_mul_hi_u32 s1, s3, s28
	s_addc_u32 s5, s9, s5
	s_add_i32 s1, s1, s0
	s_mul_i32 s0, s3, s28
	s_lshl_b64 s[0:1], s[0:1], 3
	s_add_u32 s3, s24, s0
	s_addc_u32 s8, s25, s1
	s_lshl_b64 s[0:1], s[26:27], 3
	s_add_u32 s3, s3, s0
	s_mul_i32 s0, s2, s14
	s_addc_u32 s8, s8, s1
	s_ashr_i32 s1, s0, 31
	v_cmp_gt_i32_e32 vcc, s18, v0
	s_lshl_b64 s[0:1], s[0:1], 3
	s_add_u32 s0, s0, s3
	v_cndmask_b32_e32 v1, 0, v0, vcc
	v_lshlrev_b32_e32 v2, 3, v1
	v_mov_b32_e32 v3, 0
	s_addc_u32 s1, s1, s8
	v_lshl_add_u64 v[4:5], s[0:1], 0, v[2:3]
	s_ashr_i32 s0, s18, 31
	s_lshr_b32 s0, s0, 22
	s_add_i32 s0, s18, s0
	s_and_b32 s0, s0, 0xfffffc00
	v_cmp_gt_i32_e32 vcc, s0, v0
	v_mov_b64_e32 v[2:3], 0
	s_and_saveexec_b64 s[8:9], vcc
	s_cbranch_execz .LBB100_12
; %bb.9:
	s_waitcnt lgkmcnt(0)
	v_mul_lo_u32 v6, v0, s19
	s_lshl_b32 s1, s19, 10
	s_mov_b64 s[14:15], 0
	v_mov_b64_e32 v[2:3], 0
	s_mov_b64 s[16:17], 0x2000
	v_mov_b64_e32 v[8:9], v[4:5]
	v_mov_b32_e32 v1, v0
.LBB100_10:                             ; =>This Inner Loop Header: Depth=1
	v_ashrrev_i32_e32 v7, 31, v6
	v_lshl_add_u64 v[12:13], v[6:7], 3, s[4:5]
	global_load_dwordx2 v[10:11], v[8:9], off
	v_add_u32_e32 v1, 0x400, v1
	global_load_dwordx2 v[12:13], v[12:13], off
	v_cmp_le_i32_e32 vcc, s0, v1
	v_lshl_add_u64 v[8:9], v[8:9], 0, s[16:17]
	v_add_u32_e32 v6, s1, v6
	s_or_b64 s[14:15], vcc, s[14:15]
	s_waitcnt vmcnt(0)
	v_fmac_f64_e32 v[2:3], v[10:11], v[12:13]
	s_andn2_b64 exec, exec, s[14:15]
	s_cbranch_execnz .LBB100_10
; %bb.11:
	s_or_b64 exec, exec, s[14:15]
.LBB100_12:
	s_or_b64 exec, exec, s[8:9]
	v_or_b32_e32 v1, s0, v0
	v_cmp_gt_i32_e32 vcc, s18, v1
	s_and_saveexec_b64 s[8:9], vcc
	s_cbranch_execz .LBB100_14
; %bb.13:
	s_waitcnt lgkmcnt(0)
	v_mul_lo_u32 v6, v1, s19
	s_ashr_i32 s1, s0, 31
	v_ashrrev_i32_e32 v7, 31, v6
	v_lshl_add_u64 v[4:5], s[0:1], 3, v[4:5]
	v_lshl_add_u64 v[6:7], v[6:7], 3, s[4:5]
	global_load_dwordx2 v[4:5], v[4:5], off
	s_nop 0
	global_load_dwordx2 v[6:7], v[6:7], off
	s_waitcnt vmcnt(0)
	v_fmac_f64_e32 v[2:3], v[4:5], v[6:7]
.LBB100_14:
	s_or_b64 exec, exec, s[8:9]
	v_and_b32_e32 v6, 63, v0
	v_cmp_gt_u32_e32 vcc, 64, v0
	v_lshlrev_b32_e32 v1, 3, v6
	s_and_saveexec_b64 s[0:1], vcc
	s_cbranch_execz .LBB100_16
; %bb.15:
	v_mov_b32_e32 v4, 0
	v_mov_b32_e32 v5, v4
	ds_write_b64 v1, v[4:5]
.LBB100_16:
	s_or_b64 exec, exec, s[0:1]
	v_mbcnt_lo_u32_b32 v4, -1, 0
	v_mbcnt_hi_u32_b32 v10, -1, v4
	v_and_b32_e32 v11, 63, v10
	v_cmp_gt_u32_e64 s[0:1], 32, v11
	s_waitcnt lgkmcnt(0)
	s_barrier
	v_cndmask_b32_e64 v4, 0, 1, s[0:1]
	v_lshlrev_b32_e32 v4, 5, v4
	v_add_lshl_u32 v5, v4, v10, 2
	ds_bpermute_b32 v4, v5, v2
	ds_bpermute_b32 v5, v5, v3
	v_cmp_gt_u32_e64 s[0:1], 48, v11
	s_waitcnt lgkmcnt(0)
	v_add_f64 v[2:3], v[2:3], v[4:5]
	v_cndmask_b32_e64 v7, 0, 1, s[0:1]
	v_lshlrev_b32_e32 v4, 4, v7
	v_add_lshl_u32 v5, v4, v10, 2
	ds_bpermute_b32 v4, v5, v2
	ds_bpermute_b32 v5, v5, v3
	v_cmp_gt_u32_e64 s[0:1], 56, v11
	s_waitcnt lgkmcnt(0)
	v_add_f64 v[2:3], v[2:3], v[4:5]
	;; [unrolled: 8-line block ×4, first 2 shown]
	v_cndmask_b32_e64 v4, 0, 1, s[0:1]
	v_lshlrev_b32_e32 v4, 1, v4
	v_add_lshl_u32 v9, v4, v10, 2
	ds_bpermute_b32 v4, v9, v2
	ds_bpermute_b32 v5, v9, v3
	v_cmp_ne_u32_e64 s[0:1], 63, v11
	s_waitcnt lgkmcnt(0)
	v_add_f64 v[2:3], v[2:3], v[4:5]
	v_addc_co_u32_e64 v4, s[0:1], 0, v10, s[0:1]
	v_lshlrev_b32_e32 v10, 2, v4
	ds_bpermute_b32 v4, v10, v2
	ds_bpermute_b32 v5, v10, v3
	v_cmp_eq_u32_e64 s[0:1], 0, v6
	s_and_saveexec_b64 s[4:5], s[0:1]
	s_cbranch_execz .LBB100_18
; %bb.17:
	v_lshrrev_b32_e32 v6, 3, v0
	v_and_b32_e32 v6, 0x78, v6
	s_waitcnt lgkmcnt(0)
	v_add_f64 v[2:3], v[2:3], v[4:5]
	ds_write_b64 v6, v[2:3]
.LBB100_18:
	s_or_b64 exec, exec, s[4:5]
	v_cmp_gt_u32_e64 s[0:1], 16, v0
	s_waitcnt lgkmcnt(0)
	v_mov_b64_e32 v[4:5], 0
	s_barrier
	s_and_saveexec_b64 s[4:5], s[0:1]
	s_cbranch_execz .LBB100_20
; %bb.19:
	ds_read_b64 v[4:5], v1
	s_or_b64 exec, exec, s[4:5]
	s_and_saveexec_b64 s[0:1], vcc
	s_cbranch_execz .LBB100_22
	s_branch .LBB100_21
.LBB100_20:
	s_or_b64 exec, exec, s[4:5]
	s_and_saveexec_b64 s[0:1], vcc
	s_cbranch_execz .LBB100_22
.LBB100_21:
	s_waitcnt lgkmcnt(0)
	ds_bpermute_b32 v2, v7, v4
	ds_bpermute_b32 v3, v7, v5
	s_waitcnt lgkmcnt(0)
	v_add_f64 v[2:3], v[4:5], v[2:3]
	ds_bpermute_b32 v4, v8, v2
	ds_bpermute_b32 v5, v8, v3
	s_waitcnt lgkmcnt(0)
	v_add_f64 v[2:3], v[2:3], v[4:5]
	;; [unrolled: 4-line block ×4, first 2 shown]
.LBB100_22:
	s_or_b64 exec, exec, s[0:1]
	v_cmp_eq_u32_e32 vcc, 0, v0
                                        ; implicit-def: $vgpr2_vgpr3
                                        ; implicit-def: $sgpr14_sgpr15
	s_and_saveexec_b64 s[0:1], vcc
	s_cbranch_execz .LBB100_26
; %bb.23:
	v_cmp_eq_f64_e64 s[4:5], s[10:11], 0
	s_mul_i32 s14, s2, s22
	s_waitcnt lgkmcnt(0)
	v_mul_f64 v[2:3], v[4:5], s[6:7]
	s_ashr_i32 s15, s14, 31
	s_and_b64 vcc, exec, s[4:5]
	s_cbranch_vccnz .LBB100_25
; %bb.24:
	s_lshl_b64 s[2:3], s[14:15], 3
	s_add_u32 s2, s20, s2
	s_addc_u32 s3, s21, s3
	s_load_dwordx2 s[2:3], s[2:3], 0x0
	v_mov_b64_e32 v[0:1], s[10:11]
	s_waitcnt lgkmcnt(0)
	v_fmac_f64_e32 v[2:3], s[2:3], v[0:1]
.LBB100_25:
	s_or_b64 s[12:13], s[12:13], exec
.LBB100_26:
	s_or_b64 exec, exec, s[0:1]
.LBB100_27:
	s_and_saveexec_b64 s[0:1], s[12:13]
	s_cbranch_execz .LBB100_29
; %bb.28:
	s_lshl_b64 s[0:1], s[14:15], 3
	s_add_u32 s0, s20, s0
	s_addc_u32 s1, s21, s1
	v_mov_b32_e32 v0, 0
	global_store_dwordx2 v0, v[2:3], s[0:1]
.LBB100_29:
	s_endpgm
	.section	.rodata,"a",@progbits
	.p2align	6, 0x0
	.amdhsa_kernel _ZL32rocblas_gemvt_warp_reduce_kernelILb1ELi1024EidddEviiT3_lPKT2_lT1_lS3_lS4_lS0_lPT4_lS4_li
		.amdhsa_group_segment_fixed_size 512
		.amdhsa_private_segment_fixed_size 0
		.amdhsa_kernarg_size 140
		.amdhsa_user_sgpr_count 2
		.amdhsa_user_sgpr_dispatch_ptr 0
		.amdhsa_user_sgpr_queue_ptr 0
		.amdhsa_user_sgpr_kernarg_segment_ptr 1
		.amdhsa_user_sgpr_dispatch_id 0
		.amdhsa_user_sgpr_kernarg_preload_length 0
		.amdhsa_user_sgpr_kernarg_preload_offset 0
		.amdhsa_user_sgpr_private_segment_size 0
		.amdhsa_uses_dynamic_stack 0
		.amdhsa_enable_private_segment 0
		.amdhsa_system_sgpr_workgroup_id_x 1
		.amdhsa_system_sgpr_workgroup_id_y 0
		.amdhsa_system_sgpr_workgroup_id_z 1
		.amdhsa_system_sgpr_workgroup_info 0
		.amdhsa_system_vgpr_workitem_id 0
		.amdhsa_next_free_vgpr 14
		.amdhsa_next_free_sgpr 32
		.amdhsa_accum_offset 16
		.amdhsa_reserve_vcc 1
		.amdhsa_float_round_mode_32 0
		.amdhsa_float_round_mode_16_64 0
		.amdhsa_float_denorm_mode_32 3
		.amdhsa_float_denorm_mode_16_64 3
		.amdhsa_dx10_clamp 1
		.amdhsa_ieee_mode 1
		.amdhsa_fp16_overflow 0
		.amdhsa_tg_split 0
		.amdhsa_exception_fp_ieee_invalid_op 0
		.amdhsa_exception_fp_denorm_src 0
		.amdhsa_exception_fp_ieee_div_zero 0
		.amdhsa_exception_fp_ieee_overflow 0
		.amdhsa_exception_fp_ieee_underflow 0
		.amdhsa_exception_fp_ieee_inexact 0
		.amdhsa_exception_int_div_zero 0
	.end_amdhsa_kernel
	.section	.text._ZL32rocblas_gemvt_warp_reduce_kernelILb1ELi1024EidddEviiT3_lPKT2_lT1_lS3_lS4_lS0_lPT4_lS4_li,"axG",@progbits,_ZL32rocblas_gemvt_warp_reduce_kernelILb1ELi1024EidddEviiT3_lPKT2_lT1_lS3_lS4_lS0_lPT4_lS4_li,comdat
.Lfunc_end100:
	.size	_ZL32rocblas_gemvt_warp_reduce_kernelILb1ELi1024EidddEviiT3_lPKT2_lT1_lS3_lS4_lS0_lPT4_lS4_li, .Lfunc_end100-_ZL32rocblas_gemvt_warp_reduce_kernelILb1ELi1024EidddEviiT3_lPKT2_lT1_lS3_lS4_lS0_lPT4_lS4_li
                                        ; -- End function
	.section	.AMDGPU.csdata,"",@progbits
; Kernel info:
; codeLenInByte = 1420
; NumSgprs: 38
; NumVgprs: 14
; NumAgprs: 0
; TotalNumVgprs: 14
; ScratchSize: 0
; MemoryBound: 0
; FloatMode: 240
; IeeeMode: 1
; LDSByteSize: 512 bytes/workgroup (compile time only)
; SGPRBlocks: 4
; VGPRBlocks: 1
; NumSGPRsForWavesPerEU: 38
; NumVGPRsForWavesPerEU: 14
; AccumOffset: 16
; Occupancy: 8
; WaveLimiterHint : 1
; COMPUTE_PGM_RSRC2:SCRATCH_EN: 0
; COMPUTE_PGM_RSRC2:USER_SGPR: 2
; COMPUTE_PGM_RSRC2:TRAP_HANDLER: 0
; COMPUTE_PGM_RSRC2:TGID_X_EN: 1
; COMPUTE_PGM_RSRC2:TGID_Y_EN: 0
; COMPUTE_PGM_RSRC2:TGID_Z_EN: 1
; COMPUTE_PGM_RSRC2:TIDIG_COMP_CNT: 0
; COMPUTE_PGM_RSRC3_GFX90A:ACCUM_OFFSET: 3
; COMPUTE_PGM_RSRC3_GFX90A:TG_SPLIT: 0
	.section	.text._ZL32rocblas_gemvt_warp_reduce_kernelILb1ELi1024EldddEviiT3_lPKT2_lT1_lS3_lS4_lS0_lPT4_lS4_li,"axG",@progbits,_ZL32rocblas_gemvt_warp_reduce_kernelILb1ELi1024EldddEviiT3_lPKT2_lT1_lS3_lS4_lS0_lPT4_lS4_li,comdat
	.globl	_ZL32rocblas_gemvt_warp_reduce_kernelILb1ELi1024EldddEviiT3_lPKT2_lT1_lS3_lS4_lS0_lPT4_lS4_li ; -- Begin function _ZL32rocblas_gemvt_warp_reduce_kernelILb1ELi1024EldddEviiT3_lPKT2_lT1_lS3_lS4_lS0_lPT4_lS4_li
	.p2align	8
	.type	_ZL32rocblas_gemvt_warp_reduce_kernelILb1ELi1024EldddEviiT3_lPKT2_lT1_lS3_lS4_lS0_lPT4_lS4_li,@function
_ZL32rocblas_gemvt_warp_reduce_kernelILb1ELi1024EldddEviiT3_lPKT2_lT1_lS3_lS4_lS0_lPT4_lS4_li: ; @_ZL32rocblas_gemvt_warp_reduce_kernelILb1ELi1024EldddEviiT3_lPKT2_lT1_lS3_lS4_lS0_lPT4_lS4_li
; %bb.0:
	s_load_dwordx2 s[26:27], s[0:1], 0x8
	s_load_dwordx2 s[24:25], s[0:1], 0x58
	s_waitcnt lgkmcnt(0)
	v_cmp_eq_f64_e64 s[4:5], s[26:27], 0
	v_cmp_eq_f64_e64 s[6:7], s[24:25], 1.0
	s_and_b64 s[4:5], s[4:5], s[6:7]
	s_and_b64 vcc, exec, s[4:5]
	s_cbranch_vccnz .LBB101_29
; %bb.1:
	s_load_dwordx8 s[16:23], s[0:1], 0x68
	s_mov_b64 s[28:29], 0
	s_waitcnt lgkmcnt(0)
	s_mul_i32 s5, s3, s23
	s_mul_hi_u32 s6, s3, s22
	s_mul_i32 s4, s3, s22
	s_add_i32 s5, s6, s5
	s_lshl_b64 s[4:5], s[4:5], 3
	s_add_u32 s6, s16, s4
	s_addc_u32 s7, s17, s5
	s_lshl_b64 s[4:5], s[18:19], 3
	s_add_u32 s22, s6, s4
	s_addc_u32 s23, s7, s5
	v_cmp_neq_f64_e64 s[4:5], s[26:27], 0
	s_and_b64 vcc, exec, s[4:5]
	v_cmp_eq_u32_e64 s[4:5], 0, v0
	s_cbranch_vccnz .LBB101_6
; %bb.2:
	s_mov_b64 s[8:9], 0
                                        ; implicit-def: $vgpr2_vgpr3
                                        ; implicit-def: $sgpr6_sgpr7
	s_and_saveexec_b64 s[10:11], s[4:5]
	s_cbranch_execz .LBB101_7
; %bb.3:
	s_ashr_i32 s6, s2, 31
	s_mul_i32 s7, s2, s21
	s_mul_hi_u32 s12, s2, s20
	v_cmp_eq_f64_e64 s[4:5], s[24:25], 0
	s_add_i32 s7, s12, s7
	s_mul_i32 s6, s6, s20
	v_mov_b64_e32 v[2:3], 0
	s_add_i32 s7, s7, s6
	s_mul_i32 s6, s2, s20
	s_and_b64 vcc, exec, s[4:5]
	s_cbranch_vccnz .LBB101_5
; %bb.4:
	s_lshl_b64 s[4:5], s[6:7], 3
	s_add_u32 s4, s22, s4
	s_addc_u32 s5, s23, s5
	s_load_dwordx2 s[4:5], s[4:5], 0x0
	v_mov_b64_e32 v[2:3], s[24:25]
	s_waitcnt lgkmcnt(0)
	v_mul_f64 v[2:3], s[4:5], v[2:3]
.LBB101_5:
	s_mov_b64 s[28:29], exec
	s_or_b64 exec, exec, s[10:11]
	s_and_b64 vcc, exec, s[8:9]
	s_cbranch_vccnz .LBB101_8
	s_branch .LBB101_27
.LBB101_6:
                                        ; implicit-def: $vgpr2_vgpr3
                                        ; implicit-def: $sgpr6_sgpr7
	s_cbranch_execnz .LBB101_8
	s_branch .LBB101_27
.LBB101_7:
	s_or_b64 exec, exec, s[10:11]
	s_and_b64 vcc, exec, s[8:9]
	s_cbranch_vccz .LBB101_27
.LBB101_8:
	s_load_dwordx16 s[4:19], s[0:1], 0x18
	s_load_dword s30, s[0:1], 0x0
	v_mov_b32_e32 v3, 0
	s_waitcnt lgkmcnt(0)
	s_mul_i32 s1, s3, s19
	s_mul_hi_u32 s19, s3, s18
	s_mul_i32 s0, s3, s18
	s_mul_i32 s11, s3, s11
	s_mul_hi_u32 s18, s3, s10
	s_add_i32 s11, s18, s11
	s_mul_i32 s10, s3, s10
	s_add_i32 s1, s19, s1
	s_lshl_b64 s[10:11], s[10:11], 3
	s_add_u32 s3, s4, s10
	s_addc_u32 s10, s5, s11
	s_lshl_b64 s[4:5], s[6:7], 3
	s_add_u32 s6, s3, s4
	s_addc_u32 s7, s10, s5
	s_ashr_i32 s3, s2, 31
	s_mul_i32 s4, s2, s9
	s_mul_hi_u32 s5, s2, s8
	s_add_i32 s4, s5, s4
	s_mul_i32 s5, s3, s8
	s_add_i32 s5, s4, s5
	s_mul_i32 s4, s2, s8
	v_cmp_gt_i32_e32 vcc, s30, v0
	s_lshl_b64 s[4:5], s[4:5], 3
	s_add_u32 s4, s4, s6
	v_cndmask_b32_e32 v1, 0, v0, vcc
	v_lshlrev_b32_e32 v2, 3, v1
	s_addc_u32 s5, s5, s7
	v_lshl_add_u64 v[4:5], s[4:5], 0, v[2:3]
	s_ashr_i32 s4, s30, 31
	s_lshr_b32 s4, s4, 22
	s_add_i32 s4, s30, s4
	s_and_b32 s4, s4, 0xfffffc00
	v_cmp_gt_i32_e32 vcc, s4, v0
	v_mov_b64_e32 v[2:3], 0
	s_and_saveexec_b64 s[6:7], vcc
	s_cbranch_execz .LBB101_12
; %bb.9:
	v_mad_u64_u32 v[2:3], s[10:11], s16, v0, 0
	v_mov_b32_e32 v6, v3
	v_mad_u64_u32 v[6:7], s[10:11], s17, v0, v[6:7]
	s_lshl_b64 s[8:9], s[0:1], 3
	s_lshl_b64 s[10:11], s[14:15], 3
	s_add_u32 s5, s12, s10
	s_addc_u32 s10, s13, s11
	s_add_u32 s8, s5, s8
	v_mov_b32_e32 v3, v6
	s_addc_u32 s9, s10, s9
	v_lshl_add_u64 v[6:7], v[2:3], 3, s[8:9]
	s_lshl_b64 s[10:11], s[16:17], 13
	s_mov_b64 s[8:9], 0
	v_mov_b64_e32 v[2:3], 0
	s_mov_b64 s[18:19], 0x2000
	v_mov_b64_e32 v[8:9], v[4:5]
	v_mov_b32_e32 v1, v0
.LBB101_10:                             ; =>This Inner Loop Header: Depth=1
	global_load_dwordx2 v[10:11], v[8:9], off
	global_load_dwordx2 v[12:13], v[6:7], off
	v_add_u32_e32 v1, 0x400, v1
	v_cmp_le_i32_e32 vcc, s4, v1
	v_lshl_add_u64 v[8:9], v[8:9], 0, s[18:19]
	v_lshl_add_u64 v[6:7], v[6:7], 0, s[10:11]
	s_or_b64 s[8:9], vcc, s[8:9]
	s_waitcnt vmcnt(0)
	v_fmac_f64_e32 v[2:3], v[10:11], v[12:13]
	s_andn2_b64 exec, exec, s[8:9]
	s_cbranch_execnz .LBB101_10
; %bb.11:
	s_or_b64 exec, exec, s[8:9]
.LBB101_12:
	s_or_b64 exec, exec, s[6:7]
	v_or_b32_e32 v1, s4, v0
	v_cmp_gt_i32_e32 vcc, s30, v1
	s_and_saveexec_b64 s[6:7], vcc
	s_cbranch_execz .LBB101_14
; %bb.13:
	s_lshl_b64 s[0:1], s[0:1], 3
	s_add_u32 s5, s12, s0
	s_addc_u32 s8, s13, s1
	s_lshl_b64 s[0:1], s[14:15], 3
	s_add_u32 s0, s5, s0
	s_addc_u32 s1, s8, s1
	s_ashr_i32 s5, s4, 31
	v_ashrrev_i32_e32 v6, 31, v1
	v_lshl_add_u64 v[4:5], s[4:5], 3, v[4:5]
	v_mul_lo_u32 v8, v1, s17
	v_mul_lo_u32 v9, v6, s16
	v_mad_u64_u32 v[6:7], s[4:5], v1, s16, 0
	v_add3_u32 v7, v7, v8, v9
	v_lshl_add_u64 v[6:7], v[6:7], 3, s[0:1]
	global_load_dwordx2 v[4:5], v[4:5], off
	s_nop 0
	global_load_dwordx2 v[6:7], v[6:7], off
	s_waitcnt vmcnt(0)
	v_fmac_f64_e32 v[2:3], v[4:5], v[6:7]
.LBB101_14:
	s_or_b64 exec, exec, s[6:7]
	v_and_b32_e32 v6, 63, v0
	v_cmp_gt_u32_e32 vcc, 64, v0
	v_lshlrev_b32_e32 v1, 3, v6
	s_and_saveexec_b64 s[0:1], vcc
	s_cbranch_execz .LBB101_16
; %bb.15:
	v_mov_b32_e32 v4, 0
	v_mov_b32_e32 v5, v4
	ds_write_b64 v1, v[4:5]
.LBB101_16:
	s_or_b64 exec, exec, s[0:1]
	v_mbcnt_lo_u32_b32 v4, -1, 0
	v_mbcnt_hi_u32_b32 v10, -1, v4
	v_and_b32_e32 v11, 63, v10
	v_cmp_gt_u32_e64 s[0:1], 32, v11
	s_waitcnt lgkmcnt(0)
	s_barrier
	v_cndmask_b32_e64 v4, 0, 1, s[0:1]
	v_lshlrev_b32_e32 v4, 5, v4
	v_add_lshl_u32 v5, v4, v10, 2
	ds_bpermute_b32 v4, v5, v2
	ds_bpermute_b32 v5, v5, v3
	v_cmp_gt_u32_e64 s[0:1], 48, v11
	s_waitcnt lgkmcnt(0)
	v_add_f64 v[2:3], v[2:3], v[4:5]
	v_cndmask_b32_e64 v7, 0, 1, s[0:1]
	v_lshlrev_b32_e32 v4, 4, v7
	v_add_lshl_u32 v5, v4, v10, 2
	ds_bpermute_b32 v4, v5, v2
	ds_bpermute_b32 v5, v5, v3
	v_cmp_gt_u32_e64 s[0:1], 56, v11
	s_waitcnt lgkmcnt(0)
	v_add_f64 v[2:3], v[2:3], v[4:5]
	;; [unrolled: 8-line block ×4, first 2 shown]
	v_cndmask_b32_e64 v4, 0, 1, s[0:1]
	v_lshlrev_b32_e32 v4, 1, v4
	v_add_lshl_u32 v9, v4, v10, 2
	ds_bpermute_b32 v4, v9, v2
	ds_bpermute_b32 v5, v9, v3
	v_cmp_ne_u32_e64 s[0:1], 63, v11
	s_waitcnt lgkmcnt(0)
	v_add_f64 v[2:3], v[2:3], v[4:5]
	v_addc_co_u32_e64 v4, s[0:1], 0, v10, s[0:1]
	v_lshlrev_b32_e32 v10, 2, v4
	ds_bpermute_b32 v4, v10, v2
	ds_bpermute_b32 v5, v10, v3
	v_cmp_eq_u32_e64 s[0:1], 0, v6
	s_and_saveexec_b64 s[4:5], s[0:1]
	s_cbranch_execz .LBB101_18
; %bb.17:
	v_lshrrev_b32_e32 v6, 3, v0
	v_and_b32_e32 v6, 0x78, v6
	s_waitcnt lgkmcnt(0)
	v_add_f64 v[2:3], v[2:3], v[4:5]
	ds_write_b64 v6, v[2:3]
.LBB101_18:
	s_or_b64 exec, exec, s[4:5]
	v_cmp_gt_u32_e64 s[0:1], 16, v0
	s_waitcnt lgkmcnt(0)
	v_mov_b64_e32 v[4:5], 0
	s_barrier
	s_and_saveexec_b64 s[4:5], s[0:1]
	s_cbranch_execz .LBB101_20
; %bb.19:
	ds_read_b64 v[4:5], v1
	s_or_b64 exec, exec, s[4:5]
	s_and_saveexec_b64 s[0:1], vcc
	s_cbranch_execz .LBB101_22
	s_branch .LBB101_21
.LBB101_20:
	s_or_b64 exec, exec, s[4:5]
	s_and_saveexec_b64 s[0:1], vcc
	s_cbranch_execz .LBB101_22
.LBB101_21:
	s_waitcnt lgkmcnt(0)
	ds_bpermute_b32 v2, v7, v4
	ds_bpermute_b32 v3, v7, v5
	s_waitcnt lgkmcnt(0)
	v_add_f64 v[2:3], v[4:5], v[2:3]
	ds_bpermute_b32 v4, v8, v2
	ds_bpermute_b32 v5, v8, v3
	s_waitcnt lgkmcnt(0)
	v_add_f64 v[2:3], v[2:3], v[4:5]
	;; [unrolled: 4-line block ×4, first 2 shown]
.LBB101_22:
	s_or_b64 exec, exec, s[0:1]
	v_cmp_eq_u32_e32 vcc, 0, v0
                                        ; implicit-def: $vgpr2_vgpr3
                                        ; implicit-def: $sgpr6_sgpr7
	s_and_saveexec_b64 s[0:1], vcc
	s_cbranch_execz .LBB101_26
; %bb.23:
	s_mul_i32 s6, s2, s21
	s_mul_hi_u32 s7, s2, s20
	v_cmp_eq_f64_e64 s[4:5], s[24:25], 0
	s_add_i32 s6, s7, s6
	s_mul_i32 s3, s3, s20
	s_waitcnt lgkmcnt(0)
	v_mul_f64 v[2:3], v[4:5], s[26:27]
	s_add_i32 s7, s6, s3
	s_mul_i32 s6, s2, s20
	s_and_b64 vcc, exec, s[4:5]
	s_cbranch_vccnz .LBB101_25
; %bb.24:
	s_lshl_b64 s[2:3], s[6:7], 3
	s_add_u32 s2, s22, s2
	s_addc_u32 s3, s23, s3
	s_load_dwordx2 s[2:3], s[2:3], 0x0
	v_mov_b64_e32 v[0:1], s[24:25]
	s_waitcnt lgkmcnt(0)
	v_fmac_f64_e32 v[2:3], s[2:3], v[0:1]
.LBB101_25:
	s_or_b64 s[28:29], s[28:29], exec
.LBB101_26:
	s_or_b64 exec, exec, s[0:1]
.LBB101_27:
	s_and_saveexec_b64 s[0:1], s[28:29]
	s_cbranch_execz .LBB101_29
; %bb.28:
	s_lshl_b64 s[0:1], s[6:7], 3
	s_add_u32 s0, s22, s0
	s_addc_u32 s1, s23, s1
	v_mov_b32_e32 v0, 0
	global_store_dwordx2 v0, v[2:3], s[0:1]
.LBB101_29:
	s_endpgm
	.section	.rodata,"a",@progbits
	.p2align	6, 0x0
	.amdhsa_kernel _ZL32rocblas_gemvt_warp_reduce_kernelILb1ELi1024EldddEviiT3_lPKT2_lT1_lS3_lS4_lS0_lPT4_lS4_li
		.amdhsa_group_segment_fixed_size 512
		.amdhsa_private_segment_fixed_size 0
		.amdhsa_kernarg_size 140
		.amdhsa_user_sgpr_count 2
		.amdhsa_user_sgpr_dispatch_ptr 0
		.amdhsa_user_sgpr_queue_ptr 0
		.amdhsa_user_sgpr_kernarg_segment_ptr 1
		.amdhsa_user_sgpr_dispatch_id 0
		.amdhsa_user_sgpr_kernarg_preload_length 0
		.amdhsa_user_sgpr_kernarg_preload_offset 0
		.amdhsa_user_sgpr_private_segment_size 0
		.amdhsa_uses_dynamic_stack 0
		.amdhsa_enable_private_segment 0
		.amdhsa_system_sgpr_workgroup_id_x 1
		.amdhsa_system_sgpr_workgroup_id_y 0
		.amdhsa_system_sgpr_workgroup_id_z 1
		.amdhsa_system_sgpr_workgroup_info 0
		.amdhsa_system_vgpr_workitem_id 0
		.amdhsa_next_free_vgpr 14
		.amdhsa_next_free_sgpr 31
		.amdhsa_accum_offset 16
		.amdhsa_reserve_vcc 1
		.amdhsa_float_round_mode_32 0
		.amdhsa_float_round_mode_16_64 0
		.amdhsa_float_denorm_mode_32 3
		.amdhsa_float_denorm_mode_16_64 3
		.amdhsa_dx10_clamp 1
		.amdhsa_ieee_mode 1
		.amdhsa_fp16_overflow 0
		.amdhsa_tg_split 0
		.amdhsa_exception_fp_ieee_invalid_op 0
		.amdhsa_exception_fp_denorm_src 0
		.amdhsa_exception_fp_ieee_div_zero 0
		.amdhsa_exception_fp_ieee_overflow 0
		.amdhsa_exception_fp_ieee_underflow 0
		.amdhsa_exception_fp_ieee_inexact 0
		.amdhsa_exception_int_div_zero 0
	.end_amdhsa_kernel
	.section	.text._ZL32rocblas_gemvt_warp_reduce_kernelILb1ELi1024EldddEviiT3_lPKT2_lT1_lS3_lS4_lS0_lPT4_lS4_li,"axG",@progbits,_ZL32rocblas_gemvt_warp_reduce_kernelILb1ELi1024EldddEviiT3_lPKT2_lT1_lS3_lS4_lS0_lPT4_lS4_li,comdat
.Lfunc_end101:
	.size	_ZL32rocblas_gemvt_warp_reduce_kernelILb1ELi1024EldddEviiT3_lPKT2_lT1_lS3_lS4_lS0_lPT4_lS4_li, .Lfunc_end101-_ZL32rocblas_gemvt_warp_reduce_kernelILb1ELi1024EldddEviiT3_lPKT2_lT1_lS3_lS4_lS0_lPT4_lS4_li
                                        ; -- End function
	.section	.AMDGPU.csdata,"",@progbits
; Kernel info:
; codeLenInByte = 1484
; NumSgprs: 37
; NumVgprs: 14
; NumAgprs: 0
; TotalNumVgprs: 14
; ScratchSize: 0
; MemoryBound: 0
; FloatMode: 240
; IeeeMode: 1
; LDSByteSize: 512 bytes/workgroup (compile time only)
; SGPRBlocks: 4
; VGPRBlocks: 1
; NumSGPRsForWavesPerEU: 37
; NumVGPRsForWavesPerEU: 14
; AccumOffset: 16
; Occupancy: 8
; WaveLimiterHint : 1
; COMPUTE_PGM_RSRC2:SCRATCH_EN: 0
; COMPUTE_PGM_RSRC2:USER_SGPR: 2
; COMPUTE_PGM_RSRC2:TRAP_HANDLER: 0
; COMPUTE_PGM_RSRC2:TGID_X_EN: 1
; COMPUTE_PGM_RSRC2:TGID_Y_EN: 0
; COMPUTE_PGM_RSRC2:TGID_Z_EN: 1
; COMPUTE_PGM_RSRC2:TIDIG_COMP_CNT: 0
; COMPUTE_PGM_RSRC3_GFX90A:ACCUM_OFFSET: 3
; COMPUTE_PGM_RSRC3_GFX90A:TG_SPLIT: 0
	.section	.text._ZL34rocblas_gemvn_sm_mn_batched_kernelILi32ELi24E19rocblas_complex_numIfEPKS1_S1_EviiT2_lPKT1_lilS7_lilS4_lPT3_lili,"axG",@progbits,_ZL34rocblas_gemvn_sm_mn_batched_kernelILi32ELi24E19rocblas_complex_numIfEPKS1_S1_EviiT2_lPKT1_lilS7_lilS4_lPT3_lili,comdat
	.globl	_ZL34rocblas_gemvn_sm_mn_batched_kernelILi32ELi24E19rocblas_complex_numIfEPKS1_S1_EviiT2_lPKT1_lilS7_lilS4_lPT3_lili ; -- Begin function _ZL34rocblas_gemvn_sm_mn_batched_kernelILi32ELi24E19rocblas_complex_numIfEPKS1_S1_EviiT2_lPKT1_lilS7_lilS4_lPT3_lili
	.p2align	8
	.type	_ZL34rocblas_gemvn_sm_mn_batched_kernelILi32ELi24E19rocblas_complex_numIfEPKS1_S1_EviiT2_lPKT1_lilS7_lilS4_lPT3_lili,@function
_ZL34rocblas_gemvn_sm_mn_batched_kernelILi32ELi24E19rocblas_complex_numIfEPKS1_S1_EviiT2_lPKT1_lilS7_lilS4_lPT3_lili: ; @_ZL34rocblas_gemvn_sm_mn_batched_kernelILi32ELi24E19rocblas_complex_numIfEPKS1_S1_EviiT2_lPKT1_lilS7_lilS4_lPT3_lili
; %bb.0:
	s_load_dword s3, s[0:1], 0x9c
	s_load_dword s4, s[0:1], 0x88
	v_bfe_u32 v1, v0, 10, 10
	s_waitcnt lgkmcnt(0)
	s_lshr_b32 s3, s3, 16
	s_mul_i32 s2, s2, s3
	v_add_u32_e32 v8, s2, v1
	v_cmp_gt_i32_e32 vcc, s4, v8
	s_and_saveexec_b64 s[2:3], vcc
	s_cbranch_execz .LBB102_145
; %bb.1:
	s_load_dwordx8 s[4:11], s[0:1], 0x8
	s_load_dwordx8 s[12:19], s[0:1], 0x50
	s_waitcnt lgkmcnt(0)
	v_mad_u64_u32 v[6:7], s[2:3], v8, s6, 0
	v_mov_b32_e32 v10, v7
	v_mad_u64_u32 v[10:11], s[2:3], v8, s7, v[10:11]
	v_mov_b32_e32 v2, s4
	v_mov_b32_e32 v3, s5
	;; [unrolled: 1-line block ×3, first 2 shown]
	v_lshl_add_u64 v[2:3], v[6:7], 3, v[2:3]
	global_load_dwordx2 v[6:7], v[2:3], off
	v_mad_u64_u32 v[2:3], s[2:3], v8, s16, 0
	v_mov_b32_e32 v10, v3
	v_mad_u64_u32 v[10:11], s[2:3], v8, s17, v[10:11]
	v_mov_b32_e32 v4, s14
	v_mov_b32_e32 v5, s15
	;; [unrolled: 1-line block ×3, first 2 shown]
	v_lshl_add_u64 v[2:3], v[2:3], 3, v[4:5]
	global_load_dwordx2 v[4:5], v[2:3], off
	s_waitcnt vmcnt(1)
	v_cmp_eq_f32_e32 vcc, 0, v6
	v_cmp_eq_f32_e64 s[2:3], 0, v7
	s_and_b64 s[2:3], vcc, s[2:3]
	s_waitcnt vmcnt(0)
	v_cmp_eq_f32_e64 s[4:5], 1.0, v4
	v_cmp_eq_f32_e64 s[6:7], 0, v5
	s_and_b64 s[4:5], s[4:5], s[6:7]
	s_and_b64 s[2:3], s[2:3], s[4:5]
	s_xor_b64 s[2:3], s[2:3], -1
	s_and_b64 exec, exec, s[2:3]
	s_cbranch_execz .LBB102_145
; %bb.2:
	s_load_dwordx2 s[2:3], s[0:1], 0x80
	s_load_dword s33, s[0:1], 0x78
	s_load_dwordx2 s[4:5], s[0:1], 0x70
	s_load_dwordx2 s[14:15], s[0:1], 0x0
	v_and_b32_e32 v74, 0x3ff, v0
	s_waitcnt lgkmcnt(0)
	v_mad_u64_u32 v[2:3], s[6:7], v8, s2, 0
	v_mov_b32_e32 v10, v3
	v_mad_u64_u32 v[10:11], s[2:3], v8, s3, v[10:11]
	s_lshl_b64 s[2:3], s[4:5], 3
	s_add_u32 s2, s2, s18
	v_or_b32_e32 v0, v6, v7
	v_mov_b32_e32 v3, v10
	s_addc_u32 s3, s3, s19
	v_and_b32_e32 v0, 0x7fffffff, v0
	v_lshl_add_u64 v[2:3], v[2:3], 3, s[2:3]
	v_cmp_eq_u32_e32 vcc, 0, v0
	s_and_saveexec_b64 s[2:3], vcc
	s_xor_b64 s[4:5], exec, s[2:3]
	s_cbranch_execz .LBB102_12
; %bb.3:
	v_cmp_eq_f32_e32 vcc, 0, v4
	v_cmp_eq_f32_e64 s[2:3], 0, v5
	s_and_b64 s[2:3], vcc, s[2:3]
	v_cmp_gt_i32_e32 vcc, s14, v74
	s_and_saveexec_b64 s[6:7], s[2:3]
	s_xor_b64 s[2:3], exec, s[6:7]
	s_cbranch_execz .LBB102_7
; %bb.4:
	s_and_saveexec_b64 s[6:7], vcc
	s_cbranch_execz .LBB102_6
; %bb.5:
	v_mad_i64_i32 v[0:1], s[16:17], s33, v74, 0
	v_lshl_add_u64 v[0:1], v[0:1], 3, v[2:3]
	v_mov_b32_e32 v2, 0
	v_mov_b32_e32 v3, v2
	global_store_dwordx2 v[0:1], v[2:3], off
.LBB102_6:
	s_or_b64 exec, exec, s[6:7]
                                        ; implicit-def: $vgpr74
                                        ; implicit-def: $vgpr2_vgpr3
                                        ; implicit-def: $vgpr4_vgpr5
.LBB102_7:
	s_andn2_saveexec_b64 s[2:3], s[2:3]
	s_cbranch_execz .LBB102_11
; %bb.8:
	s_and_saveexec_b64 s[6:7], vcc
	s_cbranch_execz .LBB102_10
; %bb.9:
	v_mad_i64_i32 v[0:1], s[16:17], s33, v74, 0
	v_lshl_add_u64 v[0:1], v[0:1], 3, v[2:3]
	global_load_dwordx2 v[2:3], v[0:1], off
	s_waitcnt vmcnt(0)
	v_mul_f32_e32 v6, v5, v3
	v_mul_f32_e32 v7, v4, v3
	v_fma_f32 v6, v4, v2, -v6
	v_fmac_f32_e32 v7, v5, v2
	global_store_dwordx2 v[0:1], v[6:7], off
.LBB102_10:
	s_or_b64 exec, exec, s[6:7]
.LBB102_11:
	s_or_b64 exec, exec, s[2:3]
                                        ; implicit-def: $vgpr74
                                        ; implicit-def: $vgpr2_vgpr3
                                        ; implicit-def: $vgpr1
                                        ; implicit-def: $vgpr8
                                        ; implicit-def: $vgpr6_vgpr7
                                        ; implicit-def: $vgpr4_vgpr5
.LBB102_12:
	s_andn2_saveexec_b64 s[2:3], s[4:5]
	s_cbranch_execz .LBB102_145
; %bb.13:
	s_load_dwordx4 s[4:7], s[0:1], 0x30
	s_load_dwordx2 s[16:17], s[0:1], 0x40
	v_lshlrev_b32_e32 v75, 8, v1
	v_cmp_gt_i32_e32 vcc, s15, v74
	s_and_saveexec_b64 s[2:3], vcc
	s_cbranch_execz .LBB102_15
; %bb.14:
	v_mad_u64_u32 v[0:1], s[18:19], v8, s12, 0
	v_mov_b32_e32 v10, v1
	v_mad_u64_u32 v[10:11], s[12:13], v8, s13, v[10:11]
	s_waitcnt lgkmcnt(0)
	s_lshl_b64 s[12:13], s[16:17], 3
	s_load_dword s16, s[0:1], 0x48
	s_add_u32 s6, s12, s6
	v_mov_b32_e32 v1, v10
	s_addc_u32 s7, s13, s7
	v_lshl_add_u64 v[0:1], v[0:1], 3, s[6:7]
	s_waitcnt lgkmcnt(0)
	v_mad_i64_i32 v[10:11], s[6:7], s16, v74, 0
	v_lshl_add_u64 v[0:1], v[10:11], 3, v[0:1]
	global_load_dwordx2 v[0:1], v[0:1], off
	s_waitcnt vmcnt(0)
	v_mul_f32_e32 v9, v1, v7
	v_mul_f32_e32 v11, v1, v6
	v_fma_f32 v10, v0, v6, -v9
	v_fmac_f32_e32 v11, v0, v7
	v_lshl_add_u32 v0, v74, 3, v75
	ds_write_b64 v0, v[10:11]
.LBB102_15:
	s_or_b64 exec, exec, s[2:3]
	v_cmp_gt_i32_e32 vcc, s14, v74
	s_waitcnt lgkmcnt(0)
	s_barrier
	s_and_saveexec_b64 s[2:3], vcc
	s_cbranch_execz .LBB102_145
; %bb.16:
	v_cmp_neq_f32_e32 vcc, 0, v4
	v_cmp_neq_f32_e64 s[2:3], 0, v5
	s_or_b64 s[6:7], vcc, s[2:3]
	v_mov_b32_e32 v29, 0
	v_mov_b32_e32 v0, 0
	;; [unrolled: 1-line block ×3, first 2 shown]
	s_and_saveexec_b64 s[2:3], s[6:7]
	s_cbranch_execz .LBB102_18
; %bb.17:
	v_mad_i64_i32 v[0:1], s[6:7], s33, v74, 0
	v_lshl_add_u64 v[0:1], v[0:1], 3, v[2:3]
	global_load_dwordx2 v[6:7], v[0:1], off
	s_waitcnt vmcnt(0)
	v_pk_mul_f32 v[0:1], v[4:5], v[6:7] op_sel:[1,0] op_sel_hi:[0,1]
	v_mov_b32_e32 v1, v0
	v_pk_fma_f32 v[0:1], v[4:5], v[6:7], v[0:1] op_sel:[1,0,0] op_sel_hi:[0,1,1]
	v_mul_f32_e32 v0, v4, v6
	v_fma_f32 v0, -v5, v7, v0
.LBB102_18:
	s_or_b64 exec, exec, s[2:3]
	v_mad_u64_u32 v[4:5], s[2:3], v8, s4, 0
	v_mov_b32_e32 v6, v5
	v_mad_u64_u32 v[6:7], s[2:3], v8, s5, v[6:7]
	s_lshl_b64 s[2:3], s[10:11], 3
	s_add_u32 s2, s2, s8
	v_mov_b32_e32 v5, v6
	s_addc_u32 s3, s3, s9
	v_lshl_add_u64 v[4:5], v[4:5], 3, s[2:3]
	v_lshlrev_b32_e32 v28, 3, v74
	s_cmp_gt_i32 s15, 0
	v_lshl_add_u64 v[72:73], v[4:5], 0, v[28:29]
	s_cselect_b64 s[64:65], -1, 0
	s_cmp_lt_i32 s15, 1
	v_mov_b32_e32 v33, 0
	s_cbranch_scc1 .LBB102_20
; %bb.19:
	global_load_dwordx2 v[32:33], v[72:73], off
	s_waitcnt vmcnt(0)
	v_mov_b32_e32 v29, v32
.LBB102_20:
	s_load_dword s68, s[0:1], 0x28
	v_mov_b32_e32 v54, 0
	v_mov_b32_e32 v58, 0
	;; [unrolled: 1-line block ×3, first 2 shown]
	s_waitcnt lgkmcnt(0)
	s_ashr_i32 s69, s68, 31
	s_cmp_gt_i32 s15, 1
	s_cselect_b64 s[66:67], -1, 0
	s_cmp_lt_i32 s15, 2
	s_cbranch_scc1 .LBB102_22
; %bb.21:
	v_lshl_add_u64 v[4:5], s[68:69], 3, v[72:73]
	global_load_dwordx2 v[58:59], v[4:5], off
.LBB102_22:
	s_cmp_gt_i32 s15, 2
	s_cselect_b64 s[62:63], -1, 0
	s_cmp_lt_i32 s15, 3
	v_mov_b32_e32 v55, 0
	s_cbranch_scc1 .LBB102_24
; %bb.23:
	v_lshl_add_u64 v[4:5], s[68:69], 4, v[72:73]
	global_load_dwordx2 v[54:55], v[4:5], off
.LBB102_24:
	s_cmp_gt_i32 s15, 3
	s_cselect_b64 s[60:61], -1, 0
	s_cmp_lt_i32 s15, 4
	v_mov_b32_e32 v62, 0
	v_mov_b32_e32 v70, 0
	;; [unrolled: 1-line block ×3, first 2 shown]
	s_cbranch_scc1 .LBB102_26
; %bb.25:
	v_mad_i64_i32 v[4:5], s[0:1], s68, 24, v[72:73]
	global_load_dwordx2 v[70:71], v[4:5], off
.LBB102_26:
	s_cmp_gt_i32 s15, 4
	s_cselect_b64 s[58:59], -1, 0
	s_cmp_lt_i32 s15, 5
	v_mov_b32_e32 v63, 0
	s_cbranch_scc1 .LBB102_28
; %bb.27:
	s_lshl_b64 s[0:1], s[68:69], 5
	v_lshl_add_u64 v[4:5], v[72:73], 0, s[0:1]
	global_load_dwordx2 v[62:63], v[4:5], off
.LBB102_28:
	s_cmp_gt_i32 s15, 5
	s_cselect_b64 s[56:57], -1, 0
	s_cmp_lt_i32 s15, 6
	v_mov_b32_e32 v60, 0
	v_mov_b32_e32 v68, 0
	;; [unrolled: 1-line block ×3, first 2 shown]
	s_cbranch_scc1 .LBB102_30
; %bb.29:
	v_mad_i64_i32 v[4:5], s[0:1], s68, 40, v[72:73]
	global_load_dwordx2 v[68:69], v[4:5], off
.LBB102_30:
	s_cmp_gt_i32 s15, 6
	s_cselect_b64 s[54:55], -1, 0
	s_cmp_lt_i32 s15, 7
	v_mov_b32_e32 v61, 0
	s_cbranch_scc1 .LBB102_32
; %bb.31:
	v_mad_i64_i32 v[4:5], s[0:1], s68, 48, v[72:73]
	global_load_dwordx2 v[60:61], v[4:5], off
.LBB102_32:
	s_cmp_gt_i32 s15, 7
	s_cselect_b64 s[52:53], -1, 0
	s_cmp_lt_i32 s15, 8
	v_mov_b32_e32 v52, 0
	v_mov_b32_e32 v66, 0
	;; [unrolled: 1-line block ×3, first 2 shown]
	s_cbranch_scc1 .LBB102_34
; %bb.33:
	v_mad_i64_i32 v[4:5], s[0:1], s68, 56, v[72:73]
	global_load_dwordx2 v[66:67], v[4:5], off
.LBB102_34:
	s_cmp_gt_i32 s15, 8
	s_cselect_b64 s[50:51], -1, 0
	s_cmp_lt_i32 s15, 9
	v_mov_b32_e32 v53, 0
	s_cbranch_scc1 .LBB102_36
; %bb.35:
	s_lshl_b64 s[0:1], s[68:69], 6
	v_lshl_add_u64 v[4:5], v[72:73], 0, s[0:1]
	global_load_dwordx2 v[52:53], v[4:5], off
.LBB102_36:
	s_cmp_gt_i32 s15, 9
	s_cselect_b64 s[48:49], -1, 0
	s_cmp_lt_i32 s15, 10
	v_mov_b32_e32 v48, 0
	v_mov_b32_e32 v64, 0
	v_mov_b32_e32 v65, 0
	s_cbranch_scc1 .LBB102_38
; %bb.37:
	v_mov_b32_e32 v4, 0x48
	v_mad_i64_i32 v[4:5], s[0:1], s68, v4, v[72:73]
	global_load_dwordx2 v[64:65], v[4:5], off
.LBB102_38:
	s_cmp_gt_i32 s15, 10
	s_cselect_b64 s[46:47], -1, 0
	s_cmp_lt_i32 s15, 11
	v_mov_b32_e32 v49, 0
	s_cbranch_scc1 .LBB102_40
; %bb.39:
	v_mov_b32_e32 v4, 0x50
	v_mad_i64_i32 v[4:5], s[0:1], s68, v4, v[72:73]
	global_load_dwordx2 v[48:49], v[4:5], off
.LBB102_40:
	s_cmp_gt_i32 s15, 11
	s_cselect_b64 s[44:45], -1, 0
	s_cmp_lt_i32 s15, 12
	v_mov_b32_e32 v42, 0
	v_mov_b32_e32 v56, 0
	v_mov_b32_e32 v57, 0
	s_cbranch_scc1 .LBB102_42
; %bb.41:
	v_mov_b32_e32 v4, 0x58
	v_mad_i64_i32 v[4:5], s[0:1], s68, v4, v[72:73]
	global_load_dwordx2 v[56:57], v[4:5], off
.LBB102_42:
	s_cmp_gt_i32 s15, 12
	s_cselect_b64 s[42:43], -1, 0
	s_cmp_lt_i32 s15, 13
	v_mov_b32_e32 v43, 0
	s_cbranch_scc1 .LBB102_44
; %bb.43:
	v_mov_b32_e32 v4, 0x60
	v_mad_i64_i32 v[4:5], s[0:1], s68, v4, v[72:73]
	global_load_dwordx2 v[42:43], v[4:5], off
.LBB102_44:
	;; [unrolled: 22-line block ×3, first 2 shown]
	s_cmp_gt_i32 s15, 15
	s_cselect_b64 s[36:37], -1, 0
	s_cmp_lt_i32 s15, 16
	v_mov_b32_e32 v34, 0
	v_mov_b32_e32 v46, 0
	;; [unrolled: 1-line block ×3, first 2 shown]
	s_cbranch_scc1 .LBB102_50
; %bb.49:
	v_mov_b32_e32 v4, 0x78
	v_mad_i64_i32 v[4:5], s[0:1], s68, v4, v[72:73]
	global_load_dwordx2 v[46:47], v[4:5], off
.LBB102_50:
	s_cmp_gt_i32 s15, 16
	s_cselect_b64 s[34:35], -1, 0
	s_cmp_lt_i32 s15, 17
	v_mov_b32_e32 v35, 0
	s_cbranch_scc1 .LBB102_52
; %bb.51:
	s_lshl_b64 s[0:1], s[68:69], 7
	v_lshl_add_u64 v[4:5], v[72:73], 0, s[0:1]
	global_load_dwordx2 v[34:35], v[4:5], off
.LBB102_52:
	s_cmp_gt_i32 s15, 17
	s_cselect_b64 s[30:31], -1, 0
	s_cmp_lt_i32 s15, 18
	v_mov_b32_e32 v30, 0
	v_mov_b32_e32 v44, 0
	v_mov_b32_e32 v45, 0
	s_cbranch_scc1 .LBB102_54
; %bb.53:
	v_mov_b32_e32 v4, 0x88
	v_mad_i64_i32 v[4:5], s[0:1], s68, v4, v[72:73]
	global_load_dwordx2 v[44:45], v[4:5], off
.LBB102_54:
	s_cmp_gt_i32 s15, 18
	s_cselect_b64 s[28:29], -1, 0
	s_cmp_lt_i32 s15, 19
	v_mov_b32_e32 v31, 0
	s_cbranch_scc1 .LBB102_56
; %bb.55:
	v_mov_b32_e32 v4, 0x90
	v_mad_i64_i32 v[4:5], s[0:1], s68, v4, v[72:73]
	global_load_dwordx2 v[30:31], v[4:5], off
.LBB102_56:
	s_cmp_gt_i32 s15, 19
	s_cselect_b64 s[26:27], -1, 0
	s_cmp_lt_i32 s15, 20
	v_mov_b32_e32 v24, 0
	v_mov_b32_e32 v40, 0
	v_mov_b32_e32 v41, 0
	s_cbranch_scc1 .LBB102_58
; %bb.57:
	v_mov_b32_e32 v4, 0x98
	v_mad_i64_i32 v[4:5], s[0:1], s68, v4, v[72:73]
	global_load_dwordx2 v[40:41], v[4:5], off
.LBB102_58:
	s_cmp_gt_i32 s15, 20
	s_cselect_b64 s[24:25], -1, 0
	s_cmp_lt_i32 s15, 21
	v_mov_b32_e32 v25, 0
	s_cbranch_scc1 .LBB102_60
; %bb.59:
	v_mov_b32_e32 v4, 0xa0
	v_mad_i64_i32 v[4:5], s[0:1], s68, v4, v[72:73]
	global_load_dwordx2 v[24:25], v[4:5], off
.LBB102_60:
	;; [unrolled: 22-line block ×7, first 2 shown]
	s_cmp_gt_i32 s15, 31
	s_cselect_b64 s[0:1], -1, 0
	s_cmp_lt_i32 s15, 32
	v_mov_b32_e32 v8, 0
	v_mov_b32_e32 v12, 0
	;; [unrolled: 1-line block ×3, first 2 shown]
	s_cbranch_scc1 .LBB102_82
; %bb.81:
	v_mov_b32_e32 v9, 0xf8
	v_mad_i64_i32 v[12:13], s[14:15], s68, v9, v[72:73]
	global_load_dwordx2 v[12:13], v[12:13], off
.LBB102_82:
	s_andn2_b64 vcc, exec, s[64:65]
	v_mov_b32_e32 v9, 0
	s_cbranch_vccnz .LBB102_84
; %bb.83:
	ds_read_b64 v[72:73], v75
	v_mov_b32_e32 v28, v33
	s_waitcnt lgkmcnt(0)
	v_pk_mul_f32 v[8:9], v[28:29], v[72:73]
	s_nop 0
	v_mov_b32_e32 v9, v8
	v_pk_fma_f32 v[8:9], v[28:29], v[72:73], v[8:9]
	s_nop 0
	v_mul_f32_e32 v8, v29, v72
	v_fma_f32 v8, -v33, v73, v8
.LBB102_84:
	s_andn2_b64 vcc, exec, s[66:67]
	v_mov_b32_e32 v28, 0
	v_mov_b32_e32 v32, 0
	;; [unrolled: 1-line block ×3, first 2 shown]
	s_cbranch_vccnz .LBB102_86
; %bb.85:
	ds_read_b64 v[72:73], v75 offset:8
	s_waitcnt vmcnt(0)
	v_mov_b32_e32 v32, v59
	v_mov_b32_e32 v33, v58
	s_waitcnt lgkmcnt(0)
	v_pk_mul_f32 v[76:77], v[32:33], v[72:73]
	s_nop 0
	v_mov_b32_e32 v29, v76
	v_pk_fma_f32 v[32:33], v[32:33], v[72:73], v[28:29]
	v_mul_f32_e32 v29, v58, v72
	v_fma_f32 v32, -v59, v73, v29
.LBB102_86:
	s_andn2_b64 vcc, exec, s[62:63]
	v_mov_b32_e32 v29, 0
	s_cbranch_vccnz .LBB102_88
; %bb.87:
	ds_read_b64 v[28:29], v75 offset:16
	s_waitcnt vmcnt(0)
	v_mov_b32_e32 v58, v55
	s_waitcnt lgkmcnt(0)
	v_pk_mul_f32 v[58:59], v[58:59], v[28:29] op_sel:[0,1] op_sel_hi:[0,0]
	v_pk_mul_f32 v[72:73], v[54:55], v[28:29] op_sel_hi:[0,1]
	v_pk_fma_f32 v[28:29], v[54:55], v[28:29], v[58:59] op_sel_hi:[0,1,1]
	v_sub_f32_e32 v28, v72, v58
.LBB102_88:
	s_andn2_b64 vcc, exec, s[60:61]
	s_waitcnt vmcnt(0)
	v_mov_b32_e32 v54, 0
	v_mov_b32_e32 v58, 0
	v_mov_b32_e32 v59, 0
	s_cbranch_vccnz .LBB102_90
; %bb.89:
	ds_read_b64 v[58:59], v75 offset:24
	v_mov_b32_e32 v72, v71
	s_waitcnt lgkmcnt(0)
	v_pk_mul_f32 v[72:73], v[72:73], v[58:59] op_sel_hi:[0,1]
	v_pk_mul_f32 v[76:77], v[70:71], v[58:59] op_sel_hi:[0,1]
	v_pk_fma_f32 v[58:59], v[70:71], v[58:59], v[72:73] op_sel:[0,0,1] op_sel_hi:[0,1,0]
	v_sub_f32_e32 v58, v76, v73
.LBB102_90:
	s_andn2_b64 vcc, exec, s[58:59]
	v_mov_b32_e32 v55, 0
	s_cbranch_vccnz .LBB102_92
; %bb.91:
	ds_read_b64 v[54:55], v75 offset:32
	v_mov_b32_e32 v70, v63
	s_waitcnt lgkmcnt(0)
	v_pk_mul_f32 v[70:71], v[70:71], v[54:55] op_sel_hi:[0,1]
	v_pk_mul_f32 v[72:73], v[62:63], v[54:55] op_sel_hi:[0,1]
	v_pk_fma_f32 v[54:55], v[62:63], v[54:55], v[70:71] op_sel:[0,0,1] op_sel_hi:[0,1,0]
	v_sub_f32_e32 v54, v72, v71
.LBB102_92:
	s_andn2_b64 vcc, exec, s[56:57]
	v_mov_b32_e32 v62, 0
	v_mov_b32_e32 v70, 0
	v_mov_b32_e32 v71, 0
	s_cbranch_vccnz .LBB102_94
; %bb.93:
	ds_read_b64 v[70:71], v75 offset:40
	v_mov_b32_e32 v72, v69
	s_waitcnt lgkmcnt(0)
	v_pk_mul_f32 v[72:73], v[72:73], v[70:71] op_sel_hi:[0,1]
	v_pk_mul_f32 v[76:77], v[68:69], v[70:71] op_sel_hi:[0,1]
	v_pk_fma_f32 v[70:71], v[68:69], v[70:71], v[72:73] op_sel:[0,0,1] op_sel_hi:[0,1,0]
	v_sub_f32_e32 v70, v76, v73
.LBB102_94:
	s_andn2_b64 vcc, exec, s[54:55]
	v_mov_b32_e32 v63, 0
	s_cbranch_vccnz .LBB102_96
; %bb.95:
	ds_read_b64 v[62:63], v75 offset:48
	v_mov_b32_e32 v68, v61
	s_waitcnt lgkmcnt(0)
	v_pk_mul_f32 v[68:69], v[68:69], v[62:63] op_sel_hi:[0,1]
	v_pk_mul_f32 v[72:73], v[60:61], v[62:63] op_sel_hi:[0,1]
	v_pk_fma_f32 v[62:63], v[60:61], v[62:63], v[68:69] op_sel:[0,0,1] op_sel_hi:[0,1,0]
	v_sub_f32_e32 v62, v72, v69
.LBB102_96:
	s_andn2_b64 vcc, exec, s[52:53]
	;; [unrolled: 26-line block ×3, first 2 shown]
	v_mov_b32_e32 v53, 0
	v_mov_b32_e32 v66, 0
	;; [unrolled: 1-line block ×3, first 2 shown]
	s_cbranch_vccnz .LBB102_102
; %bb.101:
	ds_read_b64 v[66:67], v75 offset:72
	v_mov_b32_e32 v52, v65
	s_waitcnt lgkmcnt(0)
	v_pk_mul_f32 v[72:73], v[52:53], v[66:67] op_sel_hi:[0,1]
	v_pk_mul_f32 v[76:77], v[64:65], v[66:67] op_sel_hi:[0,1]
	v_pk_fma_f32 v[66:67], v[64:65], v[66:67], v[72:73] op_sel:[0,0,1] op_sel_hi:[0,1,0]
	v_sub_f32_e32 v66, v76, v73
.LBB102_102:
	s_andn2_b64 vcc, exec, s[46:47]
	v_mov_b32_e32 v52, 0
	s_cbranch_vccnz .LBB102_104
; %bb.103:
	ds_read_b64 v[52:53], v75 offset:80
	v_mov_b32_e32 v64, v49
	v_mov_b32_e32 v65, v48
	s_waitcnt lgkmcnt(0)
	v_mul_f32_e32 v48, v48, v52
	v_pk_mul_f32 v[64:65], v[64:65], v[52:53]
	v_fma_f32 v52, -v49, v53, v48
	v_add_f32_e32 v53, v64, v65
.LBB102_104:
	s_andn2_b64 vcc, exec, s[44:45]
	v_mov_b32_e32 v48, 0
	v_mov_b32_e32 v64, 0
	;; [unrolled: 1-line block ×3, first 2 shown]
	s_cbranch_vccnz .LBB102_106
; %bb.105:
	ds_read_b64 v[72:73], v75 offset:88
	v_mov_b32_e32 v64, v57
	v_mov_b32_e32 v65, v56
	s_waitcnt lgkmcnt(0)
	v_pk_mul_f32 v[76:77], v[64:65], v[72:73]
	s_nop 0
	v_mov_b32_e32 v49, v76
	v_pk_fma_f32 v[64:65], v[64:65], v[72:73], v[48:49]
	v_mul_f32_e32 v49, v56, v72
	v_fma_f32 v64, -v57, v73, v49
.LBB102_106:
	s_andn2_b64 vcc, exec, s[42:43]
	v_mov_b32_e32 v49, 0
	s_cbranch_vccnz .LBB102_108
; %bb.107:
	ds_read_b64 v[56:57], v75 offset:96
	v_mov_b32_e32 v48, v43
	v_mov_b32_e32 v49, v42
	s_waitcnt lgkmcnt(0)
	v_pk_mul_f32 v[72:73], v[48:49], v[56:57]
	s_nop 0
	v_mov_b32_e32 v73, v72
	v_pk_fma_f32 v[48:49], v[48:49], v[56:57], v[72:73]
	v_mul_f32_e32 v42, v42, v56
	v_fma_f32 v48, -v43, v57, v42
.LBB102_108:
	s_andn2_b64 vcc, exec, s[40:41]
	v_mov_b32_e32 v42, 0
	v_mov_b32_e32 v56, 0
	;; [unrolled: 1-line block ×3, first 2 shown]
	s_cbranch_vccnz .LBB102_110
; %bb.109:
	ds_read_b64 v[56:57], v75 offset:104
	v_mov_b32_e32 v72, v51
	s_waitcnt lgkmcnt(0)
	v_pk_mul_f32 v[72:73], v[72:73], v[56:57] op_sel:[0,1] op_sel_hi:[0,0]
	v_pk_mul_f32 v[76:77], v[50:51], v[56:57] op_sel_hi:[0,1]
	v_pk_fma_f32 v[56:57], v[50:51], v[56:57], v[72:73] op_sel_hi:[0,1,1]
	v_sub_f32_e32 v56, v76, v72
.LBB102_110:
	s_andn2_b64 vcc, exec, s[38:39]
	v_mov_b32_e32 v43, 0
	s_cbranch_vccnz .LBB102_112
; %bb.111:
	ds_read_b64 v[42:43], v75 offset:112
	v_mov_b32_e32 v50, v39
	s_waitcnt lgkmcnt(0)
	v_pk_mul_f32 v[50:51], v[50:51], v[42:43] op_sel_hi:[0,1]
	v_pk_mul_f32 v[72:73], v[38:39], v[42:43] op_sel_hi:[0,1]
	v_pk_fma_f32 v[42:43], v[38:39], v[42:43], v[50:51] op_sel:[0,0,1] op_sel_hi:[0,1,0]
	v_sub_f32_e32 v42, v72, v51
.LBB102_112:
	s_andn2_b64 vcc, exec, s[36:37]
	v_mov_b32_e32 v38, 0
	v_mov_b32_e32 v50, 0
	v_mov_b32_e32 v51, 0
	s_cbranch_vccnz .LBB102_114
; %bb.113:
	ds_read_b64 v[50:51], v75 offset:120
	v_mov_b32_e32 v72, v47
	s_waitcnt lgkmcnt(0)
	v_pk_mul_f32 v[72:73], v[72:73], v[50:51] op_sel_hi:[0,1]
	v_pk_mul_f32 v[76:77], v[46:47], v[50:51] op_sel_hi:[0,1]
	v_pk_fma_f32 v[50:51], v[46:47], v[50:51], v[72:73] op_sel:[0,0,1] op_sel_hi:[0,1,0]
	v_sub_f32_e32 v50, v76, v73
.LBB102_114:
	s_andn2_b64 vcc, exec, s[34:35]
	v_mov_b32_e32 v39, 0
	s_cbranch_vccnz .LBB102_116
; %bb.115:
	ds_read_b64 v[38:39], v75 offset:128
	v_mov_b32_e32 v46, v35
	s_waitcnt lgkmcnt(0)
	v_pk_mul_f32 v[46:47], v[46:47], v[38:39] op_sel_hi:[0,1]
	v_pk_mul_f32 v[72:73], v[34:35], v[38:39] op_sel_hi:[0,1]
	v_pk_fma_f32 v[38:39], v[34:35], v[38:39], v[46:47] op_sel:[0,0,1] op_sel_hi:[0,1,0]
	v_sub_f32_e32 v38, v72, v47
.LBB102_116:
	s_andn2_b64 vcc, exec, s[30:31]
	v_mov_b32_e32 v34, 0
	v_mov_b32_e32 v46, 0
	v_mov_b32_e32 v47, 0
	s_cbranch_vccnz .LBB102_118
; %bb.117:
	ds_read_b64 v[46:47], v75 offset:136
	v_mov_b32_e32 v72, v45
	s_waitcnt lgkmcnt(0)
	v_pk_mul_f32 v[72:73], v[72:73], v[46:47] op_sel_hi:[0,1]
	v_pk_mul_f32 v[76:77], v[44:45], v[46:47] op_sel_hi:[0,1]
	v_pk_fma_f32 v[46:47], v[44:45], v[46:47], v[72:73] op_sel:[0,0,1] op_sel_hi:[0,1,0]
	v_sub_f32_e32 v46, v76, v73
.LBB102_118:
	;; [unrolled: 26-line block ×3, first 2 shown]
	s_andn2_b64 vcc, exec, s[24:25]
	v_mov_b32_e32 v31, 0
	s_cbranch_vccnz .LBB102_124
; %bb.123:
	ds_read_b64 v[30:31], v75 offset:160
	v_mov_b32_e32 v40, v25
	s_waitcnt lgkmcnt(0)
	v_pk_mul_f32 v[40:41], v[40:41], v[30:31] op_sel_hi:[0,1]
	v_pk_mul_f32 v[72:73], v[24:25], v[30:31] op_sel_hi:[0,1]
	v_pk_fma_f32 v[30:31], v[24:25], v[30:31], v[40:41] op_sel:[0,0,1] op_sel_hi:[0,1,0]
	v_sub_f32_e32 v30, v72, v41
.LBB102_124:
	s_andn2_b64 vcc, exec, s[22:23]
	v_mov_b32_e32 v24, 0
	v_mov_b32_e32 v41, 0
	;; [unrolled: 1-line block ×3, first 2 shown]
	s_cbranch_vccnz .LBB102_126
; %bb.125:
	ds_read_b64 v[40:41], v75 offset:168
	v_mov_b32_e32 v72, v37
	v_mov_b32_e32 v73, v36
	s_waitcnt lgkmcnt(0)
	v_mul_f32_e32 v25, v36, v40
	v_pk_mul_f32 v[72:73], v[72:73], v[40:41]
	v_fma_f32 v40, -v37, v41, v25
	v_add_f32_e32 v41, v72, v73
.LBB102_126:
	s_andn2_b64 vcc, exec, s[20:21]
	v_mov_b32_e32 v25, 0
	s_cbranch_vccnz .LBB102_128
; %bb.127:
	ds_read_b64 v[36:37], v75 offset:176
	v_mov_b32_e32 v24, v19
	v_mov_b32_e32 v25, v18
	s_waitcnt lgkmcnt(0)
	v_pk_mul_f32 v[72:73], v[24:25], v[36:37]
	s_nop 0
	v_mov_b32_e32 v73, v72
	v_pk_fma_f32 v[24:25], v[24:25], v[36:37], v[72:73]
	v_mul_f32_e32 v18, v18, v36
	v_fma_f32 v24, -v19, v37, v18
.LBB102_128:
	s_andn2_b64 vcc, exec, s[18:19]
	v_mov_b32_e32 v18, 0
	v_mov_b32_e32 v36, 0
	;; [unrolled: 1-line block ×3, first 2 shown]
	s_cbranch_vccnz .LBB102_130
; %bb.129:
	ds_read_b64 v[72:73], v75 offset:184
	v_mov_b32_e32 v36, v27
	v_mov_b32_e32 v37, v26
	s_waitcnt lgkmcnt(0)
	v_pk_mul_f32 v[76:77], v[36:37], v[72:73]
	s_nop 0
	v_mov_b32_e32 v19, v76
	v_pk_fma_f32 v[36:37], v[36:37], v[72:73], v[18:19]
	v_mul_f32_e32 v19, v26, v72
	v_fma_f32 v36, -v27, v73, v19
.LBB102_130:
	s_andn2_b64 vcc, exec, s[16:17]
	v_mov_b32_e32 v19, 0
	s_cbranch_vccnz .LBB102_132
; %bb.131:
	ds_read_b64 v[18:19], v75 offset:192
	v_mov_b32_e32 v26, v15
	s_waitcnt lgkmcnt(0)
	v_pk_mul_f32 v[26:27], v[26:27], v[18:19] op_sel:[0,1] op_sel_hi:[0,0]
	v_pk_mul_f32 v[72:73], v[14:15], v[18:19] op_sel_hi:[0,1]
	v_pk_fma_f32 v[18:19], v[14:15], v[18:19], v[26:27] op_sel_hi:[0,1,1]
	v_sub_f32_e32 v18, v72, v26
.LBB102_132:
	s_andn2_b64 vcc, exec, s[12:13]
	v_mov_b32_e32 v14, 0
	v_mov_b32_e32 v26, 0
	;; [unrolled: 1-line block ×3, first 2 shown]
	s_cbranch_vccnz .LBB102_134
; %bb.133:
	ds_read_b64 v[26:27], v75 offset:200
	v_mov_b32_e32 v72, v23
	s_waitcnt lgkmcnt(0)
	v_pk_mul_f32 v[72:73], v[72:73], v[26:27] op_sel_hi:[0,1]
	v_pk_mul_f32 v[76:77], v[22:23], v[26:27] op_sel_hi:[0,1]
	v_pk_fma_f32 v[26:27], v[22:23], v[26:27], v[72:73] op_sel:[0,0,1] op_sel_hi:[0,1,0]
	v_sub_f32_e32 v26, v76, v73
.LBB102_134:
	s_andn2_b64 vcc, exec, s[10:11]
	v_mov_b32_e32 v15, 0
	s_cbranch_vccnz .LBB102_136
; %bb.135:
	ds_read_b64 v[14:15], v75 offset:208
	v_mov_b32_e32 v22, v11
	s_waitcnt lgkmcnt(0)
	v_pk_mul_f32 v[22:23], v[22:23], v[14:15] op_sel_hi:[0,1]
	v_pk_mul_f32 v[72:73], v[10:11], v[14:15] op_sel_hi:[0,1]
	v_pk_fma_f32 v[14:15], v[10:11], v[14:15], v[22:23] op_sel:[0,0,1] op_sel_hi:[0,1,0]
	v_sub_f32_e32 v14, v72, v23
.LBB102_136:
	s_andn2_b64 vcc, exec, s[8:9]
	v_mov_b32_e32 v10, 0
	v_mov_b32_e32 v22, 0
	;; [unrolled: 1-line block ×3, first 2 shown]
	s_cbranch_vccnz .LBB102_138
; %bb.137:
	ds_read_b64 v[22:23], v75 offset:216
	v_mov_b32_e32 v72, v21
	s_waitcnt lgkmcnt(0)
	v_pk_mul_f32 v[72:73], v[72:73], v[22:23] op_sel_hi:[0,1]
	v_pk_mul_f32 v[76:77], v[20:21], v[22:23] op_sel_hi:[0,1]
	v_pk_fma_f32 v[22:23], v[20:21], v[22:23], v[72:73] op_sel:[0,0,1] op_sel_hi:[0,1,0]
	v_sub_f32_e32 v22, v76, v73
.LBB102_138:
	s_andn2_b64 vcc, exec, s[6:7]
	v_mov_b32_e32 v11, 0
	s_cbranch_vccnz .LBB102_140
; %bb.139:
	ds_read_b64 v[10:11], v75 offset:224
	v_mov_b32_e32 v20, v7
	s_waitcnt lgkmcnt(0)
	v_pk_mul_f32 v[20:21], v[20:21], v[10:11] op_sel_hi:[0,1]
	v_pk_mul_f32 v[72:73], v[6:7], v[10:11] op_sel_hi:[0,1]
	v_pk_fma_f32 v[10:11], v[6:7], v[10:11], v[20:21] op_sel:[0,0,1] op_sel_hi:[0,1,0]
	v_sub_f32_e32 v10, v72, v21
.LBB102_140:
	s_andn2_b64 vcc, exec, s[4:5]
	v_mov_b32_e32 v6, 0
	v_mov_b32_e32 v20, 0
	;; [unrolled: 1-line block ×3, first 2 shown]
	s_cbranch_vccz .LBB102_146
; %bb.141:
	s_andn2_b64 vcc, exec, s[2:3]
	v_mov_b32_e32 v7, 0
	s_cbranch_vccz .LBB102_147
.LBB102_142:
	s_andn2_b64 vcc, exec, s[0:1]
	v_mov_b32_e32 v4, 0
	v_mov_b32_e32 v5, 0
	s_cbranch_vccnz .LBB102_144
.LBB102_143:
	ds_read_b64 v[4:5], v75 offset:248
	v_mov_b32_e32 v16, v13
	s_waitcnt lgkmcnt(0)
	v_pk_mul_f32 v[16:17], v[16:17], v[4:5] op_sel_hi:[0,1]
	v_pk_mul_f32 v[72:73], v[12:13], v[4:5] op_sel_hi:[0,1]
	v_pk_fma_f32 v[4:5], v[12:13], v[4:5], v[16:17] op_sel:[0,0,1] op_sel_hi:[0,1,0]
	v_sub_f32_e32 v4, v72, v17
.LBB102_144:
	v_pk_add_f32 v[0:1], v[0:1], v[8:9]
	s_nop 0
	v_pk_add_f32 v[0:1], v[0:1], v[32:33]
	s_nop 0
	;; [unrolled: 2-line block ×31, first 2 shown]
	v_pk_add_f32 v[0:1], v[0:1], v[4:5]
	v_mad_i64_i32 v[4:5], s[0:1], s33, v74, 0
	v_lshl_add_u64 v[2:3], v[4:5], 3, v[2:3]
	global_store_dwordx2 v[2:3], v[0:1], off
.LBB102_145:
	s_endpgm
.LBB102_146:
	ds_read_b64 v[20:21], v75 offset:232
	v_mov_b32_e32 v72, v17
	s_waitcnt lgkmcnt(0)
	v_pk_mul_f32 v[72:73], v[72:73], v[20:21] op_sel_hi:[0,1]
	v_pk_mul_f32 v[76:77], v[16:17], v[20:21] op_sel_hi:[0,1]
	v_pk_fma_f32 v[20:21], v[16:17], v[20:21], v[72:73] op_sel:[0,0,1] op_sel_hi:[0,1,0]
	v_sub_f32_e32 v20, v76, v73
	s_andn2_b64 vcc, exec, s[2:3]
	v_mov_b32_e32 v7, 0
	s_cbranch_vccnz .LBB102_142
.LBB102_147:
	ds_read_b64 v[6:7], v75 offset:240
	v_mov_b32_e32 v16, v5
	s_waitcnt lgkmcnt(0)
	v_pk_mul_f32 v[16:17], v[16:17], v[6:7] op_sel_hi:[0,1]
	v_pk_mul_f32 v[72:73], v[4:5], v[6:7] op_sel_hi:[0,1]
	v_pk_fma_f32 v[6:7], v[4:5], v[6:7], v[16:17] op_sel:[0,0,1] op_sel_hi:[0,1,0]
	v_sub_f32_e32 v6, v72, v17
	s_andn2_b64 vcc, exec, s[0:1]
	v_mov_b32_e32 v4, 0
	v_mov_b32_e32 v5, 0
	s_cbranch_vccz .LBB102_143
	s_branch .LBB102_144
	.section	.rodata,"a",@progbits
	.p2align	6, 0x0
	.amdhsa_kernel _ZL34rocblas_gemvn_sm_mn_batched_kernelILi32ELi24E19rocblas_complex_numIfEPKS1_S1_EviiT2_lPKT1_lilS7_lilS4_lPT3_lili
		.amdhsa_group_segment_fixed_size 6144
		.amdhsa_private_segment_fixed_size 0
		.amdhsa_kernarg_size 400
		.amdhsa_user_sgpr_count 2
		.amdhsa_user_sgpr_dispatch_ptr 0
		.amdhsa_user_sgpr_queue_ptr 0
		.amdhsa_user_sgpr_kernarg_segment_ptr 1
		.amdhsa_user_sgpr_dispatch_id 0
		.amdhsa_user_sgpr_kernarg_preload_length 0
		.amdhsa_user_sgpr_kernarg_preload_offset 0
		.amdhsa_user_sgpr_private_segment_size 0
		.amdhsa_uses_dynamic_stack 0
		.amdhsa_enable_private_segment 0
		.amdhsa_system_sgpr_workgroup_id_x 1
		.amdhsa_system_sgpr_workgroup_id_y 0
		.amdhsa_system_sgpr_workgroup_id_z 0
		.amdhsa_system_sgpr_workgroup_info 0
		.amdhsa_system_vgpr_workitem_id 1
		.amdhsa_next_free_vgpr 78
		.amdhsa_next_free_sgpr 70
		.amdhsa_accum_offset 80
		.amdhsa_reserve_vcc 1
		.amdhsa_float_round_mode_32 0
		.amdhsa_float_round_mode_16_64 0
		.amdhsa_float_denorm_mode_32 3
		.amdhsa_float_denorm_mode_16_64 3
		.amdhsa_dx10_clamp 1
		.amdhsa_ieee_mode 1
		.amdhsa_fp16_overflow 0
		.amdhsa_tg_split 0
		.amdhsa_exception_fp_ieee_invalid_op 0
		.amdhsa_exception_fp_denorm_src 0
		.amdhsa_exception_fp_ieee_div_zero 0
		.amdhsa_exception_fp_ieee_overflow 0
		.amdhsa_exception_fp_ieee_underflow 0
		.amdhsa_exception_fp_ieee_inexact 0
		.amdhsa_exception_int_div_zero 0
	.end_amdhsa_kernel
	.section	.text._ZL34rocblas_gemvn_sm_mn_batched_kernelILi32ELi24E19rocblas_complex_numIfEPKS1_S1_EviiT2_lPKT1_lilS7_lilS4_lPT3_lili,"axG",@progbits,_ZL34rocblas_gemvn_sm_mn_batched_kernelILi32ELi24E19rocblas_complex_numIfEPKS1_S1_EviiT2_lPKT1_lilS7_lilS4_lPT3_lili,comdat
.Lfunc_end102:
	.size	_ZL34rocblas_gemvn_sm_mn_batched_kernelILi32ELi24E19rocblas_complex_numIfEPKS1_S1_EviiT2_lPKT1_lilS7_lilS4_lPT3_lili, .Lfunc_end102-_ZL34rocblas_gemvn_sm_mn_batched_kernelILi32ELi24E19rocblas_complex_numIfEPKS1_S1_EviiT2_lPKT1_lilS7_lilS4_lPT3_lili
                                        ; -- End function
	.section	.AMDGPU.csdata,"",@progbits
; Kernel info:
; codeLenInByte = 4768
; NumSgprs: 76
; NumVgprs: 78
; NumAgprs: 0
; TotalNumVgprs: 78
; ScratchSize: 0
; MemoryBound: 0
; FloatMode: 240
; IeeeMode: 1
; LDSByteSize: 6144 bytes/workgroup (compile time only)
; SGPRBlocks: 9
; VGPRBlocks: 9
; NumSGPRsForWavesPerEU: 76
; NumVGPRsForWavesPerEU: 78
; AccumOffset: 80
; Occupancy: 6
; WaveLimiterHint : 1
; COMPUTE_PGM_RSRC2:SCRATCH_EN: 0
; COMPUTE_PGM_RSRC2:USER_SGPR: 2
; COMPUTE_PGM_RSRC2:TRAP_HANDLER: 0
; COMPUTE_PGM_RSRC2:TGID_X_EN: 1
; COMPUTE_PGM_RSRC2:TGID_Y_EN: 0
; COMPUTE_PGM_RSRC2:TGID_Z_EN: 0
; COMPUTE_PGM_RSRC2:TIDIG_COMP_CNT: 1
; COMPUTE_PGM_RSRC3_GFX90A:ACCUM_OFFSET: 19
; COMPUTE_PGM_RSRC3_GFX90A:TG_SPLIT: 0
	.section	.text._ZL34rocblas_gemvn_sm_mn_batched_kernelILi32ELi24E19rocblas_complex_numIfES1_S1_EviiT2_lPKT1_lilS5_lilS2_lPT3_lili,"axG",@progbits,_ZL34rocblas_gemvn_sm_mn_batched_kernelILi32ELi24E19rocblas_complex_numIfES1_S1_EviiT2_lPKT1_lilS5_lilS2_lPT3_lili,comdat
	.globl	_ZL34rocblas_gemvn_sm_mn_batched_kernelILi32ELi24E19rocblas_complex_numIfES1_S1_EviiT2_lPKT1_lilS5_lilS2_lPT3_lili ; -- Begin function _ZL34rocblas_gemvn_sm_mn_batched_kernelILi32ELi24E19rocblas_complex_numIfES1_S1_EviiT2_lPKT1_lilS5_lilS2_lPT3_lili
	.p2align	8
	.type	_ZL34rocblas_gemvn_sm_mn_batched_kernelILi32ELi24E19rocblas_complex_numIfES1_S1_EviiT2_lPKT1_lilS5_lilS2_lPT3_lili,@function
_ZL34rocblas_gemvn_sm_mn_batched_kernelILi32ELi24E19rocblas_complex_numIfES1_S1_EviiT2_lPKT1_lilS5_lilS2_lPT3_lili: ; @_ZL34rocblas_gemvn_sm_mn_batched_kernelILi32ELi24E19rocblas_complex_numIfES1_S1_EviiT2_lPKT1_lilS5_lilS2_lPT3_lili
; %bb.0:
	s_load_dword s3, s[0:1], 0x9c
	s_load_dword s4, s[0:1], 0x88
	v_bfe_u32 v1, v0, 10, 10
	s_waitcnt lgkmcnt(0)
	s_lshr_b32 s3, s3, 16
	s_mul_i32 s2, s2, s3
	v_add_u32_e32 v4, s2, v1
	v_cmp_gt_i32_e32 vcc, s4, v4
	s_and_saveexec_b64 s[2:3], vcc
	s_cbranch_execz .LBB103_145
; %bb.1:
	s_load_dwordx4 s[4:7], s[0:1], 0x0
	s_load_dwordx2 s[12:13], s[0:1], 0x58
	s_waitcnt lgkmcnt(0)
	v_cmp_eq_f32_e64 s[2:3], s6, 0
	v_cmp_eq_f32_e64 s[8:9], s7, 0
	v_cmp_eq_f32_e64 s[10:11], s12, 1.0
	v_cmp_eq_f32_e64 s[14:15], s13, 0
	s_and_b64 s[2:3], s[2:3], s[8:9]
	s_and_b64 s[8:9], s[10:11], s[14:15]
	;; [unrolled: 1-line block ×3, first 2 shown]
	s_and_b64 vcc, exec, s[2:3]
	s_cbranch_vccnz .LBB103_145
; %bb.2:
	s_load_dwordx2 s[2:3], s[0:1], 0x80
	s_load_dwordx4 s[8:11], s[0:1], 0x68
	s_load_dword s33, s[0:1], 0x78
	v_and_b32_e32 v74, 0x3ff, v0
	s_waitcnt lgkmcnt(0)
	v_mad_u64_u32 v[2:3], s[14:15], v4, s2, 0
	v_mov_b32_e32 v6, v3
	v_mad_u64_u32 v[6:7], s[2:3], v4, s3, v[6:7]
	s_lshl_b64 s[2:3], s[10:11], 3
	s_add_u32 s2, s2, s8
	v_mov_b32_e32 v3, v6
	s_addc_u32 s3, s3, s9
	v_lshl_add_u64 v[2:3], v[2:3], 3, s[2:3]
	s_or_b32 s2, s6, s7
	s_bitset0_b32 s2, 31
	s_cmp_lg_u32 s2, 0
	s_mov_b64 s[8:9], -1
	v_cmp_gt_i32_e64 s[2:3], s4, v74
	s_cbranch_scc1 .LBB103_12
; %bb.3:
	v_cmp_neq_f32_e64 s[8:9], s12, 0
	v_cmp_neq_f32_e64 s[10:11], s13, 0
	s_or_b64 s[8:9], s[8:9], s[10:11]
	s_andn2_b64 vcc, exec, s[8:9]
	s_mov_b64 s[8:9], -1
	s_cbranch_vccz .LBB103_7
; %bb.4:
	s_and_saveexec_b64 s[8:9], s[2:3]
	s_cbranch_execz .LBB103_6
; %bb.5:
	v_mad_i64_i32 v[6:7], s[10:11], s33, v74, 0
	v_mov_b32_e32 v8, 0
	v_lshl_add_u64 v[6:7], v[6:7], 3, v[2:3]
	v_mov_b32_e32 v9, v8
	global_store_dwordx2 v[6:7], v[8:9], off
.LBB103_6:
	s_or_b64 exec, exec, s[8:9]
	s_mov_b64 s[8:9], 0
.LBB103_7:
	s_andn2_b64 vcc, exec, s[8:9]
	s_cbranch_vccnz .LBB103_11
; %bb.8:
	s_and_saveexec_b64 s[8:9], s[2:3]
	s_cbranch_execz .LBB103_10
; %bb.9:
	v_mad_i64_i32 v[6:7], s[2:3], s33, v74, 0
	v_lshl_add_u64 v[6:7], v[6:7], 3, v[2:3]
	global_load_dwordx2 v[8:9], v[6:7], off
	s_waitcnt vmcnt(0)
	v_mul_f32_e32 v0, s13, v9
	v_mul_f32_e32 v11, s12, v9
	v_fma_f32 v10, s12, v8, -v0
	v_fmac_f32_e32 v11, s13, v8
	global_store_dwordx2 v[6:7], v[10:11], off
.LBB103_10:
	s_or_b64 exec, exec, s[8:9]
.LBB103_11:
	s_mov_b64 s[8:9], 0
.LBB103_12:
	s_andn2_b64 vcc, exec, s[8:9]
	s_cbranch_vccnz .LBB103_145
; %bb.13:
	s_load_dwordx4 s[8:11], s[0:1], 0x30
	s_load_dwordx2 s[14:15], s[0:1], 0x40
	v_lshlrev_b32_e32 v75, 8, v1
	v_cmp_gt_i32_e32 vcc, s5, v74
	s_and_saveexec_b64 s[2:3], vcc
	s_cbranch_execz .LBB103_15
; %bb.14:
	s_load_dwordx2 s[16:17], s[0:1], 0x50
	s_load_dword s20, s[0:1], 0x48
	s_waitcnt lgkmcnt(0)
	s_lshl_b64 s[14:15], s[14:15], 3
	s_add_u32 s10, s14, s10
	s_addc_u32 s11, s15, s11
	v_mad_u64_u32 v[0:1], s[18:19], v4, s16, 0
	v_mov_b32_e32 v6, v1
	v_mad_u64_u32 v[6:7], s[16:17], v4, s17, v[6:7]
	v_mov_b32_e32 v1, v6
	v_lshl_add_u64 v[0:1], v[0:1], 3, s[10:11]
	v_mad_i64_i32 v[6:7], s[10:11], s20, v74, 0
	v_lshl_add_u64 v[0:1], v[6:7], 3, v[0:1]
	global_load_dwordx2 v[0:1], v[0:1], off
	s_waitcnt vmcnt(0)
	v_mul_f32_e32 v5, s7, v1
	v_mul_f32_e32 v7, s6, v1
	v_fma_f32 v6, v0, s6, -v5
	v_fmac_f32_e32 v7, s7, v0
	v_lshl_add_u32 v0, v74, 3, v75
	ds_write_b64 v0, v[6:7]
.LBB103_15:
	s_or_b64 exec, exec, s[2:3]
	v_cmp_gt_i32_e32 vcc, s4, v74
	s_waitcnt lgkmcnt(0)
	s_barrier
	s_and_b64 exec, exec, vcc
	s_cbranch_execz .LBB103_145
; %bb.16:
	v_cmp_neq_f32_e64 s[2:3], s12, 0
	v_cmp_neq_f32_e64 s[6:7], s13, 0
	s_or_b64 s[2:3], s[2:3], s[6:7]
	v_mov_b32_e32 v0, 0
	v_mov_b32_e32 v29, 0
	s_andn2_b64 vcc, exec, s[2:3]
	v_mov_b32_e32 v1, 0
	s_cbranch_vccnz .LBB103_18
; %bb.17:
	v_mad_i64_i32 v[0:1], s[2:3], s33, v74, 0
	v_lshl_add_u64 v[0:1], v[0:1], 3, v[2:3]
	global_load_dwordx2 v[6:7], v[0:1], off
	s_waitcnt vmcnt(0)
	v_pk_mul_f32 v[0:1], s[12:13], v[6:7] op_sel:[1,0] op_sel_hi:[0,1]
	v_mov_b32_e32 v1, v0
	v_pk_fma_f32 v[0:1], s[12:13], v[6:7], v[0:1] op_sel:[1,0,0] op_sel_hi:[0,1,1]
	v_mul_f32_e32 v0, s12, v6
	v_fma_f32 v0, -s13, v7, v0
.LBB103_18:
	s_load_dwordx4 s[12:15], s[0:1], 0x18
	v_mad_u64_u32 v[6:7], s[2:3], v4, s8, 0
	v_mov_b32_e32 v8, v7
	v_mad_u64_u32 v[4:5], s[2:3], v4, s9, v[8:9]
	s_waitcnt lgkmcnt(0)
	s_lshl_b64 s[2:3], s[14:15], 3
	s_add_u32 s2, s2, s12
	v_mov_b32_e32 v7, v4
	s_addc_u32 s3, s3, s13
	v_lshl_add_u64 v[4:5], v[6:7], 3, s[2:3]
	v_lshlrev_b32_e32 v28, 3, v74
	s_cmp_gt_i32 s5, 0
	v_lshl_add_u64 v[72:73], v[4:5], 0, v[28:29]
	s_cselect_b64 s[64:65], -1, 0
	s_cmp_lt_i32 s5, 1
	v_mov_b32_e32 v33, 0
	s_cbranch_scc1 .LBB103_20
; %bb.19:
	global_load_dwordx2 v[32:33], v[72:73], off
	s_waitcnt vmcnt(0)
	v_mov_b32_e32 v29, v32
.LBB103_20:
	s_load_dword s68, s[0:1], 0x28
	v_mov_b32_e32 v54, 0
	v_mov_b32_e32 v58, 0
	;; [unrolled: 1-line block ×3, first 2 shown]
	s_waitcnt lgkmcnt(0)
	s_ashr_i32 s69, s68, 31
	s_cmp_gt_i32 s5, 1
	s_cselect_b64 s[66:67], -1, 0
	s_cmp_lt_i32 s5, 2
	s_cbranch_scc1 .LBB103_22
; %bb.21:
	v_lshl_add_u64 v[4:5], s[68:69], 3, v[72:73]
	global_load_dwordx2 v[58:59], v[4:5], off
.LBB103_22:
	s_cmp_gt_i32 s5, 2
	s_cselect_b64 s[62:63], -1, 0
	s_cmp_lt_i32 s5, 3
	v_mov_b32_e32 v55, 0
	s_cbranch_scc1 .LBB103_24
; %bb.23:
	v_lshl_add_u64 v[4:5], s[68:69], 4, v[72:73]
	global_load_dwordx2 v[54:55], v[4:5], off
.LBB103_24:
	s_cmp_gt_i32 s5, 3
	s_cselect_b64 s[60:61], -1, 0
	s_cmp_lt_i32 s5, 4
	v_mov_b32_e32 v62, 0
	v_mov_b32_e32 v70, 0
	;; [unrolled: 1-line block ×3, first 2 shown]
	s_cbranch_scc1 .LBB103_26
; %bb.25:
	v_mad_i64_i32 v[4:5], s[0:1], s68, 24, v[72:73]
	global_load_dwordx2 v[70:71], v[4:5], off
.LBB103_26:
	s_cmp_gt_i32 s5, 4
	s_cselect_b64 s[58:59], -1, 0
	s_cmp_lt_i32 s5, 5
	v_mov_b32_e32 v63, 0
	s_cbranch_scc1 .LBB103_28
; %bb.27:
	s_lshl_b64 s[0:1], s[68:69], 5
	v_lshl_add_u64 v[4:5], v[72:73], 0, s[0:1]
	global_load_dwordx2 v[62:63], v[4:5], off
.LBB103_28:
	s_cmp_gt_i32 s5, 5
	s_cselect_b64 s[56:57], -1, 0
	s_cmp_lt_i32 s5, 6
	v_mov_b32_e32 v60, 0
	v_mov_b32_e32 v68, 0
	;; [unrolled: 1-line block ×3, first 2 shown]
	s_cbranch_scc1 .LBB103_30
; %bb.29:
	v_mad_i64_i32 v[4:5], s[0:1], s68, 40, v[72:73]
	global_load_dwordx2 v[68:69], v[4:5], off
.LBB103_30:
	s_cmp_gt_i32 s5, 6
	s_cselect_b64 s[54:55], -1, 0
	s_cmp_lt_i32 s5, 7
	v_mov_b32_e32 v61, 0
	s_cbranch_scc1 .LBB103_32
; %bb.31:
	v_mad_i64_i32 v[4:5], s[0:1], s68, 48, v[72:73]
	global_load_dwordx2 v[60:61], v[4:5], off
.LBB103_32:
	s_cmp_gt_i32 s5, 7
	s_cselect_b64 s[52:53], -1, 0
	s_cmp_lt_i32 s5, 8
	v_mov_b32_e32 v52, 0
	v_mov_b32_e32 v66, 0
	;; [unrolled: 1-line block ×3, first 2 shown]
	s_cbranch_scc1 .LBB103_34
; %bb.33:
	v_mad_i64_i32 v[4:5], s[0:1], s68, 56, v[72:73]
	global_load_dwordx2 v[66:67], v[4:5], off
.LBB103_34:
	s_cmp_gt_i32 s5, 8
	s_cselect_b64 s[50:51], -1, 0
	s_cmp_lt_i32 s5, 9
	v_mov_b32_e32 v53, 0
	s_cbranch_scc1 .LBB103_36
; %bb.35:
	s_lshl_b64 s[0:1], s[68:69], 6
	v_lshl_add_u64 v[4:5], v[72:73], 0, s[0:1]
	global_load_dwordx2 v[52:53], v[4:5], off
.LBB103_36:
	s_cmp_gt_i32 s5, 9
	s_cselect_b64 s[48:49], -1, 0
	s_cmp_lt_i32 s5, 10
	v_mov_b32_e32 v48, 0
	v_mov_b32_e32 v64, 0
	v_mov_b32_e32 v65, 0
	s_cbranch_scc1 .LBB103_38
; %bb.37:
	v_mov_b32_e32 v4, 0x48
	v_mad_i64_i32 v[4:5], s[0:1], s68, v4, v[72:73]
	global_load_dwordx2 v[64:65], v[4:5], off
.LBB103_38:
	s_cmp_gt_i32 s5, 10
	s_cselect_b64 s[46:47], -1, 0
	s_cmp_lt_i32 s5, 11
	v_mov_b32_e32 v49, 0
	s_cbranch_scc1 .LBB103_40
; %bb.39:
	v_mov_b32_e32 v4, 0x50
	v_mad_i64_i32 v[4:5], s[0:1], s68, v4, v[72:73]
	global_load_dwordx2 v[48:49], v[4:5], off
.LBB103_40:
	s_cmp_gt_i32 s5, 11
	s_cselect_b64 s[44:45], -1, 0
	s_cmp_lt_i32 s5, 12
	v_mov_b32_e32 v42, 0
	v_mov_b32_e32 v56, 0
	v_mov_b32_e32 v57, 0
	s_cbranch_scc1 .LBB103_42
; %bb.41:
	v_mov_b32_e32 v4, 0x58
	v_mad_i64_i32 v[4:5], s[0:1], s68, v4, v[72:73]
	global_load_dwordx2 v[56:57], v[4:5], off
.LBB103_42:
	s_cmp_gt_i32 s5, 12
	s_cselect_b64 s[42:43], -1, 0
	s_cmp_lt_i32 s5, 13
	v_mov_b32_e32 v43, 0
	s_cbranch_scc1 .LBB103_44
; %bb.43:
	v_mov_b32_e32 v4, 0x60
	v_mad_i64_i32 v[4:5], s[0:1], s68, v4, v[72:73]
	global_load_dwordx2 v[42:43], v[4:5], off
.LBB103_44:
	;; [unrolled: 22-line block ×3, first 2 shown]
	s_cmp_gt_i32 s5, 15
	s_cselect_b64 s[36:37], -1, 0
	s_cmp_lt_i32 s5, 16
	v_mov_b32_e32 v34, 0
	v_mov_b32_e32 v46, 0
	;; [unrolled: 1-line block ×3, first 2 shown]
	s_cbranch_scc1 .LBB103_50
; %bb.49:
	v_mov_b32_e32 v4, 0x78
	v_mad_i64_i32 v[4:5], s[0:1], s68, v4, v[72:73]
	global_load_dwordx2 v[46:47], v[4:5], off
.LBB103_50:
	s_cmp_gt_i32 s5, 16
	s_cselect_b64 s[34:35], -1, 0
	s_cmp_lt_i32 s5, 17
	v_mov_b32_e32 v35, 0
	s_cbranch_scc1 .LBB103_52
; %bb.51:
	s_lshl_b64 s[0:1], s[68:69], 7
	v_lshl_add_u64 v[4:5], v[72:73], 0, s[0:1]
	global_load_dwordx2 v[34:35], v[4:5], off
.LBB103_52:
	s_cmp_gt_i32 s5, 17
	s_cselect_b64 s[30:31], -1, 0
	s_cmp_lt_i32 s5, 18
	v_mov_b32_e32 v30, 0
	v_mov_b32_e32 v44, 0
	v_mov_b32_e32 v45, 0
	s_cbranch_scc1 .LBB103_54
; %bb.53:
	v_mov_b32_e32 v4, 0x88
	v_mad_i64_i32 v[4:5], s[0:1], s68, v4, v[72:73]
	global_load_dwordx2 v[44:45], v[4:5], off
.LBB103_54:
	s_cmp_gt_i32 s5, 18
	s_cselect_b64 s[28:29], -1, 0
	s_cmp_lt_i32 s5, 19
	v_mov_b32_e32 v31, 0
	s_cbranch_scc1 .LBB103_56
; %bb.55:
	v_mov_b32_e32 v4, 0x90
	v_mad_i64_i32 v[4:5], s[0:1], s68, v4, v[72:73]
	global_load_dwordx2 v[30:31], v[4:5], off
.LBB103_56:
	s_cmp_gt_i32 s5, 19
	s_cselect_b64 s[26:27], -1, 0
	s_cmp_lt_i32 s5, 20
	v_mov_b32_e32 v24, 0
	v_mov_b32_e32 v40, 0
	v_mov_b32_e32 v41, 0
	s_cbranch_scc1 .LBB103_58
; %bb.57:
	v_mov_b32_e32 v4, 0x98
	v_mad_i64_i32 v[4:5], s[0:1], s68, v4, v[72:73]
	global_load_dwordx2 v[40:41], v[4:5], off
.LBB103_58:
	s_cmp_gt_i32 s5, 20
	s_cselect_b64 s[24:25], -1, 0
	s_cmp_lt_i32 s5, 21
	v_mov_b32_e32 v25, 0
	s_cbranch_scc1 .LBB103_60
; %bb.59:
	v_mov_b32_e32 v4, 0xa0
	v_mad_i64_i32 v[4:5], s[0:1], s68, v4, v[72:73]
	global_load_dwordx2 v[24:25], v[4:5], off
.LBB103_60:
	;; [unrolled: 22-line block ×7, first 2 shown]
	s_cmp_gt_i32 s5, 31
	s_cselect_b64 s[0:1], -1, 0
	s_cmp_lt_i32 s5, 32
	v_mov_b32_e32 v8, 0
	v_mov_b32_e32 v12, 0
	;; [unrolled: 1-line block ×3, first 2 shown]
	s_cbranch_scc1 .LBB103_82
; %bb.81:
	v_mov_b32_e32 v9, 0xf8
	v_mad_i64_i32 v[12:13], s[4:5], s68, v9, v[72:73]
	global_load_dwordx2 v[12:13], v[12:13], off
.LBB103_82:
	s_andn2_b64 vcc, exec, s[64:65]
	v_mov_b32_e32 v9, 0
	s_cbranch_vccnz .LBB103_84
; %bb.83:
	ds_read_b64 v[72:73], v75
	v_mov_b32_e32 v28, v33
	s_waitcnt lgkmcnt(0)
	v_pk_mul_f32 v[8:9], v[28:29], v[72:73]
	s_nop 0
	v_mov_b32_e32 v9, v8
	v_pk_fma_f32 v[8:9], v[28:29], v[72:73], v[8:9]
	s_nop 0
	v_mul_f32_e32 v8, v29, v72
	v_fma_f32 v8, -v33, v73, v8
.LBB103_84:
	s_andn2_b64 vcc, exec, s[66:67]
	v_mov_b32_e32 v28, 0
	v_mov_b32_e32 v32, 0
	;; [unrolled: 1-line block ×3, first 2 shown]
	s_cbranch_vccnz .LBB103_86
; %bb.85:
	ds_read_b64 v[72:73], v75 offset:8
	s_waitcnt vmcnt(0)
	v_mov_b32_e32 v32, v59
	v_mov_b32_e32 v33, v58
	s_waitcnt lgkmcnt(0)
	v_pk_mul_f32 v[76:77], v[32:33], v[72:73]
	s_nop 0
	v_mov_b32_e32 v29, v76
	v_pk_fma_f32 v[32:33], v[32:33], v[72:73], v[28:29]
	v_mul_f32_e32 v29, v58, v72
	v_fma_f32 v32, -v59, v73, v29
.LBB103_86:
	s_andn2_b64 vcc, exec, s[62:63]
	v_mov_b32_e32 v29, 0
	s_cbranch_vccnz .LBB103_88
; %bb.87:
	ds_read_b64 v[28:29], v75 offset:16
	s_waitcnt vmcnt(0)
	v_mov_b32_e32 v58, v55
	s_waitcnt lgkmcnt(0)
	v_pk_mul_f32 v[58:59], v[58:59], v[28:29] op_sel:[0,1] op_sel_hi:[0,0]
	v_pk_mul_f32 v[72:73], v[54:55], v[28:29] op_sel_hi:[0,1]
	v_pk_fma_f32 v[28:29], v[54:55], v[28:29], v[58:59] op_sel_hi:[0,1,1]
	v_sub_f32_e32 v28, v72, v58
.LBB103_88:
	s_andn2_b64 vcc, exec, s[60:61]
	s_waitcnt vmcnt(0)
	v_mov_b32_e32 v54, 0
	v_mov_b32_e32 v58, 0
	v_mov_b32_e32 v59, 0
	s_cbranch_vccnz .LBB103_90
; %bb.89:
	ds_read_b64 v[58:59], v75 offset:24
	v_mov_b32_e32 v72, v71
	s_waitcnt lgkmcnt(0)
	v_pk_mul_f32 v[72:73], v[72:73], v[58:59] op_sel_hi:[0,1]
	v_pk_mul_f32 v[76:77], v[70:71], v[58:59] op_sel_hi:[0,1]
	v_pk_fma_f32 v[58:59], v[70:71], v[58:59], v[72:73] op_sel:[0,0,1] op_sel_hi:[0,1,0]
	v_sub_f32_e32 v58, v76, v73
.LBB103_90:
	s_andn2_b64 vcc, exec, s[58:59]
	v_mov_b32_e32 v55, 0
	s_cbranch_vccnz .LBB103_92
; %bb.91:
	ds_read_b64 v[54:55], v75 offset:32
	v_mov_b32_e32 v70, v63
	s_waitcnt lgkmcnt(0)
	v_pk_mul_f32 v[70:71], v[70:71], v[54:55] op_sel_hi:[0,1]
	v_pk_mul_f32 v[72:73], v[62:63], v[54:55] op_sel_hi:[0,1]
	v_pk_fma_f32 v[54:55], v[62:63], v[54:55], v[70:71] op_sel:[0,0,1] op_sel_hi:[0,1,0]
	v_sub_f32_e32 v54, v72, v71
.LBB103_92:
	s_andn2_b64 vcc, exec, s[56:57]
	v_mov_b32_e32 v62, 0
	v_mov_b32_e32 v70, 0
	v_mov_b32_e32 v71, 0
	s_cbranch_vccnz .LBB103_94
; %bb.93:
	ds_read_b64 v[70:71], v75 offset:40
	v_mov_b32_e32 v72, v69
	s_waitcnt lgkmcnt(0)
	v_pk_mul_f32 v[72:73], v[72:73], v[70:71] op_sel_hi:[0,1]
	v_pk_mul_f32 v[76:77], v[68:69], v[70:71] op_sel_hi:[0,1]
	v_pk_fma_f32 v[70:71], v[68:69], v[70:71], v[72:73] op_sel:[0,0,1] op_sel_hi:[0,1,0]
	v_sub_f32_e32 v70, v76, v73
.LBB103_94:
	s_andn2_b64 vcc, exec, s[54:55]
	v_mov_b32_e32 v63, 0
	s_cbranch_vccnz .LBB103_96
; %bb.95:
	ds_read_b64 v[62:63], v75 offset:48
	v_mov_b32_e32 v68, v61
	s_waitcnt lgkmcnt(0)
	v_pk_mul_f32 v[68:69], v[68:69], v[62:63] op_sel_hi:[0,1]
	v_pk_mul_f32 v[72:73], v[60:61], v[62:63] op_sel_hi:[0,1]
	v_pk_fma_f32 v[62:63], v[60:61], v[62:63], v[68:69] op_sel:[0,0,1] op_sel_hi:[0,1,0]
	v_sub_f32_e32 v62, v72, v69
.LBB103_96:
	s_andn2_b64 vcc, exec, s[52:53]
	;; [unrolled: 26-line block ×3, first 2 shown]
	v_mov_b32_e32 v53, 0
	v_mov_b32_e32 v66, 0
	;; [unrolled: 1-line block ×3, first 2 shown]
	s_cbranch_vccnz .LBB103_102
; %bb.101:
	ds_read_b64 v[66:67], v75 offset:72
	v_mov_b32_e32 v52, v65
	s_waitcnt lgkmcnt(0)
	v_pk_mul_f32 v[72:73], v[52:53], v[66:67] op_sel_hi:[0,1]
	v_pk_mul_f32 v[76:77], v[64:65], v[66:67] op_sel_hi:[0,1]
	v_pk_fma_f32 v[66:67], v[64:65], v[66:67], v[72:73] op_sel:[0,0,1] op_sel_hi:[0,1,0]
	v_sub_f32_e32 v66, v76, v73
.LBB103_102:
	s_andn2_b64 vcc, exec, s[46:47]
	v_mov_b32_e32 v52, 0
	s_cbranch_vccnz .LBB103_104
; %bb.103:
	ds_read_b64 v[52:53], v75 offset:80
	v_mov_b32_e32 v64, v49
	v_mov_b32_e32 v65, v48
	s_waitcnt lgkmcnt(0)
	v_mul_f32_e32 v48, v48, v52
	v_pk_mul_f32 v[64:65], v[64:65], v[52:53]
	v_fma_f32 v52, -v49, v53, v48
	v_add_f32_e32 v53, v64, v65
.LBB103_104:
	s_andn2_b64 vcc, exec, s[44:45]
	v_mov_b32_e32 v48, 0
	v_mov_b32_e32 v64, 0
	;; [unrolled: 1-line block ×3, first 2 shown]
	s_cbranch_vccnz .LBB103_106
; %bb.105:
	ds_read_b64 v[72:73], v75 offset:88
	v_mov_b32_e32 v64, v57
	v_mov_b32_e32 v65, v56
	s_waitcnt lgkmcnt(0)
	v_pk_mul_f32 v[76:77], v[64:65], v[72:73]
	s_nop 0
	v_mov_b32_e32 v49, v76
	v_pk_fma_f32 v[64:65], v[64:65], v[72:73], v[48:49]
	v_mul_f32_e32 v49, v56, v72
	v_fma_f32 v64, -v57, v73, v49
.LBB103_106:
	s_andn2_b64 vcc, exec, s[42:43]
	v_mov_b32_e32 v49, 0
	s_cbranch_vccnz .LBB103_108
; %bb.107:
	ds_read_b64 v[56:57], v75 offset:96
	v_mov_b32_e32 v48, v43
	v_mov_b32_e32 v49, v42
	s_waitcnt lgkmcnt(0)
	v_pk_mul_f32 v[72:73], v[48:49], v[56:57]
	s_nop 0
	v_mov_b32_e32 v73, v72
	v_pk_fma_f32 v[48:49], v[48:49], v[56:57], v[72:73]
	v_mul_f32_e32 v42, v42, v56
	v_fma_f32 v48, -v43, v57, v42
.LBB103_108:
	s_andn2_b64 vcc, exec, s[40:41]
	v_mov_b32_e32 v42, 0
	v_mov_b32_e32 v56, 0
	;; [unrolled: 1-line block ×3, first 2 shown]
	s_cbranch_vccnz .LBB103_110
; %bb.109:
	ds_read_b64 v[56:57], v75 offset:104
	v_mov_b32_e32 v72, v51
	s_waitcnt lgkmcnt(0)
	v_pk_mul_f32 v[72:73], v[72:73], v[56:57] op_sel:[0,1] op_sel_hi:[0,0]
	v_pk_mul_f32 v[76:77], v[50:51], v[56:57] op_sel_hi:[0,1]
	v_pk_fma_f32 v[56:57], v[50:51], v[56:57], v[72:73] op_sel_hi:[0,1,1]
	v_sub_f32_e32 v56, v76, v72
.LBB103_110:
	s_andn2_b64 vcc, exec, s[38:39]
	v_mov_b32_e32 v43, 0
	s_cbranch_vccnz .LBB103_112
; %bb.111:
	ds_read_b64 v[42:43], v75 offset:112
	v_mov_b32_e32 v50, v39
	s_waitcnt lgkmcnt(0)
	v_pk_mul_f32 v[50:51], v[50:51], v[42:43] op_sel_hi:[0,1]
	v_pk_mul_f32 v[72:73], v[38:39], v[42:43] op_sel_hi:[0,1]
	v_pk_fma_f32 v[42:43], v[38:39], v[42:43], v[50:51] op_sel:[0,0,1] op_sel_hi:[0,1,0]
	v_sub_f32_e32 v42, v72, v51
.LBB103_112:
	s_andn2_b64 vcc, exec, s[36:37]
	v_mov_b32_e32 v38, 0
	v_mov_b32_e32 v50, 0
	v_mov_b32_e32 v51, 0
	s_cbranch_vccnz .LBB103_114
; %bb.113:
	ds_read_b64 v[50:51], v75 offset:120
	v_mov_b32_e32 v72, v47
	s_waitcnt lgkmcnt(0)
	v_pk_mul_f32 v[72:73], v[72:73], v[50:51] op_sel_hi:[0,1]
	v_pk_mul_f32 v[76:77], v[46:47], v[50:51] op_sel_hi:[0,1]
	v_pk_fma_f32 v[50:51], v[46:47], v[50:51], v[72:73] op_sel:[0,0,1] op_sel_hi:[0,1,0]
	v_sub_f32_e32 v50, v76, v73
.LBB103_114:
	s_andn2_b64 vcc, exec, s[34:35]
	v_mov_b32_e32 v39, 0
	s_cbranch_vccnz .LBB103_116
; %bb.115:
	ds_read_b64 v[38:39], v75 offset:128
	v_mov_b32_e32 v46, v35
	s_waitcnt lgkmcnt(0)
	v_pk_mul_f32 v[46:47], v[46:47], v[38:39] op_sel_hi:[0,1]
	v_pk_mul_f32 v[72:73], v[34:35], v[38:39] op_sel_hi:[0,1]
	v_pk_fma_f32 v[38:39], v[34:35], v[38:39], v[46:47] op_sel:[0,0,1] op_sel_hi:[0,1,0]
	v_sub_f32_e32 v38, v72, v47
.LBB103_116:
	s_andn2_b64 vcc, exec, s[30:31]
	v_mov_b32_e32 v34, 0
	v_mov_b32_e32 v46, 0
	v_mov_b32_e32 v47, 0
	s_cbranch_vccnz .LBB103_118
; %bb.117:
	ds_read_b64 v[46:47], v75 offset:136
	v_mov_b32_e32 v72, v45
	s_waitcnt lgkmcnt(0)
	v_pk_mul_f32 v[72:73], v[72:73], v[46:47] op_sel_hi:[0,1]
	v_pk_mul_f32 v[76:77], v[44:45], v[46:47] op_sel_hi:[0,1]
	v_pk_fma_f32 v[46:47], v[44:45], v[46:47], v[72:73] op_sel:[0,0,1] op_sel_hi:[0,1,0]
	v_sub_f32_e32 v46, v76, v73
.LBB103_118:
	;; [unrolled: 26-line block ×3, first 2 shown]
	s_andn2_b64 vcc, exec, s[24:25]
	v_mov_b32_e32 v31, 0
	s_cbranch_vccnz .LBB103_124
; %bb.123:
	ds_read_b64 v[30:31], v75 offset:160
	v_mov_b32_e32 v40, v25
	s_waitcnt lgkmcnt(0)
	v_pk_mul_f32 v[40:41], v[40:41], v[30:31] op_sel_hi:[0,1]
	v_pk_mul_f32 v[72:73], v[24:25], v[30:31] op_sel_hi:[0,1]
	v_pk_fma_f32 v[30:31], v[24:25], v[30:31], v[40:41] op_sel:[0,0,1] op_sel_hi:[0,1,0]
	v_sub_f32_e32 v30, v72, v41
.LBB103_124:
	s_andn2_b64 vcc, exec, s[22:23]
	v_mov_b32_e32 v24, 0
	v_mov_b32_e32 v41, 0
	;; [unrolled: 1-line block ×3, first 2 shown]
	s_cbranch_vccnz .LBB103_126
; %bb.125:
	ds_read_b64 v[40:41], v75 offset:168
	v_mov_b32_e32 v72, v37
	v_mov_b32_e32 v73, v36
	s_waitcnt lgkmcnt(0)
	v_mul_f32_e32 v25, v36, v40
	v_pk_mul_f32 v[72:73], v[72:73], v[40:41]
	v_fma_f32 v40, -v37, v41, v25
	v_add_f32_e32 v41, v72, v73
.LBB103_126:
	s_andn2_b64 vcc, exec, s[20:21]
	v_mov_b32_e32 v25, 0
	s_cbranch_vccnz .LBB103_128
; %bb.127:
	ds_read_b64 v[36:37], v75 offset:176
	v_mov_b32_e32 v24, v19
	v_mov_b32_e32 v25, v18
	s_waitcnt lgkmcnt(0)
	v_pk_mul_f32 v[72:73], v[24:25], v[36:37]
	s_nop 0
	v_mov_b32_e32 v73, v72
	v_pk_fma_f32 v[24:25], v[24:25], v[36:37], v[72:73]
	v_mul_f32_e32 v18, v18, v36
	v_fma_f32 v24, -v19, v37, v18
.LBB103_128:
	s_andn2_b64 vcc, exec, s[18:19]
	v_mov_b32_e32 v18, 0
	v_mov_b32_e32 v36, 0
	;; [unrolled: 1-line block ×3, first 2 shown]
	s_cbranch_vccnz .LBB103_130
; %bb.129:
	ds_read_b64 v[72:73], v75 offset:184
	v_mov_b32_e32 v36, v27
	v_mov_b32_e32 v37, v26
	s_waitcnt lgkmcnt(0)
	v_pk_mul_f32 v[76:77], v[36:37], v[72:73]
	s_nop 0
	v_mov_b32_e32 v19, v76
	v_pk_fma_f32 v[36:37], v[36:37], v[72:73], v[18:19]
	v_mul_f32_e32 v19, v26, v72
	v_fma_f32 v36, -v27, v73, v19
.LBB103_130:
	s_andn2_b64 vcc, exec, s[16:17]
	v_mov_b32_e32 v19, 0
	s_cbranch_vccnz .LBB103_132
; %bb.131:
	ds_read_b64 v[18:19], v75 offset:192
	v_mov_b32_e32 v26, v15
	s_waitcnt lgkmcnt(0)
	v_pk_mul_f32 v[26:27], v[26:27], v[18:19] op_sel:[0,1] op_sel_hi:[0,0]
	v_pk_mul_f32 v[72:73], v[14:15], v[18:19] op_sel_hi:[0,1]
	v_pk_fma_f32 v[18:19], v[14:15], v[18:19], v[26:27] op_sel_hi:[0,1,1]
	v_sub_f32_e32 v18, v72, v26
.LBB103_132:
	s_andn2_b64 vcc, exec, s[14:15]
	v_mov_b32_e32 v14, 0
	v_mov_b32_e32 v26, 0
	;; [unrolled: 1-line block ×3, first 2 shown]
	s_cbranch_vccnz .LBB103_134
; %bb.133:
	ds_read_b64 v[26:27], v75 offset:200
	v_mov_b32_e32 v72, v23
	s_waitcnt lgkmcnt(0)
	v_pk_mul_f32 v[72:73], v[72:73], v[26:27] op_sel_hi:[0,1]
	v_pk_mul_f32 v[76:77], v[22:23], v[26:27] op_sel_hi:[0,1]
	v_pk_fma_f32 v[26:27], v[22:23], v[26:27], v[72:73] op_sel:[0,0,1] op_sel_hi:[0,1,0]
	v_sub_f32_e32 v26, v76, v73
.LBB103_134:
	s_andn2_b64 vcc, exec, s[12:13]
	v_mov_b32_e32 v15, 0
	s_cbranch_vccnz .LBB103_136
; %bb.135:
	ds_read_b64 v[14:15], v75 offset:208
	v_mov_b32_e32 v22, v11
	s_waitcnt lgkmcnt(0)
	v_pk_mul_f32 v[22:23], v[22:23], v[14:15] op_sel_hi:[0,1]
	v_pk_mul_f32 v[72:73], v[10:11], v[14:15] op_sel_hi:[0,1]
	v_pk_fma_f32 v[14:15], v[10:11], v[14:15], v[22:23] op_sel:[0,0,1] op_sel_hi:[0,1,0]
	v_sub_f32_e32 v14, v72, v23
.LBB103_136:
	s_andn2_b64 vcc, exec, s[10:11]
	v_mov_b32_e32 v10, 0
	v_mov_b32_e32 v22, 0
	;; [unrolled: 1-line block ×3, first 2 shown]
	s_cbranch_vccnz .LBB103_138
; %bb.137:
	ds_read_b64 v[22:23], v75 offset:216
	v_mov_b32_e32 v72, v21
	s_waitcnt lgkmcnt(0)
	v_pk_mul_f32 v[72:73], v[72:73], v[22:23] op_sel_hi:[0,1]
	v_pk_mul_f32 v[76:77], v[20:21], v[22:23] op_sel_hi:[0,1]
	v_pk_fma_f32 v[22:23], v[20:21], v[22:23], v[72:73] op_sel:[0,0,1] op_sel_hi:[0,1,0]
	v_sub_f32_e32 v22, v76, v73
.LBB103_138:
	s_andn2_b64 vcc, exec, s[8:9]
	v_mov_b32_e32 v11, 0
	s_cbranch_vccnz .LBB103_140
; %bb.139:
	ds_read_b64 v[10:11], v75 offset:224
	v_mov_b32_e32 v20, v7
	s_waitcnt lgkmcnt(0)
	v_pk_mul_f32 v[20:21], v[20:21], v[10:11] op_sel_hi:[0,1]
	v_pk_mul_f32 v[72:73], v[6:7], v[10:11] op_sel_hi:[0,1]
	v_pk_fma_f32 v[10:11], v[6:7], v[10:11], v[20:21] op_sel:[0,0,1] op_sel_hi:[0,1,0]
	v_sub_f32_e32 v10, v72, v21
.LBB103_140:
	s_andn2_b64 vcc, exec, s[6:7]
	v_mov_b32_e32 v6, 0
	v_mov_b32_e32 v20, 0
	;; [unrolled: 1-line block ×3, first 2 shown]
	s_cbranch_vccz .LBB103_146
; %bb.141:
	s_andn2_b64 vcc, exec, s[2:3]
	v_mov_b32_e32 v7, 0
	s_cbranch_vccz .LBB103_147
.LBB103_142:
	s_andn2_b64 vcc, exec, s[0:1]
	v_mov_b32_e32 v4, 0
	v_mov_b32_e32 v5, 0
	s_cbranch_vccnz .LBB103_144
.LBB103_143:
	ds_read_b64 v[4:5], v75 offset:248
	v_mov_b32_e32 v16, v13
	s_waitcnt lgkmcnt(0)
	v_pk_mul_f32 v[16:17], v[16:17], v[4:5] op_sel_hi:[0,1]
	v_pk_mul_f32 v[72:73], v[12:13], v[4:5] op_sel_hi:[0,1]
	v_pk_fma_f32 v[4:5], v[12:13], v[4:5], v[16:17] op_sel:[0,0,1] op_sel_hi:[0,1,0]
	v_sub_f32_e32 v4, v72, v17
.LBB103_144:
	v_pk_add_f32 v[0:1], v[0:1], v[8:9]
	s_nop 0
	v_pk_add_f32 v[0:1], v[0:1], v[32:33]
	s_nop 0
	;; [unrolled: 2-line block ×31, first 2 shown]
	v_pk_add_f32 v[0:1], v[0:1], v[4:5]
	v_mad_i64_i32 v[4:5], s[0:1], s33, v74, 0
	v_lshl_add_u64 v[2:3], v[4:5], 3, v[2:3]
	global_store_dwordx2 v[2:3], v[0:1], off
.LBB103_145:
	s_endpgm
.LBB103_146:
	ds_read_b64 v[20:21], v75 offset:232
	v_mov_b32_e32 v72, v17
	s_waitcnt lgkmcnt(0)
	v_pk_mul_f32 v[72:73], v[72:73], v[20:21] op_sel_hi:[0,1]
	v_pk_mul_f32 v[76:77], v[16:17], v[20:21] op_sel_hi:[0,1]
	v_pk_fma_f32 v[20:21], v[16:17], v[20:21], v[72:73] op_sel:[0,0,1] op_sel_hi:[0,1,0]
	v_sub_f32_e32 v20, v76, v73
	s_andn2_b64 vcc, exec, s[2:3]
	v_mov_b32_e32 v7, 0
	s_cbranch_vccnz .LBB103_142
.LBB103_147:
	ds_read_b64 v[6:7], v75 offset:240
	v_mov_b32_e32 v16, v5
	s_waitcnt lgkmcnt(0)
	v_pk_mul_f32 v[16:17], v[16:17], v[6:7] op_sel_hi:[0,1]
	v_pk_mul_f32 v[72:73], v[4:5], v[6:7] op_sel_hi:[0,1]
	v_pk_fma_f32 v[6:7], v[4:5], v[6:7], v[16:17] op_sel:[0,0,1] op_sel_hi:[0,1,0]
	v_sub_f32_e32 v6, v72, v17
	s_andn2_b64 vcc, exec, s[0:1]
	v_mov_b32_e32 v4, 0
	v_mov_b32_e32 v5, 0
	s_cbranch_vccz .LBB103_143
	s_branch .LBB103_144
	.section	.rodata,"a",@progbits
	.p2align	6, 0x0
	.amdhsa_kernel _ZL34rocblas_gemvn_sm_mn_batched_kernelILi32ELi24E19rocblas_complex_numIfES1_S1_EviiT2_lPKT1_lilS5_lilS2_lPT3_lili
		.amdhsa_group_segment_fixed_size 6144
		.amdhsa_private_segment_fixed_size 0
		.amdhsa_kernarg_size 400
		.amdhsa_user_sgpr_count 2
		.amdhsa_user_sgpr_dispatch_ptr 0
		.amdhsa_user_sgpr_queue_ptr 0
		.amdhsa_user_sgpr_kernarg_segment_ptr 1
		.amdhsa_user_sgpr_dispatch_id 0
		.amdhsa_user_sgpr_kernarg_preload_length 0
		.amdhsa_user_sgpr_kernarg_preload_offset 0
		.amdhsa_user_sgpr_private_segment_size 0
		.amdhsa_uses_dynamic_stack 0
		.amdhsa_enable_private_segment 0
		.amdhsa_system_sgpr_workgroup_id_x 1
		.amdhsa_system_sgpr_workgroup_id_y 0
		.amdhsa_system_sgpr_workgroup_id_z 0
		.amdhsa_system_sgpr_workgroup_info 0
		.amdhsa_system_vgpr_workitem_id 1
		.amdhsa_next_free_vgpr 78
		.amdhsa_next_free_sgpr 70
		.amdhsa_accum_offset 80
		.amdhsa_reserve_vcc 1
		.amdhsa_float_round_mode_32 0
		.amdhsa_float_round_mode_16_64 0
		.amdhsa_float_denorm_mode_32 3
		.amdhsa_float_denorm_mode_16_64 3
		.amdhsa_dx10_clamp 1
		.amdhsa_ieee_mode 1
		.amdhsa_fp16_overflow 0
		.amdhsa_tg_split 0
		.amdhsa_exception_fp_ieee_invalid_op 0
		.amdhsa_exception_fp_denorm_src 0
		.amdhsa_exception_fp_ieee_div_zero 0
		.amdhsa_exception_fp_ieee_overflow 0
		.amdhsa_exception_fp_ieee_underflow 0
		.amdhsa_exception_fp_ieee_inexact 0
		.amdhsa_exception_int_div_zero 0
	.end_amdhsa_kernel
	.section	.text._ZL34rocblas_gemvn_sm_mn_batched_kernelILi32ELi24E19rocblas_complex_numIfES1_S1_EviiT2_lPKT1_lilS5_lilS2_lPT3_lili,"axG",@progbits,_ZL34rocblas_gemvn_sm_mn_batched_kernelILi32ELi24E19rocblas_complex_numIfES1_S1_EviiT2_lPKT1_lilS5_lilS2_lPT3_lili,comdat
.Lfunc_end103:
	.size	_ZL34rocblas_gemvn_sm_mn_batched_kernelILi32ELi24E19rocblas_complex_numIfES1_S1_EviiT2_lPKT1_lilS5_lilS2_lPT3_lili, .Lfunc_end103-_ZL34rocblas_gemvn_sm_mn_batched_kernelILi32ELi24E19rocblas_complex_numIfES1_S1_EviiT2_lPKT1_lilS5_lilS2_lPT3_lili
                                        ; -- End function
	.section	.AMDGPU.csdata,"",@progbits
; Kernel info:
; codeLenInByte = 4676
; NumSgprs: 76
; NumVgprs: 78
; NumAgprs: 0
; TotalNumVgprs: 78
; ScratchSize: 0
; MemoryBound: 0
; FloatMode: 240
; IeeeMode: 1
; LDSByteSize: 6144 bytes/workgroup (compile time only)
; SGPRBlocks: 9
; VGPRBlocks: 9
; NumSGPRsForWavesPerEU: 76
; NumVGPRsForWavesPerEU: 78
; AccumOffset: 80
; Occupancy: 6
; WaveLimiterHint : 1
; COMPUTE_PGM_RSRC2:SCRATCH_EN: 0
; COMPUTE_PGM_RSRC2:USER_SGPR: 2
; COMPUTE_PGM_RSRC2:TRAP_HANDLER: 0
; COMPUTE_PGM_RSRC2:TGID_X_EN: 1
; COMPUTE_PGM_RSRC2:TGID_Y_EN: 0
; COMPUTE_PGM_RSRC2:TGID_Z_EN: 0
; COMPUTE_PGM_RSRC2:TIDIG_COMP_CNT: 1
; COMPUTE_PGM_RSRC3_GFX90A:ACCUM_OFFSET: 19
; COMPUTE_PGM_RSRC3_GFX90A:TG_SPLIT: 0
	.section	.text._ZL20rocblas_gemvn_kernelILi64ELi4Ei19rocblas_complex_numIfEPKS1_S1_EviiT3_lPKT2_lT1_lS7_lS8_lS4_lPT4_lS8_li,"axG",@progbits,_ZL20rocblas_gemvn_kernelILi64ELi4Ei19rocblas_complex_numIfEPKS1_S1_EviiT3_lPKT2_lT1_lS7_lS8_lS4_lPT4_lS8_li,comdat
	.globl	_ZL20rocblas_gemvn_kernelILi64ELi4Ei19rocblas_complex_numIfEPKS1_S1_EviiT3_lPKT2_lT1_lS7_lS8_lS4_lPT4_lS8_li ; -- Begin function _ZL20rocblas_gemvn_kernelILi64ELi4Ei19rocblas_complex_numIfEPKS1_S1_EviiT3_lPKT2_lT1_lS7_lS8_lS4_lPT4_lS8_li
	.p2align	8
	.type	_ZL20rocblas_gemvn_kernelILi64ELi4Ei19rocblas_complex_numIfEPKS1_S1_EviiT3_lPKT2_lT1_lS7_lS8_lS4_lPT4_lS8_li,@function
_ZL20rocblas_gemvn_kernelILi64ELi4Ei19rocblas_complex_numIfEPKS1_S1_EviiT3_lPKT2_lT1_lS7_lS8_lS4_lPT4_lS8_li: ; @_ZL20rocblas_gemvn_kernelILi64ELi4Ei19rocblas_complex_numIfEPKS1_S1_EviiT3_lPKT2_lT1_lS7_lS8_lS4_lPT4_lS8_li
; %bb.0:
	s_load_dwordx2 s[4:5], s[0:1], 0x9c
	s_waitcnt lgkmcnt(0)
	s_lshr_b32 s6, s4, 16
	s_and_b32 s4, s4, 0xffff
	s_and_b32 s5, s5, 0xffff
	s_mul_i32 s4, s6, s4
	s_mul_i32 s4, s4, s5
	s_cmpk_lg_i32 s4, 0x100
	s_cbranch_scc1 .LBB104_45
; %bb.1:
	s_load_dwordx8 s[12:19], s[0:1], 0x8
	s_load_dwordx8 s[4:11], s[0:1], 0x50
	s_waitcnt lgkmcnt(0)
	s_mul_i32 s15, s3, s15
	s_mul_hi_u32 s20, s3, s14
	s_mul_i32 s14, s3, s14
	s_add_i32 s15, s20, s15
	s_lshl_b64 s[14:15], s[14:15], 3
	s_mul_i32 s9, s3, s9
	s_add_u32 s12, s12, s14
	s_mul_hi_u32 s14, s3, s8
	s_addc_u32 s13, s13, s15
	s_add_i32 s9, s14, s9
	s_mul_i32 s8, s3, s8
	s_lshl_b64 s[8:9], s[8:9], 3
	s_add_u32 s6, s6, s8
	s_load_dwordx2 s[12:13], s[12:13], 0x0
	s_addc_u32 s7, s7, s9
	s_load_dwordx2 s[8:9], s[6:7], 0x0
	s_waitcnt lgkmcnt(0)
	v_cmp_eq_f32_e64 s[6:7], s12, 0
	v_cmp_eq_f32_e64 s[14:15], s13, 0
	s_and_b64 s[6:7], s[6:7], s[14:15]
	v_cmp_eq_f32_e64 s[14:15], s8, 1.0
	v_cmp_eq_f32_e64 s[20:21], s9, 0
	s_and_b64 s[14:15], s[14:15], s[20:21]
	s_and_b64 s[6:7], s[6:7], s[14:15]
	s_and_b64 vcc, exec, s[6:7]
	s_cbranch_vccnz .LBB104_45
; %bb.2:
	s_load_dwordx2 s[6:7], s[0:1], 0x80
	s_load_dword s33, s[0:1], 0x78
	s_load_dwordx2 s[20:21], s[0:1], 0x70
	s_load_dwordx2 s[14:15], s[0:1], 0x0
	v_and_b32_e32 v2, 0x3ff, v0
	s_waitcnt lgkmcnt(0)
	s_mul_i32 s7, s3, s7
	s_mul_hi_u32 s22, s3, s6
	s_add_i32 s7, s22, s7
	s_mul_i32 s6, s3, s6
	s_lshl_b64 s[6:7], s[6:7], 3
	s_add_u32 s10, s10, s6
	s_addc_u32 s11, s11, s7
	s_lshl_b64 s[6:7], s[20:21], 3
	s_add_u32 s10, s10, s6
	s_addc_u32 s11, s11, s7
	s_or_b32 s6, s12, s13
	v_bfe_u32 v54, v0, 10, 10
	s_bitset0_b32 s6, 31
	v_lshl_add_u32 v3, v54, 6, v2
	s_cmp_lg_u32 s6, 0
	s_mov_b64 s[6:7], -1
	s_cbranch_scc1 .LBB104_9
; %bb.3:
	s_movk_i32 s6, 0x100
	v_cmp_gt_u32_e32 vcc, s6, v3
	s_and_saveexec_b64 s[6:7], vcc
	s_cbranch_execz .LBB104_8
; %bb.4:
	v_lshl_or_b32 v0, s2, 8, v3
	v_mov_b32_e32 v1, 0
	s_ashr_i32 s21, s14, 31
	s_mov_b32 s20, s14
	v_cmp_gt_i64_e32 vcc, s[20:21], v[0:1]
	s_and_b64 exec, exec, vcc
	s_cbranch_execz .LBB104_8
; %bb.5:
	v_mad_u64_u32 v[4:5], s[24:25], s33, v0, 0
	s_ashr_i32 s26, s33, 31
	v_mov_b32_e32 v6, v5
	v_cmp_neq_f32_e64 s[20:21], s8, 0
	v_cmp_neq_f32_e64 s[22:23], s9, 0
	v_mad_u64_u32 v[6:7], s[24:25], s26, v0, v[6:7]
	v_mov_b32_e32 v5, v6
	s_or_b64 s[20:21], s[20:21], s[22:23]
	s_andn2_b64 vcc, exec, s[20:21]
	v_lshl_add_u64 v[4:5], v[4:5], 3, s[10:11]
	v_mov_b32_e32 v7, v1
	s_cbranch_vccnz .LBB104_7
; %bb.6:
	global_load_dwordx2 v[0:1], v[4:5], off
	s_waitcnt vmcnt(0)
	v_pk_mul_f32 v[6:7], s[8:9], v[0:1] op_sel:[0,1]
	s_nop 0
	v_pk_fma_f32 v[8:9], s[8:9], v[0:1], v[6:7] op_sel:[0,0,1] op_sel_hi:[1,1,0] neg_lo:[0,0,1] neg_hi:[0,0,1]
	v_pk_fma_f32 v[6:7], s[8:9], v[0:1], v[6:7] op_sel:[0,0,1] op_sel_hi:[1,0,0]
	v_mov_b32_e32 v1, v8
.LBB104_7:
	v_mov_b32_e32 v6, v1
	global_store_dwordx2 v[4:5], v[6:7], off
.LBB104_8:
	s_or_b64 exec, exec, s[6:7]
	s_mov_b64 s[6:7], 0
.LBB104_9:
	s_andn2_b64 vcc, exec, s[6:7]
	s_cbranch_vccnz .LBB104_45
; %bb.10:
	s_load_dwordx4 s[20:23], s[0:1], 0x30
	s_load_dword s35, s[0:1], 0x28
	s_load_dwordx2 s[6:7], s[0:1], 0x40
	s_load_dword s36, s[0:1], 0x48
	v_lshlrev_b32_e32 v56, 2, v54
	s_waitcnt lgkmcnt(0)
	s_mul_i32 s0, s3, s21
	s_mul_hi_u32 s1, s3, s20
	s_add_i32 s1, s1, s0
	s_mul_i32 s0, s3, s20
	s_lshl_b64 s[0:1], s[0:1], 3
	s_add_u32 s16, s16, s0
	s_addc_u32 s17, s17, s1
	s_lshl_b64 s[0:1], s[18:19], 3
	s_add_u32 s16, s16, s0
	s_addc_u32 s17, s17, s1
	s_mul_i32 s0, s3, s5
	s_mul_hi_u32 s1, s3, s4
	s_add_i32 s1, s1, s0
	s_mul_i32 s0, s3, s4
	s_lshl_b64 s[0:1], s[0:1], 3
	s_add_u32 s3, s22, s0
	s_addc_u32 s4, s23, s1
	s_lshl_b64 s[0:1], s[6:7], 3
	s_add_u32 s18, s3, s0
	s_addc_u32 s19, s4, s1
	s_ashr_i32 s0, s15, 31
	s_lshr_b32 s0, s0, 28
	s_add_i32 s0, s15, s0
	s_mov_b32 s20, 0
	s_lshl_b32 s34, s2, 8
	s_and_b32 s37, s0, -16
	s_mov_b32 s21, s20
	v_add_u32_e32 v55, s34, v2
	v_cmp_gt_i32_e32 vcc, s37, v56
	v_mov_b64_e32 v[8:9], s[20:21]
	v_mov_b32_e32 v1, 0
	v_mov_b32_e32 v0, 0
	;; [unrolled: 1-line block ×6, first 2 shown]
	s_and_saveexec_b64 s[22:23], vcc
	s_cbranch_execz .LBB104_22
; %bb.11:
	v_add_u32_e32 v0, 64, v55
	v_cmp_gt_i32_e64 s[0:1], s14, v0
	v_add_u32_e32 v0, 0x80, v55
	v_cmp_gt_i32_e64 s[2:3], s14, v0
	;; [unrolled: 2-line block ×3, first 2 shown]
	v_mul_lo_u32 v0, s35, v56
	v_add3_u32 v57, v0, s35, v2
	v_add_u32_e32 v0, 2, v56
	v_mad_u64_u32 v[10:11], s[6:7], s35, v0, v[2:3]
	v_add_u32_e32 v1, 3, v56
	v_mul_lo_u32 v4, v54, s35
	v_mad_u64_u32 v[12:13], s[6:7], s35, v1, v[2:3]
	v_lshl_add_u32 v11, v4, 2, v2
	v_mul_lo_u32 v4, s36, v56
	v_mul_lo_u32 v58, s36, v0
	v_mul_lo_u32 v59, s36, v1
	v_mul_lo_u32 v0, v54, s36
	v_mov_b32_e32 v1, 0
	v_cmp_gt_i32_e32 vcc, s14, v55
	s_lshl_b32 s38, s35, 4
	v_add_u32_e32 v13, s36, v4
	s_lshl_b32 s39, s36, 4
	v_lshlrev_b32_e32 v60, 2, v0
	s_mov_b64 s[24:25], 0
	v_mov_b64_e32 v[8:9], s[20:21]
	v_mov_b32_e32 v0, v1
	v_mov_b32_e32 v5, v1
	;; [unrolled: 1-line block ×5, first 2 shown]
	s_branch .LBB104_16
.LBB104_12:                             ;   in Loop: Header=BB104_16 Depth=1
	s_or_b64 exec, exec, s[30:31]
	s_waitcnt vmcnt(3)
	v_mul_f32_e32 v40, v21, v49
	v_fma_f32 v40, v20, v48, -v40
	v_mul_f32_e32 v41, v20, v49
	v_fmac_f32_e32 v41, v21, v48
	v_add_f32_e32 v4, v4, v40
	s_waitcnt vmcnt(2)
	v_mul_f32_e32 v40, v19, v45
	v_add_f32_e32 v5, v5, v41
	v_fma_f32 v40, v18, v44, -v40
	v_mul_f32_e32 v41, v18, v45
	v_fmac_f32_e32 v41, v19, v44
	v_add_f32_e32 v4, v4, v40
	s_waitcnt vmcnt(1)
	v_mul_f32_e32 v40, v17, v43
	v_add_f32_e32 v5, v5, v41
	v_fma_f32 v40, v16, v42, -v40
	v_mul_f32_e32 v41, v16, v43
	v_fmac_f32_e32 v41, v17, v42
	v_add_f32_e32 v4, v4, v40
	s_waitcnt vmcnt(0)
	v_mul_f32_e32 v40, v15, v39
	v_mul_f32_e32 v39, v14, v39
	v_add_f32_e32 v5, v5, v41
	v_fma_f32 v40, v14, v38, -v40
	v_fmac_f32_e32 v39, v15, v38
	v_add_f32_e32 v4, v4, v40
	v_add_f32_e32 v5, v5, v39
.LBB104_13:                             ;   in Loop: Header=BB104_16 Depth=1
	s_or_b64 exec, exec, s[28:29]
	s_waitcnt vmcnt(3)
	v_mul_f32_e32 v38, v21, v37
	v_mul_f32_e32 v37, v20, v37
	v_fma_f32 v38, v20, v36, -v38
	v_fmac_f32_e32 v37, v21, v36
	s_waitcnt vmcnt(2)
	v_mul_f32_e32 v36, v19, v35
	v_mul_f32_e32 v35, v18, v35
	v_add_f32_e32 v6, v6, v38
	v_add_f32_e32 v7, v7, v37
	v_fma_f32 v36, v18, v34, -v36
	v_fmac_f32_e32 v35, v19, v34
	s_waitcnt vmcnt(1)
	v_mul_f32_e32 v34, v17, v33
	v_mul_f32_e32 v33, v16, v33
	v_add_f32_e32 v6, v6, v36
	v_add_f32_e32 v7, v7, v35
	;; [unrolled: 7-line block ×3, first 2 shown]
	v_fma_f32 v32, v14, v30, -v32
	v_fmac_f32_e32 v31, v15, v30
	v_add_f32_e32 v6, v6, v32
	v_add_f32_e32 v7, v7, v31
.LBB104_14:                             ;   in Loop: Header=BB104_16 Depth=1
	s_or_b64 exec, exec, s[26:27]
	s_waitcnt vmcnt(3)
	v_mul_f32_e32 v30, v21, v29
	v_mul_f32_e32 v31, v20, v29
	v_fma_f32 v30, v20, v28, -v30
	v_fmac_f32_e32 v31, v21, v28
	s_waitcnt vmcnt(2)
	v_mul_f32_e32 v20, v19, v27
	v_mul_f32_e32 v21, v18, v27
	v_fma_f32 v20, v18, v26, -v20
	v_fmac_f32_e32 v21, v19, v26
	v_pk_add_f32 v[8:9], v[8:9], v[30:31]
	v_mov_b32_e32 v18, v17
	v_mov_b32_e32 v19, v16
	v_pk_add_f32 v[8:9], v[8:9], v[20:21]
	s_waitcnt vmcnt(1)
	v_mov_b32_e32 v16, v25
	v_pk_mul_f32 v[20:21], v[18:19], v[24:25] op_sel_hi:[1,0]
	s_nop 0
	v_pk_fma_f32 v[16:17], v[18:19], v[16:17], v[20:21] op_sel:[0,0,1] op_sel_hi:[1,1,0] neg_lo:[1,0,0] neg_hi:[1,0,0]
	v_pk_fma_f32 v[18:19], v[18:19], v[24:25], v[20:21] op_sel:[0,1,1] op_sel_hi:[1,1,0]
	s_nop 0
	v_mov_b32_e32 v17, v19
	v_pk_add_f32 v[8:9], v[8:9], v[16:17]
	s_waitcnt vmcnt(0)
	v_pk_mul_f32 v[16:17], v[14:15], v[22:23] op_sel:[0,1]
	s_nop 0
	v_pk_fma_f32 v[18:19], v[14:15], v[22:23], v[16:17] op_sel:[0,0,1] op_sel_hi:[1,1,0] neg_lo:[0,0,1] neg_hi:[0,0,1]
	v_pk_fma_f32 v[14:15], v[14:15], v[22:23], v[16:17] op_sel:[0,0,1] op_sel_hi:[1,0,0]
	s_nop 0
	v_mov_b32_e32 v19, v15
	v_pk_add_f32 v[8:9], v[8:9], v[18:19]
.LBB104_15:                             ;   in Loop: Header=BB104_16 Depth=1
	s_or_b64 exec, exec, s[6:7]
	v_add_u32_e32 v56, 16, v56
	s_add_i32 s20, s20, s39
	v_cmp_le_i32_e64 s[6:7], s37, v56
	v_add_u32_e32 v57, s38, v57
	v_add_u32_e32 v10, s38, v10
	;; [unrolled: 1-line block ×3, first 2 shown]
	s_or_b64 s[24:25], s[6:7], s[24:25]
	v_add_u32_e32 v11, s38, v11
	s_andn2_b64 exec, exec, s[24:25]
	s_cbranch_execz .LBB104_21
.LBB104_16:                             ; =>This Inner Loop Header: Depth=1
	s_and_saveexec_b64 s[6:7], vcc
	s_cbranch_execz .LBB104_15
; %bb.17:                               ;   in Loop: Header=BB104_16 Depth=1
	v_add_u32_e32 v14, s20, v60
	v_ashrrev_i32_e32 v15, 31, v14
	v_lshl_add_u64 v[22:23], v[14:15], 3, s[18:19]
	v_add_u32_e32 v14, s20, v13
	v_ashrrev_i32_e32 v15, 31, v14
	v_lshl_add_u64 v[24:25], v[14:15], 3, s[18:19]
	;; [unrolled: 3-line block ×4, first 2 shown]
	global_load_dwordx2 v[20:21], v[22:23], off
	global_load_dwordx2 v[18:19], v[24:25], off
	;; [unrolled: 1-line block ×4, first 2 shown]
	v_add_u32_e32 v22, s34, v11
	v_ashrrev_i32_e32 v23, 31, v22
	v_lshl_add_u64 v[40:41], v[22:23], 3, s[16:17]
	v_add_u32_e32 v22, s34, v57
	v_ashrrev_i32_e32 v23, 31, v22
	v_lshl_add_u64 v[46:47], v[22:23], 3, s[16:17]
	;; [unrolled: 3-line block ×4, first 2 shown]
	global_load_dwordx2 v[28:29], v[40:41], off
	global_load_dwordx2 v[26:27], v[46:47], off
	;; [unrolled: 1-line block ×4, first 2 shown]
	s_and_saveexec_b64 s[26:27], s[0:1]
	s_cbranch_execz .LBB104_14
; %bb.18:                               ;   in Loop: Header=BB104_16 Depth=1
	global_load_dwordx2 v[36:37], v[40:41], off offset:512
	global_load_dwordx2 v[34:35], v[46:47], off offset:512
	global_load_dwordx2 v[32:33], v[50:51], off offset:512
	global_load_dwordx2 v[30:31], v[52:53], off offset:512
	s_and_saveexec_b64 s[28:29], s[2:3]
	s_cbranch_execz .LBB104_13
; %bb.19:                               ;   in Loop: Header=BB104_16 Depth=1
	global_load_dwordx2 v[48:49], v[40:41], off offset:1024
	global_load_dwordx2 v[44:45], v[46:47], off offset:1024
	global_load_dwordx2 v[42:43], v[50:51], off offset:1024
	global_load_dwordx2 v[38:39], v[52:53], off offset:1024
	s_and_saveexec_b64 s[30:31], s[4:5]
	s_cbranch_execz .LBB104_12
; %bb.20:                               ;   in Loop: Header=BB104_16 Depth=1
	global_load_dwordx2 v[62:63], v[40:41], off offset:1536
	global_load_dwordx2 v[64:65], v[46:47], off offset:1536
	global_load_dwordx2 v[66:67], v[50:51], off offset:1536
	global_load_dwordx2 v[68:69], v[52:53], off offset:1536
	s_waitcnt vmcnt(3)
	v_mul_f32_e32 v40, v21, v63
	v_mul_f32_e32 v41, v20, v63
	s_waitcnt vmcnt(2)
	v_mul_f32_e32 v46, v19, v65
	v_mul_f32_e32 v47, v18, v65
	v_fma_f32 v40, v20, v62, -v40
	v_fmac_f32_e32 v41, v21, v62
	s_waitcnt vmcnt(1)
	v_mul_f32_e32 v50, v17, v67
	v_mul_f32_e32 v51, v16, v67
	v_fma_f32 v46, v18, v64, -v46
	v_fmac_f32_e32 v47, v19, v64
	v_add_f32_e32 v0, v0, v40
	v_add_f32_e32 v1, v1, v41
	s_waitcnt vmcnt(0)
	v_mul_f32_e32 v52, v15, v69
	v_mul_f32_e32 v53, v14, v69
	v_fma_f32 v50, v16, v66, -v50
	v_fmac_f32_e32 v51, v17, v66
	v_add_f32_e32 v0, v0, v46
	v_add_f32_e32 v1, v1, v47
	v_fma_f32 v52, v14, v68, -v52
	v_fmac_f32_e32 v53, v15, v68
	v_add_f32_e32 v0, v0, v50
	v_add_f32_e32 v1, v1, v51
	;; [unrolled: 1-line block ×4, first 2 shown]
	s_branch .LBB104_12
.LBB104_21:
	s_or_b64 exec, exec, s[24:25]
.LBB104_22:
	s_or_b64 exec, exec, s[22:23]
	s_sub_i32 s0, s15, s37
	s_cmp_lt_i32 s0, 1
	s_cbranch_scc1 .LBB104_40
; %bb.23:
	v_cmp_gt_i32_e32 vcc, s15, v56
	v_mov_b32_e32 v10, 0
	v_or_b32_e32 v20, 1, v56
	v_mov_b32_e32 v11, 0
	v_mov_b32_e32 v12, 0
	;; [unrolled: 1-line block ×7, first 2 shown]
	s_and_saveexec_b64 s[2:3], vcc
	s_cbranch_execz .LBB104_31
; %bb.24:
	v_mul_lo_u32 v10, v56, s36
	v_ashrrev_i32_e32 v11, 31, v10
	v_lshl_add_u64 v[10:11], v[10:11], 3, s[18:19]
	global_load_dwordx2 v[10:11], v[10:11], off
	v_cmp_gt_i32_e64 s[0:1], s15, v20
	v_mov_b32_e32 v17, 0
	v_mov_b32_e32 v16, 0
	;; [unrolled: 1-line block ×6, first 2 shown]
	s_and_saveexec_b64 s[4:5], s[0:1]
	s_cbranch_execz .LBB104_30
; %bb.25:
	v_mul_lo_u32 v12, v20, s36
	v_ashrrev_i32_e32 v13, 31, v12
	v_lshl_add_u64 v[12:13], v[12:13], 3, s[18:19]
	global_load_dwordx2 v[12:13], v[12:13], off
	v_or_b32_e32 v18, 2, v56
	v_cmp_gt_i32_e64 s[0:1], s15, v18
	v_mov_b32_e32 v17, 0
	v_mov_b32_e32 v16, 0
	;; [unrolled: 1-line block ×4, first 2 shown]
	s_and_saveexec_b64 s[6:7], s[0:1]
	s_cbranch_execz .LBB104_29
; %bb.26:
	v_mul_lo_u32 v14, v18, s36
	v_ashrrev_i32_e32 v15, 31, v14
	v_lshl_add_u64 v[14:15], v[14:15], 3, s[18:19]
	global_load_dwordx2 v[14:15], v[14:15], off
	v_or_b32_e32 v18, 3, v56
	v_cmp_gt_i32_e64 s[0:1], s15, v18
	v_mov_b32_e32 v17, 0
	v_mov_b32_e32 v16, 0
	s_and_saveexec_b64 s[20:21], s[0:1]
	s_cbranch_execz .LBB104_28
; %bb.27:
	v_mul_lo_u32 v16, v18, s36
	v_ashrrev_i32_e32 v17, 31, v16
	v_lshl_add_u64 v[16:17], v[16:17], 3, s[18:19]
	global_load_dwordx2 v[16:17], v[16:17], off
.LBB104_28:
	s_or_b64 exec, exec, s[20:21]
.LBB104_29:
	s_or_b64 exec, exec, s[6:7]
.LBB104_30:
	s_or_b64 exec, exec, s[4:5]
.LBB104_31:
	s_or_b64 exec, exec, s[2:3]
	v_cmp_gt_i32_e64 s[0:1], s14, v55
	s_and_saveexec_b64 s[2:3], s[0:1]
	s_cbranch_execz .LBB104_39
; %bb.32:
	v_mul_lo_u32 v18, v56, s35
	v_cndmask_b32_e32 v18, 0, v18, vcc
	v_mul_lo_u32 v21, v20, s35
	v_cmp_gt_i32_e32 vcc, s15, v20
	v_or_b32_e32 v24, 2, v56
	v_add_u32_e32 v18, v18, v55
	v_cndmask_b32_e32 v20, 0, v21, vcc
	v_mul_lo_u32 v25, v24, s35
	v_cmp_gt_i32_e32 vcc, s15, v24
	v_or_b32_e32 v26, 3, v56
	v_ashrrev_i32_e32 v19, 31, v18
	v_add_u32_e32 v20, v20, v55
	v_cndmask_b32_e32 v24, 0, v25, vcc
	v_mul_lo_u32 v27, v26, s35
	v_cmp_gt_i32_e32 vcc, s15, v26
	v_lshl_add_u64 v[18:19], v[18:19], 3, s[16:17]
	v_ashrrev_i32_e32 v21, 31, v20
	v_add_u32_e32 v24, v24, v55
	v_cndmask_b32_e32 v26, 0, v27, vcc
	v_lshl_add_u64 v[22:23], v[20:21], 3, s[16:17]
	global_load_dwordx2 v[20:21], v[18:19], off
	global_load_dwordx2 v[28:29], v[22:23], off
	v_ashrrev_i32_e32 v25, 31, v24
	v_add_u32_e32 v26, v26, v55
	v_lshl_add_u64 v[24:25], v[24:25], 3, s[16:17]
	v_ashrrev_i32_e32 v27, 31, v26
	v_lshl_add_u64 v[26:27], v[26:27], 3, s[16:17]
	global_load_dwordx2 v[30:31], v[24:25], off
	global_load_dwordx2 v[32:33], v[26:27], off
	v_add_u32_e32 v42, 64, v55
	v_cmp_gt_i32_e32 vcc, s14, v42
	s_waitcnt vmcnt(3)
	v_pk_mul_f32 v[34:35], v[10:11], v[20:21] op_sel:[0,1]
	s_waitcnt vmcnt(2)
	v_pk_mul_f32 v[36:37], v[12:13], v[28:29] op_sel:[0,1]
	v_pk_fma_f32 v[38:39], v[10:11], v[20:21], v[34:35] op_sel:[0,0,1] op_sel_hi:[1,1,0] neg_lo:[0,0,1] neg_hi:[0,0,1]
	v_pk_fma_f32 v[20:21], v[10:11], v[20:21], v[34:35] op_sel:[0,0,1] op_sel_hi:[1,0,0]
	v_pk_fma_f32 v[34:35], v[12:13], v[28:29], v[36:37] op_sel:[0,0,1] op_sel_hi:[1,1,0] neg_lo:[0,0,1] neg_hi:[0,0,1]
	v_pk_fma_f32 v[28:29], v[12:13], v[28:29], v[36:37] op_sel:[0,0,1] op_sel_hi:[1,0,0]
	s_waitcnt vmcnt(1)
	v_pk_mul_f32 v[36:37], v[14:15], v[30:31] op_sel:[0,1]
	v_mov_b32_e32 v39, v21
	s_waitcnt vmcnt(0)
	v_pk_mul_f32 v[40:41], v[16:17], v[32:33] op_sel:[0,1]
	v_mov_b32_e32 v35, v29
	v_pk_fma_f32 v[28:29], v[14:15], v[30:31], v[36:37] op_sel:[0,0,1] op_sel_hi:[1,1,0] neg_lo:[0,0,1] neg_hi:[0,0,1]
	v_pk_fma_f32 v[30:31], v[14:15], v[30:31], v[36:37] op_sel:[0,0,1] op_sel_hi:[1,0,0]
	v_pk_add_f32 v[8:9], v[8:9], v[38:39]
	v_pk_fma_f32 v[20:21], v[16:17], v[32:33], v[40:41] op_sel:[0,0,1] op_sel_hi:[1,1,0] neg_lo:[0,0,1] neg_hi:[0,0,1]
	v_pk_fma_f32 v[32:33], v[16:17], v[32:33], v[40:41] op_sel:[0,0,1] op_sel_hi:[1,0,0]
	v_mov_b32_e32 v29, v31
	v_pk_add_f32 v[8:9], v[8:9], v[34:35]
	v_mov_b32_e32 v21, v33
	v_pk_add_f32 v[8:9], v[8:9], v[28:29]
	s_and_saveexec_b64 s[0:1], vcc
	s_cbranch_execz .LBB104_38
; %bb.33:
	global_load_dwordx2 v[30:31], v[18:19], off offset:512
	global_load_dwordx2 v[32:33], v[22:23], off offset:512
	;; [unrolled: 1-line block ×4, first 2 shown]
	v_add_u32_e32 v38, 0x80, v55
	v_cmp_gt_i32_e32 vcc, s14, v38
	s_waitcnt vmcnt(3)
	v_mul_f32_e32 v29, v11, v31
	v_mul_f32_e32 v31, v10, v31
	s_waitcnt vmcnt(2)
	v_mul_f32_e32 v39, v13, v33
	v_mul_f32_e32 v33, v12, v33
	s_waitcnt vmcnt(0)
	v_mul_f32_e32 v41, v17, v37
	v_mul_f32_e32 v28, v16, v37
	v_fma_f32 v37, v10, v30, -v29
	v_fmac_f32_e32 v31, v11, v30
	v_mul_f32_e32 v40, v15, v35
	v_mul_f32_e32 v35, v14, v35
	v_fma_f32 v30, v12, v32, -v39
	v_fmac_f32_e32 v33, v13, v32
	v_add_f32_e32 v6, v6, v37
	v_add_f32_e32 v7, v7, v31
	v_fma_f32 v32, v14, v34, -v40
	v_fmac_f32_e32 v35, v15, v34
	v_add_f32_e32 v6, v6, v30
	v_add_f32_e32 v7, v7, v33
	;; [unrolled: 4-line block ×3, first 2 shown]
	s_and_saveexec_b64 s[4:5], vcc
	s_cbranch_execz .LBB104_37
; %bb.34:
	global_load_dwordx2 v[32:33], v[18:19], off offset:1024
	global_load_dwordx2 v[34:35], v[22:23], off offset:1024
	global_load_dwordx2 v[36:37], v[24:25], off offset:1024
	global_load_dwordx2 v[38:39], v[26:27], off offset:1024
	v_add_u32_e32 v40, 0xc0, v55
	v_cmp_gt_i32_e32 vcc, s14, v40
	s_waitcnt vmcnt(3)
	v_mul_f32_e32 v31, v11, v33
	v_mul_f32_e32 v33, v10, v33
	s_waitcnt vmcnt(2)
	v_mul_f32_e32 v41, v13, v35
	v_mul_f32_e32 v35, v12, v35
	;; [unrolled: 3-line block ×3, first 2 shown]
	v_fma_f32 v39, v10, v32, -v31
	v_fmac_f32_e32 v33, v11, v32
	v_mul_f32_e32 v42, v15, v37
	v_mul_f32_e32 v37, v14, v37
	v_fma_f32 v32, v12, v34, -v41
	v_fmac_f32_e32 v35, v13, v34
	v_add_f32_e32 v4, v4, v39
	v_add_f32_e32 v5, v5, v33
	v_fma_f32 v34, v14, v36, -v42
	v_fmac_f32_e32 v37, v15, v36
	v_add_f32_e32 v4, v4, v32
	v_add_f32_e32 v5, v5, v35
	;; [unrolled: 4-line block ×3, first 2 shown]
	s_and_saveexec_b64 s[6:7], vcc
	s_cbranch_execz .LBB104_36
; %bb.35:
	global_load_dwordx2 v[32:33], v[18:19], off offset:1536
	global_load_dwordx2 v[34:35], v[22:23], off offset:1536
	;; [unrolled: 1-line block ×4, first 2 shown]
	s_waitcnt vmcnt(3)
	v_mul_f32_e32 v18, v11, v33
	v_mul_f32_e32 v19, v10, v33
	s_waitcnt vmcnt(2)
	v_mul_f32_e32 v22, v13, v35
	v_mul_f32_e32 v23, v12, v35
	v_fma_f32 v10, v10, v32, -v18
	v_fmac_f32_e32 v19, v11, v32
	s_waitcnt vmcnt(1)
	v_mul_f32_e32 v24, v15, v37
	v_mul_f32_e32 v25, v14, v37
	v_fma_f32 v11, v12, v34, -v22
	v_fmac_f32_e32 v23, v13, v34
	v_add_f32_e32 v0, v0, v10
	v_add_f32_e32 v1, v1, v19
	s_waitcnt vmcnt(0)
	v_mul_f32_e32 v26, v17, v39
	v_mul_f32_e32 v27, v16, v39
	v_fma_f32 v12, v14, v36, -v24
	v_fmac_f32_e32 v25, v15, v36
	v_add_f32_e32 v0, v0, v11
	v_add_f32_e32 v1, v1, v23
	v_fma_f32 v13, v16, v38, -v26
	v_fmac_f32_e32 v27, v17, v38
	v_add_f32_e32 v0, v0, v12
	v_add_f32_e32 v1, v1, v25
	;; [unrolled: 1-line block ×4, first 2 shown]
.LBB104_36:
	s_or_b64 exec, exec, s[6:7]
	v_add_f32_e32 v4, v4, v31
	v_add_f32_e32 v5, v5, v30
.LBB104_37:
	s_or_b64 exec, exec, s[4:5]
	v_add_f32_e32 v6, v6, v29
	v_add_f32_e32 v7, v7, v28
.LBB104_38:
	s_or_b64 exec, exec, s[0:1]
	v_pk_add_f32 v[8:9], v[8:9], v[20:21]
.LBB104_39:
	s_or_b64 exec, exec, s[2:3]
.LBB104_40:
	s_waitcnt vmcnt(0)
	v_lshlrev_b32_e32 v10, 8, v54
	s_movk_i32 s0, 0x100
	v_add_lshl_u32 v2, v10, v2, 3
	v_cmp_gt_u32_e32 vcc, s0, v3
	ds_write2st64_b64 v2, v[8:9], v[6:7] offset1:1
	ds_write2st64_b64 v2, v[4:5], v[0:1] offset0:2 offset1:3
	s_waitcnt lgkmcnt(0)
	s_barrier
	s_and_saveexec_b64 s[0:1], vcc
	s_cbranch_execz .LBB104_45
; %bb.41:
	v_lshlrev_b32_e32 v5, 3, v3
	ds_read2st64_b64 v[6:9], v5 offset1:4
	ds_read2st64_b64 v[10:13], v5 offset0:8 offset1:12
	v_or_b32_e32 v4, s34, v3
	v_cmp_gt_i32_e32 vcc, s14, v4
	s_waitcnt lgkmcnt(1)
	v_pk_add_f32 v[0:1], v[6:7], v[8:9]
	s_waitcnt lgkmcnt(0)
	v_pk_add_f32 v[0:1], v[0:1], v[10:11]
	s_nop 0
	v_pk_add_f32 v[2:3], v[0:1], v[12:13]
	ds_write_b64 v5, v[2:3]
	s_and_b64 exec, exec, vcc
	s_cbranch_execz .LBB104_45
; %bb.42:
	v_cmp_neq_f32_e64 s[0:1], s8, 0
	v_cmp_neq_f32_e64 s[2:3], s9, 0
	v_mul_lo_u32 v4, v4, s33
	v_pk_mul_f32 v[6:7], v[2:3], s[12:13] op_sel:[1,0]
	v_ashrrev_i32_e32 v5, 31, v4
	s_or_b64 s[0:1], s[0:1], s[2:3]
	v_pk_fma_f32 v[0:1], v[2:3], s[12:13], v[6:7] op_sel:[0,0,1] op_sel_hi:[0,1,0] neg_lo:[0,0,1] neg_hi:[0,0,1]
	v_pk_fma_f32 v[2:3], v[2:3], s[12:13], v[6:7] op_sel:[0,0,1] op_sel_hi:[0,1,0]
	s_andn2_b64 vcc, exec, s[0:1]
	v_lshl_add_u64 v[4:5], v[4:5], 3, s[10:11]
	s_cbranch_vccnz .LBB104_44
; %bb.43:
	global_load_dwordx2 v[6:7], v[4:5], off
	v_mov_b32_e32 v1, v3
	s_waitcnt vmcnt(0)
	v_pk_mul_f32 v[2:3], s[8:9], v[6:7] op_sel:[0,1]
	s_nop 0
	v_pk_fma_f32 v[8:9], s[8:9], v[6:7], v[2:3] op_sel:[0,0,1] op_sel_hi:[1,1,0] neg_lo:[0,0,1] neg_hi:[0,0,1]
	v_pk_fma_f32 v[2:3], s[8:9], v[6:7], v[2:3] op_sel:[0,0,1] op_sel_hi:[1,0,0]
	s_nop 0
	v_mov_b32_e32 v9, v3
	v_pk_add_f32 v[0:1], v[0:1], v[8:9]
	s_nop 0
	v_mov_b32_e32 v3, v1
.LBB104_44:
	v_mov_b32_e32 v1, v3
	global_store_dwordx2 v[4:5], v[0:1], off
.LBB104_45:
	s_endpgm
	.section	.rodata,"a",@progbits
	.p2align	6, 0x0
	.amdhsa_kernel _ZL20rocblas_gemvn_kernelILi64ELi4Ei19rocblas_complex_numIfEPKS1_S1_EviiT3_lPKT2_lT1_lS7_lS8_lS4_lPT4_lS8_li
		.amdhsa_group_segment_fixed_size 8192
		.amdhsa_private_segment_fixed_size 0
		.amdhsa_kernarg_size 400
		.amdhsa_user_sgpr_count 2
		.amdhsa_user_sgpr_dispatch_ptr 0
		.amdhsa_user_sgpr_queue_ptr 0
		.amdhsa_user_sgpr_kernarg_segment_ptr 1
		.amdhsa_user_sgpr_dispatch_id 0
		.amdhsa_user_sgpr_kernarg_preload_length 0
		.amdhsa_user_sgpr_kernarg_preload_offset 0
		.amdhsa_user_sgpr_private_segment_size 0
		.amdhsa_uses_dynamic_stack 0
		.amdhsa_enable_private_segment 0
		.amdhsa_system_sgpr_workgroup_id_x 1
		.amdhsa_system_sgpr_workgroup_id_y 0
		.amdhsa_system_sgpr_workgroup_id_z 1
		.amdhsa_system_sgpr_workgroup_info 0
		.amdhsa_system_vgpr_workitem_id 1
		.amdhsa_next_free_vgpr 70
		.amdhsa_next_free_sgpr 40
		.amdhsa_accum_offset 72
		.amdhsa_reserve_vcc 1
		.amdhsa_float_round_mode_32 0
		.amdhsa_float_round_mode_16_64 0
		.amdhsa_float_denorm_mode_32 3
		.amdhsa_float_denorm_mode_16_64 3
		.amdhsa_dx10_clamp 1
		.amdhsa_ieee_mode 1
		.amdhsa_fp16_overflow 0
		.amdhsa_tg_split 0
		.amdhsa_exception_fp_ieee_invalid_op 0
		.amdhsa_exception_fp_denorm_src 0
		.amdhsa_exception_fp_ieee_div_zero 0
		.amdhsa_exception_fp_ieee_overflow 0
		.amdhsa_exception_fp_ieee_underflow 0
		.amdhsa_exception_fp_ieee_inexact 0
		.amdhsa_exception_int_div_zero 0
	.end_amdhsa_kernel
	.section	.text._ZL20rocblas_gemvn_kernelILi64ELi4Ei19rocblas_complex_numIfEPKS1_S1_EviiT3_lPKT2_lT1_lS7_lS8_lS4_lPT4_lS8_li,"axG",@progbits,_ZL20rocblas_gemvn_kernelILi64ELi4Ei19rocblas_complex_numIfEPKS1_S1_EviiT3_lPKT2_lT1_lS7_lS8_lS4_lPT4_lS8_li,comdat
.Lfunc_end104:
	.size	_ZL20rocblas_gemvn_kernelILi64ELi4Ei19rocblas_complex_numIfEPKS1_S1_EviiT3_lPKT2_lT1_lS7_lS8_lS4_lPT4_lS8_li, .Lfunc_end104-_ZL20rocblas_gemvn_kernelILi64ELi4Ei19rocblas_complex_numIfEPKS1_S1_EviiT3_lPKT2_lT1_lS7_lS8_lS4_lPT4_lS8_li
                                        ; -- End function
	.section	.AMDGPU.csdata,"",@progbits
; Kernel info:
; codeLenInByte = 3300
; NumSgprs: 46
; NumVgprs: 70
; NumAgprs: 0
; TotalNumVgprs: 70
; ScratchSize: 0
; MemoryBound: 0
; FloatMode: 240
; IeeeMode: 1
; LDSByteSize: 8192 bytes/workgroup (compile time only)
; SGPRBlocks: 5
; VGPRBlocks: 8
; NumSGPRsForWavesPerEU: 46
; NumVGPRsForWavesPerEU: 70
; AccumOffset: 72
; Occupancy: 7
; WaveLimiterHint : 1
; COMPUTE_PGM_RSRC2:SCRATCH_EN: 0
; COMPUTE_PGM_RSRC2:USER_SGPR: 2
; COMPUTE_PGM_RSRC2:TRAP_HANDLER: 0
; COMPUTE_PGM_RSRC2:TGID_X_EN: 1
; COMPUTE_PGM_RSRC2:TGID_Y_EN: 0
; COMPUTE_PGM_RSRC2:TGID_Z_EN: 1
; COMPUTE_PGM_RSRC2:TIDIG_COMP_CNT: 1
; COMPUTE_PGM_RSRC3_GFX90A:ACCUM_OFFSET: 17
; COMPUTE_PGM_RSRC3_GFX90A:TG_SPLIT: 0
	.section	.text._ZL20rocblas_gemvn_kernelILi64ELi4El19rocblas_complex_numIfEPKS1_S1_EviiT3_lPKT2_lT1_lS7_lS8_lS4_lPT4_lS8_li,"axG",@progbits,_ZL20rocblas_gemvn_kernelILi64ELi4El19rocblas_complex_numIfEPKS1_S1_EviiT3_lPKT2_lT1_lS7_lS8_lS4_lPT4_lS8_li,comdat
	.globl	_ZL20rocblas_gemvn_kernelILi64ELi4El19rocblas_complex_numIfEPKS1_S1_EviiT3_lPKT2_lT1_lS7_lS8_lS4_lPT4_lS8_li ; -- Begin function _ZL20rocblas_gemvn_kernelILi64ELi4El19rocblas_complex_numIfEPKS1_S1_EviiT3_lPKT2_lT1_lS7_lS8_lS4_lPT4_lS8_li
	.p2align	8
	.type	_ZL20rocblas_gemvn_kernelILi64ELi4El19rocblas_complex_numIfEPKS1_S1_EviiT3_lPKT2_lT1_lS7_lS8_lS4_lPT4_lS8_li,@function
_ZL20rocblas_gemvn_kernelILi64ELi4El19rocblas_complex_numIfEPKS1_S1_EviiT3_lPKT2_lT1_lS7_lS8_lS4_lPT4_lS8_li: ; @_ZL20rocblas_gemvn_kernelILi64ELi4El19rocblas_complex_numIfEPKS1_S1_EviiT3_lPKT2_lT1_lS7_lS8_lS4_lPT4_lS8_li
; %bb.0:
	s_load_dwordx2 s[4:5], s[0:1], 0x9c
	s_waitcnt lgkmcnt(0)
	s_lshr_b32 s6, s4, 16
	s_and_b32 s4, s4, 0xffff
	s_and_b32 s5, s5, 0xffff
	s_mul_i32 s4, s6, s4
	s_mul_i32 s4, s4, s5
	s_cmpk_lg_i32 s4, 0x100
	s_cbranch_scc1 .LBB105_45
; %bb.1:
	s_load_dwordx16 s[36:51], s[0:1], 0x8
	s_load_dwordx16 s[8:23], s[0:1], 0x48
	s_waitcnt lgkmcnt(0)
	s_mul_i32 s5, s3, s39
	s_mul_hi_u32 s6, s3, s38
	s_mul_i32 s4, s3, s38
	s_add_i32 s5, s6, s5
	s_lshl_b64 s[4:5], s[4:5], 3
	s_mul_i32 s7, s3, s15
	s_add_u32 s4, s36, s4
	s_mul_hi_u32 s6, s3, s14
	s_addc_u32 s5, s37, s5
	s_add_i32 s7, s6, s7
	s_mul_i32 s6, s3, s14
	s_lshl_b64 s[6:7], s[6:7], 3
	s_load_dwordx2 s[14:15], s[4:5], 0x0
	s_add_u32 s4, s12, s6
	s_addc_u32 s5, s13, s7
	s_load_dwordx2 s[12:13], s[4:5], 0x0
	s_waitcnt lgkmcnt(0)
	v_cmp_eq_f32_e64 s[4:5], s14, 0
	v_cmp_eq_f32_e64 s[6:7], s15, 0
	s_and_b64 s[4:5], s[4:5], s[6:7]
	v_cmp_eq_f32_e64 s[6:7], s12, 1.0
	v_cmp_eq_f32_e64 s[24:25], s13, 0
	s_and_b64 s[6:7], s[6:7], s[24:25]
	s_and_b64 s[4:5], s[4:5], s[6:7]
	s_and_b64 vcc, exec, s[4:5]
	s_cbranch_vccnz .LBB105_45
; %bb.2:
	s_load_dwordx2 s[24:25], s[0:1], 0x0
	s_mul_i32 s0, s3, s23
	s_mul_hi_u32 s1, s3, s22
	s_add_i32 s1, s1, s0
	s_mul_i32 s0, s3, s22
	s_lshl_b64 s[0:1], s[0:1], 3
	s_add_u32 s4, s16, s0
	s_addc_u32 s5, s17, s1
	s_lshl_b64 s[0:1], s[18:19], 3
	s_add_u32 s16, s4, s0
	s_addc_u32 s17, s5, s1
	s_or_b32 s0, s14, s15
	v_and_b32_e32 v63, 0x3ff, v0
	v_bfe_u32 v64, v0, 10, 10
	s_bitset0_b32 s0, 31
	v_lshl_add_u32 v62, v64, 6, v63
	s_cmp_lg_u32 s0, 0
	s_mov_b64 s[0:1], -1
	s_cbranch_scc1 .LBB105_9
; %bb.3:
	s_movk_i32 s0, 0x100
	v_cmp_gt_u32_e32 vcc, s0, v62
	s_and_saveexec_b64 s[0:1], vcc
	s_cbranch_execz .LBB105_8
; %bb.4:
	v_lshl_or_b32 v0, s2, 8, v62
	v_mov_b32_e32 v1, 0
	s_waitcnt lgkmcnt(0)
	s_ashr_i32 s5, s24, 31
	s_mov_b32 s4, s24
	v_cmp_gt_i64_e32 vcc, s[4:5], v[0:1]
	s_and_b64 exec, exec, vcc
	s_cbranch_execz .LBB105_8
; %bb.5:
	v_mad_u64_u32 v[2:3], s[18:19], v0, s20, 0
	v_mov_b32_e32 v4, v3
	v_cmp_neq_f32_e64 s[4:5], s12, 0
	v_cmp_neq_f32_e64 s[6:7], s13, 0
	v_mad_u64_u32 v[4:5], s[18:19], v0, s21, v[4:5]
	v_mov_b32_e32 v3, v4
	s_or_b64 s[4:5], s[4:5], s[6:7]
	s_andn2_b64 vcc, exec, s[4:5]
	v_lshl_add_u64 v[2:3], v[2:3], 3, s[16:17]
	v_mov_b32_e32 v5, v1
	s_cbranch_vccnz .LBB105_7
; %bb.6:
	global_load_dwordx2 v[0:1], v[2:3], off
	s_waitcnt vmcnt(0)
	v_pk_mul_f32 v[4:5], s[12:13], v[0:1] op_sel:[0,1]
	s_nop 0
	v_pk_fma_f32 v[6:7], s[12:13], v[0:1], v[4:5] op_sel:[0,0,1] op_sel_hi:[1,1,0] neg_lo:[0,0,1] neg_hi:[0,0,1]
	v_pk_fma_f32 v[4:5], s[12:13], v[0:1], v[4:5] op_sel:[0,0,1] op_sel_hi:[1,0,0]
	v_mov_b32_e32 v1, v6
.LBB105_7:
	v_mov_b32_e32 v4, v1
	global_store_dwordx2 v[2:3], v[4:5], off
.LBB105_8:
	s_or_b64 exec, exec, s[0:1]
	s_mov_b64 s[0:1], 0
.LBB105_9:
	s_andn2_b64 vcc, exec, s[0:1]
	s_cbranch_vccnz .LBB105_45
; %bb.10:
	s_mul_i32 s0, s3, s47
	s_mul_hi_u32 s1, s3, s46
	s_add_i32 s19, s1, s0
	s_mul_i32 s0, s3, s11
	s_mul_hi_u32 s1, s3, s10
	s_add_i32 s11, s1, s0
	s_waitcnt lgkmcnt(0)
	s_ashr_i32 s0, s25, 31
	s_lshr_b32 s0, s0, 28
	s_add_i32 s0, s25, s0
	s_mov_b32 s6, 0
	s_lshl_b32 s33, s2, 8
	s_and_b32 s52, s0, -16
	v_lshlrev_b32_e32 v65, 2, v64
	s_mov_b32 s7, s6
	s_mul_i32 s18, s3, s46
	s_mul_i32 s10, s3, s10
	v_add_u32_e32 v2, s33, v63
	v_cmp_gt_i32_e32 vcc, s52, v65
	v_mov_b64_e32 v[8:9], s[6:7]
	v_mov_b32_e32 v1, 0
	v_mov_b32_e32 v0, 0
	;; [unrolled: 1-line block ×6, first 2 shown]
	s_and_saveexec_b64 s[22:23], vcc
	s_cbranch_execz .LBB105_22
; %bb.11:
	v_add_u32_e32 v0, 64, v2
	v_cmp_gt_i32_e64 s[0:1], s24, v0
	v_add_u32_e32 v0, 0x80, v2
	v_cmp_gt_i32_e64 s[2:3], s24, v0
	;; [unrolled: 2-line block ×3, first 2 shown]
	v_mad_u64_u32 v[0:1], s[26:27], s8, v64, 0
	v_mov_b32_e32 v4, v1
	v_mad_u64_u32 v[4:5], s[26:27], s9, v64, v[4:5]
	s_lshl_b64 s[26:27], s[10:11], 3
	s_lshl_b64 s[28:29], s[50:51], 3
	s_add_u32 s28, s48, s28
	v_ashrrev_i32_e32 v3, 31, v2
	s_addc_u32 s29, s49, s29
	v_mov_b32_e32 v1, v4
	s_add_u32 s26, s28, s26
	v_lshlrev_b64 v[12:13], 3, v[2:3]
	v_lshlrev_b32_e32 v3, 2, v64
	v_lshlrev_b64 v[0:1], 5, v[0:1]
	s_addc_u32 s27, s29, s27
	v_or_b32_e32 v5, 3, v3
	v_lshl_add_u64 v[10:11], s[26:27], 0, v[0:1]
	v_mad_u64_u32 v[0:1], s[28:29], s44, v5, 0
	v_mov_b32_e32 v4, v1
	v_mad_u64_u32 v[4:5], s[28:29], s45, v5, v[4:5]
	s_lshl_b64 s[26:27], s[8:9], 7
	s_lshl_b64 s[28:29], s[18:19], 3
	;; [unrolled: 1-line block ×3, first 2 shown]
	s_add_u32 s30, s40, s30
	s_addc_u32 s31, s41, s31
	s_add_u32 s30, s30, s28
	v_mov_b32_e32 v1, v4
	s_addc_u32 s31, s31, s29
	v_lshl_add_u64 v[14:15], v[0:1], 3, s[30:31]
	v_mad_u64_u32 v[0:1], s[34:35], s44, v64, 0
	v_mov_b32_e32 v4, v1
	v_mad_u64_u32 v[4:5], s[34:35], s45, v64, v[4:5]
	v_mov_b32_e32 v1, v4
	v_lshlrev_b64 v[0:1], 5, v[0:1]
	v_or_b32_e32 v5, 2, v3
	v_lshl_add_u64 v[16:17], s[30:31], 0, v[0:1]
	v_mad_u64_u32 v[0:1], s[34:35], s44, v5, 0
	v_mov_b32_e32 v4, v1
	v_mad_u64_u32 v[4:5], s[34:35], s45, v5, v[4:5]
	v_mov_b32_e32 v1, v4
	v_lshl_add_u64 v[18:19], v[0:1], 3, s[30:31]
	v_mov_b64_e32 v[0:1], s[44:45]
	v_mad_u64_u32 v[0:1], s[34:35], s44, v3, v[0:1]
	v_mov_b32_e32 v4, v1
	v_mad_u64_u32 v[4:5], s[34:35], s45, v3, v[4:5]
	v_mov_b32_e32 v1, v4
	v_lshl_add_u64 v[20:21], v[0:1], 3, s[30:31]
	v_mov_b32_e32 v1, 0
	v_cmp_gt_i32_e32 vcc, s24, v2
	s_lshl_b64 s[28:29], s[44:45], 7
	s_lshl_b64 s[34:35], s[8:9], 3
	s_mov_b64 s[30:31], 0
	v_mov_b64_e32 v[8:9], s[6:7]
	v_mov_b32_e32 v0, v1
	v_mov_b32_e32 v5, v1
	;; [unrolled: 1-line block ×5, first 2 shown]
	s_branch .LBB105_16
.LBB105_12:                             ;   in Loop: Header=BB105_16 Depth=1
	s_or_b64 exec, exec, s[46:47]
	s_waitcnt vmcnt(3)
	v_mul_f32_e32 v3, v33, v53
	v_mul_f32_e32 v53, v32, v53
	v_fma_f32 v3, v32, v52, -v3
	v_fmac_f32_e32 v53, v33, v52
	v_add_f32_e32 v3, v4, v3
	v_add_f32_e32 v4, v5, v53
	s_waitcnt vmcnt(2)
	v_mul_f32_e32 v5, v31, v51
	v_fma_f32 v5, v30, v50, -v5
	v_mul_f32_e32 v51, v30, v51
	v_fmac_f32_e32 v51, v31, v50
	v_add_f32_e32 v3, v3, v5
	s_waitcnt vmcnt(1)
	v_mul_f32_e32 v5, v25, v49
	v_mul_f32_e32 v49, v24, v49
	v_add_f32_e32 v4, v4, v51
	v_fma_f32 v5, v24, v48, -v5
	v_fmac_f32_e32 v49, v25, v48
	v_add_f32_e32 v3, v3, v5
	v_add_f32_e32 v5, v4, v49
	s_waitcnt vmcnt(0)
	v_mul_f32_e32 v4, v23, v47
	v_mul_f32_e32 v47, v22, v47
	v_fma_f32 v4, v22, v46, -v4
	v_fmac_f32_e32 v47, v23, v46
	v_add_f32_e32 v4, v3, v4
	v_add_f32_e32 v5, v5, v47
.LBB105_13:                             ;   in Loop: Header=BB105_16 Depth=1
	s_or_b64 exec, exec, s[38:39]
	s_waitcnt vmcnt(3)
	v_mul_f32_e32 v3, v33, v45
	v_mul_f32_e32 v45, v32, v45
	v_fma_f32 v3, v32, v44, -v3
	v_fmac_f32_e32 v45, v33, v44
	v_add_f32_e32 v3, v6, v3
	v_add_f32_e32 v6, v7, v45
	s_waitcnt vmcnt(2)
	v_mul_f32_e32 v7, v31, v43
	v_fma_f32 v7, v30, v42, -v7
	v_mul_f32_e32 v43, v30, v43
	v_fmac_f32_e32 v43, v31, v42
	v_add_f32_e32 v3, v3, v7
	s_waitcnt vmcnt(1)
	v_mul_f32_e32 v7, v25, v41
	v_mul_f32_e32 v41, v24, v41
	v_add_f32_e32 v6, v6, v43
	v_fma_f32 v7, v24, v40, -v7
	v_fmac_f32_e32 v41, v25, v40
	v_add_f32_e32 v3, v3, v7
	v_add_f32_e32 v7, v6, v41
	s_waitcnt vmcnt(0)
	v_mul_f32_e32 v6, v23, v39
	v_mul_f32_e32 v39, v22, v39
	v_fma_f32 v6, v22, v38, -v6
	v_fmac_f32_e32 v39, v23, v38
	v_add_f32_e32 v6, v3, v6
	v_add_f32_e32 v7, v7, v39
.LBB105_14:                             ;   in Loop: Header=BB105_16 Depth=1
	s_or_b64 exec, exec, s[36:37]
	s_waitcnt vmcnt(3)
	v_mul_f32_e32 v3, v33, v37
	v_mul_f32_e32 v39, v32, v37
	v_fma_f32 v38, v32, v36, -v3
	v_fmac_f32_e32 v39, v33, v36
	s_waitcnt vmcnt(2)
	v_mul_f32_e32 v3, v31, v35
	v_mul_f32_e32 v33, v30, v35
	v_fma_f32 v32, v30, v34, -v3
	v_fmac_f32_e32 v33, v31, v34
	v_pk_add_f32 v[8:9], v[8:9], v[38:39]
	v_mov_b32_e32 v30, v25
	v_mov_b32_e32 v31, v24
	v_pk_add_f32 v[8:9], v[8:9], v[32:33]
	s_waitcnt vmcnt(1)
	v_mov_b32_e32 v24, v29
	v_pk_mul_f32 v[32:33], v[30:31], v[28:29] op_sel_hi:[1,0]
	s_nop 0
	v_pk_fma_f32 v[24:25], v[30:31], v[24:25], v[32:33] op_sel:[0,0,1] op_sel_hi:[1,1,0] neg_lo:[1,0,0] neg_hi:[1,0,0]
	v_pk_fma_f32 v[28:29], v[30:31], v[28:29], v[32:33] op_sel:[0,1,1] op_sel_hi:[1,1,0]
	s_nop 0
	v_mov_b32_e32 v25, v29
	v_pk_add_f32 v[8:9], v[8:9], v[24:25]
	s_waitcnt vmcnt(0)
	v_pk_mul_f32 v[24:25], v[22:23], v[26:27] op_sel:[0,1]
	s_nop 0
	v_pk_fma_f32 v[28:29], v[22:23], v[26:27], v[24:25] op_sel:[0,0,1] op_sel_hi:[1,1,0] neg_lo:[0,0,1] neg_hi:[0,0,1]
	v_pk_fma_f32 v[22:23], v[22:23], v[26:27], v[24:25] op_sel:[0,0,1] op_sel_hi:[1,0,0]
	s_nop 0
	v_mov_b32_e32 v29, v23
	v_pk_add_f32 v[8:9], v[8:9], v[28:29]
.LBB105_15:                             ;   in Loop: Header=BB105_16 Depth=1
	s_or_b64 exec, exec, s[6:7]
	v_add_u32_e32 v65, 16, v65
	v_cmp_le_i32_e64 s[6:7], s52, v65
	v_lshl_add_u64 v[10:11], v[10:11], 0, s[26:27]
	v_lshl_add_u64 v[14:15], v[14:15], 0, s[28:29]
	;; [unrolled: 1-line block ×4, first 2 shown]
	s_or_b64 s[30:31], s[6:7], s[30:31]
	v_lshl_add_u64 v[20:21], v[20:21], 0, s[28:29]
	s_andn2_b64 exec, exec, s[30:31]
	s_cbranch_execz .LBB105_21
.LBB105_16:                             ; =>This Inner Loop Header: Depth=1
	s_and_saveexec_b64 s[6:7], vcc
	s_cbranch_execz .LBB105_15
; %bb.17:                               ;   in Loop: Header=BB105_16 Depth=1
	v_lshl_add_u64 v[22:23], v[10:11], 0, s[34:35]
	v_lshl_add_u64 v[26:27], v[22:23], 0, s[34:35]
	global_load_dwordx2 v[30:31], v[22:23], off
	global_load_dwordx2 v[24:25], v[26:27], off
	v_lshl_add_u64 v[26:27], v[26:27], 0, s[34:35]
	v_lshl_add_u64 v[60:61], v[16:17], 0, v[12:13]
	;; [unrolled: 1-line block ×5, first 2 shown]
	global_load_dwordx2 v[32:33], v[10:11], off
	global_load_dwordx2 v[22:23], v[26:27], off
	;; [unrolled: 1-line block ×5, first 2 shown]
	s_nop 0
	global_load_dwordx2 v[26:27], v[54:55], off
	s_and_saveexec_b64 s[36:37], s[0:1]
	s_cbranch_execz .LBB105_14
; %bb.18:                               ;   in Loop: Header=BB105_16 Depth=1
	global_load_dwordx2 v[44:45], v[60:61], off offset:512
	global_load_dwordx2 v[42:43], v[58:59], off offset:512
	;; [unrolled: 1-line block ×4, first 2 shown]
	s_and_saveexec_b64 s[38:39], s[2:3]
	s_cbranch_execz .LBB105_13
; %bb.19:                               ;   in Loop: Header=BB105_16 Depth=1
	global_load_dwordx2 v[52:53], v[60:61], off offset:1024
	global_load_dwordx2 v[50:51], v[58:59], off offset:1024
	;; [unrolled: 1-line block ×4, first 2 shown]
	s_and_saveexec_b64 s[46:47], s[4:5]
	s_cbranch_execz .LBB105_12
; %bb.20:                               ;   in Loop: Header=BB105_16 Depth=1
	global_load_dwordx2 v[60:61], v[60:61], off offset:1536
	s_nop 0
	global_load_dwordx2 v[58:59], v[58:59], off offset:1536
	s_nop 0
	;; [unrolled: 2-line block ×3, first 2 shown]
	global_load_dwordx2 v[54:55], v[54:55], off offset:1536
	s_waitcnt vmcnt(3)
	v_mul_f32_e32 v3, v33, v61
	v_mul_f32_e32 v61, v32, v61
	s_waitcnt vmcnt(2)
	v_mul_f32_e32 v66, v31, v59
	v_mul_f32_e32 v59, v30, v59
	v_fma_f32 v3, v32, v60, -v3
	v_fmac_f32_e32 v61, v33, v60
	s_waitcnt vmcnt(1)
	v_mul_f32_e32 v67, v25, v57
	v_mul_f32_e32 v57, v24, v57
	v_fma_f32 v60, v30, v58, -v66
	v_fmac_f32_e32 v59, v31, v58
	v_add_f32_e32 v0, v0, v3
	v_add_f32_e32 v1, v1, v61
	s_waitcnt vmcnt(0)
	v_mul_f32_e32 v68, v23, v55
	v_mul_f32_e32 v55, v22, v55
	v_fma_f32 v58, v24, v56, -v67
	v_fmac_f32_e32 v57, v25, v56
	v_add_f32_e32 v0, v0, v60
	v_add_f32_e32 v1, v1, v59
	v_fma_f32 v56, v22, v54, -v68
	v_fmac_f32_e32 v55, v23, v54
	v_add_f32_e32 v0, v0, v58
	v_add_f32_e32 v1, v1, v57
	;; [unrolled: 1-line block ×4, first 2 shown]
	s_branch .LBB105_12
.LBB105_21:
	s_or_b64 exec, exec, s[30:31]
.LBB105_22:
	s_or_b64 exec, exec, s[22:23]
	s_sub_i32 s0, s25, s52
	s_cmp_lt_i32 s0, 1
	s_cbranch_scc1 .LBB105_40
; %bb.23:
	v_cmp_gt_i32_e32 vcc, s25, v65
	v_mov_b32_e32 v10, 0
	v_or_b32_e32 v20, 1, v65
	v_mov_b32_e32 v11, 0
	v_mov_b32_e32 v12, 0
	;; [unrolled: 1-line block ×7, first 2 shown]
	s_and_saveexec_b64 s[2:3], vcc
	s_cbranch_execz .LBB105_31
; %bb.24:
	s_lshl_b64 s[0:1], s[10:11], 3
	s_add_u32 s4, s48, s0
	s_addc_u32 s5, s49, s1
	s_lshl_b64 s[0:1], s[50:51], 3
	s_add_u32 s6, s4, s0
	s_addc_u32 s7, s5, s1
	v_mad_u64_u32 v[10:11], s[0:1], v65, s8, 0
	v_mov_b32_e32 v12, v11
	v_mad_u64_u32 v[12:13], s[0:1], v65, s9, v[12:13]
	v_mov_b32_e32 v11, v12
	v_lshl_add_u64 v[10:11], v[10:11], 3, s[6:7]
	global_load_dwordx2 v[10:11], v[10:11], off
	v_cmp_gt_i32_e64 s[0:1], s25, v20
	v_mov_b32_e32 v17, 0
	v_mov_b32_e32 v16, 0
	;; [unrolled: 1-line block ×6, first 2 shown]
	s_and_saveexec_b64 s[4:5], s[0:1]
	s_cbranch_execz .LBB105_30
; %bb.25:
	v_mad_u64_u32 v[12:13], s[0:1], v20, s8, 0
	v_mov_b32_e32 v14, v13
	v_mad_u64_u32 v[14:15], s[0:1], v20, s9, v[14:15]
	v_mov_b32_e32 v13, v14
	v_lshl_add_u64 v[12:13], v[12:13], 3, s[6:7]
	global_load_dwordx2 v[12:13], v[12:13], off
	v_or_b32_e32 v3, 2, v65
	v_cmp_gt_i32_e64 s[0:1], s25, v3
	v_mov_b32_e32 v17, 0
	v_mov_b32_e32 v16, 0
	;; [unrolled: 1-line block ×4, first 2 shown]
	s_and_saveexec_b64 s[10:11], s[0:1]
	s_cbranch_execz .LBB105_29
; %bb.26:
	v_mad_u64_u32 v[14:15], s[0:1], v3, s8, 0
	v_mov_b32_e32 v16, v15
	v_mad_u64_u32 v[16:17], s[0:1], v3, s9, v[16:17]
	v_mov_b32_e32 v15, v16
	v_lshl_add_u64 v[14:15], v[14:15], 3, s[6:7]
	global_load_dwordx2 v[14:15], v[14:15], off
	v_or_b32_e32 v3, 3, v65
	v_cmp_gt_i32_e64 s[0:1], s25, v3
	v_mov_b32_e32 v17, 0
	v_mov_b32_e32 v16, 0
	s_and_saveexec_b64 s[22:23], s[0:1]
	s_cbranch_execz .LBB105_28
; %bb.27:
	v_mad_u64_u32 v[16:17], s[0:1], v3, s8, 0
	v_mov_b32_e32 v18, v17
	v_mad_u64_u32 v[18:19], s[0:1], v3, s9, v[18:19]
	v_mov_b32_e32 v17, v18
	v_lshl_add_u64 v[16:17], v[16:17], 3, s[6:7]
	global_load_dwordx2 v[16:17], v[16:17], off
.LBB105_28:
	s_or_b64 exec, exec, s[22:23]
.LBB105_29:
	s_or_b64 exec, exec, s[10:11]
.LBB105_30:
	s_or_b64 exec, exec, s[4:5]
.LBB105_31:
	s_or_b64 exec, exec, s[2:3]
	v_cmp_gt_i32_e64 s[0:1], s24, v2
	s_and_saveexec_b64 s[2:3], s[0:1]
	s_cbranch_execz .LBB105_39
; %bb.32:
	s_lshl_b64 s[0:1], s[18:19], 3
	s_add_u32 s4, s40, s0
	s_addc_u32 s5, s41, s1
	s_lshl_b64 s[0:1], s[42:43], 3
	s_add_u32 s0, s4, s0
	s_addc_u32 s1, s5, s1
	v_mad_u64_u32 v[18:19], s[4:5], v65, s44, 0
	v_mov_b32_e32 v22, v19
	v_ashrrev_i32_e32 v3, 31, v2
	v_mad_u64_u32 v[22:23], s[4:5], v65, s45, v[22:23]
	v_mad_u64_u32 v[24:25], s[4:5], v20, s44, 0
	v_cndmask_b32_e32 v18, 0, v18, vcc
	v_cndmask_b32_e32 v19, 0, v22, vcc
	v_lshlrev_b64 v[22:23], 3, v[2:3]
	v_mov_b32_e32 v26, v25
	v_cmp_gt_i32_e32 vcc, s25, v20
	v_or_b32_e32 v3, 2, v65
	v_mad_u64_u32 v[26:27], s[4:5], v20, s45, v[26:27]
	v_cndmask_b32_e32 v20, 0, v24, vcc
	v_mad_u64_u32 v[24:25], s[4:5], v3, s44, 0
	v_cndmask_b32_e32 v21, 0, v26, vcc
	v_mov_b32_e32 v26, v25
	v_mad_u64_u32 v[26:27], s[4:5], v3, s45, v[26:27]
	v_cmp_gt_i32_e32 vcc, s25, v3
	v_or_b32_e32 v3, 3, v65
	v_lshl_add_u64 v[18:19], v[18:19], 3, s[0:1]
	v_cndmask_b32_e32 v25, 0, v26, vcc
	v_mad_u64_u32 v[26:27], s[4:5], v3, s44, 0
	v_mov_b32_e32 v28, v27
	v_cndmask_b32_e32 v24, 0, v24, vcc
	v_mad_u64_u32 v[28:29], s[4:5], v3, s45, v[28:29]
	v_cmp_gt_i32_e32 vcc, s25, v3
	v_lshl_add_u64 v[18:19], v[18:19], 0, v[22:23]
	v_lshl_add_u64 v[20:21], v[20:21], 3, s[0:1]
	v_cndmask_b32_e32 v26, 0, v26, vcc
	v_cndmask_b32_e32 v27, 0, v28, vcc
	v_lshl_add_u64 v[24:25], v[24:25], 3, s[0:1]
	v_lshl_add_u64 v[26:27], v[26:27], 3, s[0:1]
	;; [unrolled: 1-line block ×5, first 2 shown]
	global_load_dwordx2 v[22:23], v[18:19], off
	global_load_dwordx2 v[28:29], v[20:21], off
	;; [unrolled: 1-line block ×4, first 2 shown]
	v_add_u32_e32 v3, 64, v2
	v_cmp_gt_i32_e32 vcc, s24, v3
	s_waitcnt vmcnt(3)
	v_pk_mul_f32 v[34:35], v[10:11], v[22:23] op_sel:[0,1]
	s_waitcnt vmcnt(2)
	v_pk_mul_f32 v[36:37], v[12:13], v[28:29] op_sel:[0,1]
	v_pk_fma_f32 v[42:43], v[10:11], v[22:23], v[34:35] op_sel:[0,0,1] op_sel_hi:[1,1,0] neg_lo:[0,0,1] neg_hi:[0,0,1]
	v_pk_fma_f32 v[34:35], v[10:11], v[22:23], v[34:35] op_sel:[0,0,1] op_sel_hi:[1,0,0]
	s_waitcnt vmcnt(1)
	v_pk_mul_f32 v[38:39], v[14:15], v[30:31] op_sel:[0,1]
	v_pk_fma_f32 v[44:45], v[12:13], v[28:29], v[36:37] op_sel:[0,0,1] op_sel_hi:[1,1,0] neg_lo:[0,0,1] neg_hi:[0,0,1]
	v_pk_fma_f32 v[28:29], v[12:13], v[28:29], v[36:37] op_sel:[0,0,1] op_sel_hi:[1,0,0]
	v_mov_b32_e32 v43, v35
	s_waitcnt vmcnt(0)
	v_pk_mul_f32 v[40:41], v[16:17], v[32:33] op_sel:[0,1]
	v_pk_fma_f32 v[36:37], v[14:15], v[30:31], v[38:39] op_sel:[0,0,1] op_sel_hi:[1,1,0] neg_lo:[0,0,1] neg_hi:[0,0,1]
	v_pk_fma_f32 v[30:31], v[14:15], v[30:31], v[38:39] op_sel:[0,0,1] op_sel_hi:[1,0,0]
	v_mov_b32_e32 v45, v29
	v_pk_add_f32 v[8:9], v[8:9], v[42:43]
	v_pk_fma_f32 v[22:23], v[16:17], v[32:33], v[40:41] op_sel:[0,0,1] op_sel_hi:[1,1,0] neg_lo:[0,0,1] neg_hi:[0,0,1]
	v_pk_fma_f32 v[32:33], v[16:17], v[32:33], v[40:41] op_sel:[0,0,1] op_sel_hi:[1,0,0]
	v_mov_b32_e32 v37, v31
	v_pk_add_f32 v[8:9], v[8:9], v[44:45]
	v_mov_b32_e32 v23, v33
	v_pk_add_f32 v[8:9], v[8:9], v[36:37]
	s_and_saveexec_b64 s[0:1], vcc
	s_cbranch_execz .LBB105_38
; %bb.33:
	global_load_dwordx2 v[28:29], v[18:19], off offset:512
	global_load_dwordx2 v[30:31], v[20:21], off offset:512
	;; [unrolled: 1-line block ×4, first 2 shown]
	v_add_u32_e32 v36, 0x80, v2
	v_cmp_gt_i32_e32 vcc, s24, v36
	s_waitcnt vmcnt(3)
	v_mul_f32_e32 v37, v11, v29
	v_mul_f32_e32 v29, v10, v29
	s_waitcnt vmcnt(2)
	v_mul_f32_e32 v38, v13, v31
	v_mul_f32_e32 v31, v12, v31
	;; [unrolled: 3-line block ×3, first 2 shown]
	v_fma_f32 v35, v10, v28, -v37
	v_fmac_f32_e32 v29, v11, v28
	v_mul_f32_e32 v39, v15, v33
	v_mul_f32_e32 v33, v14, v33
	v_fma_f32 v37, v12, v30, -v38
	v_fmac_f32_e32 v31, v13, v30
	v_add_f32_e32 v6, v6, v35
	v_add_f32_e32 v7, v7, v29
	v_fma_f32 v30, v14, v32, -v39
	v_fmac_f32_e32 v33, v15, v32
	v_add_f32_e32 v6, v6, v37
	v_add_f32_e32 v7, v7, v31
	;; [unrolled: 4-line block ×3, first 2 shown]
	s_and_saveexec_b64 s[4:5], vcc
	s_cbranch_execz .LBB105_37
; %bb.34:
	global_load_dwordx2 v[30:31], v[18:19], off offset:1024
	global_load_dwordx2 v[32:33], v[20:21], off offset:1024
	;; [unrolled: 1-line block ×4, first 2 shown]
	v_add_u32_e32 v38, 0xc0, v2
	v_cmp_gt_i32_e32 vcc, s24, v38
	s_waitcnt vmcnt(3)
	v_mul_f32_e32 v29, v11, v31
	v_mul_f32_e32 v31, v10, v31
	s_waitcnt vmcnt(2)
	v_mul_f32_e32 v39, v13, v33
	v_mul_f32_e32 v33, v12, v33
	;; [unrolled: 3-line block ×3, first 2 shown]
	v_fma_f32 v37, v10, v30, -v29
	v_fmac_f32_e32 v31, v11, v30
	v_mul_f32_e32 v40, v15, v35
	v_mul_f32_e32 v35, v14, v35
	v_fma_f32 v30, v12, v32, -v39
	v_fmac_f32_e32 v33, v13, v32
	v_add_f32_e32 v4, v4, v37
	v_add_f32_e32 v5, v5, v31
	v_fma_f32 v32, v14, v34, -v40
	v_fmac_f32_e32 v35, v15, v34
	v_add_f32_e32 v4, v4, v30
	v_add_f32_e32 v5, v5, v33
	v_fma_f32 v29, v16, v36, -v41
	v_fmac_f32_e32 v2, v17, v36
	v_add_f32_e32 v4, v4, v32
	v_add_f32_e32 v5, v5, v35
	s_and_saveexec_b64 s[6:7], vcc
	s_cbranch_execz .LBB105_36
; %bb.35:
	global_load_dwordx2 v[30:31], v[18:19], off offset:1536
	global_load_dwordx2 v[32:33], v[20:21], off offset:1536
	;; [unrolled: 1-line block ×4, first 2 shown]
	s_waitcnt vmcnt(3)
	v_mul_f32_e32 v18, v11, v31
	v_mul_f32_e32 v19, v10, v31
	s_waitcnt vmcnt(2)
	v_mul_f32_e32 v20, v13, v33
	v_mul_f32_e32 v21, v12, v33
	v_fma_f32 v10, v10, v30, -v18
	v_fmac_f32_e32 v19, v11, v30
	s_waitcnt vmcnt(1)
	v_mul_f32_e32 v24, v15, v35
	v_mul_f32_e32 v25, v14, v35
	v_fma_f32 v11, v12, v32, -v20
	v_fmac_f32_e32 v21, v13, v32
	v_add_f32_e32 v0, v0, v10
	v_add_f32_e32 v1, v1, v19
	s_waitcnt vmcnt(0)
	v_mul_f32_e32 v26, v17, v37
	v_mul_f32_e32 v27, v16, v37
	v_fma_f32 v12, v14, v34, -v24
	v_fmac_f32_e32 v25, v15, v34
	v_add_f32_e32 v0, v0, v11
	v_add_f32_e32 v1, v1, v21
	v_fma_f32 v13, v16, v36, -v26
	v_fmac_f32_e32 v27, v17, v36
	v_add_f32_e32 v0, v0, v12
	v_add_f32_e32 v1, v1, v25
	;; [unrolled: 1-line block ×4, first 2 shown]
.LBB105_36:
	s_or_b64 exec, exec, s[6:7]
	v_add_f32_e32 v4, v4, v29
	v_add_f32_e32 v5, v5, v2
.LBB105_37:
	s_or_b64 exec, exec, s[4:5]
	v_add_f32_e32 v6, v6, v28
	v_add_f32_e32 v7, v7, v3
.LBB105_38:
	s_or_b64 exec, exec, s[0:1]
	v_pk_add_f32 v[8:9], v[8:9], v[22:23]
.LBB105_39:
	s_or_b64 exec, exec, s[2:3]
.LBB105_40:
	v_lshlrev_b32_e32 v2, 8, v64
	s_movk_i32 s0, 0x100
	v_add_lshl_u32 v2, v2, v63, 3
	v_cmp_gt_u32_e32 vcc, s0, v62
	ds_write2st64_b64 v2, v[8:9], v[6:7] offset1:1
	ds_write2st64_b64 v2, v[4:5], v[0:1] offset0:2 offset1:3
	s_waitcnt lgkmcnt(0)
	s_barrier
	s_and_saveexec_b64 s[0:1], vcc
	s_cbranch_execz .LBB105_45
; %bb.41:
	v_lshlrev_b32_e32 v5, 3, v62
	ds_read2st64_b64 v[0:3], v5 offset1:4
	ds_read2st64_b64 v[6:9], v5 offset0:8 offset1:12
	v_or_b32_e32 v4, s33, v62
	v_cmp_gt_i32_e32 vcc, s24, v4
	s_waitcnt lgkmcnt(1)
	v_pk_add_f32 v[0:1], v[0:1], v[2:3]
	s_waitcnt lgkmcnt(0)
	v_pk_add_f32 v[0:1], v[0:1], v[6:7]
	s_nop 0
	v_pk_add_f32 v[2:3], v[0:1], v[8:9]
	ds_write_b64 v5, v[2:3]
	s_and_b64 exec, exec, vcc
	s_cbranch_execz .LBB105_45
; %bb.42:
	v_pk_mul_f32 v[6:7], v[2:3], s[14:15] op_sel:[1,0]
	v_cmp_neq_f32_e64 s[0:1], s12, 0
	v_pk_fma_f32 v[0:1], v[2:3], s[14:15], v[6:7] op_sel:[0,0,1] op_sel_hi:[0,1,0] neg_lo:[0,0,1] neg_hi:[0,0,1]
	v_pk_fma_f32 v[2:3], v[2:3], s[14:15], v[6:7] op_sel:[0,0,1] op_sel_hi:[0,1,0]
	v_ashrrev_i32_e32 v1, 31, v4
	v_cmp_neq_f32_e64 s[2:3], s13, 0
	v_mul_lo_u32 v2, v4, s21
	v_mul_lo_u32 v1, v1, s20
	v_mad_u64_u32 v[4:5], s[4:5], v4, s20, 0
	v_add3_u32 v5, v5, v2, v1
	s_or_b64 s[0:1], s[0:1], s[2:3]
	s_andn2_b64 vcc, exec, s[0:1]
	v_lshl_add_u64 v[4:5], v[4:5], 3, s[16:17]
	s_cbranch_vccnz .LBB105_44
; %bb.43:
	global_load_dwordx2 v[6:7], v[4:5], off
	v_mov_b32_e32 v1, v3
	s_waitcnt vmcnt(0)
	v_pk_mul_f32 v[2:3], s[12:13], v[6:7] op_sel:[0,1]
	s_nop 0
	v_pk_fma_f32 v[8:9], s[12:13], v[6:7], v[2:3] op_sel:[0,0,1] op_sel_hi:[1,1,0] neg_lo:[0,0,1] neg_hi:[0,0,1]
	v_pk_fma_f32 v[2:3], s[12:13], v[6:7], v[2:3] op_sel:[0,0,1] op_sel_hi:[1,0,0]
	s_nop 0
	v_mov_b32_e32 v9, v3
	v_pk_add_f32 v[0:1], v[0:1], v[8:9]
	s_nop 0
	v_mov_b32_e32 v3, v1
.LBB105_44:
	v_mov_b32_e32 v1, v3
	global_store_dwordx2 v[4:5], v[0:1], off
.LBB105_45:
	s_endpgm
	.section	.rodata,"a",@progbits
	.p2align	6, 0x0
	.amdhsa_kernel _ZL20rocblas_gemvn_kernelILi64ELi4El19rocblas_complex_numIfEPKS1_S1_EviiT3_lPKT2_lT1_lS7_lS8_lS4_lPT4_lS8_li
		.amdhsa_group_segment_fixed_size 8192
		.amdhsa_private_segment_fixed_size 0
		.amdhsa_kernarg_size 400
		.amdhsa_user_sgpr_count 2
		.amdhsa_user_sgpr_dispatch_ptr 0
		.amdhsa_user_sgpr_queue_ptr 0
		.amdhsa_user_sgpr_kernarg_segment_ptr 1
		.amdhsa_user_sgpr_dispatch_id 0
		.amdhsa_user_sgpr_kernarg_preload_length 0
		.amdhsa_user_sgpr_kernarg_preload_offset 0
		.amdhsa_user_sgpr_private_segment_size 0
		.amdhsa_uses_dynamic_stack 0
		.amdhsa_enable_private_segment 0
		.amdhsa_system_sgpr_workgroup_id_x 1
		.amdhsa_system_sgpr_workgroup_id_y 0
		.amdhsa_system_sgpr_workgroup_id_z 1
		.amdhsa_system_sgpr_workgroup_info 0
		.amdhsa_system_vgpr_workitem_id 1
		.amdhsa_next_free_vgpr 69
		.amdhsa_next_free_sgpr 53
		.amdhsa_accum_offset 72
		.amdhsa_reserve_vcc 1
		.amdhsa_float_round_mode_32 0
		.amdhsa_float_round_mode_16_64 0
		.amdhsa_float_denorm_mode_32 3
		.amdhsa_float_denorm_mode_16_64 3
		.amdhsa_dx10_clamp 1
		.amdhsa_ieee_mode 1
		.amdhsa_fp16_overflow 0
		.amdhsa_tg_split 0
		.amdhsa_exception_fp_ieee_invalid_op 0
		.amdhsa_exception_fp_denorm_src 0
		.amdhsa_exception_fp_ieee_div_zero 0
		.amdhsa_exception_fp_ieee_overflow 0
		.amdhsa_exception_fp_ieee_underflow 0
		.amdhsa_exception_fp_ieee_inexact 0
		.amdhsa_exception_int_div_zero 0
	.end_amdhsa_kernel
	.section	.text._ZL20rocblas_gemvn_kernelILi64ELi4El19rocblas_complex_numIfEPKS1_S1_EviiT3_lPKT2_lT1_lS7_lS8_lS4_lPT4_lS8_li,"axG",@progbits,_ZL20rocblas_gemvn_kernelILi64ELi4El19rocblas_complex_numIfEPKS1_S1_EviiT3_lPKT2_lT1_lS7_lS8_lS4_lPT4_lS8_li,comdat
.Lfunc_end105:
	.size	_ZL20rocblas_gemvn_kernelILi64ELi4El19rocblas_complex_numIfEPKS1_S1_EviiT3_lPKT2_lT1_lS7_lS8_lS4_lPT4_lS8_li, .Lfunc_end105-_ZL20rocblas_gemvn_kernelILi64ELi4El19rocblas_complex_numIfEPKS1_S1_EviiT3_lPKT2_lT1_lS7_lS8_lS4_lPT4_lS8_li
                                        ; -- End function
	.section	.AMDGPU.csdata,"",@progbits
; Kernel info:
; codeLenInByte = 3508
; NumSgprs: 59
; NumVgprs: 69
; NumAgprs: 0
; TotalNumVgprs: 69
; ScratchSize: 0
; MemoryBound: 0
; FloatMode: 240
; IeeeMode: 1
; LDSByteSize: 8192 bytes/workgroup (compile time only)
; SGPRBlocks: 7
; VGPRBlocks: 8
; NumSGPRsForWavesPerEU: 59
; NumVGPRsForWavesPerEU: 69
; AccumOffset: 72
; Occupancy: 7
; WaveLimiterHint : 0
; COMPUTE_PGM_RSRC2:SCRATCH_EN: 0
; COMPUTE_PGM_RSRC2:USER_SGPR: 2
; COMPUTE_PGM_RSRC2:TRAP_HANDLER: 0
; COMPUTE_PGM_RSRC2:TGID_X_EN: 1
; COMPUTE_PGM_RSRC2:TGID_Y_EN: 0
; COMPUTE_PGM_RSRC2:TGID_Z_EN: 1
; COMPUTE_PGM_RSRC2:TIDIG_COMP_CNT: 1
; COMPUTE_PGM_RSRC3_GFX90A:ACCUM_OFFSET: 17
; COMPUTE_PGM_RSRC3_GFX90A:TG_SPLIT: 0
	.section	.text._ZL20rocblas_gemvn_kernelILi64ELi4Ei19rocblas_complex_numIfES1_S1_EviiT3_lPKT2_lT1_lS5_lS6_lS2_lPT4_lS6_li,"axG",@progbits,_ZL20rocblas_gemvn_kernelILi64ELi4Ei19rocblas_complex_numIfES1_S1_EviiT3_lPKT2_lT1_lS5_lS6_lS2_lPT4_lS6_li,comdat
	.globl	_ZL20rocblas_gemvn_kernelILi64ELi4Ei19rocblas_complex_numIfES1_S1_EviiT3_lPKT2_lT1_lS5_lS6_lS2_lPT4_lS6_li ; -- Begin function _ZL20rocblas_gemvn_kernelILi64ELi4Ei19rocblas_complex_numIfES1_S1_EviiT3_lPKT2_lT1_lS5_lS6_lS2_lPT4_lS6_li
	.p2align	8
	.type	_ZL20rocblas_gemvn_kernelILi64ELi4Ei19rocblas_complex_numIfES1_S1_EviiT3_lPKT2_lT1_lS5_lS6_lS2_lPT4_lS6_li,@function
_ZL20rocblas_gemvn_kernelILi64ELi4Ei19rocblas_complex_numIfES1_S1_EviiT3_lPKT2_lT1_lS5_lS6_lS2_lPT4_lS6_li: ; @_ZL20rocblas_gemvn_kernelILi64ELi4Ei19rocblas_complex_numIfES1_S1_EviiT3_lPKT2_lT1_lS5_lS6_lS2_lPT4_lS6_li
; %bb.0:
	s_load_dwordx2 s[4:5], s[0:1], 0x9c
	s_waitcnt lgkmcnt(0)
	s_lshr_b32 s6, s4, 16
	s_and_b32 s4, s4, 0xffff
	s_and_b32 s5, s5, 0xffff
	s_mul_i32 s4, s6, s4
	s_mul_i32 s4, s4, s5
	s_cmpk_lg_i32 s4, 0x100
	s_cbranch_scc1 .LBB106_45
; %bb.1:
	s_load_dwordx4 s[8:11], s[0:1], 0x0
	s_load_dwordx2 s[12:13], s[0:1], 0x58
	s_waitcnt lgkmcnt(0)
	v_cmp_eq_f32_e64 s[4:5], s10, 0
	v_cmp_eq_f32_e64 s[6:7], s11, 0
	v_cmp_eq_f32_e64 s[14:15], s12, 1.0
	v_cmp_eq_f32_e64 s[16:17], s13, 0
	s_and_b64 s[4:5], s[4:5], s[6:7]
	s_and_b64 s[6:7], s[14:15], s[16:17]
	;; [unrolled: 1-line block ×3, first 2 shown]
	s_and_b64 vcc, exec, s[4:5]
	s_cbranch_vccnz .LBB106_45
; %bb.2:
	s_load_dwordx2 s[14:15], s[0:1], 0x80
	s_load_dwordx4 s[4:7], s[0:1], 0x68
	s_load_dword s33, s[0:1], 0x78
	v_and_b32_e32 v2, 0x3ff, v0
	v_bfe_u32 v54, v0, 10, 10
	s_waitcnt lgkmcnt(0)
	s_mul_i32 s15, s3, s15
	s_mul_hi_u32 s16, s3, s14
	s_mul_i32 s14, s3, s14
	s_add_i32 s15, s16, s15
	s_lshl_b64 s[14:15], s[14:15], 3
	s_add_u32 s14, s4, s14
	s_addc_u32 s15, s5, s15
	s_lshl_b64 s[4:5], s[6:7], 3
	s_add_u32 s14, s14, s4
	s_addc_u32 s15, s15, s5
	s_or_b32 s4, s10, s11
	s_bitset0_b32 s4, 31
	v_lshl_add_u32 v3, v54, 6, v2
	s_cmp_lg_u32 s4, 0
	s_mov_b64 s[4:5], -1
	s_cbranch_scc1 .LBB106_9
; %bb.3:
	s_movk_i32 s4, 0x100
	v_cmp_gt_u32_e32 vcc, s4, v3
	s_and_saveexec_b64 s[4:5], vcc
	s_cbranch_execz .LBB106_8
; %bb.4:
	v_lshl_or_b32 v0, s2, 8, v3
	v_mov_b32_e32 v1, 0
	s_ashr_i32 s7, s8, 31
	s_mov_b32 s6, s8
	v_cmp_gt_i64_e32 vcc, s[6:7], v[0:1]
	s_and_b64 exec, exec, vcc
	s_cbranch_execz .LBB106_8
; %bb.5:
	v_mad_u64_u32 v[4:5], s[18:19], s33, v0, 0
	s_ashr_i32 s20, s33, 31
	v_mov_b32_e32 v6, v5
	v_cmp_neq_f32_e64 s[6:7], s12, 0
	v_cmp_neq_f32_e64 s[16:17], s13, 0
	v_mad_u64_u32 v[6:7], s[18:19], s20, v0, v[6:7]
	v_mov_b32_e32 v5, v6
	s_or_b64 s[6:7], s[6:7], s[16:17]
	s_andn2_b64 vcc, exec, s[6:7]
	v_lshl_add_u64 v[4:5], v[4:5], 3, s[14:15]
	v_mov_b32_e32 v7, v1
	s_cbranch_vccnz .LBB106_7
; %bb.6:
	global_load_dwordx2 v[0:1], v[4:5], off
	s_waitcnt vmcnt(0)
	v_pk_mul_f32 v[6:7], s[12:13], v[0:1] op_sel:[0,1]
	s_nop 0
	v_pk_fma_f32 v[8:9], s[12:13], v[0:1], v[6:7] op_sel:[0,0,1] op_sel_hi:[1,1,0] neg_lo:[0,0,1] neg_hi:[0,0,1]
	v_pk_fma_f32 v[6:7], s[12:13], v[0:1], v[6:7] op_sel:[0,0,1] op_sel_hi:[1,0,0]
	v_mov_b32_e32 v1, v8
.LBB106_7:
	v_mov_b32_e32 v6, v1
	global_store_dwordx2 v[4:5], v[6:7], off
.LBB106_8:
	s_or_b64 exec, exec, s[4:5]
	s_mov_b64 s[4:5], 0
.LBB106_9:
	s_andn2_b64 vcc, exec, s[4:5]
	s_cbranch_vccnz .LBB106_45
; %bb.10:
	s_load_dwordx4 s[4:7], s[0:1], 0x30
	s_load_dwordx4 s[16:19], s[0:1], 0x18
	s_load_dword s35, s[0:1], 0x28
	s_load_dwordx2 s[20:21], s[0:1], 0x40
	s_load_dword s36, s[0:1], 0x48
	s_load_dwordx2 s[22:23], s[0:1], 0x50
	s_waitcnt lgkmcnt(0)
	s_mul_i32 s0, s3, s5
	s_mul_hi_u32 s1, s3, s4
	s_add_i32 s1, s1, s0
	s_mul_i32 s0, s3, s4
	s_lshl_b64 s[0:1], s[0:1], 3
	s_add_u32 s4, s16, s0
	s_addc_u32 s5, s17, s1
	s_lshl_b64 s[0:1], s[18:19], 3
	s_add_u32 s16, s4, s0
	s_addc_u32 s17, s5, s1
	s_mul_i32 s0, s3, s23
	s_mul_hi_u32 s1, s3, s22
	s_add_i32 s1, s1, s0
	s_mul_i32 s0, s3, s22
	s_lshl_b64 s[0:1], s[0:1], 3
	s_add_u32 s3, s6, s0
	s_addc_u32 s4, s7, s1
	s_lshl_b64 s[0:1], s[20:21], 3
	s_add_u32 s18, s3, s0
	s_addc_u32 s19, s4, s1
	s_ashr_i32 s0, s9, 31
	s_lshr_b32 s0, s0, 28
	s_add_i32 s0, s9, s0
	s_mov_b32 s20, 0
	s_lshl_b32 s34, s2, 8
	s_and_b32 s37, s0, -16
	v_lshlrev_b32_e32 v56, 2, v54
	s_mov_b32 s21, s20
	v_add_u32_e32 v55, s34, v2
	v_cmp_gt_i32_e32 vcc, s37, v56
	v_mov_b64_e32 v[8:9], s[20:21]
	v_mov_b32_e32 v1, 0
	v_mov_b32_e32 v0, 0
	v_mov_b32_e32 v5, 0
	v_mov_b32_e32 v4, 0
	v_mov_b32_e32 v7, 0
	v_mov_b32_e32 v6, 0
	s_and_saveexec_b64 s[22:23], vcc
	s_cbranch_execz .LBB106_22
; %bb.11:
	v_add_u32_e32 v0, 64, v55
	v_cmp_gt_i32_e64 s[0:1], s8, v0
	v_add_u32_e32 v0, 0x80, v55
	v_cmp_gt_i32_e64 s[2:3], s8, v0
	;; [unrolled: 2-line block ×3, first 2 shown]
	v_mul_lo_u32 v0, s35, v56
	v_add3_u32 v57, v0, s35, v2
	v_add_u32_e32 v0, 2, v56
	v_mad_u64_u32 v[10:11], s[6:7], s35, v0, v[2:3]
	v_add_u32_e32 v1, 3, v56
	v_mul_lo_u32 v4, v54, s35
	v_mad_u64_u32 v[12:13], s[6:7], s35, v1, v[2:3]
	v_lshl_add_u32 v11, v4, 2, v2
	v_mul_lo_u32 v4, s36, v56
	v_mul_lo_u32 v58, s36, v0
	;; [unrolled: 1-line block ×4, first 2 shown]
	v_mov_b32_e32 v1, 0
	v_cmp_gt_i32_e32 vcc, s8, v55
	s_lshl_b32 s38, s35, 4
	v_add_u32_e32 v13, s36, v4
	s_lshl_b32 s39, s36, 4
	v_lshlrev_b32_e32 v60, 2, v0
	s_mov_b64 s[24:25], 0
	v_mov_b64_e32 v[8:9], s[20:21]
	v_mov_b32_e32 v0, v1
	v_mov_b32_e32 v5, v1
	;; [unrolled: 1-line block ×5, first 2 shown]
	s_branch .LBB106_16
.LBB106_12:                             ;   in Loop: Header=BB106_16 Depth=1
	s_or_b64 exec, exec, s[30:31]
	s_waitcnt vmcnt(3)
	v_mul_f32_e32 v40, v21, v49
	v_fma_f32 v40, v20, v48, -v40
	v_mul_f32_e32 v41, v20, v49
	v_fmac_f32_e32 v41, v21, v48
	v_add_f32_e32 v4, v4, v40
	s_waitcnt vmcnt(2)
	v_mul_f32_e32 v40, v19, v45
	v_add_f32_e32 v5, v5, v41
	v_fma_f32 v40, v18, v44, -v40
	v_mul_f32_e32 v41, v18, v45
	v_fmac_f32_e32 v41, v19, v44
	v_add_f32_e32 v4, v4, v40
	s_waitcnt vmcnt(1)
	v_mul_f32_e32 v40, v17, v43
	v_add_f32_e32 v5, v5, v41
	v_fma_f32 v40, v16, v42, -v40
	v_mul_f32_e32 v41, v16, v43
	v_fmac_f32_e32 v41, v17, v42
	v_add_f32_e32 v4, v4, v40
	s_waitcnt vmcnt(0)
	v_mul_f32_e32 v40, v15, v39
	v_mul_f32_e32 v39, v14, v39
	v_add_f32_e32 v5, v5, v41
	v_fma_f32 v40, v14, v38, -v40
	v_fmac_f32_e32 v39, v15, v38
	v_add_f32_e32 v4, v4, v40
	v_add_f32_e32 v5, v5, v39
.LBB106_13:                             ;   in Loop: Header=BB106_16 Depth=1
	s_or_b64 exec, exec, s[28:29]
	s_waitcnt vmcnt(3)
	v_mul_f32_e32 v38, v21, v37
	v_mul_f32_e32 v37, v20, v37
	v_fma_f32 v38, v20, v36, -v38
	v_fmac_f32_e32 v37, v21, v36
	s_waitcnt vmcnt(2)
	v_mul_f32_e32 v36, v19, v35
	v_mul_f32_e32 v35, v18, v35
	v_add_f32_e32 v6, v6, v38
	v_add_f32_e32 v7, v7, v37
	v_fma_f32 v36, v18, v34, -v36
	v_fmac_f32_e32 v35, v19, v34
	s_waitcnt vmcnt(1)
	v_mul_f32_e32 v34, v17, v33
	v_mul_f32_e32 v33, v16, v33
	v_add_f32_e32 v6, v6, v36
	v_add_f32_e32 v7, v7, v35
	v_fma_f32 v34, v16, v32, -v34
	v_fmac_f32_e32 v33, v17, v32
	s_waitcnt vmcnt(0)
	v_mul_f32_e32 v32, v15, v31
	v_mul_f32_e32 v31, v14, v31
	v_add_f32_e32 v6, v6, v34
	v_add_f32_e32 v7, v7, v33
	v_fma_f32 v32, v14, v30, -v32
	v_fmac_f32_e32 v31, v15, v30
	v_add_f32_e32 v6, v6, v32
	v_add_f32_e32 v7, v7, v31
.LBB106_14:                             ;   in Loop: Header=BB106_16 Depth=1
	s_or_b64 exec, exec, s[26:27]
	s_waitcnt vmcnt(3)
	v_mul_f32_e32 v30, v21, v29
	v_mul_f32_e32 v31, v20, v29
	v_fma_f32 v30, v20, v28, -v30
	v_fmac_f32_e32 v31, v21, v28
	s_waitcnt vmcnt(2)
	v_mul_f32_e32 v20, v19, v27
	v_mul_f32_e32 v21, v18, v27
	v_fma_f32 v20, v18, v26, -v20
	v_fmac_f32_e32 v21, v19, v26
	v_pk_add_f32 v[8:9], v[8:9], v[30:31]
	v_mov_b32_e32 v18, v17
	v_mov_b32_e32 v19, v16
	v_pk_add_f32 v[8:9], v[8:9], v[20:21]
	s_waitcnt vmcnt(1)
	v_mov_b32_e32 v16, v25
	v_pk_mul_f32 v[20:21], v[18:19], v[24:25] op_sel_hi:[1,0]
	s_nop 0
	v_pk_fma_f32 v[16:17], v[18:19], v[16:17], v[20:21] op_sel:[0,0,1] op_sel_hi:[1,1,0] neg_lo:[1,0,0] neg_hi:[1,0,0]
	v_pk_fma_f32 v[18:19], v[18:19], v[24:25], v[20:21] op_sel:[0,1,1] op_sel_hi:[1,1,0]
	s_nop 0
	v_mov_b32_e32 v17, v19
	v_pk_add_f32 v[8:9], v[8:9], v[16:17]
	s_waitcnt vmcnt(0)
	v_pk_mul_f32 v[16:17], v[14:15], v[22:23] op_sel:[0,1]
	s_nop 0
	v_pk_fma_f32 v[18:19], v[14:15], v[22:23], v[16:17] op_sel:[0,0,1] op_sel_hi:[1,1,0] neg_lo:[0,0,1] neg_hi:[0,0,1]
	v_pk_fma_f32 v[14:15], v[14:15], v[22:23], v[16:17] op_sel:[0,0,1] op_sel_hi:[1,0,0]
	s_nop 0
	v_mov_b32_e32 v19, v15
	v_pk_add_f32 v[8:9], v[8:9], v[18:19]
.LBB106_15:                             ;   in Loop: Header=BB106_16 Depth=1
	s_or_b64 exec, exec, s[6:7]
	v_add_u32_e32 v56, 16, v56
	s_add_i32 s20, s20, s39
	v_cmp_le_i32_e64 s[6:7], s37, v56
	v_add_u32_e32 v57, s38, v57
	v_add_u32_e32 v10, s38, v10
	;; [unrolled: 1-line block ×3, first 2 shown]
	s_or_b64 s[24:25], s[6:7], s[24:25]
	v_add_u32_e32 v11, s38, v11
	s_andn2_b64 exec, exec, s[24:25]
	s_cbranch_execz .LBB106_21
.LBB106_16:                             ; =>This Inner Loop Header: Depth=1
	s_and_saveexec_b64 s[6:7], vcc
	s_cbranch_execz .LBB106_15
; %bb.17:                               ;   in Loop: Header=BB106_16 Depth=1
	v_add_u32_e32 v14, s20, v60
	v_ashrrev_i32_e32 v15, 31, v14
	v_lshl_add_u64 v[22:23], v[14:15], 3, s[18:19]
	v_add_u32_e32 v14, s20, v13
	v_ashrrev_i32_e32 v15, 31, v14
	v_lshl_add_u64 v[24:25], v[14:15], 3, s[18:19]
	;; [unrolled: 3-line block ×4, first 2 shown]
	global_load_dwordx2 v[20:21], v[22:23], off
	global_load_dwordx2 v[18:19], v[24:25], off
	;; [unrolled: 1-line block ×4, first 2 shown]
	v_add_u32_e32 v22, s34, v11
	v_ashrrev_i32_e32 v23, 31, v22
	v_lshl_add_u64 v[40:41], v[22:23], 3, s[16:17]
	v_add_u32_e32 v22, s34, v57
	v_ashrrev_i32_e32 v23, 31, v22
	v_lshl_add_u64 v[46:47], v[22:23], 3, s[16:17]
	;; [unrolled: 3-line block ×4, first 2 shown]
	global_load_dwordx2 v[28:29], v[40:41], off
	global_load_dwordx2 v[26:27], v[46:47], off
	;; [unrolled: 1-line block ×4, first 2 shown]
	s_and_saveexec_b64 s[26:27], s[0:1]
	s_cbranch_execz .LBB106_14
; %bb.18:                               ;   in Loop: Header=BB106_16 Depth=1
	global_load_dwordx2 v[36:37], v[40:41], off offset:512
	global_load_dwordx2 v[34:35], v[46:47], off offset:512
	global_load_dwordx2 v[32:33], v[50:51], off offset:512
	global_load_dwordx2 v[30:31], v[52:53], off offset:512
	s_and_saveexec_b64 s[28:29], s[2:3]
	s_cbranch_execz .LBB106_13
; %bb.19:                               ;   in Loop: Header=BB106_16 Depth=1
	global_load_dwordx2 v[48:49], v[40:41], off offset:1024
	global_load_dwordx2 v[44:45], v[46:47], off offset:1024
	global_load_dwordx2 v[42:43], v[50:51], off offset:1024
	global_load_dwordx2 v[38:39], v[52:53], off offset:1024
	;; [unrolled: 7-line block ×3, first 2 shown]
	s_waitcnt vmcnt(3)
	v_mul_f32_e32 v40, v21, v63
	v_mul_f32_e32 v41, v20, v63
	s_waitcnt vmcnt(2)
	v_mul_f32_e32 v46, v19, v65
	v_mul_f32_e32 v47, v18, v65
	v_fma_f32 v40, v20, v62, -v40
	v_fmac_f32_e32 v41, v21, v62
	s_waitcnt vmcnt(1)
	v_mul_f32_e32 v50, v17, v67
	v_mul_f32_e32 v51, v16, v67
	v_fma_f32 v46, v18, v64, -v46
	v_fmac_f32_e32 v47, v19, v64
	v_add_f32_e32 v0, v0, v40
	v_add_f32_e32 v1, v1, v41
	s_waitcnt vmcnt(0)
	v_mul_f32_e32 v52, v15, v69
	v_mul_f32_e32 v53, v14, v69
	v_fma_f32 v50, v16, v66, -v50
	v_fmac_f32_e32 v51, v17, v66
	v_add_f32_e32 v0, v0, v46
	v_add_f32_e32 v1, v1, v47
	v_fma_f32 v52, v14, v68, -v52
	v_fmac_f32_e32 v53, v15, v68
	v_add_f32_e32 v0, v0, v50
	v_add_f32_e32 v1, v1, v51
	v_add_f32_e32 v0, v0, v52
	v_add_f32_e32 v1, v1, v53
	s_branch .LBB106_12
.LBB106_21:
	s_or_b64 exec, exec, s[24:25]
.LBB106_22:
	s_or_b64 exec, exec, s[22:23]
	s_sub_i32 s0, s9, s37
	s_cmp_lt_i32 s0, 1
	s_cbranch_scc1 .LBB106_40
; %bb.23:
	v_cmp_gt_i32_e32 vcc, s9, v56
	v_mov_b32_e32 v10, 0
	v_or_b32_e32 v20, 1, v56
	v_mov_b32_e32 v11, 0
	v_mov_b32_e32 v12, 0
	;; [unrolled: 1-line block ×7, first 2 shown]
	s_and_saveexec_b64 s[2:3], vcc
	s_cbranch_execz .LBB106_31
; %bb.24:
	v_mul_lo_u32 v10, v56, s36
	v_ashrrev_i32_e32 v11, 31, v10
	v_lshl_add_u64 v[10:11], v[10:11], 3, s[18:19]
	global_load_dwordx2 v[10:11], v[10:11], off
	v_cmp_gt_i32_e64 s[0:1], s9, v20
	v_mov_b32_e32 v17, 0
	v_mov_b32_e32 v16, 0
	;; [unrolled: 1-line block ×6, first 2 shown]
	s_and_saveexec_b64 s[4:5], s[0:1]
	s_cbranch_execz .LBB106_30
; %bb.25:
	v_mul_lo_u32 v12, v20, s36
	v_ashrrev_i32_e32 v13, 31, v12
	v_lshl_add_u64 v[12:13], v[12:13], 3, s[18:19]
	global_load_dwordx2 v[12:13], v[12:13], off
	v_or_b32_e32 v18, 2, v56
	v_cmp_gt_i32_e64 s[0:1], s9, v18
	v_mov_b32_e32 v17, 0
	v_mov_b32_e32 v16, 0
	;; [unrolled: 1-line block ×4, first 2 shown]
	s_and_saveexec_b64 s[6:7], s[0:1]
	s_cbranch_execz .LBB106_29
; %bb.26:
	v_mul_lo_u32 v14, v18, s36
	v_ashrrev_i32_e32 v15, 31, v14
	v_lshl_add_u64 v[14:15], v[14:15], 3, s[18:19]
	global_load_dwordx2 v[14:15], v[14:15], off
	v_or_b32_e32 v18, 3, v56
	v_cmp_gt_i32_e64 s[0:1], s9, v18
	v_mov_b32_e32 v17, 0
	v_mov_b32_e32 v16, 0
	s_and_saveexec_b64 s[20:21], s[0:1]
	s_cbranch_execz .LBB106_28
; %bb.27:
	v_mul_lo_u32 v16, v18, s36
	v_ashrrev_i32_e32 v17, 31, v16
	v_lshl_add_u64 v[16:17], v[16:17], 3, s[18:19]
	global_load_dwordx2 v[16:17], v[16:17], off
.LBB106_28:
	s_or_b64 exec, exec, s[20:21]
.LBB106_29:
	s_or_b64 exec, exec, s[6:7]
.LBB106_30:
	s_or_b64 exec, exec, s[4:5]
.LBB106_31:
	s_or_b64 exec, exec, s[2:3]
	v_cmp_gt_i32_e64 s[0:1], s8, v55
	s_and_saveexec_b64 s[2:3], s[0:1]
	s_cbranch_execz .LBB106_39
; %bb.32:
	v_mul_lo_u32 v18, v56, s35
	v_cndmask_b32_e32 v18, 0, v18, vcc
	v_mul_lo_u32 v21, v20, s35
	v_cmp_gt_i32_e32 vcc, s9, v20
	v_or_b32_e32 v24, 2, v56
	v_add_u32_e32 v18, v18, v55
	v_cndmask_b32_e32 v20, 0, v21, vcc
	v_mul_lo_u32 v25, v24, s35
	v_cmp_gt_i32_e32 vcc, s9, v24
	v_or_b32_e32 v26, 3, v56
	v_ashrrev_i32_e32 v19, 31, v18
	v_add_u32_e32 v20, v20, v55
	v_cndmask_b32_e32 v24, 0, v25, vcc
	v_mul_lo_u32 v27, v26, s35
	v_cmp_gt_i32_e32 vcc, s9, v26
	v_lshl_add_u64 v[18:19], v[18:19], 3, s[16:17]
	v_ashrrev_i32_e32 v21, 31, v20
	v_add_u32_e32 v24, v24, v55
	v_cndmask_b32_e32 v26, 0, v27, vcc
	v_lshl_add_u64 v[22:23], v[20:21], 3, s[16:17]
	global_load_dwordx2 v[20:21], v[18:19], off
	global_load_dwordx2 v[28:29], v[22:23], off
	v_ashrrev_i32_e32 v25, 31, v24
	v_add_u32_e32 v26, v26, v55
	v_lshl_add_u64 v[24:25], v[24:25], 3, s[16:17]
	v_ashrrev_i32_e32 v27, 31, v26
	v_lshl_add_u64 v[26:27], v[26:27], 3, s[16:17]
	global_load_dwordx2 v[30:31], v[24:25], off
	global_load_dwordx2 v[32:33], v[26:27], off
	v_add_u32_e32 v42, 64, v55
	v_cmp_gt_i32_e32 vcc, s8, v42
	s_waitcnt vmcnt(3)
	v_pk_mul_f32 v[34:35], v[10:11], v[20:21] op_sel:[0,1]
	s_waitcnt vmcnt(2)
	v_pk_mul_f32 v[36:37], v[12:13], v[28:29] op_sel:[0,1]
	v_pk_fma_f32 v[38:39], v[10:11], v[20:21], v[34:35] op_sel:[0,0,1] op_sel_hi:[1,1,0] neg_lo:[0,0,1] neg_hi:[0,0,1]
	v_pk_fma_f32 v[20:21], v[10:11], v[20:21], v[34:35] op_sel:[0,0,1] op_sel_hi:[1,0,0]
	v_pk_fma_f32 v[34:35], v[12:13], v[28:29], v[36:37] op_sel:[0,0,1] op_sel_hi:[1,1,0] neg_lo:[0,0,1] neg_hi:[0,0,1]
	v_pk_fma_f32 v[28:29], v[12:13], v[28:29], v[36:37] op_sel:[0,0,1] op_sel_hi:[1,0,0]
	s_waitcnt vmcnt(1)
	v_pk_mul_f32 v[36:37], v[14:15], v[30:31] op_sel:[0,1]
	v_mov_b32_e32 v39, v21
	s_waitcnt vmcnt(0)
	v_pk_mul_f32 v[40:41], v[16:17], v[32:33] op_sel:[0,1]
	v_mov_b32_e32 v35, v29
	v_pk_fma_f32 v[28:29], v[14:15], v[30:31], v[36:37] op_sel:[0,0,1] op_sel_hi:[1,1,0] neg_lo:[0,0,1] neg_hi:[0,0,1]
	v_pk_fma_f32 v[30:31], v[14:15], v[30:31], v[36:37] op_sel:[0,0,1] op_sel_hi:[1,0,0]
	v_pk_add_f32 v[8:9], v[8:9], v[38:39]
	v_pk_fma_f32 v[20:21], v[16:17], v[32:33], v[40:41] op_sel:[0,0,1] op_sel_hi:[1,1,0] neg_lo:[0,0,1] neg_hi:[0,0,1]
	v_pk_fma_f32 v[32:33], v[16:17], v[32:33], v[40:41] op_sel:[0,0,1] op_sel_hi:[1,0,0]
	v_mov_b32_e32 v29, v31
	v_pk_add_f32 v[8:9], v[8:9], v[34:35]
	v_mov_b32_e32 v21, v33
	v_pk_add_f32 v[8:9], v[8:9], v[28:29]
	s_and_saveexec_b64 s[0:1], vcc
	s_cbranch_execz .LBB106_38
; %bb.33:
	global_load_dwordx2 v[30:31], v[18:19], off offset:512
	global_load_dwordx2 v[32:33], v[22:23], off offset:512
	;; [unrolled: 1-line block ×4, first 2 shown]
	v_add_u32_e32 v38, 0x80, v55
	v_cmp_gt_i32_e32 vcc, s8, v38
	s_waitcnt vmcnt(3)
	v_mul_f32_e32 v29, v11, v31
	v_mul_f32_e32 v31, v10, v31
	s_waitcnt vmcnt(2)
	v_mul_f32_e32 v39, v13, v33
	v_mul_f32_e32 v33, v12, v33
	;; [unrolled: 3-line block ×3, first 2 shown]
	v_fma_f32 v37, v10, v30, -v29
	v_fmac_f32_e32 v31, v11, v30
	v_mul_f32_e32 v40, v15, v35
	v_mul_f32_e32 v35, v14, v35
	v_fma_f32 v30, v12, v32, -v39
	v_fmac_f32_e32 v33, v13, v32
	v_add_f32_e32 v6, v6, v37
	v_add_f32_e32 v7, v7, v31
	v_fma_f32 v32, v14, v34, -v40
	v_fmac_f32_e32 v35, v15, v34
	v_add_f32_e32 v6, v6, v30
	v_add_f32_e32 v7, v7, v33
	;; [unrolled: 4-line block ×3, first 2 shown]
	s_and_saveexec_b64 s[4:5], vcc
	s_cbranch_execz .LBB106_37
; %bb.34:
	global_load_dwordx2 v[32:33], v[18:19], off offset:1024
	global_load_dwordx2 v[34:35], v[22:23], off offset:1024
	;; [unrolled: 1-line block ×4, first 2 shown]
	v_add_u32_e32 v40, 0xc0, v55
	v_cmp_gt_i32_e32 vcc, s8, v40
	s_waitcnt vmcnt(3)
	v_mul_f32_e32 v31, v11, v33
	v_mul_f32_e32 v33, v10, v33
	s_waitcnt vmcnt(2)
	v_mul_f32_e32 v41, v13, v35
	v_mul_f32_e32 v35, v12, v35
	;; [unrolled: 3-line block ×3, first 2 shown]
	v_fma_f32 v39, v10, v32, -v31
	v_fmac_f32_e32 v33, v11, v32
	v_mul_f32_e32 v42, v15, v37
	v_mul_f32_e32 v37, v14, v37
	v_fma_f32 v32, v12, v34, -v41
	v_fmac_f32_e32 v35, v13, v34
	v_add_f32_e32 v4, v4, v39
	v_add_f32_e32 v5, v5, v33
	v_fma_f32 v34, v14, v36, -v42
	v_fmac_f32_e32 v37, v15, v36
	v_add_f32_e32 v4, v4, v32
	v_add_f32_e32 v5, v5, v35
	;; [unrolled: 4-line block ×3, first 2 shown]
	s_and_saveexec_b64 s[6:7], vcc
	s_cbranch_execz .LBB106_36
; %bb.35:
	global_load_dwordx2 v[32:33], v[18:19], off offset:1536
	global_load_dwordx2 v[34:35], v[22:23], off offset:1536
	;; [unrolled: 1-line block ×4, first 2 shown]
	s_waitcnt vmcnt(3)
	v_mul_f32_e32 v18, v11, v33
	v_mul_f32_e32 v19, v10, v33
	s_waitcnt vmcnt(2)
	v_mul_f32_e32 v22, v13, v35
	v_mul_f32_e32 v23, v12, v35
	v_fma_f32 v10, v10, v32, -v18
	v_fmac_f32_e32 v19, v11, v32
	s_waitcnt vmcnt(1)
	v_mul_f32_e32 v24, v15, v37
	v_mul_f32_e32 v25, v14, v37
	v_fma_f32 v11, v12, v34, -v22
	v_fmac_f32_e32 v23, v13, v34
	v_add_f32_e32 v0, v0, v10
	v_add_f32_e32 v1, v1, v19
	s_waitcnt vmcnt(0)
	v_mul_f32_e32 v26, v17, v39
	v_mul_f32_e32 v27, v16, v39
	v_fma_f32 v12, v14, v36, -v24
	v_fmac_f32_e32 v25, v15, v36
	v_add_f32_e32 v0, v0, v11
	v_add_f32_e32 v1, v1, v23
	v_fma_f32 v13, v16, v38, -v26
	v_fmac_f32_e32 v27, v17, v38
	v_add_f32_e32 v0, v0, v12
	v_add_f32_e32 v1, v1, v25
	;; [unrolled: 1-line block ×4, first 2 shown]
.LBB106_36:
	s_or_b64 exec, exec, s[6:7]
	v_add_f32_e32 v4, v4, v31
	v_add_f32_e32 v5, v5, v30
.LBB106_37:
	s_or_b64 exec, exec, s[4:5]
	v_add_f32_e32 v6, v6, v29
	v_add_f32_e32 v7, v7, v28
.LBB106_38:
	s_or_b64 exec, exec, s[0:1]
	v_pk_add_f32 v[8:9], v[8:9], v[20:21]
.LBB106_39:
	s_or_b64 exec, exec, s[2:3]
.LBB106_40:
	s_waitcnt vmcnt(0)
	v_lshlrev_b32_e32 v10, 8, v54
	s_movk_i32 s0, 0x100
	v_add_lshl_u32 v2, v10, v2, 3
	v_cmp_gt_u32_e32 vcc, s0, v3
	ds_write2st64_b64 v2, v[8:9], v[6:7] offset1:1
	ds_write2st64_b64 v2, v[4:5], v[0:1] offset0:2 offset1:3
	s_waitcnt lgkmcnt(0)
	s_barrier
	s_and_saveexec_b64 s[0:1], vcc
	s_cbranch_execz .LBB106_45
; %bb.41:
	v_lshlrev_b32_e32 v5, 3, v3
	ds_read2st64_b64 v[6:9], v5 offset1:4
	ds_read2st64_b64 v[10:13], v5 offset0:8 offset1:12
	v_or_b32_e32 v4, s34, v3
	v_cmp_gt_i32_e32 vcc, s8, v4
	s_waitcnt lgkmcnt(1)
	v_pk_add_f32 v[0:1], v[6:7], v[8:9]
	s_waitcnt lgkmcnt(0)
	v_pk_add_f32 v[0:1], v[0:1], v[10:11]
	s_nop 0
	v_pk_add_f32 v[2:3], v[0:1], v[12:13]
	ds_write_b64 v5, v[2:3]
	s_and_b64 exec, exec, vcc
	s_cbranch_execz .LBB106_45
; %bb.42:
	v_cmp_neq_f32_e64 s[0:1], s12, 0
	v_cmp_neq_f32_e64 s[2:3], s13, 0
	v_mul_lo_u32 v4, v4, s33
	v_pk_mul_f32 v[6:7], v[2:3], s[10:11] op_sel:[1,0]
	v_ashrrev_i32_e32 v5, 31, v4
	s_or_b64 s[0:1], s[0:1], s[2:3]
	v_pk_fma_f32 v[0:1], v[2:3], s[10:11], v[6:7] op_sel:[0,0,1] op_sel_hi:[0,1,0] neg_lo:[0,0,1] neg_hi:[0,0,1]
	v_pk_fma_f32 v[2:3], v[2:3], s[10:11], v[6:7] op_sel:[0,0,1] op_sel_hi:[0,1,0]
	s_andn2_b64 vcc, exec, s[0:1]
	v_lshl_add_u64 v[4:5], v[4:5], 3, s[14:15]
	s_cbranch_vccnz .LBB106_44
; %bb.43:
	global_load_dwordx2 v[6:7], v[4:5], off
	v_mov_b32_e32 v1, v3
	s_waitcnt vmcnt(0)
	v_pk_mul_f32 v[2:3], s[12:13], v[6:7] op_sel:[0,1]
	s_nop 0
	v_pk_fma_f32 v[8:9], s[12:13], v[6:7], v[2:3] op_sel:[0,0,1] op_sel_hi:[1,1,0] neg_lo:[0,0,1] neg_hi:[0,0,1]
	v_pk_fma_f32 v[2:3], s[12:13], v[6:7], v[2:3] op_sel:[0,0,1] op_sel_hi:[1,0,0]
	s_nop 0
	v_mov_b32_e32 v9, v3
	v_pk_add_f32 v[0:1], v[0:1], v[8:9]
	s_nop 0
	v_mov_b32_e32 v3, v1
.LBB106_44:
	v_mov_b32_e32 v1, v3
	global_store_dwordx2 v[4:5], v[0:1], off
.LBB106_45:
	s_endpgm
	.section	.rodata,"a",@progbits
	.p2align	6, 0x0
	.amdhsa_kernel _ZL20rocblas_gemvn_kernelILi64ELi4Ei19rocblas_complex_numIfES1_S1_EviiT3_lPKT2_lT1_lS5_lS6_lS2_lPT4_lS6_li
		.amdhsa_group_segment_fixed_size 8192
		.amdhsa_private_segment_fixed_size 0
		.amdhsa_kernarg_size 400
		.amdhsa_user_sgpr_count 2
		.amdhsa_user_sgpr_dispatch_ptr 0
		.amdhsa_user_sgpr_queue_ptr 0
		.amdhsa_user_sgpr_kernarg_segment_ptr 1
		.amdhsa_user_sgpr_dispatch_id 0
		.amdhsa_user_sgpr_kernarg_preload_length 0
		.amdhsa_user_sgpr_kernarg_preload_offset 0
		.amdhsa_user_sgpr_private_segment_size 0
		.amdhsa_uses_dynamic_stack 0
		.amdhsa_enable_private_segment 0
		.amdhsa_system_sgpr_workgroup_id_x 1
		.amdhsa_system_sgpr_workgroup_id_y 0
		.amdhsa_system_sgpr_workgroup_id_z 1
		.amdhsa_system_sgpr_workgroup_info 0
		.amdhsa_system_vgpr_workitem_id 1
		.amdhsa_next_free_vgpr 70
		.amdhsa_next_free_sgpr 40
		.amdhsa_accum_offset 72
		.amdhsa_reserve_vcc 1
		.amdhsa_float_round_mode_32 0
		.amdhsa_float_round_mode_16_64 0
		.amdhsa_float_denorm_mode_32 3
		.amdhsa_float_denorm_mode_16_64 3
		.amdhsa_dx10_clamp 1
		.amdhsa_ieee_mode 1
		.amdhsa_fp16_overflow 0
		.amdhsa_tg_split 0
		.amdhsa_exception_fp_ieee_invalid_op 0
		.amdhsa_exception_fp_denorm_src 0
		.amdhsa_exception_fp_ieee_div_zero 0
		.amdhsa_exception_fp_ieee_overflow 0
		.amdhsa_exception_fp_ieee_underflow 0
		.amdhsa_exception_fp_ieee_inexact 0
		.amdhsa_exception_int_div_zero 0
	.end_amdhsa_kernel
	.section	.text._ZL20rocblas_gemvn_kernelILi64ELi4Ei19rocblas_complex_numIfES1_S1_EviiT3_lPKT2_lT1_lS5_lS6_lS2_lPT4_lS6_li,"axG",@progbits,_ZL20rocblas_gemvn_kernelILi64ELi4Ei19rocblas_complex_numIfES1_S1_EviiT3_lPKT2_lT1_lS5_lS6_lS2_lPT4_lS6_li,comdat
.Lfunc_end106:
	.size	_ZL20rocblas_gemvn_kernelILi64ELi4Ei19rocblas_complex_numIfES1_S1_EviiT3_lPKT2_lT1_lS5_lS6_lS2_lPT4_lS6_li, .Lfunc_end106-_ZL20rocblas_gemvn_kernelILi64ELi4Ei19rocblas_complex_numIfES1_S1_EviiT3_lPKT2_lT1_lS5_lS6_lS2_lPT4_lS6_li
                                        ; -- End function
	.section	.AMDGPU.csdata,"",@progbits
; Kernel info:
; codeLenInByte = 3232
; NumSgprs: 46
; NumVgprs: 70
; NumAgprs: 0
; TotalNumVgprs: 70
; ScratchSize: 0
; MemoryBound: 0
; FloatMode: 240
; IeeeMode: 1
; LDSByteSize: 8192 bytes/workgroup (compile time only)
; SGPRBlocks: 5
; VGPRBlocks: 8
; NumSGPRsForWavesPerEU: 46
; NumVGPRsForWavesPerEU: 70
; AccumOffset: 72
; Occupancy: 7
; WaveLimiterHint : 1
; COMPUTE_PGM_RSRC2:SCRATCH_EN: 0
; COMPUTE_PGM_RSRC2:USER_SGPR: 2
; COMPUTE_PGM_RSRC2:TRAP_HANDLER: 0
; COMPUTE_PGM_RSRC2:TGID_X_EN: 1
; COMPUTE_PGM_RSRC2:TGID_Y_EN: 0
; COMPUTE_PGM_RSRC2:TGID_Z_EN: 1
; COMPUTE_PGM_RSRC2:TIDIG_COMP_CNT: 1
; COMPUTE_PGM_RSRC3_GFX90A:ACCUM_OFFSET: 17
; COMPUTE_PGM_RSRC3_GFX90A:TG_SPLIT: 0
	.section	.text._ZL20rocblas_gemvn_kernelILi64ELi4El19rocblas_complex_numIfES1_S1_EviiT3_lPKT2_lT1_lS5_lS6_lS2_lPT4_lS6_li,"axG",@progbits,_ZL20rocblas_gemvn_kernelILi64ELi4El19rocblas_complex_numIfES1_S1_EviiT3_lPKT2_lT1_lS5_lS6_lS2_lPT4_lS6_li,comdat
	.globl	_ZL20rocblas_gemvn_kernelILi64ELi4El19rocblas_complex_numIfES1_S1_EviiT3_lPKT2_lT1_lS5_lS6_lS2_lPT4_lS6_li ; -- Begin function _ZL20rocblas_gemvn_kernelILi64ELi4El19rocblas_complex_numIfES1_S1_EviiT3_lPKT2_lT1_lS5_lS6_lS2_lPT4_lS6_li
	.p2align	8
	.type	_ZL20rocblas_gemvn_kernelILi64ELi4El19rocblas_complex_numIfES1_S1_EviiT3_lPKT2_lT1_lS5_lS6_lS2_lPT4_lS6_li,@function
_ZL20rocblas_gemvn_kernelILi64ELi4El19rocblas_complex_numIfES1_S1_EviiT3_lPKT2_lT1_lS5_lS6_lS2_lPT4_lS6_li: ; @_ZL20rocblas_gemvn_kernelILi64ELi4El19rocblas_complex_numIfES1_S1_EviiT3_lPKT2_lT1_lS5_lS6_lS2_lPT4_lS6_li
; %bb.0:
	s_load_dwordx2 s[4:5], s[0:1], 0x9c
	s_waitcnt lgkmcnt(0)
	s_lshr_b32 s6, s4, 16
	s_and_b32 s4, s4, 0xffff
	s_and_b32 s5, s5, 0xffff
	s_mul_i32 s4, s6, s4
	s_mul_i32 s4, s4, s5
	s_cmpk_lg_i32 s4, 0x100
	s_cbranch_scc1 .LBB107_45
; %bb.1:
	s_load_dwordx4 s[28:31], s[0:1], 0x0
	s_load_dwordx2 s[34:35], s[0:1], 0x58
	s_waitcnt lgkmcnt(0)
	v_cmp_eq_f32_e64 s[4:5], s30, 0
	v_cmp_eq_f32_e64 s[6:7], s31, 0
	v_cmp_eq_f32_e64 s[8:9], s34, 1.0
	v_cmp_eq_f32_e64 s[10:11], s35, 0
	s_and_b64 s[4:5], s[4:5], s[6:7]
	s_and_b64 s[6:7], s[8:9], s[10:11]
	;; [unrolled: 1-line block ×3, first 2 shown]
	s_and_b64 vcc, exec, s[4:5]
	s_cbranch_vccnz .LBB107_45
; %bb.2:
	s_load_dwordx8 s[20:27], s[0:1], 0x68
	v_and_b32_e32 v63, 0x3ff, v0
	v_bfe_u32 v64, v0, 10, 10
	v_lshl_add_u32 v62, v64, 6, v63
	s_waitcnt lgkmcnt(0)
	s_mul_i32 s5, s3, s27
	s_mul_hi_u32 s6, s3, s26
	s_mul_i32 s4, s3, s26
	s_add_i32 s5, s6, s5
	s_lshl_b64 s[4:5], s[4:5], 3
	s_add_u32 s6, s20, s4
	s_addc_u32 s7, s21, s5
	s_lshl_b64 s[4:5], s[22:23], 3
	s_add_u32 s26, s6, s4
	s_addc_u32 s27, s7, s5
	s_or_b32 s4, s30, s31
	s_bitset0_b32 s4, 31
	s_cmp_lg_u32 s4, 0
	s_mov_b64 s[4:5], -1
	s_cbranch_scc1 .LBB107_9
; %bb.3:
	s_movk_i32 s4, 0x100
	v_cmp_gt_u32_e32 vcc, s4, v62
	s_and_saveexec_b64 s[4:5], vcc
	s_cbranch_execz .LBB107_8
; %bb.4:
	v_lshl_or_b32 v0, s2, 8, v62
	v_mov_b32_e32 v1, 0
	s_ashr_i32 s7, s28, 31
	s_mov_b32 s6, s28
	v_cmp_gt_i64_e32 vcc, s[6:7], v[0:1]
	s_and_b64 exec, exec, vcc
	s_cbranch_execz .LBB107_8
; %bb.5:
	v_mad_u64_u32 v[2:3], s[10:11], v0, s24, 0
	v_mov_b32_e32 v4, v3
	v_cmp_neq_f32_e64 s[6:7], s34, 0
	v_cmp_neq_f32_e64 s[8:9], s35, 0
	v_mad_u64_u32 v[4:5], s[10:11], v0, s25, v[4:5]
	v_mov_b32_e32 v3, v4
	s_or_b64 s[6:7], s[6:7], s[8:9]
	s_andn2_b64 vcc, exec, s[6:7]
	v_lshl_add_u64 v[2:3], v[2:3], 3, s[26:27]
	v_mov_b32_e32 v5, v1
	s_cbranch_vccnz .LBB107_7
; %bb.6:
	global_load_dwordx2 v[0:1], v[2:3], off
	s_waitcnt vmcnt(0)
	v_pk_mul_f32 v[4:5], s[34:35], v[0:1] op_sel:[0,1]
	s_nop 0
	v_pk_fma_f32 v[6:7], s[34:35], v[0:1], v[4:5] op_sel:[0,0,1] op_sel_hi:[1,1,0] neg_lo:[0,0,1] neg_hi:[0,0,1]
	v_pk_fma_f32 v[4:5], s[34:35], v[0:1], v[4:5] op_sel:[0,0,1] op_sel_hi:[1,0,0]
	v_mov_b32_e32 v1, v6
.LBB107_7:
	v_mov_b32_e32 v4, v1
	global_store_dwordx2 v[2:3], v[4:5], off
.LBB107_8:
	s_or_b64 exec, exec, s[4:5]
	s_mov_b64 s[4:5], 0
.LBB107_9:
	s_andn2_b64 vcc, exec, s[4:5]
	s_cbranch_vccnz .LBB107_45
; %bb.10:
	s_load_dwordx16 s[8:23], s[0:1], 0x18
	s_mov_b32 s6, 0
	s_lshl_b32 s33, s2, 8
	v_lshlrev_b32_e32 v65, 2, v64
	s_mov_b32 s7, s6
	s_waitcnt lgkmcnt(0)
	s_mul_i32 s0, s3, s15
	s_mul_hi_u32 s1, s3, s14
	s_add_i32 s15, s1, s0
	s_ashr_i32 s0, s29, 31
	s_lshr_b32 s0, s0, 28
	s_add_i32 s0, s29, s0
	s_mul_i32 s4, s3, s23
	s_mul_hi_u32 s5, s3, s22
	s_and_b32 s52, s0, -16
	s_mul_i32 s14, s3, s14
	s_add_i32 s23, s5, s4
	s_mul_i32 s22, s3, s22
	v_add_u32_e32 v2, s33, v63
	v_cmp_gt_i32_e32 vcc, s52, v65
	v_mov_b64_e32 v[8:9], s[6:7]
	v_mov_b32_e32 v1, 0
	v_mov_b32_e32 v0, 0
	;; [unrolled: 1-line block ×6, first 2 shown]
	s_and_saveexec_b64 s[36:37], vcc
	s_cbranch_execz .LBB107_22
; %bb.11:
	v_add_u32_e32 v0, 64, v2
	v_cmp_gt_i32_e64 s[0:1], s28, v0
	v_add_u32_e32 v0, 0x80, v2
	v_cmp_gt_i32_e64 s[2:3], s28, v0
	;; [unrolled: 2-line block ×3, first 2 shown]
	v_mad_u64_u32 v[0:1], s[38:39], s20, v64, 0
	v_mov_b32_e32 v4, v1
	v_mad_u64_u32 v[4:5], s[38:39], s21, v64, v[4:5]
	s_lshl_b64 s[38:39], s[22:23], 3
	s_lshl_b64 s[40:41], s[18:19], 3
	s_add_u32 s40, s16, s40
	v_ashrrev_i32_e32 v3, 31, v2
	s_addc_u32 s41, s17, s41
	v_mov_b32_e32 v1, v4
	s_add_u32 s38, s40, s38
	v_lshlrev_b64 v[12:13], 3, v[2:3]
	v_lshlrev_b32_e32 v3, 2, v64
	v_lshlrev_b64 v[0:1], 5, v[0:1]
	s_addc_u32 s39, s41, s39
	v_or_b32_e32 v5, 3, v3
	v_lshl_add_u64 v[10:11], s[38:39], 0, v[0:1]
	v_mad_u64_u32 v[0:1], s[40:41], s12, v5, 0
	v_mov_b32_e32 v4, v1
	v_mad_u64_u32 v[4:5], s[40:41], s13, v5, v[4:5]
	s_lshl_b64 s[38:39], s[20:21], 7
	s_lshl_b64 s[40:41], s[14:15], 3
	;; [unrolled: 1-line block ×3, first 2 shown]
	s_add_u32 s42, s8, s42
	s_addc_u32 s43, s9, s43
	s_add_u32 s42, s42, s40
	v_mov_b32_e32 v1, v4
	s_addc_u32 s43, s43, s41
	v_lshl_add_u64 v[14:15], v[0:1], 3, s[42:43]
	v_mad_u64_u32 v[0:1], s[44:45], s12, v64, 0
	v_mov_b32_e32 v4, v1
	v_mad_u64_u32 v[4:5], s[44:45], s13, v64, v[4:5]
	v_mov_b32_e32 v1, v4
	v_lshlrev_b64 v[0:1], 5, v[0:1]
	v_or_b32_e32 v5, 2, v3
	v_lshl_add_u64 v[16:17], s[42:43], 0, v[0:1]
	v_mad_u64_u32 v[0:1], s[44:45], s12, v5, 0
	v_mov_b32_e32 v4, v1
	v_mad_u64_u32 v[4:5], s[44:45], s13, v5, v[4:5]
	v_mov_b32_e32 v1, v4
	v_lshl_add_u64 v[18:19], v[0:1], 3, s[42:43]
	v_mov_b64_e32 v[0:1], s[12:13]
	v_mad_u64_u32 v[0:1], s[44:45], s12, v3, v[0:1]
	v_mov_b32_e32 v4, v1
	v_mad_u64_u32 v[4:5], s[44:45], s13, v3, v[4:5]
	v_mov_b32_e32 v1, v4
	v_lshl_add_u64 v[20:21], v[0:1], 3, s[42:43]
	v_mov_b32_e32 v1, 0
	v_cmp_gt_i32_e32 vcc, s28, v2
	s_lshl_b64 s[40:41], s[12:13], 7
	s_lshl_b64 s[44:45], s[20:21], 3
	s_mov_b64 s[42:43], 0
	v_mov_b64_e32 v[8:9], s[6:7]
	v_mov_b32_e32 v0, v1
	v_mov_b32_e32 v5, v1
	;; [unrolled: 1-line block ×5, first 2 shown]
	s_branch .LBB107_16
.LBB107_12:                             ;   in Loop: Header=BB107_16 Depth=1
	s_or_b64 exec, exec, s[50:51]
	s_waitcnt vmcnt(3)
	v_mul_f32_e32 v3, v33, v53
	v_mul_f32_e32 v53, v32, v53
	v_fma_f32 v3, v32, v52, -v3
	v_fmac_f32_e32 v53, v33, v52
	v_add_f32_e32 v3, v4, v3
	v_add_f32_e32 v4, v5, v53
	s_waitcnt vmcnt(2)
	v_mul_f32_e32 v5, v31, v51
	v_fma_f32 v5, v30, v50, -v5
	v_mul_f32_e32 v51, v30, v51
	v_fmac_f32_e32 v51, v31, v50
	v_add_f32_e32 v3, v3, v5
	s_waitcnt vmcnt(1)
	v_mul_f32_e32 v5, v25, v49
	v_mul_f32_e32 v49, v24, v49
	v_add_f32_e32 v4, v4, v51
	v_fma_f32 v5, v24, v48, -v5
	v_fmac_f32_e32 v49, v25, v48
	v_add_f32_e32 v3, v3, v5
	v_add_f32_e32 v5, v4, v49
	s_waitcnt vmcnt(0)
	v_mul_f32_e32 v4, v23, v47
	v_mul_f32_e32 v47, v22, v47
	v_fma_f32 v4, v22, v46, -v4
	v_fmac_f32_e32 v47, v23, v46
	v_add_f32_e32 v4, v3, v4
	v_add_f32_e32 v5, v5, v47
.LBB107_13:                             ;   in Loop: Header=BB107_16 Depth=1
	s_or_b64 exec, exec, s[48:49]
	s_waitcnt vmcnt(3)
	v_mul_f32_e32 v3, v33, v45
	v_mul_f32_e32 v45, v32, v45
	v_fma_f32 v3, v32, v44, -v3
	v_fmac_f32_e32 v45, v33, v44
	v_add_f32_e32 v3, v6, v3
	v_add_f32_e32 v6, v7, v45
	s_waitcnt vmcnt(2)
	v_mul_f32_e32 v7, v31, v43
	v_fma_f32 v7, v30, v42, -v7
	v_mul_f32_e32 v43, v30, v43
	v_fmac_f32_e32 v43, v31, v42
	v_add_f32_e32 v3, v3, v7
	s_waitcnt vmcnt(1)
	v_mul_f32_e32 v7, v25, v41
	v_mul_f32_e32 v41, v24, v41
	v_add_f32_e32 v6, v6, v43
	v_fma_f32 v7, v24, v40, -v7
	v_fmac_f32_e32 v41, v25, v40
	v_add_f32_e32 v3, v3, v7
	v_add_f32_e32 v7, v6, v41
	s_waitcnt vmcnt(0)
	v_mul_f32_e32 v6, v23, v39
	v_mul_f32_e32 v39, v22, v39
	v_fma_f32 v6, v22, v38, -v6
	v_fmac_f32_e32 v39, v23, v38
	v_add_f32_e32 v6, v3, v6
	v_add_f32_e32 v7, v7, v39
.LBB107_14:                             ;   in Loop: Header=BB107_16 Depth=1
	s_or_b64 exec, exec, s[46:47]
	s_waitcnt vmcnt(3)
	v_mul_f32_e32 v3, v33, v37
	v_mul_f32_e32 v39, v32, v37
	v_fma_f32 v38, v32, v36, -v3
	v_fmac_f32_e32 v39, v33, v36
	s_waitcnt vmcnt(2)
	v_mul_f32_e32 v3, v31, v35
	v_mul_f32_e32 v33, v30, v35
	v_fma_f32 v32, v30, v34, -v3
	v_fmac_f32_e32 v33, v31, v34
	v_pk_add_f32 v[8:9], v[8:9], v[38:39]
	v_mov_b32_e32 v30, v25
	v_mov_b32_e32 v31, v24
	v_pk_add_f32 v[8:9], v[8:9], v[32:33]
	s_waitcnt vmcnt(1)
	v_mov_b32_e32 v24, v29
	v_pk_mul_f32 v[32:33], v[30:31], v[28:29] op_sel_hi:[1,0]
	s_nop 0
	v_pk_fma_f32 v[24:25], v[30:31], v[24:25], v[32:33] op_sel:[0,0,1] op_sel_hi:[1,1,0] neg_lo:[1,0,0] neg_hi:[1,0,0]
	v_pk_fma_f32 v[28:29], v[30:31], v[28:29], v[32:33] op_sel:[0,1,1] op_sel_hi:[1,1,0]
	s_nop 0
	v_mov_b32_e32 v25, v29
	v_pk_add_f32 v[8:9], v[8:9], v[24:25]
	s_waitcnt vmcnt(0)
	v_pk_mul_f32 v[24:25], v[22:23], v[26:27] op_sel:[0,1]
	s_nop 0
	v_pk_fma_f32 v[28:29], v[22:23], v[26:27], v[24:25] op_sel:[0,0,1] op_sel_hi:[1,1,0] neg_lo:[0,0,1] neg_hi:[0,0,1]
	v_pk_fma_f32 v[22:23], v[22:23], v[26:27], v[24:25] op_sel:[0,0,1] op_sel_hi:[1,0,0]
	s_nop 0
	v_mov_b32_e32 v29, v23
	v_pk_add_f32 v[8:9], v[8:9], v[28:29]
.LBB107_15:                             ;   in Loop: Header=BB107_16 Depth=1
	s_or_b64 exec, exec, s[6:7]
	v_add_u32_e32 v65, 16, v65
	v_cmp_le_i32_e64 s[6:7], s52, v65
	v_lshl_add_u64 v[10:11], v[10:11], 0, s[38:39]
	v_lshl_add_u64 v[14:15], v[14:15], 0, s[40:41]
	;; [unrolled: 1-line block ×4, first 2 shown]
	s_or_b64 s[42:43], s[6:7], s[42:43]
	v_lshl_add_u64 v[20:21], v[20:21], 0, s[40:41]
	s_andn2_b64 exec, exec, s[42:43]
	s_cbranch_execz .LBB107_21
.LBB107_16:                             ; =>This Inner Loop Header: Depth=1
	s_and_saveexec_b64 s[6:7], vcc
	s_cbranch_execz .LBB107_15
; %bb.17:                               ;   in Loop: Header=BB107_16 Depth=1
	v_lshl_add_u64 v[22:23], v[10:11], 0, s[44:45]
	v_lshl_add_u64 v[26:27], v[22:23], 0, s[44:45]
	global_load_dwordx2 v[30:31], v[22:23], off
	global_load_dwordx2 v[24:25], v[26:27], off
	v_lshl_add_u64 v[26:27], v[26:27], 0, s[44:45]
	v_lshl_add_u64 v[60:61], v[16:17], 0, v[12:13]
	;; [unrolled: 1-line block ×5, first 2 shown]
	global_load_dwordx2 v[32:33], v[10:11], off
	global_load_dwordx2 v[22:23], v[26:27], off
	;; [unrolled: 1-line block ×5, first 2 shown]
	s_nop 0
	global_load_dwordx2 v[26:27], v[54:55], off
	s_and_saveexec_b64 s[46:47], s[0:1]
	s_cbranch_execz .LBB107_14
; %bb.18:                               ;   in Loop: Header=BB107_16 Depth=1
	global_load_dwordx2 v[44:45], v[60:61], off offset:512
	global_load_dwordx2 v[42:43], v[58:59], off offset:512
	;; [unrolled: 1-line block ×4, first 2 shown]
	s_and_saveexec_b64 s[48:49], s[2:3]
	s_cbranch_execz .LBB107_13
; %bb.19:                               ;   in Loop: Header=BB107_16 Depth=1
	global_load_dwordx2 v[52:53], v[60:61], off offset:1024
	global_load_dwordx2 v[50:51], v[58:59], off offset:1024
	;; [unrolled: 1-line block ×4, first 2 shown]
	s_and_saveexec_b64 s[50:51], s[4:5]
	s_cbranch_execz .LBB107_12
; %bb.20:                               ;   in Loop: Header=BB107_16 Depth=1
	global_load_dwordx2 v[60:61], v[60:61], off offset:1536
	s_nop 0
	global_load_dwordx2 v[58:59], v[58:59], off offset:1536
	s_nop 0
	;; [unrolled: 2-line block ×3, first 2 shown]
	global_load_dwordx2 v[54:55], v[54:55], off offset:1536
	s_waitcnt vmcnt(3)
	v_mul_f32_e32 v3, v33, v61
	v_mul_f32_e32 v61, v32, v61
	s_waitcnt vmcnt(2)
	v_mul_f32_e32 v66, v31, v59
	v_mul_f32_e32 v59, v30, v59
	v_fma_f32 v3, v32, v60, -v3
	v_fmac_f32_e32 v61, v33, v60
	s_waitcnt vmcnt(1)
	v_mul_f32_e32 v67, v25, v57
	v_mul_f32_e32 v57, v24, v57
	v_fma_f32 v60, v30, v58, -v66
	v_fmac_f32_e32 v59, v31, v58
	v_add_f32_e32 v0, v0, v3
	v_add_f32_e32 v1, v1, v61
	s_waitcnt vmcnt(0)
	v_mul_f32_e32 v68, v23, v55
	v_mul_f32_e32 v55, v22, v55
	v_fma_f32 v58, v24, v56, -v67
	v_fmac_f32_e32 v57, v25, v56
	v_add_f32_e32 v0, v0, v60
	v_add_f32_e32 v1, v1, v59
	v_fma_f32 v56, v22, v54, -v68
	v_fmac_f32_e32 v55, v23, v54
	v_add_f32_e32 v0, v0, v58
	v_add_f32_e32 v1, v1, v57
	;; [unrolled: 1-line block ×4, first 2 shown]
	s_branch .LBB107_12
.LBB107_21:
	s_or_b64 exec, exec, s[42:43]
.LBB107_22:
	s_or_b64 exec, exec, s[36:37]
	s_sub_i32 s0, s29, s52
	s_cmp_lt_i32 s0, 1
	s_cbranch_scc1 .LBB107_40
; %bb.23:
	v_cmp_gt_i32_e32 vcc, s29, v65
	v_mov_b32_e32 v10, 0
	v_or_b32_e32 v20, 1, v65
	v_mov_b32_e32 v11, 0
	v_mov_b32_e32 v12, 0
	;; [unrolled: 1-line block ×7, first 2 shown]
	s_and_saveexec_b64 s[2:3], vcc
	s_cbranch_execz .LBB107_31
; %bb.24:
	s_lshl_b64 s[0:1], s[22:23], 3
	s_add_u32 s4, s16, s0
	s_addc_u32 s5, s17, s1
	s_lshl_b64 s[0:1], s[18:19], 3
	s_add_u32 s6, s4, s0
	s_addc_u32 s7, s5, s1
	v_mad_u64_u32 v[10:11], s[0:1], v65, s20, 0
	v_mov_b32_e32 v12, v11
	v_mad_u64_u32 v[12:13], s[0:1], v65, s21, v[12:13]
	v_mov_b32_e32 v11, v12
	v_lshl_add_u64 v[10:11], v[10:11], 3, s[6:7]
	global_load_dwordx2 v[10:11], v[10:11], off
	v_cmp_gt_i32_e64 s[0:1], s29, v20
	v_mov_b32_e32 v17, 0
	v_mov_b32_e32 v16, 0
	;; [unrolled: 1-line block ×6, first 2 shown]
	s_and_saveexec_b64 s[4:5], s[0:1]
	s_cbranch_execz .LBB107_30
; %bb.25:
	v_mad_u64_u32 v[12:13], s[0:1], v20, s20, 0
	v_mov_b32_e32 v14, v13
	v_mad_u64_u32 v[14:15], s[0:1], v20, s21, v[14:15]
	v_mov_b32_e32 v13, v14
	v_lshl_add_u64 v[12:13], v[12:13], 3, s[6:7]
	global_load_dwordx2 v[12:13], v[12:13], off
	v_or_b32_e32 v3, 2, v65
	v_cmp_gt_i32_e64 s[0:1], s29, v3
	v_mov_b32_e32 v17, 0
	v_mov_b32_e32 v16, 0
	;; [unrolled: 1-line block ×4, first 2 shown]
	s_and_saveexec_b64 s[16:17], s[0:1]
	s_cbranch_execz .LBB107_29
; %bb.26:
	v_mad_u64_u32 v[14:15], s[0:1], v3, s20, 0
	v_mov_b32_e32 v16, v15
	v_mad_u64_u32 v[16:17], s[0:1], v3, s21, v[16:17]
	v_mov_b32_e32 v15, v16
	v_lshl_add_u64 v[14:15], v[14:15], 3, s[6:7]
	global_load_dwordx2 v[14:15], v[14:15], off
	v_or_b32_e32 v3, 3, v65
	v_cmp_gt_i32_e64 s[0:1], s29, v3
	v_mov_b32_e32 v17, 0
	v_mov_b32_e32 v16, 0
	s_and_saveexec_b64 s[18:19], s[0:1]
	s_cbranch_execz .LBB107_28
; %bb.27:
	v_mad_u64_u32 v[16:17], s[0:1], v3, s20, 0
	v_mov_b32_e32 v18, v17
	v_mad_u64_u32 v[18:19], s[0:1], v3, s21, v[18:19]
	v_mov_b32_e32 v17, v18
	v_lshl_add_u64 v[16:17], v[16:17], 3, s[6:7]
	global_load_dwordx2 v[16:17], v[16:17], off
.LBB107_28:
	s_or_b64 exec, exec, s[18:19]
.LBB107_29:
	s_or_b64 exec, exec, s[16:17]
.LBB107_30:
	s_or_b64 exec, exec, s[4:5]
.LBB107_31:
	s_or_b64 exec, exec, s[2:3]
	v_cmp_gt_i32_e64 s[0:1], s28, v2
	s_and_saveexec_b64 s[2:3], s[0:1]
	s_cbranch_execz .LBB107_39
; %bb.32:
	s_lshl_b64 s[0:1], s[14:15], 3
	s_add_u32 s4, s8, s0
	s_addc_u32 s5, s9, s1
	s_lshl_b64 s[0:1], s[10:11], 3
	s_add_u32 s0, s4, s0
	s_addc_u32 s1, s5, s1
	v_mad_u64_u32 v[18:19], s[4:5], v65, s12, 0
	v_mov_b32_e32 v22, v19
	v_mad_u64_u32 v[22:23], s[4:5], v65, s13, v[22:23]
	v_cndmask_b32_e32 v19, 0, v22, vcc
	v_mad_u64_u32 v[22:23], s[4:5], v20, s12, 0
	v_mov_b32_e32 v24, v23
	v_cndmask_b32_e32 v18, 0, v18, vcc
	v_mad_u64_u32 v[24:25], s[4:5], v20, s13, v[24:25]
	v_cmp_gt_i32_e32 vcc, s29, v20
	v_ashrrev_i32_e32 v3, 31, v2
	v_lshlrev_b64 v[26:27], 3, v[2:3]
	v_cndmask_b32_e32 v20, 0, v22, vcc
	v_cndmask_b32_e32 v21, 0, v24, vcc
	v_lshl_add_u64 v[20:21], v[20:21], 3, s[0:1]
	v_or_b32_e32 v3, 2, v65
	v_lshl_add_u64 v[22:23], v[20:21], 0, v[26:27]
	v_mad_u64_u32 v[20:21], s[4:5], v3, s12, 0
	v_mov_b32_e32 v24, v21
	v_mad_u64_u32 v[24:25], s[4:5], v3, s13, v[24:25]
	v_cmp_gt_i32_e32 vcc, s29, v3
	v_or_b32_e32 v3, 3, v65
	v_lshl_add_u64 v[18:19], v[18:19], 3, s[0:1]
	v_cndmask_b32_e32 v20, 0, v20, vcc
	v_cndmask_b32_e32 v21, 0, v24, vcc
	v_lshl_add_u64 v[20:21], v[20:21], 3, s[0:1]
	v_lshl_add_u64 v[24:25], v[20:21], 0, v[26:27]
	v_mad_u64_u32 v[20:21], s[4:5], v3, s12, 0
	v_mov_b32_e32 v28, v21
	v_mad_u64_u32 v[28:29], s[4:5], v3, s13, v[28:29]
	v_cmp_gt_i32_e32 vcc, s29, v3
	v_lshl_add_u64 v[18:19], v[18:19], 0, v[26:27]
	v_add_u32_e32 v3, 64, v2
	v_cndmask_b32_e32 v20, 0, v20, vcc
	v_cndmask_b32_e32 v21, 0, v28, vcc
	v_lshl_add_u64 v[20:21], v[20:21], 3, s[0:1]
	v_lshl_add_u64 v[26:27], v[20:21], 0, v[26:27]
	global_load_dwordx2 v[20:21], v[18:19], off
	global_load_dwordx2 v[28:29], v[22:23], off
	;; [unrolled: 1-line block ×4, first 2 shown]
	v_cmp_gt_i32_e32 vcc, s28, v3
	s_waitcnt vmcnt(3)
	v_pk_mul_f32 v[34:35], v[10:11], v[20:21] op_sel:[0,1]
	s_waitcnt vmcnt(2)
	v_pk_mul_f32 v[36:37], v[12:13], v[28:29] op_sel:[0,1]
	v_pk_fma_f32 v[42:43], v[10:11], v[20:21], v[34:35] op_sel:[0,0,1] op_sel_hi:[1,1,0] neg_lo:[0,0,1] neg_hi:[0,0,1]
	v_pk_fma_f32 v[34:35], v[10:11], v[20:21], v[34:35] op_sel:[0,0,1] op_sel_hi:[1,0,0]
	s_waitcnt vmcnt(1)
	v_pk_mul_f32 v[38:39], v[14:15], v[30:31] op_sel:[0,1]
	v_pk_fma_f32 v[44:45], v[12:13], v[28:29], v[36:37] op_sel:[0,0,1] op_sel_hi:[1,1,0] neg_lo:[0,0,1] neg_hi:[0,0,1]
	v_pk_fma_f32 v[28:29], v[12:13], v[28:29], v[36:37] op_sel:[0,0,1] op_sel_hi:[1,0,0]
	v_mov_b32_e32 v43, v35
	s_waitcnt vmcnt(0)
	v_pk_mul_f32 v[40:41], v[16:17], v[32:33] op_sel:[0,1]
	v_pk_fma_f32 v[36:37], v[14:15], v[30:31], v[38:39] op_sel:[0,0,1] op_sel_hi:[1,1,0] neg_lo:[0,0,1] neg_hi:[0,0,1]
	v_pk_fma_f32 v[30:31], v[14:15], v[30:31], v[38:39] op_sel:[0,0,1] op_sel_hi:[1,0,0]
	v_mov_b32_e32 v45, v29
	v_pk_add_f32 v[8:9], v[8:9], v[42:43]
	v_pk_fma_f32 v[20:21], v[16:17], v[32:33], v[40:41] op_sel:[0,0,1] op_sel_hi:[1,1,0] neg_lo:[0,0,1] neg_hi:[0,0,1]
	v_pk_fma_f32 v[32:33], v[16:17], v[32:33], v[40:41] op_sel:[0,0,1] op_sel_hi:[1,0,0]
	v_mov_b32_e32 v37, v31
	v_pk_add_f32 v[8:9], v[8:9], v[44:45]
	v_mov_b32_e32 v21, v33
	v_pk_add_f32 v[8:9], v[8:9], v[36:37]
	s_and_saveexec_b64 s[0:1], vcc
	s_cbranch_execz .LBB107_38
; %bb.33:
	global_load_dwordx2 v[28:29], v[18:19], off offset:512
	global_load_dwordx2 v[30:31], v[22:23], off offset:512
	;; [unrolled: 1-line block ×4, first 2 shown]
	v_add_u32_e32 v36, 0x80, v2
	v_cmp_gt_i32_e32 vcc, s28, v36
	s_waitcnt vmcnt(3)
	v_mul_f32_e32 v37, v11, v29
	v_mul_f32_e32 v29, v10, v29
	s_waitcnt vmcnt(2)
	v_mul_f32_e32 v38, v13, v31
	v_mul_f32_e32 v31, v12, v31
	;; [unrolled: 3-line block ×3, first 2 shown]
	v_fma_f32 v35, v10, v28, -v37
	v_fmac_f32_e32 v29, v11, v28
	v_mul_f32_e32 v39, v15, v33
	v_mul_f32_e32 v33, v14, v33
	v_fma_f32 v37, v12, v30, -v38
	v_fmac_f32_e32 v31, v13, v30
	v_add_f32_e32 v6, v6, v35
	v_add_f32_e32 v7, v7, v29
	v_fma_f32 v30, v14, v32, -v39
	v_fmac_f32_e32 v33, v15, v32
	v_add_f32_e32 v6, v6, v37
	v_add_f32_e32 v7, v7, v31
	;; [unrolled: 4-line block ×3, first 2 shown]
	s_and_saveexec_b64 s[4:5], vcc
	s_cbranch_execz .LBB107_37
; %bb.34:
	global_load_dwordx2 v[30:31], v[18:19], off offset:1024
	global_load_dwordx2 v[32:33], v[22:23], off offset:1024
	;; [unrolled: 1-line block ×4, first 2 shown]
	v_add_u32_e32 v38, 0xc0, v2
	v_cmp_gt_i32_e32 vcc, s28, v38
	s_waitcnt vmcnt(3)
	v_mul_f32_e32 v29, v11, v31
	v_mul_f32_e32 v31, v10, v31
	s_waitcnt vmcnt(2)
	v_mul_f32_e32 v39, v13, v33
	v_mul_f32_e32 v33, v12, v33
	;; [unrolled: 3-line block ×3, first 2 shown]
	v_fma_f32 v37, v10, v30, -v29
	v_fmac_f32_e32 v31, v11, v30
	v_mul_f32_e32 v40, v15, v35
	v_mul_f32_e32 v35, v14, v35
	v_fma_f32 v30, v12, v32, -v39
	v_fmac_f32_e32 v33, v13, v32
	v_add_f32_e32 v4, v4, v37
	v_add_f32_e32 v5, v5, v31
	v_fma_f32 v32, v14, v34, -v40
	v_fmac_f32_e32 v35, v15, v34
	v_add_f32_e32 v4, v4, v30
	v_add_f32_e32 v5, v5, v33
	;; [unrolled: 4-line block ×3, first 2 shown]
	s_and_saveexec_b64 s[6:7], vcc
	s_cbranch_execz .LBB107_36
; %bb.35:
	global_load_dwordx2 v[30:31], v[18:19], off offset:1536
	global_load_dwordx2 v[32:33], v[22:23], off offset:1536
	;; [unrolled: 1-line block ×4, first 2 shown]
	s_waitcnt vmcnt(3)
	v_mul_f32_e32 v18, v11, v31
	v_mul_f32_e32 v19, v10, v31
	s_waitcnt vmcnt(2)
	v_mul_f32_e32 v22, v13, v33
	v_mul_f32_e32 v23, v12, v33
	v_fma_f32 v10, v10, v30, -v18
	v_fmac_f32_e32 v19, v11, v30
	s_waitcnt vmcnt(1)
	v_mul_f32_e32 v24, v15, v35
	v_mul_f32_e32 v25, v14, v35
	v_fma_f32 v11, v12, v32, -v22
	v_fmac_f32_e32 v23, v13, v32
	v_add_f32_e32 v0, v0, v10
	v_add_f32_e32 v1, v1, v19
	s_waitcnt vmcnt(0)
	v_mul_f32_e32 v26, v17, v37
	v_mul_f32_e32 v27, v16, v37
	v_fma_f32 v12, v14, v34, -v24
	v_fmac_f32_e32 v25, v15, v34
	v_add_f32_e32 v0, v0, v11
	v_add_f32_e32 v1, v1, v23
	v_fma_f32 v13, v16, v36, -v26
	v_fmac_f32_e32 v27, v17, v36
	v_add_f32_e32 v0, v0, v12
	v_add_f32_e32 v1, v1, v25
	;; [unrolled: 1-line block ×4, first 2 shown]
.LBB107_36:
	s_or_b64 exec, exec, s[6:7]
	v_add_f32_e32 v4, v4, v29
	v_add_f32_e32 v5, v5, v2
.LBB107_37:
	s_or_b64 exec, exec, s[4:5]
	v_add_f32_e32 v6, v6, v28
	v_add_f32_e32 v7, v7, v3
.LBB107_38:
	s_or_b64 exec, exec, s[0:1]
	v_pk_add_f32 v[8:9], v[8:9], v[20:21]
.LBB107_39:
	s_or_b64 exec, exec, s[2:3]
.LBB107_40:
	v_lshlrev_b32_e32 v2, 8, v64
	s_movk_i32 s0, 0x100
	v_add_lshl_u32 v2, v2, v63, 3
	v_cmp_gt_u32_e32 vcc, s0, v62
	ds_write2st64_b64 v2, v[8:9], v[6:7] offset1:1
	ds_write2st64_b64 v2, v[4:5], v[0:1] offset0:2 offset1:3
	s_waitcnt lgkmcnt(0)
	s_barrier
	s_and_saveexec_b64 s[0:1], vcc
	s_cbranch_execz .LBB107_45
; %bb.41:
	v_lshlrev_b32_e32 v5, 3, v62
	ds_read2st64_b64 v[0:3], v5 offset1:4
	ds_read2st64_b64 v[6:9], v5 offset0:8 offset1:12
	v_or_b32_e32 v4, s33, v62
	v_cmp_gt_i32_e32 vcc, s28, v4
	s_waitcnt lgkmcnt(1)
	v_pk_add_f32 v[0:1], v[0:1], v[2:3]
	s_waitcnt lgkmcnt(0)
	v_pk_add_f32 v[0:1], v[0:1], v[6:7]
	s_nop 0
	v_pk_add_f32 v[2:3], v[0:1], v[8:9]
	ds_write_b64 v5, v[2:3]
	s_and_b64 exec, exec, vcc
	s_cbranch_execz .LBB107_45
; %bb.42:
	v_pk_mul_f32 v[6:7], v[2:3], s[30:31] op_sel:[1,0]
	v_cmp_neq_f32_e64 s[0:1], s34, 0
	v_pk_fma_f32 v[0:1], v[2:3], s[30:31], v[6:7] op_sel:[0,0,1] op_sel_hi:[0,1,0] neg_lo:[0,0,1] neg_hi:[0,0,1]
	v_pk_fma_f32 v[2:3], v[2:3], s[30:31], v[6:7] op_sel:[0,0,1] op_sel_hi:[0,1,0]
	v_ashrrev_i32_e32 v1, 31, v4
	v_cmp_neq_f32_e64 s[2:3], s35, 0
	v_mul_lo_u32 v2, v4, s25
	v_mul_lo_u32 v1, v1, s24
	v_mad_u64_u32 v[4:5], s[4:5], v4, s24, 0
	v_add3_u32 v5, v5, v2, v1
	s_or_b64 s[0:1], s[0:1], s[2:3]
	s_andn2_b64 vcc, exec, s[0:1]
	v_lshl_add_u64 v[4:5], v[4:5], 3, s[26:27]
	s_cbranch_vccnz .LBB107_44
; %bb.43:
	global_load_dwordx2 v[6:7], v[4:5], off
	v_mov_b32_e32 v1, v3
	s_waitcnt vmcnt(0)
	v_pk_mul_f32 v[2:3], s[34:35], v[6:7] op_sel:[0,1]
	s_nop 0
	v_pk_fma_f32 v[8:9], s[34:35], v[6:7], v[2:3] op_sel:[0,0,1] op_sel_hi:[1,1,0] neg_lo:[0,0,1] neg_hi:[0,0,1]
	v_pk_fma_f32 v[2:3], s[34:35], v[6:7], v[2:3] op_sel:[0,0,1] op_sel_hi:[1,0,0]
	s_nop 0
	v_mov_b32_e32 v9, v3
	v_pk_add_f32 v[0:1], v[0:1], v[8:9]
	s_nop 0
	v_mov_b32_e32 v3, v1
.LBB107_44:
	v_mov_b32_e32 v1, v3
	global_store_dwordx2 v[4:5], v[0:1], off
.LBB107_45:
	s_endpgm
	.section	.rodata,"a",@progbits
	.p2align	6, 0x0
	.amdhsa_kernel _ZL20rocblas_gemvn_kernelILi64ELi4El19rocblas_complex_numIfES1_S1_EviiT3_lPKT2_lT1_lS5_lS6_lS2_lPT4_lS6_li
		.amdhsa_group_segment_fixed_size 8192
		.amdhsa_private_segment_fixed_size 0
		.amdhsa_kernarg_size 400
		.amdhsa_user_sgpr_count 2
		.amdhsa_user_sgpr_dispatch_ptr 0
		.amdhsa_user_sgpr_queue_ptr 0
		.amdhsa_user_sgpr_kernarg_segment_ptr 1
		.amdhsa_user_sgpr_dispatch_id 0
		.amdhsa_user_sgpr_kernarg_preload_length 0
		.amdhsa_user_sgpr_kernarg_preload_offset 0
		.amdhsa_user_sgpr_private_segment_size 0
		.amdhsa_uses_dynamic_stack 0
		.amdhsa_enable_private_segment 0
		.amdhsa_system_sgpr_workgroup_id_x 1
		.amdhsa_system_sgpr_workgroup_id_y 0
		.amdhsa_system_sgpr_workgroup_id_z 1
		.amdhsa_system_sgpr_workgroup_info 0
		.amdhsa_system_vgpr_workitem_id 1
		.amdhsa_next_free_vgpr 69
		.amdhsa_next_free_sgpr 53
		.amdhsa_accum_offset 72
		.amdhsa_reserve_vcc 1
		.amdhsa_float_round_mode_32 0
		.amdhsa_float_round_mode_16_64 0
		.amdhsa_float_denorm_mode_32 3
		.amdhsa_float_denorm_mode_16_64 3
		.amdhsa_dx10_clamp 1
		.amdhsa_ieee_mode 1
		.amdhsa_fp16_overflow 0
		.amdhsa_tg_split 0
		.amdhsa_exception_fp_ieee_invalid_op 0
		.amdhsa_exception_fp_denorm_src 0
		.amdhsa_exception_fp_ieee_div_zero 0
		.amdhsa_exception_fp_ieee_overflow 0
		.amdhsa_exception_fp_ieee_underflow 0
		.amdhsa_exception_fp_ieee_inexact 0
		.amdhsa_exception_int_div_zero 0
	.end_amdhsa_kernel
	.section	.text._ZL20rocblas_gemvn_kernelILi64ELi4El19rocblas_complex_numIfES1_S1_EviiT3_lPKT2_lT1_lS5_lS6_lS2_lPT4_lS6_li,"axG",@progbits,_ZL20rocblas_gemvn_kernelILi64ELi4El19rocblas_complex_numIfES1_S1_EviiT3_lPKT2_lT1_lS5_lS6_lS2_lPT4_lS6_li,comdat
.Lfunc_end107:
	.size	_ZL20rocblas_gemvn_kernelILi64ELi4El19rocblas_complex_numIfES1_S1_EviiT3_lPKT2_lT1_lS5_lS6_lS2_lPT4_lS6_li, .Lfunc_end107-_ZL20rocblas_gemvn_kernelILi64ELi4El19rocblas_complex_numIfES1_S1_EviiT3_lPKT2_lT1_lS5_lS6_lS2_lPT4_lS6_li
                                        ; -- End function
	.section	.AMDGPU.csdata,"",@progbits
; Kernel info:
; codeLenInByte = 3440
; NumSgprs: 59
; NumVgprs: 69
; NumAgprs: 0
; TotalNumVgprs: 69
; ScratchSize: 0
; MemoryBound: 0
; FloatMode: 240
; IeeeMode: 1
; LDSByteSize: 8192 bytes/workgroup (compile time only)
; SGPRBlocks: 7
; VGPRBlocks: 8
; NumSGPRsForWavesPerEU: 59
; NumVGPRsForWavesPerEU: 69
; AccumOffset: 72
; Occupancy: 7
; WaveLimiterHint : 1
; COMPUTE_PGM_RSRC2:SCRATCH_EN: 0
; COMPUTE_PGM_RSRC2:USER_SGPR: 2
; COMPUTE_PGM_RSRC2:TRAP_HANDLER: 0
; COMPUTE_PGM_RSRC2:TGID_X_EN: 1
; COMPUTE_PGM_RSRC2:TGID_Y_EN: 0
; COMPUTE_PGM_RSRC2:TGID_Z_EN: 1
; COMPUTE_PGM_RSRC2:TIDIG_COMP_CNT: 1
; COMPUTE_PGM_RSRC3_GFX90A:ACCUM_OFFSET: 17
; COMPUTE_PGM_RSRC3_GFX90A:TG_SPLIT: 0
	.section	.text._ZL20rocblas_gemvn_kernelILi32ELi16Ei19rocblas_complex_numIfEPKS1_S1_EviiT3_lPKT2_lT1_lS7_lS8_lS4_lPT4_lS8_li,"axG",@progbits,_ZL20rocblas_gemvn_kernelILi32ELi16Ei19rocblas_complex_numIfEPKS1_S1_EviiT3_lPKT2_lT1_lS7_lS8_lS4_lPT4_lS8_li,comdat
	.globl	_ZL20rocblas_gemvn_kernelILi32ELi16Ei19rocblas_complex_numIfEPKS1_S1_EviiT3_lPKT2_lT1_lS7_lS8_lS4_lPT4_lS8_li ; -- Begin function _ZL20rocblas_gemvn_kernelILi32ELi16Ei19rocblas_complex_numIfEPKS1_S1_EviiT3_lPKT2_lT1_lS7_lS8_lS4_lPT4_lS8_li
	.p2align	8
	.type	_ZL20rocblas_gemvn_kernelILi32ELi16Ei19rocblas_complex_numIfEPKS1_S1_EviiT3_lPKT2_lT1_lS7_lS8_lS4_lPT4_lS8_li,@function
_ZL20rocblas_gemvn_kernelILi32ELi16Ei19rocblas_complex_numIfEPKS1_S1_EviiT3_lPKT2_lT1_lS7_lS8_lS4_lPT4_lS8_li: ; @_ZL20rocblas_gemvn_kernelILi32ELi16Ei19rocblas_complex_numIfEPKS1_S1_EviiT3_lPKT2_lT1_lS7_lS8_lS4_lPT4_lS8_li
; %bb.0:
	s_load_dwordx2 s[4:5], s[0:1], 0x9c
	s_waitcnt lgkmcnt(0)
	s_lshr_b32 s6, s4, 16
	s_and_b32 s4, s4, 0xffff
	s_and_b32 s5, s5, 0xffff
	s_mul_i32 s4, s6, s4
	s_mul_i32 s4, s4, s5
	s_cmpk_lg_i32 s4, 0x200
	s_cbranch_scc1 .LBB108_45
; %bb.1:
	s_load_dwordx8 s[12:19], s[0:1], 0x8
	s_load_dwordx8 s[4:11], s[0:1], 0x50
	s_waitcnt lgkmcnt(0)
	s_mul_i32 s15, s3, s15
	s_mul_hi_u32 s20, s3, s14
	s_mul_i32 s14, s3, s14
	s_add_i32 s15, s20, s15
	s_lshl_b64 s[14:15], s[14:15], 3
	s_mul_i32 s9, s3, s9
	s_add_u32 s12, s12, s14
	s_mul_hi_u32 s14, s3, s8
	s_addc_u32 s13, s13, s15
	s_add_i32 s9, s14, s9
	s_mul_i32 s8, s3, s8
	s_lshl_b64 s[8:9], s[8:9], 3
	s_add_u32 s6, s6, s8
	s_load_dwordx2 s[12:13], s[12:13], 0x0
	s_addc_u32 s7, s7, s9
	s_load_dwordx2 s[8:9], s[6:7], 0x0
	s_waitcnt lgkmcnt(0)
	v_cmp_eq_f32_e64 s[6:7], s12, 0
	v_cmp_eq_f32_e64 s[14:15], s13, 0
	s_and_b64 s[6:7], s[6:7], s[14:15]
	v_cmp_eq_f32_e64 s[14:15], s8, 1.0
	v_cmp_eq_f32_e64 s[20:21], s9, 0
	s_and_b64 s[14:15], s[14:15], s[20:21]
	s_and_b64 s[6:7], s[6:7], s[14:15]
	s_and_b64 vcc, exec, s[6:7]
	s_cbranch_vccnz .LBB108_45
; %bb.2:
	s_load_dwordx2 s[6:7], s[0:1], 0x80
	s_load_dword s33, s[0:1], 0x78
	s_load_dwordx2 s[20:21], s[0:1], 0x70
	s_load_dwordx2 s[14:15], s[0:1], 0x0
	v_and_b32_e32 v2, 0x3ff, v0
	s_waitcnt lgkmcnt(0)
	s_mul_i32 s7, s3, s7
	s_mul_hi_u32 s22, s3, s6
	s_add_i32 s7, s22, s7
	s_mul_i32 s6, s3, s6
	s_lshl_b64 s[6:7], s[6:7], 3
	s_add_u32 s10, s10, s6
	s_addc_u32 s11, s11, s7
	s_lshl_b64 s[6:7], s[20:21], 3
	s_add_u32 s10, s10, s6
	s_addc_u32 s11, s11, s7
	s_or_b32 s6, s12, s13
	v_bfe_u32 v3, v0, 10, 10
	s_bitset0_b32 s6, 31
	v_lshl_add_u32 v54, v3, 5, v2
	s_cmp_lg_u32 s6, 0
	s_mov_b64 s[6:7], -1
	s_cbranch_scc1 .LBB108_9
; %bb.3:
	s_movk_i32 s6, 0x80
	v_cmp_gt_u32_e32 vcc, s6, v54
	s_and_saveexec_b64 s[6:7], vcc
	s_cbranch_execz .LBB108_8
; %bb.4:
	v_lshl_or_b32 v0, s2, 7, v54
	v_mov_b32_e32 v1, 0
	s_ashr_i32 s21, s14, 31
	s_mov_b32 s20, s14
	v_cmp_gt_i64_e32 vcc, s[20:21], v[0:1]
	s_and_b64 exec, exec, vcc
	s_cbranch_execz .LBB108_8
; %bb.5:
	v_mad_u64_u32 v[4:5], s[24:25], s33, v0, 0
	s_ashr_i32 s26, s33, 31
	v_mov_b32_e32 v6, v5
	v_cmp_neq_f32_e64 s[20:21], s8, 0
	v_cmp_neq_f32_e64 s[22:23], s9, 0
	v_mad_u64_u32 v[6:7], s[24:25], s26, v0, v[6:7]
	v_mov_b32_e32 v5, v6
	s_or_b64 s[20:21], s[20:21], s[22:23]
	s_andn2_b64 vcc, exec, s[20:21]
	v_lshl_add_u64 v[4:5], v[4:5], 3, s[10:11]
	v_mov_b32_e32 v7, v1
	s_cbranch_vccnz .LBB108_7
; %bb.6:
	global_load_dwordx2 v[0:1], v[4:5], off
	s_waitcnt vmcnt(0)
	v_pk_mul_f32 v[6:7], s[8:9], v[0:1] op_sel:[0,1]
	s_nop 0
	v_pk_fma_f32 v[8:9], s[8:9], v[0:1], v[6:7] op_sel:[0,0,1] op_sel_hi:[1,1,0] neg_lo:[0,0,1] neg_hi:[0,0,1]
	v_pk_fma_f32 v[6:7], s[8:9], v[0:1], v[6:7] op_sel:[0,0,1] op_sel_hi:[1,0,0]
	v_mov_b32_e32 v1, v8
.LBB108_7:
	v_mov_b32_e32 v6, v1
	global_store_dwordx2 v[4:5], v[6:7], off
.LBB108_8:
	s_or_b64 exec, exec, s[6:7]
	s_mov_b64 s[6:7], 0
.LBB108_9:
	s_andn2_b64 vcc, exec, s[6:7]
	s_cbranch_vccnz .LBB108_45
; %bb.10:
	s_load_dwordx4 s[20:23], s[0:1], 0x30
	s_load_dword s35, s[0:1], 0x28
	s_load_dwordx2 s[6:7], s[0:1], 0x40
	s_load_dword s36, s[0:1], 0x48
	v_lshlrev_b32_e32 v56, 2, v3
	s_waitcnt lgkmcnt(0)
	s_mul_i32 s0, s3, s21
	s_mul_hi_u32 s1, s3, s20
	s_add_i32 s1, s1, s0
	s_mul_i32 s0, s3, s20
	s_lshl_b64 s[0:1], s[0:1], 3
	s_add_u32 s16, s16, s0
	s_addc_u32 s17, s17, s1
	s_lshl_b64 s[0:1], s[18:19], 3
	s_add_u32 s16, s16, s0
	s_addc_u32 s17, s17, s1
	s_mul_i32 s0, s3, s5
	s_mul_hi_u32 s1, s3, s4
	s_add_i32 s1, s1, s0
	s_mul_i32 s0, s3, s4
	s_lshl_b64 s[0:1], s[0:1], 3
	s_add_u32 s3, s22, s0
	s_addc_u32 s4, s23, s1
	s_lshl_b64 s[0:1], s[6:7], 3
	s_add_u32 s18, s3, s0
	s_addc_u32 s19, s4, s1
	s_ashr_i32 s0, s15, 31
	s_lshr_b32 s0, s0, 26
	s_add_i32 s37, s15, s0
	s_mov_b32 s20, 0
	s_lshl_b32 s34, s2, 7
	s_andn2_b32 s37, s37, 63
	s_mov_b32 s21, s20
	v_add_u32_e32 v55, s34, v2
	v_cmp_gt_i32_e32 vcc, s37, v56
	v_mov_b64_e32 v[8:9], s[20:21]
	v_mov_b32_e32 v1, 0
	v_mov_b32_e32 v0, 0
	;; [unrolled: 1-line block ×6, first 2 shown]
	s_and_saveexec_b64 s[22:23], vcc
	s_cbranch_execz .LBB108_22
; %bb.11:
	v_add_u32_e32 v0, 32, v55
	v_cmp_gt_i32_e64 s[0:1], s14, v0
	v_add_u32_e32 v0, 64, v55
	v_cmp_gt_i32_e64 s[2:3], s14, v0
	;; [unrolled: 2-line block ×3, first 2 shown]
	v_mul_lo_u32 v0, s35, v56
	v_add3_u32 v57, v0, s35, v2
	v_add_u32_e32 v0, 2, v56
	v_mad_u64_u32 v[10:11], s[6:7], s35, v0, v[2:3]
	v_add_u32_e32 v1, 3, v56
	v_mul_lo_u32 v4, v3, s35
	v_mad_u64_u32 v[12:13], s[6:7], s35, v1, v[2:3]
	v_lshl_add_u32 v11, v4, 2, v2
	v_mul_lo_u32 v4, s36, v56
	v_mul_lo_u32 v58, s36, v0
	v_mul_lo_u32 v59, s36, v1
	v_mul_lo_u32 v0, v3, s36
	v_mov_b32_e32 v1, 0
	v_cmp_gt_i32_e32 vcc, s14, v55
	s_lshl_b32 s38, s35, 6
	v_add_u32_e32 v13, s36, v4
	s_lshl_b32 s39, s36, 6
	v_lshlrev_b32_e32 v60, 2, v0
	s_mov_b64 s[24:25], 0
	v_mov_b64_e32 v[8:9], s[20:21]
	v_mov_b32_e32 v0, v1
	v_mov_b32_e32 v5, v1
	;; [unrolled: 1-line block ×5, first 2 shown]
	s_branch .LBB108_16
.LBB108_12:                             ;   in Loop: Header=BB108_16 Depth=1
	s_or_b64 exec, exec, s[30:31]
	s_waitcnt vmcnt(3)
	v_mul_f32_e32 v40, v21, v49
	v_fma_f32 v40, v20, v48, -v40
	v_mul_f32_e32 v41, v20, v49
	v_fmac_f32_e32 v41, v21, v48
	v_add_f32_e32 v4, v4, v40
	s_waitcnt vmcnt(2)
	v_mul_f32_e32 v40, v19, v45
	v_add_f32_e32 v5, v5, v41
	v_fma_f32 v40, v18, v44, -v40
	v_mul_f32_e32 v41, v18, v45
	v_fmac_f32_e32 v41, v19, v44
	v_add_f32_e32 v4, v4, v40
	s_waitcnt vmcnt(1)
	v_mul_f32_e32 v40, v17, v43
	v_add_f32_e32 v5, v5, v41
	v_fma_f32 v40, v16, v42, -v40
	v_mul_f32_e32 v41, v16, v43
	v_fmac_f32_e32 v41, v17, v42
	v_add_f32_e32 v4, v4, v40
	s_waitcnt vmcnt(0)
	v_mul_f32_e32 v40, v15, v39
	v_mul_f32_e32 v39, v14, v39
	v_add_f32_e32 v5, v5, v41
	v_fma_f32 v40, v14, v38, -v40
	v_fmac_f32_e32 v39, v15, v38
	v_add_f32_e32 v4, v4, v40
	v_add_f32_e32 v5, v5, v39
.LBB108_13:                             ;   in Loop: Header=BB108_16 Depth=1
	s_or_b64 exec, exec, s[28:29]
	s_waitcnt vmcnt(3)
	v_mul_f32_e32 v38, v21, v37
	v_mul_f32_e32 v37, v20, v37
	v_fma_f32 v38, v20, v36, -v38
	v_fmac_f32_e32 v37, v21, v36
	s_waitcnt vmcnt(2)
	v_mul_f32_e32 v36, v19, v35
	v_mul_f32_e32 v35, v18, v35
	v_add_f32_e32 v6, v6, v38
	v_add_f32_e32 v7, v7, v37
	v_fma_f32 v36, v18, v34, -v36
	v_fmac_f32_e32 v35, v19, v34
	s_waitcnt vmcnt(1)
	v_mul_f32_e32 v34, v17, v33
	v_mul_f32_e32 v33, v16, v33
	v_add_f32_e32 v6, v6, v36
	v_add_f32_e32 v7, v7, v35
	v_fma_f32 v34, v16, v32, -v34
	v_fmac_f32_e32 v33, v17, v32
	s_waitcnt vmcnt(0)
	v_mul_f32_e32 v32, v15, v31
	v_mul_f32_e32 v31, v14, v31
	v_add_f32_e32 v6, v6, v34
	v_add_f32_e32 v7, v7, v33
	v_fma_f32 v32, v14, v30, -v32
	v_fmac_f32_e32 v31, v15, v30
	v_add_f32_e32 v6, v6, v32
	v_add_f32_e32 v7, v7, v31
.LBB108_14:                             ;   in Loop: Header=BB108_16 Depth=1
	s_or_b64 exec, exec, s[26:27]
	s_waitcnt vmcnt(3)
	v_mul_f32_e32 v30, v21, v29
	v_mul_f32_e32 v31, v20, v29
	v_fma_f32 v30, v20, v28, -v30
	v_fmac_f32_e32 v31, v21, v28
	s_waitcnt vmcnt(2)
	v_mul_f32_e32 v20, v19, v27
	v_mul_f32_e32 v21, v18, v27
	v_fma_f32 v20, v18, v26, -v20
	v_fmac_f32_e32 v21, v19, v26
	v_pk_add_f32 v[8:9], v[8:9], v[30:31]
	v_mov_b32_e32 v18, v17
	v_mov_b32_e32 v19, v16
	v_pk_add_f32 v[8:9], v[8:9], v[20:21]
	s_waitcnt vmcnt(1)
	v_mov_b32_e32 v16, v25
	v_pk_mul_f32 v[20:21], v[18:19], v[24:25] op_sel_hi:[1,0]
	s_nop 0
	v_pk_fma_f32 v[16:17], v[18:19], v[16:17], v[20:21] op_sel:[0,0,1] op_sel_hi:[1,1,0] neg_lo:[1,0,0] neg_hi:[1,0,0]
	v_pk_fma_f32 v[18:19], v[18:19], v[24:25], v[20:21] op_sel:[0,1,1] op_sel_hi:[1,1,0]
	s_nop 0
	v_mov_b32_e32 v17, v19
	v_pk_add_f32 v[8:9], v[8:9], v[16:17]
	s_waitcnt vmcnt(0)
	v_pk_mul_f32 v[16:17], v[14:15], v[22:23] op_sel:[0,1]
	s_nop 0
	v_pk_fma_f32 v[18:19], v[14:15], v[22:23], v[16:17] op_sel:[0,0,1] op_sel_hi:[1,1,0] neg_lo:[0,0,1] neg_hi:[0,0,1]
	v_pk_fma_f32 v[14:15], v[14:15], v[22:23], v[16:17] op_sel:[0,0,1] op_sel_hi:[1,0,0]
	s_nop 0
	v_mov_b32_e32 v19, v15
	v_pk_add_f32 v[8:9], v[8:9], v[18:19]
.LBB108_15:                             ;   in Loop: Header=BB108_16 Depth=1
	s_or_b64 exec, exec, s[6:7]
	v_add_u32_e32 v56, 64, v56
	s_add_i32 s20, s20, s39
	v_cmp_le_i32_e64 s[6:7], s37, v56
	v_add_u32_e32 v57, s38, v57
	v_add_u32_e32 v10, s38, v10
	;; [unrolled: 1-line block ×3, first 2 shown]
	s_or_b64 s[24:25], s[6:7], s[24:25]
	v_add_u32_e32 v11, s38, v11
	s_andn2_b64 exec, exec, s[24:25]
	s_cbranch_execz .LBB108_21
.LBB108_16:                             ; =>This Inner Loop Header: Depth=1
	s_and_saveexec_b64 s[6:7], vcc
	s_cbranch_execz .LBB108_15
; %bb.17:                               ;   in Loop: Header=BB108_16 Depth=1
	v_add_u32_e32 v14, s20, v60
	v_ashrrev_i32_e32 v15, 31, v14
	v_lshl_add_u64 v[22:23], v[14:15], 3, s[18:19]
	v_add_u32_e32 v14, s20, v13
	v_ashrrev_i32_e32 v15, 31, v14
	v_lshl_add_u64 v[24:25], v[14:15], 3, s[18:19]
	;; [unrolled: 3-line block ×4, first 2 shown]
	global_load_dwordx2 v[20:21], v[22:23], off
	global_load_dwordx2 v[18:19], v[24:25], off
	;; [unrolled: 1-line block ×4, first 2 shown]
	v_add_u32_e32 v22, s34, v11
	v_ashrrev_i32_e32 v23, 31, v22
	v_lshl_add_u64 v[40:41], v[22:23], 3, s[16:17]
	v_add_u32_e32 v22, s34, v57
	v_ashrrev_i32_e32 v23, 31, v22
	v_lshl_add_u64 v[46:47], v[22:23], 3, s[16:17]
	v_add_u32_e32 v22, s34, v10
	v_ashrrev_i32_e32 v23, 31, v22
	v_lshl_add_u64 v[50:51], v[22:23], 3, s[16:17]
	v_add_u32_e32 v22, s34, v12
	v_ashrrev_i32_e32 v23, 31, v22
	v_lshl_add_u64 v[52:53], v[22:23], 3, s[16:17]
	global_load_dwordx2 v[28:29], v[40:41], off
	global_load_dwordx2 v[26:27], v[46:47], off
	;; [unrolled: 1-line block ×4, first 2 shown]
	s_and_saveexec_b64 s[26:27], s[0:1]
	s_cbranch_execz .LBB108_14
; %bb.18:                               ;   in Loop: Header=BB108_16 Depth=1
	global_load_dwordx2 v[36:37], v[40:41], off offset:256
	global_load_dwordx2 v[34:35], v[46:47], off offset:256
	global_load_dwordx2 v[32:33], v[50:51], off offset:256
	global_load_dwordx2 v[30:31], v[52:53], off offset:256
	s_and_saveexec_b64 s[28:29], s[2:3]
	s_cbranch_execz .LBB108_13
; %bb.19:                               ;   in Loop: Header=BB108_16 Depth=1
	global_load_dwordx2 v[48:49], v[40:41], off offset:512
	global_load_dwordx2 v[44:45], v[46:47], off offset:512
	global_load_dwordx2 v[42:43], v[50:51], off offset:512
	global_load_dwordx2 v[38:39], v[52:53], off offset:512
	;; [unrolled: 7-line block ×3, first 2 shown]
	s_waitcnt vmcnt(3)
	v_mul_f32_e32 v40, v21, v63
	v_mul_f32_e32 v41, v20, v63
	s_waitcnt vmcnt(2)
	v_mul_f32_e32 v46, v19, v65
	v_mul_f32_e32 v47, v18, v65
	v_fma_f32 v40, v20, v62, -v40
	v_fmac_f32_e32 v41, v21, v62
	s_waitcnt vmcnt(1)
	v_mul_f32_e32 v50, v17, v67
	v_mul_f32_e32 v51, v16, v67
	v_fma_f32 v46, v18, v64, -v46
	v_fmac_f32_e32 v47, v19, v64
	v_add_f32_e32 v0, v0, v40
	v_add_f32_e32 v1, v1, v41
	s_waitcnt vmcnt(0)
	v_mul_f32_e32 v52, v15, v69
	v_mul_f32_e32 v53, v14, v69
	v_fma_f32 v50, v16, v66, -v50
	v_fmac_f32_e32 v51, v17, v66
	v_add_f32_e32 v0, v0, v46
	v_add_f32_e32 v1, v1, v47
	v_fma_f32 v52, v14, v68, -v52
	v_fmac_f32_e32 v53, v15, v68
	v_add_f32_e32 v0, v0, v50
	v_add_f32_e32 v1, v1, v51
	;; [unrolled: 1-line block ×4, first 2 shown]
	s_branch .LBB108_12
.LBB108_21:
	s_or_b64 exec, exec, s[24:25]
.LBB108_22:
	s_or_b64 exec, exec, s[22:23]
	s_sub_i32 s0, s15, s37
	s_cmp_lt_i32 s0, 1
	s_cbranch_scc1 .LBB108_40
; %bb.23:
	v_cmp_gt_i32_e32 vcc, s15, v56
	v_mov_b32_e32 v10, 0
	v_or_b32_e32 v20, 1, v56
	v_mov_b32_e32 v11, 0
	v_mov_b32_e32 v12, 0
	;; [unrolled: 1-line block ×7, first 2 shown]
	s_and_saveexec_b64 s[2:3], vcc
	s_cbranch_execz .LBB108_31
; %bb.24:
	v_mul_lo_u32 v10, v56, s36
	v_ashrrev_i32_e32 v11, 31, v10
	v_lshl_add_u64 v[10:11], v[10:11], 3, s[18:19]
	global_load_dwordx2 v[10:11], v[10:11], off
	v_cmp_gt_i32_e64 s[0:1], s15, v20
	v_mov_b32_e32 v17, 0
	v_mov_b32_e32 v16, 0
	;; [unrolled: 1-line block ×6, first 2 shown]
	s_and_saveexec_b64 s[4:5], s[0:1]
	s_cbranch_execz .LBB108_30
; %bb.25:
	v_mul_lo_u32 v12, v20, s36
	v_ashrrev_i32_e32 v13, 31, v12
	v_lshl_add_u64 v[12:13], v[12:13], 3, s[18:19]
	global_load_dwordx2 v[12:13], v[12:13], off
	v_or_b32_e32 v18, 2, v56
	v_cmp_gt_i32_e64 s[0:1], s15, v18
	v_mov_b32_e32 v17, 0
	v_mov_b32_e32 v16, 0
	;; [unrolled: 1-line block ×4, first 2 shown]
	s_and_saveexec_b64 s[6:7], s[0:1]
	s_cbranch_execz .LBB108_29
; %bb.26:
	v_mul_lo_u32 v14, v18, s36
	v_ashrrev_i32_e32 v15, 31, v14
	v_lshl_add_u64 v[14:15], v[14:15], 3, s[18:19]
	global_load_dwordx2 v[14:15], v[14:15], off
	v_or_b32_e32 v18, 3, v56
	v_cmp_gt_i32_e64 s[0:1], s15, v18
	v_mov_b32_e32 v17, 0
	v_mov_b32_e32 v16, 0
	s_and_saveexec_b64 s[20:21], s[0:1]
	s_cbranch_execz .LBB108_28
; %bb.27:
	v_mul_lo_u32 v16, v18, s36
	v_ashrrev_i32_e32 v17, 31, v16
	v_lshl_add_u64 v[16:17], v[16:17], 3, s[18:19]
	global_load_dwordx2 v[16:17], v[16:17], off
.LBB108_28:
	s_or_b64 exec, exec, s[20:21]
.LBB108_29:
	s_or_b64 exec, exec, s[6:7]
.LBB108_30:
	s_or_b64 exec, exec, s[4:5]
.LBB108_31:
	s_or_b64 exec, exec, s[2:3]
	v_cmp_gt_i32_e64 s[0:1], s14, v55
	s_and_saveexec_b64 s[2:3], s[0:1]
	s_cbranch_execz .LBB108_39
; %bb.32:
	v_mul_lo_u32 v18, v56, s35
	v_cndmask_b32_e32 v18, 0, v18, vcc
	v_mul_lo_u32 v21, v20, s35
	v_cmp_gt_i32_e32 vcc, s15, v20
	v_or_b32_e32 v24, 2, v56
	v_add_u32_e32 v18, v18, v55
	v_cndmask_b32_e32 v20, 0, v21, vcc
	v_mul_lo_u32 v25, v24, s35
	v_cmp_gt_i32_e32 vcc, s15, v24
	v_or_b32_e32 v26, 3, v56
	v_ashrrev_i32_e32 v19, 31, v18
	v_add_u32_e32 v20, v20, v55
	v_cndmask_b32_e32 v24, 0, v25, vcc
	v_mul_lo_u32 v27, v26, s35
	v_cmp_gt_i32_e32 vcc, s15, v26
	v_lshl_add_u64 v[18:19], v[18:19], 3, s[16:17]
	v_ashrrev_i32_e32 v21, 31, v20
	v_add_u32_e32 v24, v24, v55
	v_cndmask_b32_e32 v26, 0, v27, vcc
	v_lshl_add_u64 v[22:23], v[20:21], 3, s[16:17]
	global_load_dwordx2 v[20:21], v[18:19], off
	global_load_dwordx2 v[28:29], v[22:23], off
	v_ashrrev_i32_e32 v25, 31, v24
	v_add_u32_e32 v26, v26, v55
	v_lshl_add_u64 v[24:25], v[24:25], 3, s[16:17]
	v_ashrrev_i32_e32 v27, 31, v26
	v_lshl_add_u64 v[26:27], v[26:27], 3, s[16:17]
	global_load_dwordx2 v[30:31], v[24:25], off
	global_load_dwordx2 v[32:33], v[26:27], off
	v_add_u32_e32 v42, 32, v55
	v_cmp_gt_i32_e32 vcc, s14, v42
	s_waitcnt vmcnt(3)
	v_pk_mul_f32 v[34:35], v[10:11], v[20:21] op_sel:[0,1]
	s_waitcnt vmcnt(2)
	v_pk_mul_f32 v[36:37], v[12:13], v[28:29] op_sel:[0,1]
	v_pk_fma_f32 v[38:39], v[10:11], v[20:21], v[34:35] op_sel:[0,0,1] op_sel_hi:[1,1,0] neg_lo:[0,0,1] neg_hi:[0,0,1]
	v_pk_fma_f32 v[20:21], v[10:11], v[20:21], v[34:35] op_sel:[0,0,1] op_sel_hi:[1,0,0]
	v_pk_fma_f32 v[34:35], v[12:13], v[28:29], v[36:37] op_sel:[0,0,1] op_sel_hi:[1,1,0] neg_lo:[0,0,1] neg_hi:[0,0,1]
	v_pk_fma_f32 v[28:29], v[12:13], v[28:29], v[36:37] op_sel:[0,0,1] op_sel_hi:[1,0,0]
	s_waitcnt vmcnt(1)
	v_pk_mul_f32 v[36:37], v[14:15], v[30:31] op_sel:[0,1]
	v_mov_b32_e32 v39, v21
	s_waitcnt vmcnt(0)
	v_pk_mul_f32 v[40:41], v[16:17], v[32:33] op_sel:[0,1]
	v_mov_b32_e32 v35, v29
	v_pk_fma_f32 v[28:29], v[14:15], v[30:31], v[36:37] op_sel:[0,0,1] op_sel_hi:[1,1,0] neg_lo:[0,0,1] neg_hi:[0,0,1]
	v_pk_fma_f32 v[30:31], v[14:15], v[30:31], v[36:37] op_sel:[0,0,1] op_sel_hi:[1,0,0]
	v_pk_add_f32 v[8:9], v[8:9], v[38:39]
	v_pk_fma_f32 v[20:21], v[16:17], v[32:33], v[40:41] op_sel:[0,0,1] op_sel_hi:[1,1,0] neg_lo:[0,0,1] neg_hi:[0,0,1]
	v_pk_fma_f32 v[32:33], v[16:17], v[32:33], v[40:41] op_sel:[0,0,1] op_sel_hi:[1,0,0]
	v_mov_b32_e32 v29, v31
	v_pk_add_f32 v[8:9], v[8:9], v[34:35]
	v_mov_b32_e32 v21, v33
	v_pk_add_f32 v[8:9], v[8:9], v[28:29]
	s_and_saveexec_b64 s[0:1], vcc
	s_cbranch_execz .LBB108_38
; %bb.33:
	global_load_dwordx2 v[30:31], v[18:19], off offset:256
	global_load_dwordx2 v[32:33], v[22:23], off offset:256
	;; [unrolled: 1-line block ×4, first 2 shown]
	v_add_u32_e32 v38, 64, v55
	v_cmp_gt_i32_e32 vcc, s14, v38
	s_waitcnt vmcnt(3)
	v_mul_f32_e32 v29, v11, v31
	v_mul_f32_e32 v31, v10, v31
	s_waitcnt vmcnt(2)
	v_mul_f32_e32 v39, v13, v33
	v_mul_f32_e32 v33, v12, v33
	;; [unrolled: 3-line block ×3, first 2 shown]
	v_fma_f32 v37, v10, v30, -v29
	v_fmac_f32_e32 v31, v11, v30
	v_mul_f32_e32 v40, v15, v35
	v_mul_f32_e32 v35, v14, v35
	v_fma_f32 v30, v12, v32, -v39
	v_fmac_f32_e32 v33, v13, v32
	v_add_f32_e32 v6, v6, v37
	v_add_f32_e32 v7, v7, v31
	v_fma_f32 v32, v14, v34, -v40
	v_fmac_f32_e32 v35, v15, v34
	v_add_f32_e32 v6, v6, v30
	v_add_f32_e32 v7, v7, v33
	;; [unrolled: 4-line block ×3, first 2 shown]
	s_and_saveexec_b64 s[4:5], vcc
	s_cbranch_execz .LBB108_37
; %bb.34:
	global_load_dwordx2 v[32:33], v[18:19], off offset:512
	global_load_dwordx2 v[34:35], v[22:23], off offset:512
	;; [unrolled: 1-line block ×4, first 2 shown]
	v_add_u32_e32 v40, 0x60, v55
	v_cmp_gt_i32_e32 vcc, s14, v40
	s_waitcnt vmcnt(3)
	v_mul_f32_e32 v31, v11, v33
	v_mul_f32_e32 v33, v10, v33
	s_waitcnt vmcnt(2)
	v_mul_f32_e32 v41, v13, v35
	v_mul_f32_e32 v35, v12, v35
	;; [unrolled: 3-line block ×3, first 2 shown]
	v_fma_f32 v39, v10, v32, -v31
	v_fmac_f32_e32 v33, v11, v32
	v_mul_f32_e32 v42, v15, v37
	v_mul_f32_e32 v37, v14, v37
	v_fma_f32 v32, v12, v34, -v41
	v_fmac_f32_e32 v35, v13, v34
	v_add_f32_e32 v4, v4, v39
	v_add_f32_e32 v5, v5, v33
	v_fma_f32 v34, v14, v36, -v42
	v_fmac_f32_e32 v37, v15, v36
	v_add_f32_e32 v4, v4, v32
	v_add_f32_e32 v5, v5, v35
	;; [unrolled: 4-line block ×3, first 2 shown]
	s_and_saveexec_b64 s[6:7], vcc
	s_cbranch_execz .LBB108_36
; %bb.35:
	global_load_dwordx2 v[32:33], v[18:19], off offset:768
	global_load_dwordx2 v[34:35], v[22:23], off offset:768
	;; [unrolled: 1-line block ×4, first 2 shown]
	s_waitcnt vmcnt(3)
	v_mul_f32_e32 v18, v11, v33
	v_mul_f32_e32 v19, v10, v33
	s_waitcnt vmcnt(2)
	v_mul_f32_e32 v22, v13, v35
	v_mul_f32_e32 v23, v12, v35
	v_fma_f32 v10, v10, v32, -v18
	v_fmac_f32_e32 v19, v11, v32
	s_waitcnt vmcnt(1)
	v_mul_f32_e32 v24, v15, v37
	v_mul_f32_e32 v25, v14, v37
	v_fma_f32 v11, v12, v34, -v22
	v_fmac_f32_e32 v23, v13, v34
	v_add_f32_e32 v0, v0, v10
	v_add_f32_e32 v1, v1, v19
	s_waitcnt vmcnt(0)
	v_mul_f32_e32 v26, v17, v39
	v_mul_f32_e32 v27, v16, v39
	v_fma_f32 v12, v14, v36, -v24
	v_fmac_f32_e32 v25, v15, v36
	v_add_f32_e32 v0, v0, v11
	v_add_f32_e32 v1, v1, v23
	v_fma_f32 v13, v16, v38, -v26
	v_fmac_f32_e32 v27, v17, v38
	v_add_f32_e32 v0, v0, v12
	v_add_f32_e32 v1, v1, v25
	v_add_f32_e32 v0, v0, v13
	v_add_f32_e32 v1, v1, v27
.LBB108_36:
	s_or_b64 exec, exec, s[6:7]
	v_add_f32_e32 v4, v4, v31
	v_add_f32_e32 v5, v5, v30
.LBB108_37:
	s_or_b64 exec, exec, s[4:5]
	v_add_f32_e32 v6, v6, v29
	v_add_f32_e32 v7, v7, v28
.LBB108_38:
	s_or_b64 exec, exec, s[0:1]
	v_pk_add_f32 v[8:9], v[8:9], v[20:21]
.LBB108_39:
	s_or_b64 exec, exec, s[2:3]
.LBB108_40:
	v_lshlrev_b32_e32 v3, 7, v3
	s_movk_i32 s0, 0x80
	v_add_lshl_u32 v2, v3, v2, 3
	v_cmp_gt_u32_e32 vcc, s0, v54
	ds_write2_b64 v2, v[8:9], v[6:7] offset1:32
	ds_write2_b64 v2, v[4:5], v[0:1] offset0:64 offset1:96
	s_waitcnt lgkmcnt(0)
	s_barrier
	s_and_saveexec_b64 s[0:1], vcc
	s_cbranch_execz .LBB108_45
; %bb.41:
	v_lshlrev_b32_e32 v20, 3, v54
	ds_read2st64_b64 v[0:3], v20 offset1:2
	ds_read2st64_b64 v[4:7], v20 offset0:4 offset1:6
	s_waitcnt vmcnt(0)
	ds_read2st64_b64 v[8:11], v20 offset0:8 offset1:10
	ds_read2st64_b64 v[12:15], v20 offset0:12 offset1:14
	;; [unrolled: 1-line block ×3, first 2 shown]
	s_waitcnt lgkmcnt(4)
	v_pk_add_f32 v[0:1], v[0:1], v[2:3]
	s_waitcnt lgkmcnt(3)
	v_pk_add_f32 v[0:1], v[0:1], v[4:5]
	s_nop 0
	v_pk_add_f32 v[0:1], v[0:1], v[6:7]
	s_waitcnt lgkmcnt(2)
	v_pk_add_f32 v[0:1], v[0:1], v[8:9]
	s_nop 0
	;; [unrolled: 4-line block ×3, first 2 shown]
	v_pk_add_f32 v[4:5], v[0:1], v[14:15]
	ds_read2st64_b64 v[0:3], v20 offset0:20 offset1:22
	s_waitcnt lgkmcnt(1)
	v_pk_add_f32 v[8:9], v[4:5], v[16:17]
	ds_read2st64_b64 v[4:7], v20 offset0:24 offset1:26
	v_pk_add_f32 v[12:13], v[8:9], v[18:19]
	ds_read2st64_b64 v[8:11], v20 offset0:28 offset1:30
	s_waitcnt lgkmcnt(2)
	v_pk_add_f32 v[0:1], v[12:13], v[0:1]
	s_nop 0
	v_pk_add_f32 v[0:1], v[0:1], v[2:3]
	s_waitcnt lgkmcnt(1)
	v_pk_add_f32 v[0:1], v[0:1], v[4:5]
	v_or_b32_e32 v4, s34, v54
	v_pk_add_f32 v[0:1], v[0:1], v[6:7]
	v_cmp_gt_i32_e32 vcc, s14, v4
	s_waitcnt lgkmcnt(0)
	v_pk_add_f32 v[0:1], v[0:1], v[8:9]
	s_nop 0
	v_pk_add_f32 v[2:3], v[0:1], v[10:11]
	ds_write_b64 v20, v[2:3]
	s_and_b64 exec, exec, vcc
	s_cbranch_execz .LBB108_45
; %bb.42:
	v_cmp_neq_f32_e64 s[0:1], s8, 0
	v_cmp_neq_f32_e64 s[2:3], s9, 0
	v_mul_lo_u32 v4, v4, s33
	v_pk_mul_f32 v[6:7], v[2:3], s[12:13] op_sel:[1,0]
	v_ashrrev_i32_e32 v5, 31, v4
	s_or_b64 s[0:1], s[0:1], s[2:3]
	v_pk_fma_f32 v[0:1], v[2:3], s[12:13], v[6:7] op_sel:[0,0,1] op_sel_hi:[0,1,0] neg_lo:[0,0,1] neg_hi:[0,0,1]
	v_pk_fma_f32 v[2:3], v[2:3], s[12:13], v[6:7] op_sel:[0,0,1] op_sel_hi:[0,1,0]
	s_andn2_b64 vcc, exec, s[0:1]
	v_lshl_add_u64 v[4:5], v[4:5], 3, s[10:11]
	s_cbranch_vccnz .LBB108_44
; %bb.43:
	global_load_dwordx2 v[6:7], v[4:5], off
	v_mov_b32_e32 v1, v3
	s_waitcnt vmcnt(0)
	v_pk_mul_f32 v[2:3], s[8:9], v[6:7] op_sel:[0,1]
	s_nop 0
	v_pk_fma_f32 v[8:9], s[8:9], v[6:7], v[2:3] op_sel:[0,0,1] op_sel_hi:[1,1,0] neg_lo:[0,0,1] neg_hi:[0,0,1]
	v_pk_fma_f32 v[2:3], s[8:9], v[6:7], v[2:3] op_sel:[0,0,1] op_sel_hi:[1,0,0]
	s_nop 0
	v_mov_b32_e32 v9, v3
	v_pk_add_f32 v[0:1], v[0:1], v[8:9]
	s_nop 0
	v_mov_b32_e32 v3, v1
.LBB108_44:
	v_mov_b32_e32 v1, v3
	global_store_dwordx2 v[4:5], v[0:1], off
.LBB108_45:
	s_endpgm
	.section	.rodata,"a",@progbits
	.p2align	6, 0x0
	.amdhsa_kernel _ZL20rocblas_gemvn_kernelILi32ELi16Ei19rocblas_complex_numIfEPKS1_S1_EviiT3_lPKT2_lT1_lS7_lS8_lS4_lPT4_lS8_li
		.amdhsa_group_segment_fixed_size 16384
		.amdhsa_private_segment_fixed_size 0
		.amdhsa_kernarg_size 400
		.amdhsa_user_sgpr_count 2
		.amdhsa_user_sgpr_dispatch_ptr 0
		.amdhsa_user_sgpr_queue_ptr 0
		.amdhsa_user_sgpr_kernarg_segment_ptr 1
		.amdhsa_user_sgpr_dispatch_id 0
		.amdhsa_user_sgpr_kernarg_preload_length 0
		.amdhsa_user_sgpr_kernarg_preload_offset 0
		.amdhsa_user_sgpr_private_segment_size 0
		.amdhsa_uses_dynamic_stack 0
		.amdhsa_enable_private_segment 0
		.amdhsa_system_sgpr_workgroup_id_x 1
		.amdhsa_system_sgpr_workgroup_id_y 0
		.amdhsa_system_sgpr_workgroup_id_z 1
		.amdhsa_system_sgpr_workgroup_info 0
		.amdhsa_system_vgpr_workitem_id 1
		.amdhsa_next_free_vgpr 70
		.amdhsa_next_free_sgpr 40
		.amdhsa_accum_offset 72
		.amdhsa_reserve_vcc 1
		.amdhsa_float_round_mode_32 0
		.amdhsa_float_round_mode_16_64 0
		.amdhsa_float_denorm_mode_32 3
		.amdhsa_float_denorm_mode_16_64 3
		.amdhsa_dx10_clamp 1
		.amdhsa_ieee_mode 1
		.amdhsa_fp16_overflow 0
		.amdhsa_tg_split 0
		.amdhsa_exception_fp_ieee_invalid_op 0
		.amdhsa_exception_fp_denorm_src 0
		.amdhsa_exception_fp_ieee_div_zero 0
		.amdhsa_exception_fp_ieee_overflow 0
		.amdhsa_exception_fp_ieee_underflow 0
		.amdhsa_exception_fp_ieee_inexact 0
		.amdhsa_exception_int_div_zero 0
	.end_amdhsa_kernel
	.section	.text._ZL20rocblas_gemvn_kernelILi32ELi16Ei19rocblas_complex_numIfEPKS1_S1_EviiT3_lPKT2_lT1_lS7_lS8_lS4_lPT4_lS8_li,"axG",@progbits,_ZL20rocblas_gemvn_kernelILi32ELi16Ei19rocblas_complex_numIfEPKS1_S1_EviiT3_lPKT2_lT1_lS7_lS8_lS4_lPT4_lS8_li,comdat
.Lfunc_end108:
	.size	_ZL20rocblas_gemvn_kernelILi32ELi16Ei19rocblas_complex_numIfEPKS1_S1_EviiT3_lPKT2_lT1_lS7_lS8_lS4_lPT4_lS8_li, .Lfunc_end108-_ZL20rocblas_gemvn_kernelILi32ELi16Ei19rocblas_complex_numIfEPKS1_S1_EviiT3_lPKT2_lT1_lS7_lS8_lS4_lPT4_lS8_li
                                        ; -- End function
	.section	.AMDGPU.csdata,"",@progbits
; Kernel info:
; codeLenInByte = 3476
; NumSgprs: 46
; NumVgprs: 70
; NumAgprs: 0
; TotalNumVgprs: 70
; ScratchSize: 0
; MemoryBound: 0
; FloatMode: 240
; IeeeMode: 1
; LDSByteSize: 16384 bytes/workgroup (compile time only)
; SGPRBlocks: 5
; VGPRBlocks: 8
; NumSGPRsForWavesPerEU: 46
; NumVGPRsForWavesPerEU: 70
; AccumOffset: 72
; Occupancy: 7
; WaveLimiterHint : 1
; COMPUTE_PGM_RSRC2:SCRATCH_EN: 0
; COMPUTE_PGM_RSRC2:USER_SGPR: 2
; COMPUTE_PGM_RSRC2:TRAP_HANDLER: 0
; COMPUTE_PGM_RSRC2:TGID_X_EN: 1
; COMPUTE_PGM_RSRC2:TGID_Y_EN: 0
; COMPUTE_PGM_RSRC2:TGID_Z_EN: 1
; COMPUTE_PGM_RSRC2:TIDIG_COMP_CNT: 1
; COMPUTE_PGM_RSRC3_GFX90A:ACCUM_OFFSET: 17
; COMPUTE_PGM_RSRC3_GFX90A:TG_SPLIT: 0
	.section	.text._ZL20rocblas_gemvn_kernelILi32ELi16El19rocblas_complex_numIfEPKS1_S1_EviiT3_lPKT2_lT1_lS7_lS8_lS4_lPT4_lS8_li,"axG",@progbits,_ZL20rocblas_gemvn_kernelILi32ELi16El19rocblas_complex_numIfEPKS1_S1_EviiT3_lPKT2_lT1_lS7_lS8_lS4_lPT4_lS8_li,comdat
	.globl	_ZL20rocblas_gemvn_kernelILi32ELi16El19rocblas_complex_numIfEPKS1_S1_EviiT3_lPKT2_lT1_lS7_lS8_lS4_lPT4_lS8_li ; -- Begin function _ZL20rocblas_gemvn_kernelILi32ELi16El19rocblas_complex_numIfEPKS1_S1_EviiT3_lPKT2_lT1_lS7_lS8_lS4_lPT4_lS8_li
	.p2align	8
	.type	_ZL20rocblas_gemvn_kernelILi32ELi16El19rocblas_complex_numIfEPKS1_S1_EviiT3_lPKT2_lT1_lS7_lS8_lS4_lPT4_lS8_li,@function
_ZL20rocblas_gemvn_kernelILi32ELi16El19rocblas_complex_numIfEPKS1_S1_EviiT3_lPKT2_lT1_lS7_lS8_lS4_lPT4_lS8_li: ; @_ZL20rocblas_gemvn_kernelILi32ELi16El19rocblas_complex_numIfEPKS1_S1_EviiT3_lPKT2_lT1_lS7_lS8_lS4_lPT4_lS8_li
; %bb.0:
	s_load_dwordx2 s[4:5], s[0:1], 0x9c
	s_waitcnt lgkmcnt(0)
	s_lshr_b32 s6, s4, 16
	s_and_b32 s4, s4, 0xffff
	s_and_b32 s5, s5, 0xffff
	s_mul_i32 s4, s6, s4
	s_mul_i32 s4, s4, s5
	s_cmpk_lg_i32 s4, 0x200
	s_cbranch_scc1 .LBB109_45
; %bb.1:
	s_load_dwordx16 s[36:51], s[0:1], 0x8
	s_load_dwordx16 s[8:23], s[0:1], 0x48
	s_waitcnt lgkmcnt(0)
	s_mul_i32 s5, s3, s39
	s_mul_hi_u32 s6, s3, s38
	s_mul_i32 s4, s3, s38
	s_add_i32 s5, s6, s5
	s_lshl_b64 s[4:5], s[4:5], 3
	s_mul_i32 s7, s3, s15
	s_add_u32 s4, s36, s4
	s_mul_hi_u32 s6, s3, s14
	s_addc_u32 s5, s37, s5
	s_add_i32 s7, s6, s7
	s_mul_i32 s6, s3, s14
	s_lshl_b64 s[6:7], s[6:7], 3
	s_load_dwordx2 s[14:15], s[4:5], 0x0
	s_add_u32 s4, s12, s6
	s_addc_u32 s5, s13, s7
	s_load_dwordx2 s[12:13], s[4:5], 0x0
	s_waitcnt lgkmcnt(0)
	v_cmp_eq_f32_e64 s[4:5], s14, 0
	v_cmp_eq_f32_e64 s[6:7], s15, 0
	s_and_b64 s[4:5], s[4:5], s[6:7]
	v_cmp_eq_f32_e64 s[6:7], s12, 1.0
	v_cmp_eq_f32_e64 s[24:25], s13, 0
	s_and_b64 s[6:7], s[6:7], s[24:25]
	s_and_b64 s[4:5], s[4:5], s[6:7]
	s_and_b64 vcc, exec, s[4:5]
	s_cbranch_vccnz .LBB109_45
; %bb.2:
	s_load_dwordx2 s[24:25], s[0:1], 0x0
	s_mul_i32 s0, s3, s23
	s_mul_hi_u32 s1, s3, s22
	s_add_i32 s1, s1, s0
	s_mul_i32 s0, s3, s22
	s_lshl_b64 s[0:1], s[0:1], 3
	s_add_u32 s4, s16, s0
	s_addc_u32 s5, s17, s1
	s_lshl_b64 s[0:1], s[18:19], 3
	s_add_u32 s16, s4, s0
	s_addc_u32 s17, s5, s1
	s_or_b32 s0, s14, s15
	v_and_b32_e32 v63, 0x3ff, v0
	v_bfe_u32 v64, v0, 10, 10
	s_bitset0_b32 s0, 31
	v_lshl_add_u32 v62, v64, 5, v63
	s_cmp_lg_u32 s0, 0
	s_mov_b64 s[0:1], -1
	s_cbranch_scc1 .LBB109_9
; %bb.3:
	s_movk_i32 s0, 0x80
	v_cmp_gt_u32_e32 vcc, s0, v62
	s_and_saveexec_b64 s[0:1], vcc
	s_cbranch_execz .LBB109_8
; %bb.4:
	v_lshl_or_b32 v0, s2, 7, v62
	v_mov_b32_e32 v1, 0
	s_waitcnt lgkmcnt(0)
	s_ashr_i32 s5, s24, 31
	s_mov_b32 s4, s24
	v_cmp_gt_i64_e32 vcc, s[4:5], v[0:1]
	s_and_b64 exec, exec, vcc
	s_cbranch_execz .LBB109_8
; %bb.5:
	v_mad_u64_u32 v[2:3], s[18:19], v0, s20, 0
	v_mov_b32_e32 v4, v3
	v_cmp_neq_f32_e64 s[4:5], s12, 0
	v_cmp_neq_f32_e64 s[6:7], s13, 0
	v_mad_u64_u32 v[4:5], s[18:19], v0, s21, v[4:5]
	v_mov_b32_e32 v3, v4
	s_or_b64 s[4:5], s[4:5], s[6:7]
	s_andn2_b64 vcc, exec, s[4:5]
	v_lshl_add_u64 v[2:3], v[2:3], 3, s[16:17]
	v_mov_b32_e32 v5, v1
	s_cbranch_vccnz .LBB109_7
; %bb.6:
	global_load_dwordx2 v[0:1], v[2:3], off
	s_waitcnt vmcnt(0)
	v_pk_mul_f32 v[4:5], s[12:13], v[0:1] op_sel:[0,1]
	s_nop 0
	v_pk_fma_f32 v[6:7], s[12:13], v[0:1], v[4:5] op_sel:[0,0,1] op_sel_hi:[1,1,0] neg_lo:[0,0,1] neg_hi:[0,0,1]
	v_pk_fma_f32 v[4:5], s[12:13], v[0:1], v[4:5] op_sel:[0,0,1] op_sel_hi:[1,0,0]
	v_mov_b32_e32 v1, v6
.LBB109_7:
	v_mov_b32_e32 v4, v1
	global_store_dwordx2 v[2:3], v[4:5], off
.LBB109_8:
	s_or_b64 exec, exec, s[0:1]
	s_mov_b64 s[0:1], 0
.LBB109_9:
	s_andn2_b64 vcc, exec, s[0:1]
	s_cbranch_vccnz .LBB109_45
; %bb.10:
	s_mul_i32 s0, s3, s47
	s_mul_hi_u32 s1, s3, s46
	s_add_i32 s19, s1, s0
	s_mul_i32 s0, s3, s11
	s_mul_hi_u32 s1, s3, s10
	s_add_i32 s11, s1, s0
	s_waitcnt lgkmcnt(0)
	s_ashr_i32 s0, s25, 31
	s_lshr_b32 s0, s0, 26
	s_add_i32 s52, s25, s0
	s_mov_b32 s6, 0
	s_lshl_b32 s33, s2, 7
	s_andn2_b32 s52, s52, 63
	v_lshlrev_b32_e32 v65, 2, v64
	s_mov_b32 s7, s6
	s_mul_i32 s18, s3, s46
	s_mul_i32 s10, s3, s10
	v_add_u32_e32 v2, s33, v63
	v_cmp_gt_i32_e32 vcc, s52, v65
	v_mov_b64_e32 v[8:9], s[6:7]
	v_mov_b32_e32 v1, 0
	v_mov_b32_e32 v0, 0
	;; [unrolled: 1-line block ×6, first 2 shown]
	s_and_saveexec_b64 s[22:23], vcc
	s_cbranch_execz .LBB109_22
; %bb.11:
	v_add_u32_e32 v0, 32, v2
	v_cmp_gt_i32_e64 s[0:1], s24, v0
	v_add_u32_e32 v0, 64, v2
	v_cmp_gt_i32_e64 s[2:3], s24, v0
	;; [unrolled: 2-line block ×3, first 2 shown]
	v_mad_u64_u32 v[0:1], s[26:27], s8, v64, 0
	v_mov_b32_e32 v4, v1
	v_mad_u64_u32 v[4:5], s[26:27], s9, v64, v[4:5]
	s_lshl_b64 s[26:27], s[10:11], 3
	s_lshl_b64 s[28:29], s[50:51], 3
	s_add_u32 s28, s48, s28
	v_ashrrev_i32_e32 v3, 31, v2
	s_addc_u32 s29, s49, s29
	v_mov_b32_e32 v1, v4
	s_add_u32 s26, s28, s26
	v_lshlrev_b64 v[12:13], 3, v[2:3]
	v_lshlrev_b32_e32 v3, 2, v64
	v_lshlrev_b64 v[0:1], 5, v[0:1]
	s_addc_u32 s27, s29, s27
	v_or_b32_e32 v5, 3, v3
	v_lshl_add_u64 v[10:11], s[26:27], 0, v[0:1]
	v_mad_u64_u32 v[0:1], s[28:29], s44, v5, 0
	v_mov_b32_e32 v4, v1
	v_mad_u64_u32 v[4:5], s[28:29], s45, v5, v[4:5]
	s_lshl_b64 s[26:27], s[8:9], 9
	s_lshl_b64 s[28:29], s[18:19], 3
	;; [unrolled: 1-line block ×3, first 2 shown]
	s_add_u32 s30, s40, s30
	s_addc_u32 s31, s41, s31
	s_add_u32 s30, s30, s28
	v_mov_b32_e32 v1, v4
	s_addc_u32 s31, s31, s29
	v_lshl_add_u64 v[14:15], v[0:1], 3, s[30:31]
	v_mad_u64_u32 v[0:1], s[34:35], s44, v64, 0
	v_mov_b32_e32 v4, v1
	v_mad_u64_u32 v[4:5], s[34:35], s45, v64, v[4:5]
	v_mov_b32_e32 v1, v4
	v_lshlrev_b64 v[0:1], 5, v[0:1]
	v_or_b32_e32 v5, 2, v3
	v_lshl_add_u64 v[16:17], s[30:31], 0, v[0:1]
	v_mad_u64_u32 v[0:1], s[34:35], s44, v5, 0
	v_mov_b32_e32 v4, v1
	v_mad_u64_u32 v[4:5], s[34:35], s45, v5, v[4:5]
	v_mov_b32_e32 v1, v4
	v_lshl_add_u64 v[18:19], v[0:1], 3, s[30:31]
	v_mov_b64_e32 v[0:1], s[44:45]
	v_mad_u64_u32 v[0:1], s[34:35], s44, v3, v[0:1]
	v_mov_b32_e32 v4, v1
	v_mad_u64_u32 v[4:5], s[34:35], s45, v3, v[4:5]
	v_mov_b32_e32 v1, v4
	v_lshl_add_u64 v[20:21], v[0:1], 3, s[30:31]
	v_mov_b32_e32 v1, 0
	v_cmp_gt_i32_e32 vcc, s24, v2
	s_lshl_b64 s[28:29], s[44:45], 9
	s_lshl_b64 s[34:35], s[8:9], 3
	s_mov_b64 s[30:31], 0
	v_mov_b64_e32 v[8:9], s[6:7]
	v_mov_b32_e32 v0, v1
	v_mov_b32_e32 v5, v1
	;; [unrolled: 1-line block ×5, first 2 shown]
	s_branch .LBB109_16
.LBB109_12:                             ;   in Loop: Header=BB109_16 Depth=1
	s_or_b64 exec, exec, s[46:47]
	s_waitcnt vmcnt(3)
	v_mul_f32_e32 v3, v33, v53
	v_mul_f32_e32 v53, v32, v53
	v_fma_f32 v3, v32, v52, -v3
	v_fmac_f32_e32 v53, v33, v52
	v_add_f32_e32 v3, v4, v3
	v_add_f32_e32 v4, v5, v53
	s_waitcnt vmcnt(2)
	v_mul_f32_e32 v5, v31, v51
	v_fma_f32 v5, v30, v50, -v5
	v_mul_f32_e32 v51, v30, v51
	v_fmac_f32_e32 v51, v31, v50
	v_add_f32_e32 v3, v3, v5
	s_waitcnt vmcnt(1)
	v_mul_f32_e32 v5, v25, v49
	v_mul_f32_e32 v49, v24, v49
	v_add_f32_e32 v4, v4, v51
	v_fma_f32 v5, v24, v48, -v5
	v_fmac_f32_e32 v49, v25, v48
	v_add_f32_e32 v3, v3, v5
	v_add_f32_e32 v5, v4, v49
	s_waitcnt vmcnt(0)
	v_mul_f32_e32 v4, v23, v47
	v_mul_f32_e32 v47, v22, v47
	v_fma_f32 v4, v22, v46, -v4
	v_fmac_f32_e32 v47, v23, v46
	v_add_f32_e32 v4, v3, v4
	v_add_f32_e32 v5, v5, v47
.LBB109_13:                             ;   in Loop: Header=BB109_16 Depth=1
	s_or_b64 exec, exec, s[38:39]
	s_waitcnt vmcnt(3)
	v_mul_f32_e32 v3, v33, v45
	v_mul_f32_e32 v45, v32, v45
	v_fma_f32 v3, v32, v44, -v3
	v_fmac_f32_e32 v45, v33, v44
	v_add_f32_e32 v3, v6, v3
	v_add_f32_e32 v6, v7, v45
	s_waitcnt vmcnt(2)
	v_mul_f32_e32 v7, v31, v43
	v_fma_f32 v7, v30, v42, -v7
	v_mul_f32_e32 v43, v30, v43
	v_fmac_f32_e32 v43, v31, v42
	v_add_f32_e32 v3, v3, v7
	s_waitcnt vmcnt(1)
	v_mul_f32_e32 v7, v25, v41
	v_mul_f32_e32 v41, v24, v41
	v_add_f32_e32 v6, v6, v43
	v_fma_f32 v7, v24, v40, -v7
	v_fmac_f32_e32 v41, v25, v40
	v_add_f32_e32 v3, v3, v7
	v_add_f32_e32 v7, v6, v41
	s_waitcnt vmcnt(0)
	v_mul_f32_e32 v6, v23, v39
	v_mul_f32_e32 v39, v22, v39
	v_fma_f32 v6, v22, v38, -v6
	v_fmac_f32_e32 v39, v23, v38
	v_add_f32_e32 v6, v3, v6
	v_add_f32_e32 v7, v7, v39
.LBB109_14:                             ;   in Loop: Header=BB109_16 Depth=1
	s_or_b64 exec, exec, s[36:37]
	s_waitcnt vmcnt(3)
	v_mul_f32_e32 v3, v33, v37
	v_mul_f32_e32 v39, v32, v37
	v_fma_f32 v38, v32, v36, -v3
	v_fmac_f32_e32 v39, v33, v36
	s_waitcnt vmcnt(2)
	v_mul_f32_e32 v3, v31, v35
	v_mul_f32_e32 v33, v30, v35
	v_fma_f32 v32, v30, v34, -v3
	v_fmac_f32_e32 v33, v31, v34
	v_pk_add_f32 v[8:9], v[8:9], v[38:39]
	v_mov_b32_e32 v30, v25
	v_mov_b32_e32 v31, v24
	v_pk_add_f32 v[8:9], v[8:9], v[32:33]
	s_waitcnt vmcnt(1)
	v_mov_b32_e32 v24, v29
	v_pk_mul_f32 v[32:33], v[30:31], v[28:29] op_sel_hi:[1,0]
	s_nop 0
	v_pk_fma_f32 v[24:25], v[30:31], v[24:25], v[32:33] op_sel:[0,0,1] op_sel_hi:[1,1,0] neg_lo:[1,0,0] neg_hi:[1,0,0]
	v_pk_fma_f32 v[28:29], v[30:31], v[28:29], v[32:33] op_sel:[0,1,1] op_sel_hi:[1,1,0]
	s_nop 0
	v_mov_b32_e32 v25, v29
	v_pk_add_f32 v[8:9], v[8:9], v[24:25]
	s_waitcnt vmcnt(0)
	v_pk_mul_f32 v[24:25], v[22:23], v[26:27] op_sel:[0,1]
	s_nop 0
	v_pk_fma_f32 v[28:29], v[22:23], v[26:27], v[24:25] op_sel:[0,0,1] op_sel_hi:[1,1,0] neg_lo:[0,0,1] neg_hi:[0,0,1]
	v_pk_fma_f32 v[22:23], v[22:23], v[26:27], v[24:25] op_sel:[0,0,1] op_sel_hi:[1,0,0]
	s_nop 0
	v_mov_b32_e32 v29, v23
	v_pk_add_f32 v[8:9], v[8:9], v[28:29]
.LBB109_15:                             ;   in Loop: Header=BB109_16 Depth=1
	s_or_b64 exec, exec, s[6:7]
	v_add_u32_e32 v65, 64, v65
	v_cmp_le_i32_e64 s[6:7], s52, v65
	v_lshl_add_u64 v[10:11], v[10:11], 0, s[26:27]
	v_lshl_add_u64 v[14:15], v[14:15], 0, s[28:29]
	v_lshl_add_u64 v[16:17], v[16:17], 0, s[28:29]
	v_lshl_add_u64 v[18:19], v[18:19], 0, s[28:29]
	s_or_b64 s[30:31], s[6:7], s[30:31]
	v_lshl_add_u64 v[20:21], v[20:21], 0, s[28:29]
	s_andn2_b64 exec, exec, s[30:31]
	s_cbranch_execz .LBB109_21
.LBB109_16:                             ; =>This Inner Loop Header: Depth=1
	s_and_saveexec_b64 s[6:7], vcc
	s_cbranch_execz .LBB109_15
; %bb.17:                               ;   in Loop: Header=BB109_16 Depth=1
	v_lshl_add_u64 v[22:23], v[10:11], 0, s[34:35]
	v_lshl_add_u64 v[26:27], v[22:23], 0, s[34:35]
	global_load_dwordx2 v[30:31], v[22:23], off
	global_load_dwordx2 v[24:25], v[26:27], off
	v_lshl_add_u64 v[26:27], v[26:27], 0, s[34:35]
	v_lshl_add_u64 v[60:61], v[16:17], 0, v[12:13]
	;; [unrolled: 1-line block ×5, first 2 shown]
	global_load_dwordx2 v[32:33], v[10:11], off
	global_load_dwordx2 v[22:23], v[26:27], off
	;; [unrolled: 1-line block ×5, first 2 shown]
	s_nop 0
	global_load_dwordx2 v[26:27], v[54:55], off
	s_and_saveexec_b64 s[36:37], s[0:1]
	s_cbranch_execz .LBB109_14
; %bb.18:                               ;   in Loop: Header=BB109_16 Depth=1
	global_load_dwordx2 v[44:45], v[60:61], off offset:256
	global_load_dwordx2 v[42:43], v[58:59], off offset:256
	;; [unrolled: 1-line block ×4, first 2 shown]
	s_and_saveexec_b64 s[38:39], s[2:3]
	s_cbranch_execz .LBB109_13
; %bb.19:                               ;   in Loop: Header=BB109_16 Depth=1
	global_load_dwordx2 v[52:53], v[60:61], off offset:512
	global_load_dwordx2 v[50:51], v[58:59], off offset:512
	;; [unrolled: 1-line block ×4, first 2 shown]
	s_and_saveexec_b64 s[46:47], s[4:5]
	s_cbranch_execz .LBB109_12
; %bb.20:                               ;   in Loop: Header=BB109_16 Depth=1
	global_load_dwordx2 v[60:61], v[60:61], off offset:768
	s_nop 0
	global_load_dwordx2 v[58:59], v[58:59], off offset:768
	s_nop 0
	;; [unrolled: 2-line block ×3, first 2 shown]
	global_load_dwordx2 v[54:55], v[54:55], off offset:768
	s_waitcnt vmcnt(3)
	v_mul_f32_e32 v3, v33, v61
	v_mul_f32_e32 v61, v32, v61
	s_waitcnt vmcnt(2)
	v_mul_f32_e32 v66, v31, v59
	v_mul_f32_e32 v59, v30, v59
	v_fma_f32 v3, v32, v60, -v3
	v_fmac_f32_e32 v61, v33, v60
	s_waitcnt vmcnt(1)
	v_mul_f32_e32 v67, v25, v57
	v_mul_f32_e32 v57, v24, v57
	v_fma_f32 v60, v30, v58, -v66
	v_fmac_f32_e32 v59, v31, v58
	v_add_f32_e32 v0, v0, v3
	v_add_f32_e32 v1, v1, v61
	s_waitcnt vmcnt(0)
	v_mul_f32_e32 v68, v23, v55
	v_mul_f32_e32 v55, v22, v55
	v_fma_f32 v58, v24, v56, -v67
	v_fmac_f32_e32 v57, v25, v56
	v_add_f32_e32 v0, v0, v60
	v_add_f32_e32 v1, v1, v59
	v_fma_f32 v56, v22, v54, -v68
	v_fmac_f32_e32 v55, v23, v54
	v_add_f32_e32 v0, v0, v58
	v_add_f32_e32 v1, v1, v57
	;; [unrolled: 1-line block ×4, first 2 shown]
	s_branch .LBB109_12
.LBB109_21:
	s_or_b64 exec, exec, s[30:31]
.LBB109_22:
	s_or_b64 exec, exec, s[22:23]
	s_sub_i32 s0, s25, s52
	s_cmp_lt_i32 s0, 1
	s_cbranch_scc1 .LBB109_40
; %bb.23:
	v_cmp_gt_i32_e32 vcc, s25, v65
	v_mov_b32_e32 v10, 0
	v_or_b32_e32 v20, 1, v65
	v_mov_b32_e32 v11, 0
	v_mov_b32_e32 v12, 0
	;; [unrolled: 1-line block ×7, first 2 shown]
	s_and_saveexec_b64 s[2:3], vcc
	s_cbranch_execz .LBB109_31
; %bb.24:
	s_lshl_b64 s[0:1], s[10:11], 3
	s_add_u32 s4, s48, s0
	s_addc_u32 s5, s49, s1
	s_lshl_b64 s[0:1], s[50:51], 3
	s_add_u32 s6, s4, s0
	s_addc_u32 s7, s5, s1
	v_mad_u64_u32 v[10:11], s[0:1], v65, s8, 0
	v_mov_b32_e32 v12, v11
	v_mad_u64_u32 v[12:13], s[0:1], v65, s9, v[12:13]
	v_mov_b32_e32 v11, v12
	v_lshl_add_u64 v[10:11], v[10:11], 3, s[6:7]
	global_load_dwordx2 v[10:11], v[10:11], off
	v_cmp_gt_i32_e64 s[0:1], s25, v20
	v_mov_b32_e32 v17, 0
	v_mov_b32_e32 v16, 0
	;; [unrolled: 1-line block ×6, first 2 shown]
	s_and_saveexec_b64 s[4:5], s[0:1]
	s_cbranch_execz .LBB109_30
; %bb.25:
	v_mad_u64_u32 v[12:13], s[0:1], v20, s8, 0
	v_mov_b32_e32 v14, v13
	v_mad_u64_u32 v[14:15], s[0:1], v20, s9, v[14:15]
	v_mov_b32_e32 v13, v14
	v_lshl_add_u64 v[12:13], v[12:13], 3, s[6:7]
	global_load_dwordx2 v[12:13], v[12:13], off
	v_or_b32_e32 v3, 2, v65
	v_cmp_gt_i32_e64 s[0:1], s25, v3
	v_mov_b32_e32 v17, 0
	v_mov_b32_e32 v16, 0
	v_mov_b32_e32 v15, 0
	v_mov_b32_e32 v14, 0
	s_and_saveexec_b64 s[10:11], s[0:1]
	s_cbranch_execz .LBB109_29
; %bb.26:
	v_mad_u64_u32 v[14:15], s[0:1], v3, s8, 0
	v_mov_b32_e32 v16, v15
	v_mad_u64_u32 v[16:17], s[0:1], v3, s9, v[16:17]
	v_mov_b32_e32 v15, v16
	v_lshl_add_u64 v[14:15], v[14:15], 3, s[6:7]
	global_load_dwordx2 v[14:15], v[14:15], off
	v_or_b32_e32 v3, 3, v65
	v_cmp_gt_i32_e64 s[0:1], s25, v3
	v_mov_b32_e32 v17, 0
	v_mov_b32_e32 v16, 0
	s_and_saveexec_b64 s[22:23], s[0:1]
	s_cbranch_execz .LBB109_28
; %bb.27:
	v_mad_u64_u32 v[16:17], s[0:1], v3, s8, 0
	v_mov_b32_e32 v18, v17
	v_mad_u64_u32 v[18:19], s[0:1], v3, s9, v[18:19]
	v_mov_b32_e32 v17, v18
	v_lshl_add_u64 v[16:17], v[16:17], 3, s[6:7]
	global_load_dwordx2 v[16:17], v[16:17], off
.LBB109_28:
	s_or_b64 exec, exec, s[22:23]
.LBB109_29:
	s_or_b64 exec, exec, s[10:11]
.LBB109_30:
	s_or_b64 exec, exec, s[4:5]
.LBB109_31:
	s_or_b64 exec, exec, s[2:3]
	v_cmp_gt_i32_e64 s[0:1], s24, v2
	s_and_saveexec_b64 s[2:3], s[0:1]
	s_cbranch_execz .LBB109_39
; %bb.32:
	s_lshl_b64 s[0:1], s[18:19], 3
	s_add_u32 s4, s40, s0
	s_addc_u32 s5, s41, s1
	s_lshl_b64 s[0:1], s[42:43], 3
	s_add_u32 s0, s4, s0
	s_addc_u32 s1, s5, s1
	v_mad_u64_u32 v[18:19], s[4:5], v65, s44, 0
	v_mov_b32_e32 v22, v19
	v_ashrrev_i32_e32 v3, 31, v2
	v_mad_u64_u32 v[22:23], s[4:5], v65, s45, v[22:23]
	v_mad_u64_u32 v[24:25], s[4:5], v20, s44, 0
	v_cndmask_b32_e32 v18, 0, v18, vcc
	v_cndmask_b32_e32 v19, 0, v22, vcc
	v_lshlrev_b64 v[22:23], 3, v[2:3]
	v_mov_b32_e32 v26, v25
	v_cmp_gt_i32_e32 vcc, s25, v20
	v_or_b32_e32 v3, 2, v65
	v_mad_u64_u32 v[26:27], s[4:5], v20, s45, v[26:27]
	v_cndmask_b32_e32 v20, 0, v24, vcc
	v_mad_u64_u32 v[24:25], s[4:5], v3, s44, 0
	v_cndmask_b32_e32 v21, 0, v26, vcc
	v_mov_b32_e32 v26, v25
	v_mad_u64_u32 v[26:27], s[4:5], v3, s45, v[26:27]
	v_cmp_gt_i32_e32 vcc, s25, v3
	v_or_b32_e32 v3, 3, v65
	v_lshl_add_u64 v[18:19], v[18:19], 3, s[0:1]
	v_cndmask_b32_e32 v25, 0, v26, vcc
	v_mad_u64_u32 v[26:27], s[4:5], v3, s44, 0
	v_mov_b32_e32 v28, v27
	v_cndmask_b32_e32 v24, 0, v24, vcc
	v_mad_u64_u32 v[28:29], s[4:5], v3, s45, v[28:29]
	v_cmp_gt_i32_e32 vcc, s25, v3
	v_lshl_add_u64 v[18:19], v[18:19], 0, v[22:23]
	v_lshl_add_u64 v[20:21], v[20:21], 3, s[0:1]
	v_cndmask_b32_e32 v26, 0, v26, vcc
	v_cndmask_b32_e32 v27, 0, v28, vcc
	v_lshl_add_u64 v[24:25], v[24:25], 3, s[0:1]
	v_lshl_add_u64 v[26:27], v[26:27], 3, s[0:1]
	;; [unrolled: 1-line block ×5, first 2 shown]
	global_load_dwordx2 v[22:23], v[18:19], off
	global_load_dwordx2 v[28:29], v[20:21], off
	global_load_dwordx2 v[30:31], v[24:25], off
	global_load_dwordx2 v[32:33], v[26:27], off
	v_add_u32_e32 v3, 32, v2
	v_cmp_gt_i32_e32 vcc, s24, v3
	s_waitcnt vmcnt(3)
	v_pk_mul_f32 v[34:35], v[10:11], v[22:23] op_sel:[0,1]
	s_waitcnt vmcnt(2)
	v_pk_mul_f32 v[36:37], v[12:13], v[28:29] op_sel:[0,1]
	v_pk_fma_f32 v[42:43], v[10:11], v[22:23], v[34:35] op_sel:[0,0,1] op_sel_hi:[1,1,0] neg_lo:[0,0,1] neg_hi:[0,0,1]
	v_pk_fma_f32 v[34:35], v[10:11], v[22:23], v[34:35] op_sel:[0,0,1] op_sel_hi:[1,0,0]
	s_waitcnt vmcnt(1)
	v_pk_mul_f32 v[38:39], v[14:15], v[30:31] op_sel:[0,1]
	v_pk_fma_f32 v[44:45], v[12:13], v[28:29], v[36:37] op_sel:[0,0,1] op_sel_hi:[1,1,0] neg_lo:[0,0,1] neg_hi:[0,0,1]
	v_pk_fma_f32 v[28:29], v[12:13], v[28:29], v[36:37] op_sel:[0,0,1] op_sel_hi:[1,0,0]
	v_mov_b32_e32 v43, v35
	s_waitcnt vmcnt(0)
	v_pk_mul_f32 v[40:41], v[16:17], v[32:33] op_sel:[0,1]
	v_pk_fma_f32 v[36:37], v[14:15], v[30:31], v[38:39] op_sel:[0,0,1] op_sel_hi:[1,1,0] neg_lo:[0,0,1] neg_hi:[0,0,1]
	v_pk_fma_f32 v[30:31], v[14:15], v[30:31], v[38:39] op_sel:[0,0,1] op_sel_hi:[1,0,0]
	v_mov_b32_e32 v45, v29
	v_pk_add_f32 v[8:9], v[8:9], v[42:43]
	v_pk_fma_f32 v[22:23], v[16:17], v[32:33], v[40:41] op_sel:[0,0,1] op_sel_hi:[1,1,0] neg_lo:[0,0,1] neg_hi:[0,0,1]
	v_pk_fma_f32 v[32:33], v[16:17], v[32:33], v[40:41] op_sel:[0,0,1] op_sel_hi:[1,0,0]
	v_mov_b32_e32 v37, v31
	v_pk_add_f32 v[8:9], v[8:9], v[44:45]
	v_mov_b32_e32 v23, v33
	v_pk_add_f32 v[8:9], v[8:9], v[36:37]
	s_and_saveexec_b64 s[0:1], vcc
	s_cbranch_execz .LBB109_38
; %bb.33:
	global_load_dwordx2 v[28:29], v[18:19], off offset:256
	global_load_dwordx2 v[30:31], v[20:21], off offset:256
	;; [unrolled: 1-line block ×4, first 2 shown]
	v_add_u32_e32 v36, 64, v2
	v_cmp_gt_i32_e32 vcc, s24, v36
	s_waitcnt vmcnt(3)
	v_mul_f32_e32 v37, v11, v29
	v_mul_f32_e32 v29, v10, v29
	s_waitcnt vmcnt(2)
	v_mul_f32_e32 v38, v13, v31
	v_mul_f32_e32 v31, v12, v31
	;; [unrolled: 3-line block ×3, first 2 shown]
	v_fma_f32 v35, v10, v28, -v37
	v_fmac_f32_e32 v29, v11, v28
	v_mul_f32_e32 v39, v15, v33
	v_mul_f32_e32 v33, v14, v33
	v_fma_f32 v37, v12, v30, -v38
	v_fmac_f32_e32 v31, v13, v30
	v_add_f32_e32 v6, v6, v35
	v_add_f32_e32 v7, v7, v29
	v_fma_f32 v30, v14, v32, -v39
	v_fmac_f32_e32 v33, v15, v32
	v_add_f32_e32 v6, v6, v37
	v_add_f32_e32 v7, v7, v31
	;; [unrolled: 4-line block ×3, first 2 shown]
	s_and_saveexec_b64 s[4:5], vcc
	s_cbranch_execz .LBB109_37
; %bb.34:
	global_load_dwordx2 v[30:31], v[18:19], off offset:512
	global_load_dwordx2 v[32:33], v[20:21], off offset:512
	;; [unrolled: 1-line block ×4, first 2 shown]
	v_add_u32_e32 v38, 0x60, v2
	v_cmp_gt_i32_e32 vcc, s24, v38
	s_waitcnt vmcnt(3)
	v_mul_f32_e32 v29, v11, v31
	v_mul_f32_e32 v31, v10, v31
	s_waitcnt vmcnt(2)
	v_mul_f32_e32 v39, v13, v33
	v_mul_f32_e32 v33, v12, v33
	;; [unrolled: 3-line block ×3, first 2 shown]
	v_fma_f32 v37, v10, v30, -v29
	v_fmac_f32_e32 v31, v11, v30
	v_mul_f32_e32 v40, v15, v35
	v_mul_f32_e32 v35, v14, v35
	v_fma_f32 v30, v12, v32, -v39
	v_fmac_f32_e32 v33, v13, v32
	v_add_f32_e32 v4, v4, v37
	v_add_f32_e32 v5, v5, v31
	v_fma_f32 v32, v14, v34, -v40
	v_fmac_f32_e32 v35, v15, v34
	v_add_f32_e32 v4, v4, v30
	v_add_f32_e32 v5, v5, v33
	;; [unrolled: 4-line block ×3, first 2 shown]
	s_and_saveexec_b64 s[6:7], vcc
	s_cbranch_execz .LBB109_36
; %bb.35:
	global_load_dwordx2 v[30:31], v[18:19], off offset:768
	global_load_dwordx2 v[32:33], v[20:21], off offset:768
	;; [unrolled: 1-line block ×4, first 2 shown]
	s_waitcnt vmcnt(3)
	v_mul_f32_e32 v18, v11, v31
	v_mul_f32_e32 v19, v10, v31
	s_waitcnt vmcnt(2)
	v_mul_f32_e32 v20, v13, v33
	v_mul_f32_e32 v21, v12, v33
	v_fma_f32 v10, v10, v30, -v18
	v_fmac_f32_e32 v19, v11, v30
	s_waitcnt vmcnt(1)
	v_mul_f32_e32 v24, v15, v35
	v_mul_f32_e32 v25, v14, v35
	v_fma_f32 v11, v12, v32, -v20
	v_fmac_f32_e32 v21, v13, v32
	v_add_f32_e32 v0, v0, v10
	v_add_f32_e32 v1, v1, v19
	s_waitcnt vmcnt(0)
	v_mul_f32_e32 v26, v17, v37
	v_mul_f32_e32 v27, v16, v37
	v_fma_f32 v12, v14, v34, -v24
	v_fmac_f32_e32 v25, v15, v34
	v_add_f32_e32 v0, v0, v11
	v_add_f32_e32 v1, v1, v21
	v_fma_f32 v13, v16, v36, -v26
	v_fmac_f32_e32 v27, v17, v36
	v_add_f32_e32 v0, v0, v12
	v_add_f32_e32 v1, v1, v25
	;; [unrolled: 1-line block ×4, first 2 shown]
.LBB109_36:
	s_or_b64 exec, exec, s[6:7]
	v_add_f32_e32 v4, v4, v29
	v_add_f32_e32 v5, v5, v2
.LBB109_37:
	s_or_b64 exec, exec, s[4:5]
	v_add_f32_e32 v6, v6, v28
	v_add_f32_e32 v7, v7, v3
.LBB109_38:
	s_or_b64 exec, exec, s[0:1]
	v_pk_add_f32 v[8:9], v[8:9], v[22:23]
.LBB109_39:
	s_or_b64 exec, exec, s[2:3]
.LBB109_40:
	v_lshlrev_b32_e32 v2, 7, v64
	s_movk_i32 s0, 0x80
	v_add_lshl_u32 v2, v2, v63, 3
	v_cmp_gt_u32_e32 vcc, s0, v62
	ds_write2_b64 v2, v[8:9], v[6:7] offset1:32
	ds_write2_b64 v2, v[4:5], v[0:1] offset0:64 offset1:96
	s_waitcnt lgkmcnt(0)
	s_barrier
	s_and_saveexec_b64 s[0:1], vcc
	s_cbranch_execz .LBB109_45
; %bb.41:
	v_lshlrev_b32_e32 v20, 3, v62
	ds_read2st64_b64 v[0:3], v20 offset1:2
	ds_read2st64_b64 v[4:7], v20 offset0:4 offset1:6
	s_waitcnt vmcnt(0)
	ds_read2st64_b64 v[8:11], v20 offset0:8 offset1:10
	ds_read2st64_b64 v[12:15], v20 offset0:12 offset1:14
	;; [unrolled: 1-line block ×3, first 2 shown]
	s_waitcnt lgkmcnt(4)
	v_pk_add_f32 v[0:1], v[0:1], v[2:3]
	s_waitcnt lgkmcnt(3)
	v_pk_add_f32 v[0:1], v[0:1], v[4:5]
	s_nop 0
	v_pk_add_f32 v[0:1], v[0:1], v[6:7]
	s_waitcnt lgkmcnt(2)
	v_pk_add_f32 v[0:1], v[0:1], v[8:9]
	s_nop 0
	;; [unrolled: 4-line block ×3, first 2 shown]
	v_pk_add_f32 v[4:5], v[0:1], v[14:15]
	ds_read2st64_b64 v[0:3], v20 offset0:20 offset1:22
	s_waitcnt lgkmcnt(1)
	v_pk_add_f32 v[8:9], v[4:5], v[16:17]
	ds_read2st64_b64 v[4:7], v20 offset0:24 offset1:26
	v_pk_add_f32 v[12:13], v[8:9], v[18:19]
	ds_read2st64_b64 v[8:11], v20 offset0:28 offset1:30
	s_waitcnt lgkmcnt(2)
	v_pk_add_f32 v[0:1], v[12:13], v[0:1]
	s_nop 0
	v_pk_add_f32 v[0:1], v[0:1], v[2:3]
	s_waitcnt lgkmcnt(1)
	v_pk_add_f32 v[0:1], v[0:1], v[4:5]
	v_or_b32_e32 v4, s33, v62
	v_pk_add_f32 v[0:1], v[0:1], v[6:7]
	v_cmp_gt_i32_e32 vcc, s24, v4
	s_waitcnt lgkmcnt(0)
	v_pk_add_f32 v[0:1], v[0:1], v[8:9]
	s_nop 0
	v_pk_add_f32 v[2:3], v[0:1], v[10:11]
	ds_write_b64 v20, v[2:3]
	s_and_b64 exec, exec, vcc
	s_cbranch_execz .LBB109_45
; %bb.42:
	v_pk_mul_f32 v[6:7], v[2:3], s[14:15] op_sel:[1,0]
	v_cmp_neq_f32_e64 s[0:1], s12, 0
	v_pk_fma_f32 v[0:1], v[2:3], s[14:15], v[6:7] op_sel:[0,0,1] op_sel_hi:[0,1,0] neg_lo:[0,0,1] neg_hi:[0,0,1]
	v_pk_fma_f32 v[2:3], v[2:3], s[14:15], v[6:7] op_sel:[0,0,1] op_sel_hi:[0,1,0]
	v_ashrrev_i32_e32 v1, 31, v4
	v_cmp_neq_f32_e64 s[2:3], s13, 0
	v_mul_lo_u32 v2, v4, s21
	v_mul_lo_u32 v1, v1, s20
	v_mad_u64_u32 v[4:5], s[4:5], v4, s20, 0
	v_add3_u32 v5, v5, v2, v1
	s_or_b64 s[0:1], s[0:1], s[2:3]
	s_andn2_b64 vcc, exec, s[0:1]
	v_lshl_add_u64 v[4:5], v[4:5], 3, s[16:17]
	s_cbranch_vccnz .LBB109_44
; %bb.43:
	global_load_dwordx2 v[6:7], v[4:5], off
	v_mov_b32_e32 v1, v3
	s_waitcnt vmcnt(0)
	v_pk_mul_f32 v[2:3], s[12:13], v[6:7] op_sel:[0,1]
	s_nop 0
	v_pk_fma_f32 v[8:9], s[12:13], v[6:7], v[2:3] op_sel:[0,0,1] op_sel_hi:[1,1,0] neg_lo:[0,0,1] neg_hi:[0,0,1]
	v_pk_fma_f32 v[2:3], s[12:13], v[6:7], v[2:3] op_sel:[0,0,1] op_sel_hi:[1,0,0]
	s_nop 0
	v_mov_b32_e32 v9, v3
	v_pk_add_f32 v[0:1], v[0:1], v[8:9]
	s_nop 0
	v_mov_b32_e32 v3, v1
.LBB109_44:
	v_mov_b32_e32 v1, v3
	global_store_dwordx2 v[4:5], v[0:1], off
.LBB109_45:
	s_endpgm
	.section	.rodata,"a",@progbits
	.p2align	6, 0x0
	.amdhsa_kernel _ZL20rocblas_gemvn_kernelILi32ELi16El19rocblas_complex_numIfEPKS1_S1_EviiT3_lPKT2_lT1_lS7_lS8_lS4_lPT4_lS8_li
		.amdhsa_group_segment_fixed_size 16384
		.amdhsa_private_segment_fixed_size 0
		.amdhsa_kernarg_size 400
		.amdhsa_user_sgpr_count 2
		.amdhsa_user_sgpr_dispatch_ptr 0
		.amdhsa_user_sgpr_queue_ptr 0
		.amdhsa_user_sgpr_kernarg_segment_ptr 1
		.amdhsa_user_sgpr_dispatch_id 0
		.amdhsa_user_sgpr_kernarg_preload_length 0
		.amdhsa_user_sgpr_kernarg_preload_offset 0
		.amdhsa_user_sgpr_private_segment_size 0
		.amdhsa_uses_dynamic_stack 0
		.amdhsa_enable_private_segment 0
		.amdhsa_system_sgpr_workgroup_id_x 1
		.amdhsa_system_sgpr_workgroup_id_y 0
		.amdhsa_system_sgpr_workgroup_id_z 1
		.amdhsa_system_sgpr_workgroup_info 0
		.amdhsa_system_vgpr_workitem_id 1
		.amdhsa_next_free_vgpr 69
		.amdhsa_next_free_sgpr 53
		.amdhsa_accum_offset 72
		.amdhsa_reserve_vcc 1
		.amdhsa_float_round_mode_32 0
		.amdhsa_float_round_mode_16_64 0
		.amdhsa_float_denorm_mode_32 3
		.amdhsa_float_denorm_mode_16_64 3
		.amdhsa_dx10_clamp 1
		.amdhsa_ieee_mode 1
		.amdhsa_fp16_overflow 0
		.amdhsa_tg_split 0
		.amdhsa_exception_fp_ieee_invalid_op 0
		.amdhsa_exception_fp_denorm_src 0
		.amdhsa_exception_fp_ieee_div_zero 0
		.amdhsa_exception_fp_ieee_overflow 0
		.amdhsa_exception_fp_ieee_underflow 0
		.amdhsa_exception_fp_ieee_inexact 0
		.amdhsa_exception_int_div_zero 0
	.end_amdhsa_kernel
	.section	.text._ZL20rocblas_gemvn_kernelILi32ELi16El19rocblas_complex_numIfEPKS1_S1_EviiT3_lPKT2_lT1_lS7_lS8_lS4_lPT4_lS8_li,"axG",@progbits,_ZL20rocblas_gemvn_kernelILi32ELi16El19rocblas_complex_numIfEPKS1_S1_EviiT3_lPKT2_lT1_lS7_lS8_lS4_lPT4_lS8_li,comdat
.Lfunc_end109:
	.size	_ZL20rocblas_gemvn_kernelILi32ELi16El19rocblas_complex_numIfEPKS1_S1_EviiT3_lPKT2_lT1_lS7_lS8_lS4_lPT4_lS8_li, .Lfunc_end109-_ZL20rocblas_gemvn_kernelILi32ELi16El19rocblas_complex_numIfEPKS1_S1_EviiT3_lPKT2_lT1_lS7_lS8_lS4_lPT4_lS8_li
                                        ; -- End function
	.section	.AMDGPU.csdata,"",@progbits
; Kernel info:
; codeLenInByte = 3688
; NumSgprs: 59
; NumVgprs: 69
; NumAgprs: 0
; TotalNumVgprs: 69
; ScratchSize: 0
; MemoryBound: 0
; FloatMode: 240
; IeeeMode: 1
; LDSByteSize: 16384 bytes/workgroup (compile time only)
; SGPRBlocks: 7
; VGPRBlocks: 8
; NumSGPRsForWavesPerEU: 59
; NumVGPRsForWavesPerEU: 69
; AccumOffset: 72
; Occupancy: 7
; WaveLimiterHint : 0
; COMPUTE_PGM_RSRC2:SCRATCH_EN: 0
; COMPUTE_PGM_RSRC2:USER_SGPR: 2
; COMPUTE_PGM_RSRC2:TRAP_HANDLER: 0
; COMPUTE_PGM_RSRC2:TGID_X_EN: 1
; COMPUTE_PGM_RSRC2:TGID_Y_EN: 0
; COMPUTE_PGM_RSRC2:TGID_Z_EN: 1
; COMPUTE_PGM_RSRC2:TIDIG_COMP_CNT: 1
; COMPUTE_PGM_RSRC3_GFX90A:ACCUM_OFFSET: 17
; COMPUTE_PGM_RSRC3_GFX90A:TG_SPLIT: 0
	.section	.text._ZL20rocblas_gemvn_kernelILi32ELi16Ei19rocblas_complex_numIfES1_S1_EviiT3_lPKT2_lT1_lS5_lS6_lS2_lPT4_lS6_li,"axG",@progbits,_ZL20rocblas_gemvn_kernelILi32ELi16Ei19rocblas_complex_numIfES1_S1_EviiT3_lPKT2_lT1_lS5_lS6_lS2_lPT4_lS6_li,comdat
	.globl	_ZL20rocblas_gemvn_kernelILi32ELi16Ei19rocblas_complex_numIfES1_S1_EviiT3_lPKT2_lT1_lS5_lS6_lS2_lPT4_lS6_li ; -- Begin function _ZL20rocblas_gemvn_kernelILi32ELi16Ei19rocblas_complex_numIfES1_S1_EviiT3_lPKT2_lT1_lS5_lS6_lS2_lPT4_lS6_li
	.p2align	8
	.type	_ZL20rocblas_gemvn_kernelILi32ELi16Ei19rocblas_complex_numIfES1_S1_EviiT3_lPKT2_lT1_lS5_lS6_lS2_lPT4_lS6_li,@function
_ZL20rocblas_gemvn_kernelILi32ELi16Ei19rocblas_complex_numIfES1_S1_EviiT3_lPKT2_lT1_lS5_lS6_lS2_lPT4_lS6_li: ; @_ZL20rocblas_gemvn_kernelILi32ELi16Ei19rocblas_complex_numIfES1_S1_EviiT3_lPKT2_lT1_lS5_lS6_lS2_lPT4_lS6_li
; %bb.0:
	s_load_dwordx2 s[4:5], s[0:1], 0x9c
	s_waitcnt lgkmcnt(0)
	s_lshr_b32 s6, s4, 16
	s_and_b32 s4, s4, 0xffff
	s_and_b32 s5, s5, 0xffff
	s_mul_i32 s4, s6, s4
	s_mul_i32 s4, s4, s5
	s_cmpk_lg_i32 s4, 0x200
	s_cbranch_scc1 .LBB110_45
; %bb.1:
	s_load_dwordx4 s[8:11], s[0:1], 0x0
	s_load_dwordx2 s[12:13], s[0:1], 0x58
	s_waitcnt lgkmcnt(0)
	v_cmp_eq_f32_e64 s[4:5], s10, 0
	v_cmp_eq_f32_e64 s[6:7], s11, 0
	v_cmp_eq_f32_e64 s[14:15], s12, 1.0
	v_cmp_eq_f32_e64 s[16:17], s13, 0
	s_and_b64 s[4:5], s[4:5], s[6:7]
	s_and_b64 s[6:7], s[14:15], s[16:17]
	;; [unrolled: 1-line block ×3, first 2 shown]
	s_and_b64 vcc, exec, s[4:5]
	s_cbranch_vccnz .LBB110_45
; %bb.2:
	s_load_dwordx2 s[14:15], s[0:1], 0x80
	s_load_dwordx4 s[4:7], s[0:1], 0x68
	s_load_dword s33, s[0:1], 0x78
	v_and_b32_e32 v2, 0x3ff, v0
	v_bfe_u32 v3, v0, 10, 10
	s_waitcnt lgkmcnt(0)
	s_mul_i32 s15, s3, s15
	s_mul_hi_u32 s16, s3, s14
	s_mul_i32 s14, s3, s14
	s_add_i32 s15, s16, s15
	s_lshl_b64 s[14:15], s[14:15], 3
	s_add_u32 s14, s4, s14
	s_addc_u32 s15, s5, s15
	s_lshl_b64 s[4:5], s[6:7], 3
	s_add_u32 s14, s14, s4
	s_addc_u32 s15, s15, s5
	s_or_b32 s4, s10, s11
	s_bitset0_b32 s4, 31
	v_lshl_add_u32 v54, v3, 5, v2
	s_cmp_lg_u32 s4, 0
	s_mov_b64 s[4:5], -1
	s_cbranch_scc1 .LBB110_9
; %bb.3:
	s_movk_i32 s4, 0x80
	v_cmp_gt_u32_e32 vcc, s4, v54
	s_and_saveexec_b64 s[4:5], vcc
	s_cbranch_execz .LBB110_8
; %bb.4:
	v_lshl_or_b32 v0, s2, 7, v54
	v_mov_b32_e32 v1, 0
	s_ashr_i32 s7, s8, 31
	s_mov_b32 s6, s8
	v_cmp_gt_i64_e32 vcc, s[6:7], v[0:1]
	s_and_b64 exec, exec, vcc
	s_cbranch_execz .LBB110_8
; %bb.5:
	v_mad_u64_u32 v[4:5], s[18:19], s33, v0, 0
	s_ashr_i32 s20, s33, 31
	v_mov_b32_e32 v6, v5
	v_cmp_neq_f32_e64 s[6:7], s12, 0
	v_cmp_neq_f32_e64 s[16:17], s13, 0
	v_mad_u64_u32 v[6:7], s[18:19], s20, v0, v[6:7]
	v_mov_b32_e32 v5, v6
	s_or_b64 s[6:7], s[6:7], s[16:17]
	s_andn2_b64 vcc, exec, s[6:7]
	v_lshl_add_u64 v[4:5], v[4:5], 3, s[14:15]
	v_mov_b32_e32 v7, v1
	s_cbranch_vccnz .LBB110_7
; %bb.6:
	global_load_dwordx2 v[0:1], v[4:5], off
	s_waitcnt vmcnt(0)
	v_pk_mul_f32 v[6:7], s[12:13], v[0:1] op_sel:[0,1]
	s_nop 0
	v_pk_fma_f32 v[8:9], s[12:13], v[0:1], v[6:7] op_sel:[0,0,1] op_sel_hi:[1,1,0] neg_lo:[0,0,1] neg_hi:[0,0,1]
	v_pk_fma_f32 v[6:7], s[12:13], v[0:1], v[6:7] op_sel:[0,0,1] op_sel_hi:[1,0,0]
	v_mov_b32_e32 v1, v8
.LBB110_7:
	v_mov_b32_e32 v6, v1
	global_store_dwordx2 v[4:5], v[6:7], off
.LBB110_8:
	s_or_b64 exec, exec, s[4:5]
	s_mov_b64 s[4:5], 0
.LBB110_9:
	s_andn2_b64 vcc, exec, s[4:5]
	s_cbranch_vccnz .LBB110_45
; %bb.10:
	s_load_dwordx4 s[4:7], s[0:1], 0x30
	s_load_dwordx4 s[16:19], s[0:1], 0x18
	s_load_dword s35, s[0:1], 0x28
	s_load_dwordx2 s[20:21], s[0:1], 0x40
	s_load_dword s36, s[0:1], 0x48
	s_load_dwordx2 s[22:23], s[0:1], 0x50
	s_waitcnt lgkmcnt(0)
	s_mul_i32 s0, s3, s5
	s_mul_hi_u32 s1, s3, s4
	s_add_i32 s1, s1, s0
	s_mul_i32 s0, s3, s4
	s_lshl_b64 s[0:1], s[0:1], 3
	s_add_u32 s4, s16, s0
	s_addc_u32 s5, s17, s1
	s_lshl_b64 s[0:1], s[18:19], 3
	s_add_u32 s16, s4, s0
	s_addc_u32 s17, s5, s1
	s_mul_i32 s0, s3, s23
	s_mul_hi_u32 s1, s3, s22
	s_add_i32 s1, s1, s0
	s_mul_i32 s0, s3, s22
	s_lshl_b64 s[0:1], s[0:1], 3
	s_add_u32 s3, s6, s0
	s_addc_u32 s4, s7, s1
	s_lshl_b64 s[0:1], s[20:21], 3
	s_add_u32 s18, s3, s0
	s_addc_u32 s19, s4, s1
	s_ashr_i32 s0, s9, 31
	s_lshr_b32 s0, s0, 26
	s_add_i32 s37, s9, s0
	s_mov_b32 s20, 0
	s_lshl_b32 s34, s2, 7
	s_andn2_b32 s37, s37, 63
	v_lshlrev_b32_e32 v56, 2, v3
	s_mov_b32 s21, s20
	v_add_u32_e32 v55, s34, v2
	v_cmp_gt_i32_e32 vcc, s37, v56
	v_mov_b64_e32 v[8:9], s[20:21]
	v_mov_b32_e32 v1, 0
	v_mov_b32_e32 v0, 0
	;; [unrolled: 1-line block ×6, first 2 shown]
	s_and_saveexec_b64 s[22:23], vcc
	s_cbranch_execz .LBB110_22
; %bb.11:
	v_add_u32_e32 v0, 32, v55
	v_cmp_gt_i32_e64 s[0:1], s8, v0
	v_add_u32_e32 v0, 64, v55
	v_cmp_gt_i32_e64 s[2:3], s8, v0
	;; [unrolled: 2-line block ×3, first 2 shown]
	v_mul_lo_u32 v0, s35, v56
	v_add3_u32 v57, v0, s35, v2
	v_add_u32_e32 v0, 2, v56
	v_mad_u64_u32 v[10:11], s[6:7], s35, v0, v[2:3]
	v_add_u32_e32 v1, 3, v56
	v_mul_lo_u32 v4, v3, s35
	v_mad_u64_u32 v[12:13], s[6:7], s35, v1, v[2:3]
	v_lshl_add_u32 v11, v4, 2, v2
	v_mul_lo_u32 v4, s36, v56
	v_mul_lo_u32 v58, s36, v0
	v_mul_lo_u32 v59, s36, v1
	v_mul_lo_u32 v0, v3, s36
	v_mov_b32_e32 v1, 0
	v_cmp_gt_i32_e32 vcc, s8, v55
	s_lshl_b32 s38, s35, 6
	v_add_u32_e32 v13, s36, v4
	s_lshl_b32 s39, s36, 6
	v_lshlrev_b32_e32 v60, 2, v0
	s_mov_b64 s[24:25], 0
	v_mov_b64_e32 v[8:9], s[20:21]
	v_mov_b32_e32 v0, v1
	v_mov_b32_e32 v5, v1
	;; [unrolled: 1-line block ×5, first 2 shown]
	s_branch .LBB110_16
.LBB110_12:                             ;   in Loop: Header=BB110_16 Depth=1
	s_or_b64 exec, exec, s[30:31]
	s_waitcnt vmcnt(3)
	v_mul_f32_e32 v40, v21, v49
	v_fma_f32 v40, v20, v48, -v40
	v_mul_f32_e32 v41, v20, v49
	v_fmac_f32_e32 v41, v21, v48
	v_add_f32_e32 v4, v4, v40
	s_waitcnt vmcnt(2)
	v_mul_f32_e32 v40, v19, v45
	v_add_f32_e32 v5, v5, v41
	v_fma_f32 v40, v18, v44, -v40
	v_mul_f32_e32 v41, v18, v45
	v_fmac_f32_e32 v41, v19, v44
	v_add_f32_e32 v4, v4, v40
	s_waitcnt vmcnt(1)
	v_mul_f32_e32 v40, v17, v43
	v_add_f32_e32 v5, v5, v41
	v_fma_f32 v40, v16, v42, -v40
	v_mul_f32_e32 v41, v16, v43
	v_fmac_f32_e32 v41, v17, v42
	v_add_f32_e32 v4, v4, v40
	s_waitcnt vmcnt(0)
	v_mul_f32_e32 v40, v15, v39
	v_mul_f32_e32 v39, v14, v39
	v_add_f32_e32 v5, v5, v41
	v_fma_f32 v40, v14, v38, -v40
	v_fmac_f32_e32 v39, v15, v38
	v_add_f32_e32 v4, v4, v40
	v_add_f32_e32 v5, v5, v39
.LBB110_13:                             ;   in Loop: Header=BB110_16 Depth=1
	s_or_b64 exec, exec, s[28:29]
	s_waitcnt vmcnt(3)
	v_mul_f32_e32 v38, v21, v37
	v_mul_f32_e32 v37, v20, v37
	v_fma_f32 v38, v20, v36, -v38
	v_fmac_f32_e32 v37, v21, v36
	s_waitcnt vmcnt(2)
	v_mul_f32_e32 v36, v19, v35
	v_mul_f32_e32 v35, v18, v35
	v_add_f32_e32 v6, v6, v38
	v_add_f32_e32 v7, v7, v37
	v_fma_f32 v36, v18, v34, -v36
	v_fmac_f32_e32 v35, v19, v34
	s_waitcnt vmcnt(1)
	v_mul_f32_e32 v34, v17, v33
	v_mul_f32_e32 v33, v16, v33
	v_add_f32_e32 v6, v6, v36
	v_add_f32_e32 v7, v7, v35
	;; [unrolled: 7-line block ×3, first 2 shown]
	v_fma_f32 v32, v14, v30, -v32
	v_fmac_f32_e32 v31, v15, v30
	v_add_f32_e32 v6, v6, v32
	v_add_f32_e32 v7, v7, v31
.LBB110_14:                             ;   in Loop: Header=BB110_16 Depth=1
	s_or_b64 exec, exec, s[26:27]
	s_waitcnt vmcnt(3)
	v_mul_f32_e32 v30, v21, v29
	v_mul_f32_e32 v31, v20, v29
	v_fma_f32 v30, v20, v28, -v30
	v_fmac_f32_e32 v31, v21, v28
	s_waitcnt vmcnt(2)
	v_mul_f32_e32 v20, v19, v27
	v_mul_f32_e32 v21, v18, v27
	v_fma_f32 v20, v18, v26, -v20
	v_fmac_f32_e32 v21, v19, v26
	v_pk_add_f32 v[8:9], v[8:9], v[30:31]
	v_mov_b32_e32 v18, v17
	v_mov_b32_e32 v19, v16
	v_pk_add_f32 v[8:9], v[8:9], v[20:21]
	s_waitcnt vmcnt(1)
	v_mov_b32_e32 v16, v25
	v_pk_mul_f32 v[20:21], v[18:19], v[24:25] op_sel_hi:[1,0]
	s_nop 0
	v_pk_fma_f32 v[16:17], v[18:19], v[16:17], v[20:21] op_sel:[0,0,1] op_sel_hi:[1,1,0] neg_lo:[1,0,0] neg_hi:[1,0,0]
	v_pk_fma_f32 v[18:19], v[18:19], v[24:25], v[20:21] op_sel:[0,1,1] op_sel_hi:[1,1,0]
	s_nop 0
	v_mov_b32_e32 v17, v19
	v_pk_add_f32 v[8:9], v[8:9], v[16:17]
	s_waitcnt vmcnt(0)
	v_pk_mul_f32 v[16:17], v[14:15], v[22:23] op_sel:[0,1]
	s_nop 0
	v_pk_fma_f32 v[18:19], v[14:15], v[22:23], v[16:17] op_sel:[0,0,1] op_sel_hi:[1,1,0] neg_lo:[0,0,1] neg_hi:[0,0,1]
	v_pk_fma_f32 v[14:15], v[14:15], v[22:23], v[16:17] op_sel:[0,0,1] op_sel_hi:[1,0,0]
	s_nop 0
	v_mov_b32_e32 v19, v15
	v_pk_add_f32 v[8:9], v[8:9], v[18:19]
.LBB110_15:                             ;   in Loop: Header=BB110_16 Depth=1
	s_or_b64 exec, exec, s[6:7]
	v_add_u32_e32 v56, 64, v56
	s_add_i32 s20, s20, s39
	v_cmp_le_i32_e64 s[6:7], s37, v56
	v_add_u32_e32 v57, s38, v57
	v_add_u32_e32 v10, s38, v10
	;; [unrolled: 1-line block ×3, first 2 shown]
	s_or_b64 s[24:25], s[6:7], s[24:25]
	v_add_u32_e32 v11, s38, v11
	s_andn2_b64 exec, exec, s[24:25]
	s_cbranch_execz .LBB110_21
.LBB110_16:                             ; =>This Inner Loop Header: Depth=1
	s_and_saveexec_b64 s[6:7], vcc
	s_cbranch_execz .LBB110_15
; %bb.17:                               ;   in Loop: Header=BB110_16 Depth=1
	v_add_u32_e32 v14, s20, v60
	v_ashrrev_i32_e32 v15, 31, v14
	v_lshl_add_u64 v[22:23], v[14:15], 3, s[18:19]
	v_add_u32_e32 v14, s20, v13
	v_ashrrev_i32_e32 v15, 31, v14
	v_lshl_add_u64 v[24:25], v[14:15], 3, s[18:19]
	;; [unrolled: 3-line block ×4, first 2 shown]
	global_load_dwordx2 v[20:21], v[22:23], off
	global_load_dwordx2 v[18:19], v[24:25], off
	;; [unrolled: 1-line block ×4, first 2 shown]
	v_add_u32_e32 v22, s34, v11
	v_ashrrev_i32_e32 v23, 31, v22
	v_lshl_add_u64 v[40:41], v[22:23], 3, s[16:17]
	v_add_u32_e32 v22, s34, v57
	v_ashrrev_i32_e32 v23, 31, v22
	v_lshl_add_u64 v[46:47], v[22:23], 3, s[16:17]
	;; [unrolled: 3-line block ×4, first 2 shown]
	global_load_dwordx2 v[28:29], v[40:41], off
	global_load_dwordx2 v[26:27], v[46:47], off
	;; [unrolled: 1-line block ×4, first 2 shown]
	s_and_saveexec_b64 s[26:27], s[0:1]
	s_cbranch_execz .LBB110_14
; %bb.18:                               ;   in Loop: Header=BB110_16 Depth=1
	global_load_dwordx2 v[36:37], v[40:41], off offset:256
	global_load_dwordx2 v[34:35], v[46:47], off offset:256
	global_load_dwordx2 v[32:33], v[50:51], off offset:256
	global_load_dwordx2 v[30:31], v[52:53], off offset:256
	s_and_saveexec_b64 s[28:29], s[2:3]
	s_cbranch_execz .LBB110_13
; %bb.19:                               ;   in Loop: Header=BB110_16 Depth=1
	global_load_dwordx2 v[48:49], v[40:41], off offset:512
	global_load_dwordx2 v[44:45], v[46:47], off offset:512
	global_load_dwordx2 v[42:43], v[50:51], off offset:512
	global_load_dwordx2 v[38:39], v[52:53], off offset:512
	;; [unrolled: 7-line block ×3, first 2 shown]
	s_waitcnt vmcnt(3)
	v_mul_f32_e32 v40, v21, v63
	v_mul_f32_e32 v41, v20, v63
	s_waitcnt vmcnt(2)
	v_mul_f32_e32 v46, v19, v65
	v_mul_f32_e32 v47, v18, v65
	v_fma_f32 v40, v20, v62, -v40
	v_fmac_f32_e32 v41, v21, v62
	s_waitcnt vmcnt(1)
	v_mul_f32_e32 v50, v17, v67
	v_mul_f32_e32 v51, v16, v67
	v_fma_f32 v46, v18, v64, -v46
	v_fmac_f32_e32 v47, v19, v64
	v_add_f32_e32 v0, v0, v40
	v_add_f32_e32 v1, v1, v41
	s_waitcnt vmcnt(0)
	v_mul_f32_e32 v52, v15, v69
	v_mul_f32_e32 v53, v14, v69
	v_fma_f32 v50, v16, v66, -v50
	v_fmac_f32_e32 v51, v17, v66
	v_add_f32_e32 v0, v0, v46
	v_add_f32_e32 v1, v1, v47
	v_fma_f32 v52, v14, v68, -v52
	v_fmac_f32_e32 v53, v15, v68
	v_add_f32_e32 v0, v0, v50
	v_add_f32_e32 v1, v1, v51
	;; [unrolled: 1-line block ×4, first 2 shown]
	s_branch .LBB110_12
.LBB110_21:
	s_or_b64 exec, exec, s[24:25]
.LBB110_22:
	s_or_b64 exec, exec, s[22:23]
	s_sub_i32 s0, s9, s37
	s_cmp_lt_i32 s0, 1
	s_cbranch_scc1 .LBB110_40
; %bb.23:
	v_cmp_gt_i32_e32 vcc, s9, v56
	v_mov_b32_e32 v10, 0
	v_or_b32_e32 v20, 1, v56
	v_mov_b32_e32 v11, 0
	v_mov_b32_e32 v12, 0
	;; [unrolled: 1-line block ×7, first 2 shown]
	s_and_saveexec_b64 s[2:3], vcc
	s_cbranch_execz .LBB110_31
; %bb.24:
	v_mul_lo_u32 v10, v56, s36
	v_ashrrev_i32_e32 v11, 31, v10
	v_lshl_add_u64 v[10:11], v[10:11], 3, s[18:19]
	global_load_dwordx2 v[10:11], v[10:11], off
	v_cmp_gt_i32_e64 s[0:1], s9, v20
	v_mov_b32_e32 v17, 0
	v_mov_b32_e32 v16, 0
	;; [unrolled: 1-line block ×6, first 2 shown]
	s_and_saveexec_b64 s[4:5], s[0:1]
	s_cbranch_execz .LBB110_30
; %bb.25:
	v_mul_lo_u32 v12, v20, s36
	v_ashrrev_i32_e32 v13, 31, v12
	v_lshl_add_u64 v[12:13], v[12:13], 3, s[18:19]
	global_load_dwordx2 v[12:13], v[12:13], off
	v_or_b32_e32 v18, 2, v56
	v_cmp_gt_i32_e64 s[0:1], s9, v18
	v_mov_b32_e32 v17, 0
	v_mov_b32_e32 v16, 0
	;; [unrolled: 1-line block ×4, first 2 shown]
	s_and_saveexec_b64 s[6:7], s[0:1]
	s_cbranch_execz .LBB110_29
; %bb.26:
	v_mul_lo_u32 v14, v18, s36
	v_ashrrev_i32_e32 v15, 31, v14
	v_lshl_add_u64 v[14:15], v[14:15], 3, s[18:19]
	global_load_dwordx2 v[14:15], v[14:15], off
	v_or_b32_e32 v18, 3, v56
	v_cmp_gt_i32_e64 s[0:1], s9, v18
	v_mov_b32_e32 v17, 0
	v_mov_b32_e32 v16, 0
	s_and_saveexec_b64 s[20:21], s[0:1]
	s_cbranch_execz .LBB110_28
; %bb.27:
	v_mul_lo_u32 v16, v18, s36
	v_ashrrev_i32_e32 v17, 31, v16
	v_lshl_add_u64 v[16:17], v[16:17], 3, s[18:19]
	global_load_dwordx2 v[16:17], v[16:17], off
.LBB110_28:
	s_or_b64 exec, exec, s[20:21]
.LBB110_29:
	s_or_b64 exec, exec, s[6:7]
.LBB110_30:
	s_or_b64 exec, exec, s[4:5]
.LBB110_31:
	s_or_b64 exec, exec, s[2:3]
	v_cmp_gt_i32_e64 s[0:1], s8, v55
	s_and_saveexec_b64 s[2:3], s[0:1]
	s_cbranch_execz .LBB110_39
; %bb.32:
	v_mul_lo_u32 v18, v56, s35
	v_cndmask_b32_e32 v18, 0, v18, vcc
	v_mul_lo_u32 v21, v20, s35
	v_cmp_gt_i32_e32 vcc, s9, v20
	v_or_b32_e32 v24, 2, v56
	v_add_u32_e32 v18, v18, v55
	v_cndmask_b32_e32 v20, 0, v21, vcc
	v_mul_lo_u32 v25, v24, s35
	v_cmp_gt_i32_e32 vcc, s9, v24
	v_or_b32_e32 v26, 3, v56
	v_ashrrev_i32_e32 v19, 31, v18
	v_add_u32_e32 v20, v20, v55
	v_cndmask_b32_e32 v24, 0, v25, vcc
	v_mul_lo_u32 v27, v26, s35
	v_cmp_gt_i32_e32 vcc, s9, v26
	v_lshl_add_u64 v[18:19], v[18:19], 3, s[16:17]
	v_ashrrev_i32_e32 v21, 31, v20
	v_add_u32_e32 v24, v24, v55
	v_cndmask_b32_e32 v26, 0, v27, vcc
	v_lshl_add_u64 v[22:23], v[20:21], 3, s[16:17]
	global_load_dwordx2 v[20:21], v[18:19], off
	global_load_dwordx2 v[28:29], v[22:23], off
	v_ashrrev_i32_e32 v25, 31, v24
	v_add_u32_e32 v26, v26, v55
	v_lshl_add_u64 v[24:25], v[24:25], 3, s[16:17]
	v_ashrrev_i32_e32 v27, 31, v26
	v_lshl_add_u64 v[26:27], v[26:27], 3, s[16:17]
	global_load_dwordx2 v[30:31], v[24:25], off
	global_load_dwordx2 v[32:33], v[26:27], off
	v_add_u32_e32 v42, 32, v55
	v_cmp_gt_i32_e32 vcc, s8, v42
	s_waitcnt vmcnt(3)
	v_pk_mul_f32 v[34:35], v[10:11], v[20:21] op_sel:[0,1]
	s_waitcnt vmcnt(2)
	v_pk_mul_f32 v[36:37], v[12:13], v[28:29] op_sel:[0,1]
	v_pk_fma_f32 v[38:39], v[10:11], v[20:21], v[34:35] op_sel:[0,0,1] op_sel_hi:[1,1,0] neg_lo:[0,0,1] neg_hi:[0,0,1]
	v_pk_fma_f32 v[20:21], v[10:11], v[20:21], v[34:35] op_sel:[0,0,1] op_sel_hi:[1,0,0]
	v_pk_fma_f32 v[34:35], v[12:13], v[28:29], v[36:37] op_sel:[0,0,1] op_sel_hi:[1,1,0] neg_lo:[0,0,1] neg_hi:[0,0,1]
	v_pk_fma_f32 v[28:29], v[12:13], v[28:29], v[36:37] op_sel:[0,0,1] op_sel_hi:[1,0,0]
	s_waitcnt vmcnt(1)
	v_pk_mul_f32 v[36:37], v[14:15], v[30:31] op_sel:[0,1]
	v_mov_b32_e32 v39, v21
	s_waitcnt vmcnt(0)
	v_pk_mul_f32 v[40:41], v[16:17], v[32:33] op_sel:[0,1]
	v_mov_b32_e32 v35, v29
	v_pk_fma_f32 v[28:29], v[14:15], v[30:31], v[36:37] op_sel:[0,0,1] op_sel_hi:[1,1,0] neg_lo:[0,0,1] neg_hi:[0,0,1]
	v_pk_fma_f32 v[30:31], v[14:15], v[30:31], v[36:37] op_sel:[0,0,1] op_sel_hi:[1,0,0]
	v_pk_add_f32 v[8:9], v[8:9], v[38:39]
	v_pk_fma_f32 v[20:21], v[16:17], v[32:33], v[40:41] op_sel:[0,0,1] op_sel_hi:[1,1,0] neg_lo:[0,0,1] neg_hi:[0,0,1]
	v_pk_fma_f32 v[32:33], v[16:17], v[32:33], v[40:41] op_sel:[0,0,1] op_sel_hi:[1,0,0]
	v_mov_b32_e32 v29, v31
	v_pk_add_f32 v[8:9], v[8:9], v[34:35]
	v_mov_b32_e32 v21, v33
	v_pk_add_f32 v[8:9], v[8:9], v[28:29]
	s_and_saveexec_b64 s[0:1], vcc
	s_cbranch_execz .LBB110_38
; %bb.33:
	global_load_dwordx2 v[30:31], v[18:19], off offset:256
	global_load_dwordx2 v[32:33], v[22:23], off offset:256
	;; [unrolled: 1-line block ×4, first 2 shown]
	v_add_u32_e32 v38, 64, v55
	v_cmp_gt_i32_e32 vcc, s8, v38
	s_waitcnt vmcnt(3)
	v_mul_f32_e32 v29, v11, v31
	v_mul_f32_e32 v31, v10, v31
	s_waitcnt vmcnt(2)
	v_mul_f32_e32 v39, v13, v33
	v_mul_f32_e32 v33, v12, v33
	;; [unrolled: 3-line block ×3, first 2 shown]
	v_fma_f32 v37, v10, v30, -v29
	v_fmac_f32_e32 v31, v11, v30
	v_mul_f32_e32 v40, v15, v35
	v_mul_f32_e32 v35, v14, v35
	v_fma_f32 v30, v12, v32, -v39
	v_fmac_f32_e32 v33, v13, v32
	v_add_f32_e32 v6, v6, v37
	v_add_f32_e32 v7, v7, v31
	v_fma_f32 v32, v14, v34, -v40
	v_fmac_f32_e32 v35, v15, v34
	v_add_f32_e32 v6, v6, v30
	v_add_f32_e32 v7, v7, v33
	;; [unrolled: 4-line block ×3, first 2 shown]
	s_and_saveexec_b64 s[4:5], vcc
	s_cbranch_execz .LBB110_37
; %bb.34:
	global_load_dwordx2 v[32:33], v[18:19], off offset:512
	global_load_dwordx2 v[34:35], v[22:23], off offset:512
	;; [unrolled: 1-line block ×4, first 2 shown]
	v_add_u32_e32 v40, 0x60, v55
	v_cmp_gt_i32_e32 vcc, s8, v40
	s_waitcnt vmcnt(3)
	v_mul_f32_e32 v31, v11, v33
	v_mul_f32_e32 v33, v10, v33
	s_waitcnt vmcnt(2)
	v_mul_f32_e32 v41, v13, v35
	v_mul_f32_e32 v35, v12, v35
	;; [unrolled: 3-line block ×3, first 2 shown]
	v_fma_f32 v39, v10, v32, -v31
	v_fmac_f32_e32 v33, v11, v32
	v_mul_f32_e32 v42, v15, v37
	v_mul_f32_e32 v37, v14, v37
	v_fma_f32 v32, v12, v34, -v41
	v_fmac_f32_e32 v35, v13, v34
	v_add_f32_e32 v4, v4, v39
	v_add_f32_e32 v5, v5, v33
	v_fma_f32 v34, v14, v36, -v42
	v_fmac_f32_e32 v37, v15, v36
	v_add_f32_e32 v4, v4, v32
	v_add_f32_e32 v5, v5, v35
	;; [unrolled: 4-line block ×3, first 2 shown]
	s_and_saveexec_b64 s[6:7], vcc
	s_cbranch_execz .LBB110_36
; %bb.35:
	global_load_dwordx2 v[32:33], v[18:19], off offset:768
	global_load_dwordx2 v[34:35], v[22:23], off offset:768
	;; [unrolled: 1-line block ×4, first 2 shown]
	s_waitcnt vmcnt(3)
	v_mul_f32_e32 v18, v11, v33
	v_mul_f32_e32 v19, v10, v33
	s_waitcnt vmcnt(2)
	v_mul_f32_e32 v22, v13, v35
	v_mul_f32_e32 v23, v12, v35
	v_fma_f32 v10, v10, v32, -v18
	v_fmac_f32_e32 v19, v11, v32
	s_waitcnt vmcnt(1)
	v_mul_f32_e32 v24, v15, v37
	v_mul_f32_e32 v25, v14, v37
	v_fma_f32 v11, v12, v34, -v22
	v_fmac_f32_e32 v23, v13, v34
	v_add_f32_e32 v0, v0, v10
	v_add_f32_e32 v1, v1, v19
	s_waitcnt vmcnt(0)
	v_mul_f32_e32 v26, v17, v39
	v_mul_f32_e32 v27, v16, v39
	v_fma_f32 v12, v14, v36, -v24
	v_fmac_f32_e32 v25, v15, v36
	v_add_f32_e32 v0, v0, v11
	v_add_f32_e32 v1, v1, v23
	v_fma_f32 v13, v16, v38, -v26
	v_fmac_f32_e32 v27, v17, v38
	v_add_f32_e32 v0, v0, v12
	v_add_f32_e32 v1, v1, v25
	;; [unrolled: 1-line block ×4, first 2 shown]
.LBB110_36:
	s_or_b64 exec, exec, s[6:7]
	v_add_f32_e32 v4, v4, v31
	v_add_f32_e32 v5, v5, v30
.LBB110_37:
	s_or_b64 exec, exec, s[4:5]
	v_add_f32_e32 v6, v6, v29
	v_add_f32_e32 v7, v7, v28
.LBB110_38:
	s_or_b64 exec, exec, s[0:1]
	v_pk_add_f32 v[8:9], v[8:9], v[20:21]
.LBB110_39:
	s_or_b64 exec, exec, s[2:3]
.LBB110_40:
	v_lshlrev_b32_e32 v3, 7, v3
	s_movk_i32 s0, 0x80
	v_add_lshl_u32 v2, v3, v2, 3
	v_cmp_gt_u32_e32 vcc, s0, v54
	ds_write2_b64 v2, v[8:9], v[6:7] offset1:32
	ds_write2_b64 v2, v[4:5], v[0:1] offset0:64 offset1:96
	s_waitcnt lgkmcnt(0)
	s_barrier
	s_and_saveexec_b64 s[0:1], vcc
	s_cbranch_execz .LBB110_45
; %bb.41:
	v_lshlrev_b32_e32 v20, 3, v54
	ds_read2st64_b64 v[0:3], v20 offset1:2
	ds_read2st64_b64 v[4:7], v20 offset0:4 offset1:6
	s_waitcnt vmcnt(0)
	ds_read2st64_b64 v[8:11], v20 offset0:8 offset1:10
	ds_read2st64_b64 v[12:15], v20 offset0:12 offset1:14
	;; [unrolled: 1-line block ×3, first 2 shown]
	s_waitcnt lgkmcnt(4)
	v_pk_add_f32 v[0:1], v[0:1], v[2:3]
	s_waitcnt lgkmcnt(3)
	v_pk_add_f32 v[0:1], v[0:1], v[4:5]
	s_nop 0
	v_pk_add_f32 v[0:1], v[0:1], v[6:7]
	s_waitcnt lgkmcnt(2)
	v_pk_add_f32 v[0:1], v[0:1], v[8:9]
	s_nop 0
	;; [unrolled: 4-line block ×3, first 2 shown]
	v_pk_add_f32 v[4:5], v[0:1], v[14:15]
	ds_read2st64_b64 v[0:3], v20 offset0:20 offset1:22
	s_waitcnt lgkmcnt(1)
	v_pk_add_f32 v[8:9], v[4:5], v[16:17]
	ds_read2st64_b64 v[4:7], v20 offset0:24 offset1:26
	v_pk_add_f32 v[12:13], v[8:9], v[18:19]
	ds_read2st64_b64 v[8:11], v20 offset0:28 offset1:30
	s_waitcnt lgkmcnt(2)
	v_pk_add_f32 v[0:1], v[12:13], v[0:1]
	s_nop 0
	v_pk_add_f32 v[0:1], v[0:1], v[2:3]
	s_waitcnt lgkmcnt(1)
	v_pk_add_f32 v[0:1], v[0:1], v[4:5]
	v_or_b32_e32 v4, s34, v54
	v_pk_add_f32 v[0:1], v[0:1], v[6:7]
	v_cmp_gt_i32_e32 vcc, s8, v4
	s_waitcnt lgkmcnt(0)
	v_pk_add_f32 v[0:1], v[0:1], v[8:9]
	s_nop 0
	v_pk_add_f32 v[2:3], v[0:1], v[10:11]
	ds_write_b64 v20, v[2:3]
	s_and_b64 exec, exec, vcc
	s_cbranch_execz .LBB110_45
; %bb.42:
	v_cmp_neq_f32_e64 s[0:1], s12, 0
	v_cmp_neq_f32_e64 s[2:3], s13, 0
	v_mul_lo_u32 v4, v4, s33
	v_pk_mul_f32 v[6:7], v[2:3], s[10:11] op_sel:[1,0]
	v_ashrrev_i32_e32 v5, 31, v4
	s_or_b64 s[0:1], s[0:1], s[2:3]
	v_pk_fma_f32 v[0:1], v[2:3], s[10:11], v[6:7] op_sel:[0,0,1] op_sel_hi:[0,1,0] neg_lo:[0,0,1] neg_hi:[0,0,1]
	v_pk_fma_f32 v[2:3], v[2:3], s[10:11], v[6:7] op_sel:[0,0,1] op_sel_hi:[0,1,0]
	s_andn2_b64 vcc, exec, s[0:1]
	v_lshl_add_u64 v[4:5], v[4:5], 3, s[14:15]
	s_cbranch_vccnz .LBB110_44
; %bb.43:
	global_load_dwordx2 v[6:7], v[4:5], off
	v_mov_b32_e32 v1, v3
	s_waitcnt vmcnt(0)
	v_pk_mul_f32 v[2:3], s[12:13], v[6:7] op_sel:[0,1]
	s_nop 0
	v_pk_fma_f32 v[8:9], s[12:13], v[6:7], v[2:3] op_sel:[0,0,1] op_sel_hi:[1,1,0] neg_lo:[0,0,1] neg_hi:[0,0,1]
	v_pk_fma_f32 v[2:3], s[12:13], v[6:7], v[2:3] op_sel:[0,0,1] op_sel_hi:[1,0,0]
	s_nop 0
	v_mov_b32_e32 v9, v3
	v_pk_add_f32 v[0:1], v[0:1], v[8:9]
	s_nop 0
	v_mov_b32_e32 v3, v1
.LBB110_44:
	v_mov_b32_e32 v1, v3
	global_store_dwordx2 v[4:5], v[0:1], off
.LBB110_45:
	s_endpgm
	.section	.rodata,"a",@progbits
	.p2align	6, 0x0
	.amdhsa_kernel _ZL20rocblas_gemvn_kernelILi32ELi16Ei19rocblas_complex_numIfES1_S1_EviiT3_lPKT2_lT1_lS5_lS6_lS2_lPT4_lS6_li
		.amdhsa_group_segment_fixed_size 16384
		.amdhsa_private_segment_fixed_size 0
		.amdhsa_kernarg_size 400
		.amdhsa_user_sgpr_count 2
		.amdhsa_user_sgpr_dispatch_ptr 0
		.amdhsa_user_sgpr_queue_ptr 0
		.amdhsa_user_sgpr_kernarg_segment_ptr 1
		.amdhsa_user_sgpr_dispatch_id 0
		.amdhsa_user_sgpr_kernarg_preload_length 0
		.amdhsa_user_sgpr_kernarg_preload_offset 0
		.amdhsa_user_sgpr_private_segment_size 0
		.amdhsa_uses_dynamic_stack 0
		.amdhsa_enable_private_segment 0
		.amdhsa_system_sgpr_workgroup_id_x 1
		.amdhsa_system_sgpr_workgroup_id_y 0
		.amdhsa_system_sgpr_workgroup_id_z 1
		.amdhsa_system_sgpr_workgroup_info 0
		.amdhsa_system_vgpr_workitem_id 1
		.amdhsa_next_free_vgpr 70
		.amdhsa_next_free_sgpr 40
		.amdhsa_accum_offset 72
		.amdhsa_reserve_vcc 1
		.amdhsa_float_round_mode_32 0
		.amdhsa_float_round_mode_16_64 0
		.amdhsa_float_denorm_mode_32 3
		.amdhsa_float_denorm_mode_16_64 3
		.amdhsa_dx10_clamp 1
		.amdhsa_ieee_mode 1
		.amdhsa_fp16_overflow 0
		.amdhsa_tg_split 0
		.amdhsa_exception_fp_ieee_invalid_op 0
		.amdhsa_exception_fp_denorm_src 0
		.amdhsa_exception_fp_ieee_div_zero 0
		.amdhsa_exception_fp_ieee_overflow 0
		.amdhsa_exception_fp_ieee_underflow 0
		.amdhsa_exception_fp_ieee_inexact 0
		.amdhsa_exception_int_div_zero 0
	.end_amdhsa_kernel
	.section	.text._ZL20rocblas_gemvn_kernelILi32ELi16Ei19rocblas_complex_numIfES1_S1_EviiT3_lPKT2_lT1_lS5_lS6_lS2_lPT4_lS6_li,"axG",@progbits,_ZL20rocblas_gemvn_kernelILi32ELi16Ei19rocblas_complex_numIfES1_S1_EviiT3_lPKT2_lT1_lS5_lS6_lS2_lPT4_lS6_li,comdat
.Lfunc_end110:
	.size	_ZL20rocblas_gemvn_kernelILi32ELi16Ei19rocblas_complex_numIfES1_S1_EviiT3_lPKT2_lT1_lS5_lS6_lS2_lPT4_lS6_li, .Lfunc_end110-_ZL20rocblas_gemvn_kernelILi32ELi16Ei19rocblas_complex_numIfES1_S1_EviiT3_lPKT2_lT1_lS5_lS6_lS2_lPT4_lS6_li
                                        ; -- End function
	.section	.AMDGPU.csdata,"",@progbits
; Kernel info:
; codeLenInByte = 3408
; NumSgprs: 46
; NumVgprs: 70
; NumAgprs: 0
; TotalNumVgprs: 70
; ScratchSize: 0
; MemoryBound: 0
; FloatMode: 240
; IeeeMode: 1
; LDSByteSize: 16384 bytes/workgroup (compile time only)
; SGPRBlocks: 5
; VGPRBlocks: 8
; NumSGPRsForWavesPerEU: 46
; NumVGPRsForWavesPerEU: 70
; AccumOffset: 72
; Occupancy: 7
; WaveLimiterHint : 1
; COMPUTE_PGM_RSRC2:SCRATCH_EN: 0
; COMPUTE_PGM_RSRC2:USER_SGPR: 2
; COMPUTE_PGM_RSRC2:TRAP_HANDLER: 0
; COMPUTE_PGM_RSRC2:TGID_X_EN: 1
; COMPUTE_PGM_RSRC2:TGID_Y_EN: 0
; COMPUTE_PGM_RSRC2:TGID_Z_EN: 1
; COMPUTE_PGM_RSRC2:TIDIG_COMP_CNT: 1
; COMPUTE_PGM_RSRC3_GFX90A:ACCUM_OFFSET: 17
; COMPUTE_PGM_RSRC3_GFX90A:TG_SPLIT: 0
	.section	.text._ZL20rocblas_gemvn_kernelILi32ELi16El19rocblas_complex_numIfES1_S1_EviiT3_lPKT2_lT1_lS5_lS6_lS2_lPT4_lS6_li,"axG",@progbits,_ZL20rocblas_gemvn_kernelILi32ELi16El19rocblas_complex_numIfES1_S1_EviiT3_lPKT2_lT1_lS5_lS6_lS2_lPT4_lS6_li,comdat
	.globl	_ZL20rocblas_gemvn_kernelILi32ELi16El19rocblas_complex_numIfES1_S1_EviiT3_lPKT2_lT1_lS5_lS6_lS2_lPT4_lS6_li ; -- Begin function _ZL20rocblas_gemvn_kernelILi32ELi16El19rocblas_complex_numIfES1_S1_EviiT3_lPKT2_lT1_lS5_lS6_lS2_lPT4_lS6_li
	.p2align	8
	.type	_ZL20rocblas_gemvn_kernelILi32ELi16El19rocblas_complex_numIfES1_S1_EviiT3_lPKT2_lT1_lS5_lS6_lS2_lPT4_lS6_li,@function
_ZL20rocblas_gemvn_kernelILi32ELi16El19rocblas_complex_numIfES1_S1_EviiT3_lPKT2_lT1_lS5_lS6_lS2_lPT4_lS6_li: ; @_ZL20rocblas_gemvn_kernelILi32ELi16El19rocblas_complex_numIfES1_S1_EviiT3_lPKT2_lT1_lS5_lS6_lS2_lPT4_lS6_li
; %bb.0:
	s_load_dwordx2 s[4:5], s[0:1], 0x9c
	s_waitcnt lgkmcnt(0)
	s_lshr_b32 s6, s4, 16
	s_and_b32 s4, s4, 0xffff
	s_and_b32 s5, s5, 0xffff
	s_mul_i32 s4, s6, s4
	s_mul_i32 s4, s4, s5
	s_cmpk_lg_i32 s4, 0x200
	s_cbranch_scc1 .LBB111_45
; %bb.1:
	s_load_dwordx4 s[28:31], s[0:1], 0x0
	s_load_dwordx2 s[34:35], s[0:1], 0x58
	s_waitcnt lgkmcnt(0)
	v_cmp_eq_f32_e64 s[4:5], s30, 0
	v_cmp_eq_f32_e64 s[6:7], s31, 0
	v_cmp_eq_f32_e64 s[8:9], s34, 1.0
	v_cmp_eq_f32_e64 s[10:11], s35, 0
	s_and_b64 s[4:5], s[4:5], s[6:7]
	s_and_b64 s[6:7], s[8:9], s[10:11]
	;; [unrolled: 1-line block ×3, first 2 shown]
	s_and_b64 vcc, exec, s[4:5]
	s_cbranch_vccnz .LBB111_45
; %bb.2:
	s_load_dwordx8 s[20:27], s[0:1], 0x68
	v_and_b32_e32 v63, 0x3ff, v0
	v_bfe_u32 v64, v0, 10, 10
	v_lshl_add_u32 v62, v64, 5, v63
	s_waitcnt lgkmcnt(0)
	s_mul_i32 s5, s3, s27
	s_mul_hi_u32 s6, s3, s26
	s_mul_i32 s4, s3, s26
	s_add_i32 s5, s6, s5
	s_lshl_b64 s[4:5], s[4:5], 3
	s_add_u32 s6, s20, s4
	s_addc_u32 s7, s21, s5
	s_lshl_b64 s[4:5], s[22:23], 3
	s_add_u32 s26, s6, s4
	s_addc_u32 s27, s7, s5
	s_or_b32 s4, s30, s31
	s_bitset0_b32 s4, 31
	s_cmp_lg_u32 s4, 0
	s_mov_b64 s[4:5], -1
	s_cbranch_scc1 .LBB111_9
; %bb.3:
	s_movk_i32 s4, 0x80
	v_cmp_gt_u32_e32 vcc, s4, v62
	s_and_saveexec_b64 s[4:5], vcc
	s_cbranch_execz .LBB111_8
; %bb.4:
	v_lshl_or_b32 v0, s2, 7, v62
	v_mov_b32_e32 v1, 0
	s_ashr_i32 s7, s28, 31
	s_mov_b32 s6, s28
	v_cmp_gt_i64_e32 vcc, s[6:7], v[0:1]
	s_and_b64 exec, exec, vcc
	s_cbranch_execz .LBB111_8
; %bb.5:
	v_mad_u64_u32 v[2:3], s[10:11], v0, s24, 0
	v_mov_b32_e32 v4, v3
	v_cmp_neq_f32_e64 s[6:7], s34, 0
	v_cmp_neq_f32_e64 s[8:9], s35, 0
	v_mad_u64_u32 v[4:5], s[10:11], v0, s25, v[4:5]
	v_mov_b32_e32 v3, v4
	s_or_b64 s[6:7], s[6:7], s[8:9]
	s_andn2_b64 vcc, exec, s[6:7]
	v_lshl_add_u64 v[2:3], v[2:3], 3, s[26:27]
	v_mov_b32_e32 v5, v1
	s_cbranch_vccnz .LBB111_7
; %bb.6:
	global_load_dwordx2 v[0:1], v[2:3], off
	s_waitcnt vmcnt(0)
	v_pk_mul_f32 v[4:5], s[34:35], v[0:1] op_sel:[0,1]
	s_nop 0
	v_pk_fma_f32 v[6:7], s[34:35], v[0:1], v[4:5] op_sel:[0,0,1] op_sel_hi:[1,1,0] neg_lo:[0,0,1] neg_hi:[0,0,1]
	v_pk_fma_f32 v[4:5], s[34:35], v[0:1], v[4:5] op_sel:[0,0,1] op_sel_hi:[1,0,0]
	v_mov_b32_e32 v1, v6
.LBB111_7:
	v_mov_b32_e32 v4, v1
	global_store_dwordx2 v[2:3], v[4:5], off
.LBB111_8:
	s_or_b64 exec, exec, s[4:5]
	s_mov_b64 s[4:5], 0
.LBB111_9:
	s_andn2_b64 vcc, exec, s[4:5]
	s_cbranch_vccnz .LBB111_45
; %bb.10:
	s_load_dwordx16 s[8:23], s[0:1], 0x18
	s_mov_b32 s6, 0
	s_lshl_b32 s33, s2, 7
	v_lshlrev_b32_e32 v65, 2, v64
	s_mov_b32 s7, s6
	s_waitcnt lgkmcnt(0)
	s_mul_i32 s0, s3, s15
	s_mul_hi_u32 s1, s3, s14
	s_add_i32 s15, s1, s0
	s_ashr_i32 s0, s29, 31
	s_lshr_b32 s0, s0, 26
	s_add_i32 s52, s29, s0
	s_mul_i32 s4, s3, s23
	s_mul_hi_u32 s5, s3, s22
	s_andn2_b32 s52, s52, 63
	s_mul_i32 s14, s3, s14
	s_add_i32 s23, s5, s4
	s_mul_i32 s22, s3, s22
	v_add_u32_e32 v2, s33, v63
	v_cmp_gt_i32_e32 vcc, s52, v65
	v_mov_b64_e32 v[8:9], s[6:7]
	v_mov_b32_e32 v1, 0
	v_mov_b32_e32 v0, 0
	;; [unrolled: 1-line block ×6, first 2 shown]
	s_and_saveexec_b64 s[36:37], vcc
	s_cbranch_execz .LBB111_22
; %bb.11:
	v_add_u32_e32 v0, 32, v2
	v_cmp_gt_i32_e64 s[0:1], s28, v0
	v_add_u32_e32 v0, 64, v2
	v_cmp_gt_i32_e64 s[2:3], s28, v0
	;; [unrolled: 2-line block ×3, first 2 shown]
	v_mad_u64_u32 v[0:1], s[38:39], s20, v64, 0
	v_mov_b32_e32 v4, v1
	v_mad_u64_u32 v[4:5], s[38:39], s21, v64, v[4:5]
	s_lshl_b64 s[38:39], s[22:23], 3
	s_lshl_b64 s[40:41], s[18:19], 3
	s_add_u32 s40, s16, s40
	v_ashrrev_i32_e32 v3, 31, v2
	s_addc_u32 s41, s17, s41
	v_mov_b32_e32 v1, v4
	s_add_u32 s38, s40, s38
	v_lshlrev_b64 v[12:13], 3, v[2:3]
	v_lshlrev_b32_e32 v3, 2, v64
	v_lshlrev_b64 v[0:1], 5, v[0:1]
	s_addc_u32 s39, s41, s39
	v_or_b32_e32 v5, 3, v3
	v_lshl_add_u64 v[10:11], s[38:39], 0, v[0:1]
	v_mad_u64_u32 v[0:1], s[40:41], s12, v5, 0
	v_mov_b32_e32 v4, v1
	v_mad_u64_u32 v[4:5], s[40:41], s13, v5, v[4:5]
	s_lshl_b64 s[38:39], s[20:21], 9
	s_lshl_b64 s[40:41], s[14:15], 3
	;; [unrolled: 1-line block ×3, first 2 shown]
	s_add_u32 s42, s8, s42
	s_addc_u32 s43, s9, s43
	s_add_u32 s42, s42, s40
	v_mov_b32_e32 v1, v4
	s_addc_u32 s43, s43, s41
	v_lshl_add_u64 v[14:15], v[0:1], 3, s[42:43]
	v_mad_u64_u32 v[0:1], s[44:45], s12, v64, 0
	v_mov_b32_e32 v4, v1
	v_mad_u64_u32 v[4:5], s[44:45], s13, v64, v[4:5]
	v_mov_b32_e32 v1, v4
	v_lshlrev_b64 v[0:1], 5, v[0:1]
	v_or_b32_e32 v5, 2, v3
	v_lshl_add_u64 v[16:17], s[42:43], 0, v[0:1]
	v_mad_u64_u32 v[0:1], s[44:45], s12, v5, 0
	v_mov_b32_e32 v4, v1
	v_mad_u64_u32 v[4:5], s[44:45], s13, v5, v[4:5]
	v_mov_b32_e32 v1, v4
	v_lshl_add_u64 v[18:19], v[0:1], 3, s[42:43]
	v_mov_b64_e32 v[0:1], s[12:13]
	v_mad_u64_u32 v[0:1], s[44:45], s12, v3, v[0:1]
	v_mov_b32_e32 v4, v1
	v_mad_u64_u32 v[4:5], s[44:45], s13, v3, v[4:5]
	v_mov_b32_e32 v1, v4
	v_lshl_add_u64 v[20:21], v[0:1], 3, s[42:43]
	v_mov_b32_e32 v1, 0
	v_cmp_gt_i32_e32 vcc, s28, v2
	s_lshl_b64 s[40:41], s[12:13], 9
	s_lshl_b64 s[44:45], s[20:21], 3
	s_mov_b64 s[42:43], 0
	v_mov_b64_e32 v[8:9], s[6:7]
	v_mov_b32_e32 v0, v1
	v_mov_b32_e32 v5, v1
	;; [unrolled: 1-line block ×5, first 2 shown]
	s_branch .LBB111_16
.LBB111_12:                             ;   in Loop: Header=BB111_16 Depth=1
	s_or_b64 exec, exec, s[50:51]
	s_waitcnt vmcnt(3)
	v_mul_f32_e32 v3, v33, v53
	v_mul_f32_e32 v53, v32, v53
	v_fma_f32 v3, v32, v52, -v3
	v_fmac_f32_e32 v53, v33, v52
	v_add_f32_e32 v3, v4, v3
	v_add_f32_e32 v4, v5, v53
	s_waitcnt vmcnt(2)
	v_mul_f32_e32 v5, v31, v51
	v_fma_f32 v5, v30, v50, -v5
	v_mul_f32_e32 v51, v30, v51
	v_fmac_f32_e32 v51, v31, v50
	v_add_f32_e32 v3, v3, v5
	s_waitcnt vmcnt(1)
	v_mul_f32_e32 v5, v25, v49
	v_mul_f32_e32 v49, v24, v49
	v_add_f32_e32 v4, v4, v51
	v_fma_f32 v5, v24, v48, -v5
	v_fmac_f32_e32 v49, v25, v48
	v_add_f32_e32 v3, v3, v5
	v_add_f32_e32 v5, v4, v49
	s_waitcnt vmcnt(0)
	v_mul_f32_e32 v4, v23, v47
	v_mul_f32_e32 v47, v22, v47
	v_fma_f32 v4, v22, v46, -v4
	v_fmac_f32_e32 v47, v23, v46
	v_add_f32_e32 v4, v3, v4
	v_add_f32_e32 v5, v5, v47
.LBB111_13:                             ;   in Loop: Header=BB111_16 Depth=1
	s_or_b64 exec, exec, s[48:49]
	s_waitcnt vmcnt(3)
	v_mul_f32_e32 v3, v33, v45
	v_mul_f32_e32 v45, v32, v45
	v_fma_f32 v3, v32, v44, -v3
	v_fmac_f32_e32 v45, v33, v44
	v_add_f32_e32 v3, v6, v3
	v_add_f32_e32 v6, v7, v45
	s_waitcnt vmcnt(2)
	v_mul_f32_e32 v7, v31, v43
	v_fma_f32 v7, v30, v42, -v7
	v_mul_f32_e32 v43, v30, v43
	v_fmac_f32_e32 v43, v31, v42
	v_add_f32_e32 v3, v3, v7
	s_waitcnt vmcnt(1)
	v_mul_f32_e32 v7, v25, v41
	v_mul_f32_e32 v41, v24, v41
	v_add_f32_e32 v6, v6, v43
	v_fma_f32 v7, v24, v40, -v7
	v_fmac_f32_e32 v41, v25, v40
	v_add_f32_e32 v3, v3, v7
	v_add_f32_e32 v7, v6, v41
	s_waitcnt vmcnt(0)
	v_mul_f32_e32 v6, v23, v39
	v_mul_f32_e32 v39, v22, v39
	v_fma_f32 v6, v22, v38, -v6
	v_fmac_f32_e32 v39, v23, v38
	v_add_f32_e32 v6, v3, v6
	v_add_f32_e32 v7, v7, v39
.LBB111_14:                             ;   in Loop: Header=BB111_16 Depth=1
	s_or_b64 exec, exec, s[46:47]
	s_waitcnt vmcnt(3)
	v_mul_f32_e32 v3, v33, v37
	v_mul_f32_e32 v39, v32, v37
	v_fma_f32 v38, v32, v36, -v3
	v_fmac_f32_e32 v39, v33, v36
	s_waitcnt vmcnt(2)
	v_mul_f32_e32 v3, v31, v35
	v_mul_f32_e32 v33, v30, v35
	v_fma_f32 v32, v30, v34, -v3
	v_fmac_f32_e32 v33, v31, v34
	v_pk_add_f32 v[8:9], v[8:9], v[38:39]
	v_mov_b32_e32 v30, v25
	v_mov_b32_e32 v31, v24
	v_pk_add_f32 v[8:9], v[8:9], v[32:33]
	s_waitcnt vmcnt(1)
	v_mov_b32_e32 v24, v29
	v_pk_mul_f32 v[32:33], v[30:31], v[28:29] op_sel_hi:[1,0]
	s_nop 0
	v_pk_fma_f32 v[24:25], v[30:31], v[24:25], v[32:33] op_sel:[0,0,1] op_sel_hi:[1,1,0] neg_lo:[1,0,0] neg_hi:[1,0,0]
	v_pk_fma_f32 v[28:29], v[30:31], v[28:29], v[32:33] op_sel:[0,1,1] op_sel_hi:[1,1,0]
	s_nop 0
	v_mov_b32_e32 v25, v29
	v_pk_add_f32 v[8:9], v[8:9], v[24:25]
	s_waitcnt vmcnt(0)
	v_pk_mul_f32 v[24:25], v[22:23], v[26:27] op_sel:[0,1]
	s_nop 0
	v_pk_fma_f32 v[28:29], v[22:23], v[26:27], v[24:25] op_sel:[0,0,1] op_sel_hi:[1,1,0] neg_lo:[0,0,1] neg_hi:[0,0,1]
	v_pk_fma_f32 v[22:23], v[22:23], v[26:27], v[24:25] op_sel:[0,0,1] op_sel_hi:[1,0,0]
	s_nop 0
	v_mov_b32_e32 v29, v23
	v_pk_add_f32 v[8:9], v[8:9], v[28:29]
.LBB111_15:                             ;   in Loop: Header=BB111_16 Depth=1
	s_or_b64 exec, exec, s[6:7]
	v_add_u32_e32 v65, 64, v65
	v_cmp_le_i32_e64 s[6:7], s52, v65
	v_lshl_add_u64 v[10:11], v[10:11], 0, s[38:39]
	v_lshl_add_u64 v[14:15], v[14:15], 0, s[40:41]
	;; [unrolled: 1-line block ×4, first 2 shown]
	s_or_b64 s[42:43], s[6:7], s[42:43]
	v_lshl_add_u64 v[20:21], v[20:21], 0, s[40:41]
	s_andn2_b64 exec, exec, s[42:43]
	s_cbranch_execz .LBB111_21
.LBB111_16:                             ; =>This Inner Loop Header: Depth=1
	s_and_saveexec_b64 s[6:7], vcc
	s_cbranch_execz .LBB111_15
; %bb.17:                               ;   in Loop: Header=BB111_16 Depth=1
	v_lshl_add_u64 v[22:23], v[10:11], 0, s[44:45]
	v_lshl_add_u64 v[26:27], v[22:23], 0, s[44:45]
	global_load_dwordx2 v[30:31], v[22:23], off
	global_load_dwordx2 v[24:25], v[26:27], off
	v_lshl_add_u64 v[26:27], v[26:27], 0, s[44:45]
	v_lshl_add_u64 v[60:61], v[16:17], 0, v[12:13]
	;; [unrolled: 1-line block ×5, first 2 shown]
	global_load_dwordx2 v[32:33], v[10:11], off
	global_load_dwordx2 v[22:23], v[26:27], off
	;; [unrolled: 1-line block ×5, first 2 shown]
	s_nop 0
	global_load_dwordx2 v[26:27], v[54:55], off
	s_and_saveexec_b64 s[46:47], s[0:1]
	s_cbranch_execz .LBB111_14
; %bb.18:                               ;   in Loop: Header=BB111_16 Depth=1
	global_load_dwordx2 v[44:45], v[60:61], off offset:256
	global_load_dwordx2 v[42:43], v[58:59], off offset:256
	;; [unrolled: 1-line block ×4, first 2 shown]
	s_and_saveexec_b64 s[48:49], s[2:3]
	s_cbranch_execz .LBB111_13
; %bb.19:                               ;   in Loop: Header=BB111_16 Depth=1
	global_load_dwordx2 v[52:53], v[60:61], off offset:512
	global_load_dwordx2 v[50:51], v[58:59], off offset:512
	;; [unrolled: 1-line block ×4, first 2 shown]
	s_and_saveexec_b64 s[50:51], s[4:5]
	s_cbranch_execz .LBB111_12
; %bb.20:                               ;   in Loop: Header=BB111_16 Depth=1
	global_load_dwordx2 v[60:61], v[60:61], off offset:768
	s_nop 0
	global_load_dwordx2 v[58:59], v[58:59], off offset:768
	s_nop 0
	;; [unrolled: 2-line block ×3, first 2 shown]
	global_load_dwordx2 v[54:55], v[54:55], off offset:768
	s_waitcnt vmcnt(3)
	v_mul_f32_e32 v3, v33, v61
	v_mul_f32_e32 v61, v32, v61
	s_waitcnt vmcnt(2)
	v_mul_f32_e32 v66, v31, v59
	v_mul_f32_e32 v59, v30, v59
	v_fma_f32 v3, v32, v60, -v3
	v_fmac_f32_e32 v61, v33, v60
	s_waitcnt vmcnt(1)
	v_mul_f32_e32 v67, v25, v57
	v_mul_f32_e32 v57, v24, v57
	v_fma_f32 v60, v30, v58, -v66
	v_fmac_f32_e32 v59, v31, v58
	v_add_f32_e32 v0, v0, v3
	v_add_f32_e32 v1, v1, v61
	s_waitcnt vmcnt(0)
	v_mul_f32_e32 v68, v23, v55
	v_mul_f32_e32 v55, v22, v55
	v_fma_f32 v58, v24, v56, -v67
	v_fmac_f32_e32 v57, v25, v56
	v_add_f32_e32 v0, v0, v60
	v_add_f32_e32 v1, v1, v59
	v_fma_f32 v56, v22, v54, -v68
	v_fmac_f32_e32 v55, v23, v54
	v_add_f32_e32 v0, v0, v58
	v_add_f32_e32 v1, v1, v57
	;; [unrolled: 1-line block ×4, first 2 shown]
	s_branch .LBB111_12
.LBB111_21:
	s_or_b64 exec, exec, s[42:43]
.LBB111_22:
	s_or_b64 exec, exec, s[36:37]
	s_sub_i32 s0, s29, s52
	s_cmp_lt_i32 s0, 1
	s_cbranch_scc1 .LBB111_40
; %bb.23:
	v_cmp_gt_i32_e32 vcc, s29, v65
	v_mov_b32_e32 v10, 0
	v_or_b32_e32 v20, 1, v65
	v_mov_b32_e32 v11, 0
	v_mov_b32_e32 v12, 0
	;; [unrolled: 1-line block ×7, first 2 shown]
	s_and_saveexec_b64 s[2:3], vcc
	s_cbranch_execz .LBB111_31
; %bb.24:
	s_lshl_b64 s[0:1], s[22:23], 3
	s_add_u32 s4, s16, s0
	s_addc_u32 s5, s17, s1
	s_lshl_b64 s[0:1], s[18:19], 3
	s_add_u32 s6, s4, s0
	s_addc_u32 s7, s5, s1
	v_mad_u64_u32 v[10:11], s[0:1], v65, s20, 0
	v_mov_b32_e32 v12, v11
	v_mad_u64_u32 v[12:13], s[0:1], v65, s21, v[12:13]
	v_mov_b32_e32 v11, v12
	v_lshl_add_u64 v[10:11], v[10:11], 3, s[6:7]
	global_load_dwordx2 v[10:11], v[10:11], off
	v_cmp_gt_i32_e64 s[0:1], s29, v20
	v_mov_b32_e32 v17, 0
	v_mov_b32_e32 v16, 0
	;; [unrolled: 1-line block ×6, first 2 shown]
	s_and_saveexec_b64 s[4:5], s[0:1]
	s_cbranch_execz .LBB111_30
; %bb.25:
	v_mad_u64_u32 v[12:13], s[0:1], v20, s20, 0
	v_mov_b32_e32 v14, v13
	v_mad_u64_u32 v[14:15], s[0:1], v20, s21, v[14:15]
	v_mov_b32_e32 v13, v14
	v_lshl_add_u64 v[12:13], v[12:13], 3, s[6:7]
	global_load_dwordx2 v[12:13], v[12:13], off
	v_or_b32_e32 v3, 2, v65
	v_cmp_gt_i32_e64 s[0:1], s29, v3
	v_mov_b32_e32 v17, 0
	v_mov_b32_e32 v16, 0
	;; [unrolled: 1-line block ×4, first 2 shown]
	s_and_saveexec_b64 s[16:17], s[0:1]
	s_cbranch_execz .LBB111_29
; %bb.26:
	v_mad_u64_u32 v[14:15], s[0:1], v3, s20, 0
	v_mov_b32_e32 v16, v15
	v_mad_u64_u32 v[16:17], s[0:1], v3, s21, v[16:17]
	v_mov_b32_e32 v15, v16
	v_lshl_add_u64 v[14:15], v[14:15], 3, s[6:7]
	global_load_dwordx2 v[14:15], v[14:15], off
	v_or_b32_e32 v3, 3, v65
	v_cmp_gt_i32_e64 s[0:1], s29, v3
	v_mov_b32_e32 v17, 0
	v_mov_b32_e32 v16, 0
	s_and_saveexec_b64 s[18:19], s[0:1]
	s_cbranch_execz .LBB111_28
; %bb.27:
	v_mad_u64_u32 v[16:17], s[0:1], v3, s20, 0
	v_mov_b32_e32 v18, v17
	v_mad_u64_u32 v[18:19], s[0:1], v3, s21, v[18:19]
	v_mov_b32_e32 v17, v18
	v_lshl_add_u64 v[16:17], v[16:17], 3, s[6:7]
	global_load_dwordx2 v[16:17], v[16:17], off
.LBB111_28:
	s_or_b64 exec, exec, s[18:19]
.LBB111_29:
	s_or_b64 exec, exec, s[16:17]
.LBB111_30:
	s_or_b64 exec, exec, s[4:5]
.LBB111_31:
	s_or_b64 exec, exec, s[2:3]
	v_cmp_gt_i32_e64 s[0:1], s28, v2
	s_and_saveexec_b64 s[2:3], s[0:1]
	s_cbranch_execz .LBB111_39
; %bb.32:
	s_lshl_b64 s[0:1], s[14:15], 3
	s_add_u32 s4, s8, s0
	s_addc_u32 s5, s9, s1
	s_lshl_b64 s[0:1], s[10:11], 3
	s_add_u32 s0, s4, s0
	s_addc_u32 s1, s5, s1
	v_mad_u64_u32 v[18:19], s[4:5], v65, s12, 0
	v_mov_b32_e32 v22, v19
	v_mad_u64_u32 v[22:23], s[4:5], v65, s13, v[22:23]
	v_cndmask_b32_e32 v19, 0, v22, vcc
	v_mad_u64_u32 v[22:23], s[4:5], v20, s12, 0
	v_mov_b32_e32 v24, v23
	v_cndmask_b32_e32 v18, 0, v18, vcc
	v_mad_u64_u32 v[24:25], s[4:5], v20, s13, v[24:25]
	v_cmp_gt_i32_e32 vcc, s29, v20
	v_ashrrev_i32_e32 v3, 31, v2
	v_lshlrev_b64 v[26:27], 3, v[2:3]
	v_cndmask_b32_e32 v20, 0, v22, vcc
	v_cndmask_b32_e32 v21, 0, v24, vcc
	v_lshl_add_u64 v[20:21], v[20:21], 3, s[0:1]
	v_or_b32_e32 v3, 2, v65
	v_lshl_add_u64 v[22:23], v[20:21], 0, v[26:27]
	v_mad_u64_u32 v[20:21], s[4:5], v3, s12, 0
	v_mov_b32_e32 v24, v21
	v_mad_u64_u32 v[24:25], s[4:5], v3, s13, v[24:25]
	v_cmp_gt_i32_e32 vcc, s29, v3
	v_or_b32_e32 v3, 3, v65
	v_lshl_add_u64 v[18:19], v[18:19], 3, s[0:1]
	v_cndmask_b32_e32 v20, 0, v20, vcc
	v_cndmask_b32_e32 v21, 0, v24, vcc
	v_lshl_add_u64 v[20:21], v[20:21], 3, s[0:1]
	v_lshl_add_u64 v[24:25], v[20:21], 0, v[26:27]
	v_mad_u64_u32 v[20:21], s[4:5], v3, s12, 0
	v_mov_b32_e32 v28, v21
	v_mad_u64_u32 v[28:29], s[4:5], v3, s13, v[28:29]
	v_cmp_gt_i32_e32 vcc, s29, v3
	v_lshl_add_u64 v[18:19], v[18:19], 0, v[26:27]
	v_add_u32_e32 v3, 32, v2
	v_cndmask_b32_e32 v20, 0, v20, vcc
	v_cndmask_b32_e32 v21, 0, v28, vcc
	v_lshl_add_u64 v[20:21], v[20:21], 3, s[0:1]
	v_lshl_add_u64 v[26:27], v[20:21], 0, v[26:27]
	global_load_dwordx2 v[20:21], v[18:19], off
	global_load_dwordx2 v[28:29], v[22:23], off
	;; [unrolled: 1-line block ×4, first 2 shown]
	v_cmp_gt_i32_e32 vcc, s28, v3
	s_waitcnt vmcnt(3)
	v_pk_mul_f32 v[34:35], v[10:11], v[20:21] op_sel:[0,1]
	s_waitcnt vmcnt(2)
	v_pk_mul_f32 v[36:37], v[12:13], v[28:29] op_sel:[0,1]
	v_pk_fma_f32 v[42:43], v[10:11], v[20:21], v[34:35] op_sel:[0,0,1] op_sel_hi:[1,1,0] neg_lo:[0,0,1] neg_hi:[0,0,1]
	v_pk_fma_f32 v[34:35], v[10:11], v[20:21], v[34:35] op_sel:[0,0,1] op_sel_hi:[1,0,0]
	s_waitcnt vmcnt(1)
	v_pk_mul_f32 v[38:39], v[14:15], v[30:31] op_sel:[0,1]
	v_pk_fma_f32 v[44:45], v[12:13], v[28:29], v[36:37] op_sel:[0,0,1] op_sel_hi:[1,1,0] neg_lo:[0,0,1] neg_hi:[0,0,1]
	v_pk_fma_f32 v[28:29], v[12:13], v[28:29], v[36:37] op_sel:[0,0,1] op_sel_hi:[1,0,0]
	v_mov_b32_e32 v43, v35
	s_waitcnt vmcnt(0)
	v_pk_mul_f32 v[40:41], v[16:17], v[32:33] op_sel:[0,1]
	v_pk_fma_f32 v[36:37], v[14:15], v[30:31], v[38:39] op_sel:[0,0,1] op_sel_hi:[1,1,0] neg_lo:[0,0,1] neg_hi:[0,0,1]
	v_pk_fma_f32 v[30:31], v[14:15], v[30:31], v[38:39] op_sel:[0,0,1] op_sel_hi:[1,0,0]
	v_mov_b32_e32 v45, v29
	v_pk_add_f32 v[8:9], v[8:9], v[42:43]
	v_pk_fma_f32 v[20:21], v[16:17], v[32:33], v[40:41] op_sel:[0,0,1] op_sel_hi:[1,1,0] neg_lo:[0,0,1] neg_hi:[0,0,1]
	v_pk_fma_f32 v[32:33], v[16:17], v[32:33], v[40:41] op_sel:[0,0,1] op_sel_hi:[1,0,0]
	v_mov_b32_e32 v37, v31
	v_pk_add_f32 v[8:9], v[8:9], v[44:45]
	v_mov_b32_e32 v21, v33
	v_pk_add_f32 v[8:9], v[8:9], v[36:37]
	s_and_saveexec_b64 s[0:1], vcc
	s_cbranch_execz .LBB111_38
; %bb.33:
	global_load_dwordx2 v[28:29], v[18:19], off offset:256
	global_load_dwordx2 v[30:31], v[22:23], off offset:256
	;; [unrolled: 1-line block ×4, first 2 shown]
	v_add_u32_e32 v36, 64, v2
	v_cmp_gt_i32_e32 vcc, s28, v36
	s_waitcnt vmcnt(3)
	v_mul_f32_e32 v37, v11, v29
	v_mul_f32_e32 v29, v10, v29
	s_waitcnt vmcnt(2)
	v_mul_f32_e32 v38, v13, v31
	v_mul_f32_e32 v31, v12, v31
	;; [unrolled: 3-line block ×3, first 2 shown]
	v_fma_f32 v35, v10, v28, -v37
	v_fmac_f32_e32 v29, v11, v28
	v_mul_f32_e32 v39, v15, v33
	v_mul_f32_e32 v33, v14, v33
	v_fma_f32 v37, v12, v30, -v38
	v_fmac_f32_e32 v31, v13, v30
	v_add_f32_e32 v6, v6, v35
	v_add_f32_e32 v7, v7, v29
	v_fma_f32 v30, v14, v32, -v39
	v_fmac_f32_e32 v33, v15, v32
	v_add_f32_e32 v6, v6, v37
	v_add_f32_e32 v7, v7, v31
	;; [unrolled: 4-line block ×3, first 2 shown]
	s_and_saveexec_b64 s[4:5], vcc
	s_cbranch_execz .LBB111_37
; %bb.34:
	global_load_dwordx2 v[30:31], v[18:19], off offset:512
	global_load_dwordx2 v[32:33], v[22:23], off offset:512
	;; [unrolled: 1-line block ×4, first 2 shown]
	v_add_u32_e32 v38, 0x60, v2
	v_cmp_gt_i32_e32 vcc, s28, v38
	s_waitcnt vmcnt(3)
	v_mul_f32_e32 v29, v11, v31
	v_mul_f32_e32 v31, v10, v31
	s_waitcnt vmcnt(2)
	v_mul_f32_e32 v39, v13, v33
	v_mul_f32_e32 v33, v12, v33
	;; [unrolled: 3-line block ×3, first 2 shown]
	v_fma_f32 v37, v10, v30, -v29
	v_fmac_f32_e32 v31, v11, v30
	v_mul_f32_e32 v40, v15, v35
	v_mul_f32_e32 v35, v14, v35
	v_fma_f32 v30, v12, v32, -v39
	v_fmac_f32_e32 v33, v13, v32
	v_add_f32_e32 v4, v4, v37
	v_add_f32_e32 v5, v5, v31
	v_fma_f32 v32, v14, v34, -v40
	v_fmac_f32_e32 v35, v15, v34
	v_add_f32_e32 v4, v4, v30
	v_add_f32_e32 v5, v5, v33
	;; [unrolled: 4-line block ×3, first 2 shown]
	s_and_saveexec_b64 s[6:7], vcc
	s_cbranch_execz .LBB111_36
; %bb.35:
	global_load_dwordx2 v[30:31], v[18:19], off offset:768
	global_load_dwordx2 v[32:33], v[22:23], off offset:768
	;; [unrolled: 1-line block ×4, first 2 shown]
	s_waitcnt vmcnt(3)
	v_mul_f32_e32 v18, v11, v31
	v_mul_f32_e32 v19, v10, v31
	s_waitcnt vmcnt(2)
	v_mul_f32_e32 v22, v13, v33
	v_mul_f32_e32 v23, v12, v33
	v_fma_f32 v10, v10, v30, -v18
	v_fmac_f32_e32 v19, v11, v30
	s_waitcnt vmcnt(1)
	v_mul_f32_e32 v24, v15, v35
	v_mul_f32_e32 v25, v14, v35
	v_fma_f32 v11, v12, v32, -v22
	v_fmac_f32_e32 v23, v13, v32
	v_add_f32_e32 v0, v0, v10
	v_add_f32_e32 v1, v1, v19
	s_waitcnt vmcnt(0)
	v_mul_f32_e32 v26, v17, v37
	v_mul_f32_e32 v27, v16, v37
	v_fma_f32 v12, v14, v34, -v24
	v_fmac_f32_e32 v25, v15, v34
	v_add_f32_e32 v0, v0, v11
	v_add_f32_e32 v1, v1, v23
	v_fma_f32 v13, v16, v36, -v26
	v_fmac_f32_e32 v27, v17, v36
	v_add_f32_e32 v0, v0, v12
	v_add_f32_e32 v1, v1, v25
	;; [unrolled: 1-line block ×4, first 2 shown]
.LBB111_36:
	s_or_b64 exec, exec, s[6:7]
	v_add_f32_e32 v4, v4, v29
	v_add_f32_e32 v5, v5, v2
.LBB111_37:
	s_or_b64 exec, exec, s[4:5]
	v_add_f32_e32 v6, v6, v28
	v_add_f32_e32 v7, v7, v3
.LBB111_38:
	s_or_b64 exec, exec, s[0:1]
	v_pk_add_f32 v[8:9], v[8:9], v[20:21]
.LBB111_39:
	s_or_b64 exec, exec, s[2:3]
.LBB111_40:
	v_lshlrev_b32_e32 v2, 7, v64
	s_movk_i32 s0, 0x80
	v_add_lshl_u32 v2, v2, v63, 3
	v_cmp_gt_u32_e32 vcc, s0, v62
	ds_write2_b64 v2, v[8:9], v[6:7] offset1:32
	ds_write2_b64 v2, v[4:5], v[0:1] offset0:64 offset1:96
	s_waitcnt lgkmcnt(0)
	s_barrier
	s_and_saveexec_b64 s[0:1], vcc
	s_cbranch_execz .LBB111_45
; %bb.41:
	v_lshlrev_b32_e32 v20, 3, v62
	ds_read2st64_b64 v[0:3], v20 offset1:2
	ds_read2st64_b64 v[4:7], v20 offset0:4 offset1:6
	s_waitcnt vmcnt(0)
	ds_read2st64_b64 v[8:11], v20 offset0:8 offset1:10
	ds_read2st64_b64 v[12:15], v20 offset0:12 offset1:14
	;; [unrolled: 1-line block ×3, first 2 shown]
	s_waitcnt lgkmcnt(4)
	v_pk_add_f32 v[0:1], v[0:1], v[2:3]
	s_waitcnt lgkmcnt(3)
	v_pk_add_f32 v[0:1], v[0:1], v[4:5]
	s_nop 0
	v_pk_add_f32 v[0:1], v[0:1], v[6:7]
	s_waitcnt lgkmcnt(2)
	v_pk_add_f32 v[0:1], v[0:1], v[8:9]
	s_nop 0
	;; [unrolled: 4-line block ×3, first 2 shown]
	v_pk_add_f32 v[4:5], v[0:1], v[14:15]
	ds_read2st64_b64 v[0:3], v20 offset0:20 offset1:22
	s_waitcnt lgkmcnt(1)
	v_pk_add_f32 v[8:9], v[4:5], v[16:17]
	ds_read2st64_b64 v[4:7], v20 offset0:24 offset1:26
	v_pk_add_f32 v[12:13], v[8:9], v[18:19]
	ds_read2st64_b64 v[8:11], v20 offset0:28 offset1:30
	s_waitcnt lgkmcnt(2)
	v_pk_add_f32 v[0:1], v[12:13], v[0:1]
	s_nop 0
	v_pk_add_f32 v[0:1], v[0:1], v[2:3]
	s_waitcnt lgkmcnt(1)
	v_pk_add_f32 v[0:1], v[0:1], v[4:5]
	v_or_b32_e32 v4, s33, v62
	v_pk_add_f32 v[0:1], v[0:1], v[6:7]
	v_cmp_gt_i32_e32 vcc, s28, v4
	s_waitcnt lgkmcnt(0)
	v_pk_add_f32 v[0:1], v[0:1], v[8:9]
	s_nop 0
	v_pk_add_f32 v[2:3], v[0:1], v[10:11]
	ds_write_b64 v20, v[2:3]
	s_and_b64 exec, exec, vcc
	s_cbranch_execz .LBB111_45
; %bb.42:
	v_pk_mul_f32 v[6:7], v[2:3], s[30:31] op_sel:[1,0]
	v_cmp_neq_f32_e64 s[0:1], s34, 0
	v_pk_fma_f32 v[0:1], v[2:3], s[30:31], v[6:7] op_sel:[0,0,1] op_sel_hi:[0,1,0] neg_lo:[0,0,1] neg_hi:[0,0,1]
	v_pk_fma_f32 v[2:3], v[2:3], s[30:31], v[6:7] op_sel:[0,0,1] op_sel_hi:[0,1,0]
	v_ashrrev_i32_e32 v1, 31, v4
	v_cmp_neq_f32_e64 s[2:3], s35, 0
	v_mul_lo_u32 v2, v4, s25
	v_mul_lo_u32 v1, v1, s24
	v_mad_u64_u32 v[4:5], s[4:5], v4, s24, 0
	v_add3_u32 v5, v5, v2, v1
	s_or_b64 s[0:1], s[0:1], s[2:3]
	s_andn2_b64 vcc, exec, s[0:1]
	v_lshl_add_u64 v[4:5], v[4:5], 3, s[26:27]
	s_cbranch_vccnz .LBB111_44
; %bb.43:
	global_load_dwordx2 v[6:7], v[4:5], off
	v_mov_b32_e32 v1, v3
	s_waitcnt vmcnt(0)
	v_pk_mul_f32 v[2:3], s[34:35], v[6:7] op_sel:[0,1]
	s_nop 0
	v_pk_fma_f32 v[8:9], s[34:35], v[6:7], v[2:3] op_sel:[0,0,1] op_sel_hi:[1,1,0] neg_lo:[0,0,1] neg_hi:[0,0,1]
	v_pk_fma_f32 v[2:3], s[34:35], v[6:7], v[2:3] op_sel:[0,0,1] op_sel_hi:[1,0,0]
	s_nop 0
	v_mov_b32_e32 v9, v3
	v_pk_add_f32 v[0:1], v[0:1], v[8:9]
	s_nop 0
	v_mov_b32_e32 v3, v1
.LBB111_44:
	v_mov_b32_e32 v1, v3
	global_store_dwordx2 v[4:5], v[0:1], off
.LBB111_45:
	s_endpgm
	.section	.rodata,"a",@progbits
	.p2align	6, 0x0
	.amdhsa_kernel _ZL20rocblas_gemvn_kernelILi32ELi16El19rocblas_complex_numIfES1_S1_EviiT3_lPKT2_lT1_lS5_lS6_lS2_lPT4_lS6_li
		.amdhsa_group_segment_fixed_size 16384
		.amdhsa_private_segment_fixed_size 0
		.amdhsa_kernarg_size 400
		.amdhsa_user_sgpr_count 2
		.amdhsa_user_sgpr_dispatch_ptr 0
		.amdhsa_user_sgpr_queue_ptr 0
		.amdhsa_user_sgpr_kernarg_segment_ptr 1
		.amdhsa_user_sgpr_dispatch_id 0
		.amdhsa_user_sgpr_kernarg_preload_length 0
		.amdhsa_user_sgpr_kernarg_preload_offset 0
		.amdhsa_user_sgpr_private_segment_size 0
		.amdhsa_uses_dynamic_stack 0
		.amdhsa_enable_private_segment 0
		.amdhsa_system_sgpr_workgroup_id_x 1
		.amdhsa_system_sgpr_workgroup_id_y 0
		.amdhsa_system_sgpr_workgroup_id_z 1
		.amdhsa_system_sgpr_workgroup_info 0
		.amdhsa_system_vgpr_workitem_id 1
		.amdhsa_next_free_vgpr 69
		.amdhsa_next_free_sgpr 53
		.amdhsa_accum_offset 72
		.amdhsa_reserve_vcc 1
		.amdhsa_float_round_mode_32 0
		.amdhsa_float_round_mode_16_64 0
		.amdhsa_float_denorm_mode_32 3
		.amdhsa_float_denorm_mode_16_64 3
		.amdhsa_dx10_clamp 1
		.amdhsa_ieee_mode 1
		.amdhsa_fp16_overflow 0
		.amdhsa_tg_split 0
		.amdhsa_exception_fp_ieee_invalid_op 0
		.amdhsa_exception_fp_denorm_src 0
		.amdhsa_exception_fp_ieee_div_zero 0
		.amdhsa_exception_fp_ieee_overflow 0
		.amdhsa_exception_fp_ieee_underflow 0
		.amdhsa_exception_fp_ieee_inexact 0
		.amdhsa_exception_int_div_zero 0
	.end_amdhsa_kernel
	.section	.text._ZL20rocblas_gemvn_kernelILi32ELi16El19rocblas_complex_numIfES1_S1_EviiT3_lPKT2_lT1_lS5_lS6_lS2_lPT4_lS6_li,"axG",@progbits,_ZL20rocblas_gemvn_kernelILi32ELi16El19rocblas_complex_numIfES1_S1_EviiT3_lPKT2_lT1_lS5_lS6_lS2_lPT4_lS6_li,comdat
.Lfunc_end111:
	.size	_ZL20rocblas_gemvn_kernelILi32ELi16El19rocblas_complex_numIfES1_S1_EviiT3_lPKT2_lT1_lS5_lS6_lS2_lPT4_lS6_li, .Lfunc_end111-_ZL20rocblas_gemvn_kernelILi32ELi16El19rocblas_complex_numIfES1_S1_EviiT3_lPKT2_lT1_lS5_lS6_lS2_lPT4_lS6_li
                                        ; -- End function
	.section	.AMDGPU.csdata,"",@progbits
; Kernel info:
; codeLenInByte = 3620
; NumSgprs: 59
; NumVgprs: 69
; NumAgprs: 0
; TotalNumVgprs: 69
; ScratchSize: 0
; MemoryBound: 0
; FloatMode: 240
; IeeeMode: 1
; LDSByteSize: 16384 bytes/workgroup (compile time only)
; SGPRBlocks: 7
; VGPRBlocks: 8
; NumSGPRsForWavesPerEU: 59
; NumVGPRsForWavesPerEU: 69
; AccumOffset: 72
; Occupancy: 7
; WaveLimiterHint : 1
; COMPUTE_PGM_RSRC2:SCRATCH_EN: 0
; COMPUTE_PGM_RSRC2:USER_SGPR: 2
; COMPUTE_PGM_RSRC2:TRAP_HANDLER: 0
; COMPUTE_PGM_RSRC2:TGID_X_EN: 1
; COMPUTE_PGM_RSRC2:TGID_Y_EN: 0
; COMPUTE_PGM_RSRC2:TGID_Z_EN: 1
; COMPUTE_PGM_RSRC2:TIDIG_COMP_CNT: 1
; COMPUTE_PGM_RSRC3_GFX90A:ACCUM_OFFSET: 17
; COMPUTE_PGM_RSRC3_GFX90A:TG_SPLIT: 0
	.section	.text._ZL20rocblas_gemvn_kernelILi64ELi16Ei19rocblas_complex_numIfEPKS1_S1_EviiT3_lPKT2_lT1_lS7_lS8_lS4_lPT4_lS8_li,"axG",@progbits,_ZL20rocblas_gemvn_kernelILi64ELi16Ei19rocblas_complex_numIfEPKS1_S1_EviiT3_lPKT2_lT1_lS7_lS8_lS4_lPT4_lS8_li,comdat
	.globl	_ZL20rocblas_gemvn_kernelILi64ELi16Ei19rocblas_complex_numIfEPKS1_S1_EviiT3_lPKT2_lT1_lS7_lS8_lS4_lPT4_lS8_li ; -- Begin function _ZL20rocblas_gemvn_kernelILi64ELi16Ei19rocblas_complex_numIfEPKS1_S1_EviiT3_lPKT2_lT1_lS7_lS8_lS4_lPT4_lS8_li
	.p2align	8
	.type	_ZL20rocblas_gemvn_kernelILi64ELi16Ei19rocblas_complex_numIfEPKS1_S1_EviiT3_lPKT2_lT1_lS7_lS8_lS4_lPT4_lS8_li,@function
_ZL20rocblas_gemvn_kernelILi64ELi16Ei19rocblas_complex_numIfEPKS1_S1_EviiT3_lPKT2_lT1_lS7_lS8_lS4_lPT4_lS8_li: ; @_ZL20rocblas_gemvn_kernelILi64ELi16Ei19rocblas_complex_numIfEPKS1_S1_EviiT3_lPKT2_lT1_lS7_lS8_lS4_lPT4_lS8_li
; %bb.0:
	s_load_dwordx2 s[4:5], s[0:1], 0x9c
	s_waitcnt lgkmcnt(0)
	s_lshr_b32 s6, s4, 16
	s_and_b32 s4, s4, 0xffff
	s_and_b32 s5, s5, 0xffff
	s_mul_i32 s4, s6, s4
	s_mul_i32 s4, s4, s5
	s_cmpk_lg_i32 s4, 0x400
	s_cbranch_scc1 .LBB112_45
; %bb.1:
	s_load_dwordx8 s[12:19], s[0:1], 0x8
	s_load_dwordx8 s[4:11], s[0:1], 0x50
	s_waitcnt lgkmcnt(0)
	s_mul_i32 s15, s3, s15
	s_mul_hi_u32 s20, s3, s14
	s_mul_i32 s14, s3, s14
	s_add_i32 s15, s20, s15
	s_lshl_b64 s[14:15], s[14:15], 3
	s_mul_i32 s9, s3, s9
	s_add_u32 s12, s12, s14
	s_mul_hi_u32 s14, s3, s8
	s_addc_u32 s13, s13, s15
	s_add_i32 s9, s14, s9
	s_mul_i32 s8, s3, s8
	s_lshl_b64 s[8:9], s[8:9], 3
	s_add_u32 s6, s6, s8
	s_load_dwordx2 s[12:13], s[12:13], 0x0
	s_addc_u32 s7, s7, s9
	s_load_dwordx2 s[8:9], s[6:7], 0x0
	s_waitcnt lgkmcnt(0)
	v_cmp_eq_f32_e64 s[6:7], s12, 0
	v_cmp_eq_f32_e64 s[14:15], s13, 0
	s_and_b64 s[6:7], s[6:7], s[14:15]
	v_cmp_eq_f32_e64 s[14:15], s8, 1.0
	v_cmp_eq_f32_e64 s[20:21], s9, 0
	s_and_b64 s[14:15], s[14:15], s[20:21]
	s_and_b64 s[6:7], s[6:7], s[14:15]
	s_and_b64 vcc, exec, s[6:7]
	s_cbranch_vccnz .LBB112_45
; %bb.2:
	s_load_dwordx2 s[6:7], s[0:1], 0x80
	s_load_dword s33, s[0:1], 0x78
	s_load_dwordx2 s[20:21], s[0:1], 0x70
	s_load_dwordx2 s[14:15], s[0:1], 0x0
	v_and_b32_e32 v2, 0x3ff, v0
	s_waitcnt lgkmcnt(0)
	s_mul_i32 s7, s3, s7
	s_mul_hi_u32 s22, s3, s6
	s_add_i32 s7, s22, s7
	s_mul_i32 s6, s3, s6
	s_lshl_b64 s[6:7], s[6:7], 3
	s_add_u32 s10, s10, s6
	s_addc_u32 s11, s11, s7
	s_lshl_b64 s[6:7], s[20:21], 3
	s_add_u32 s10, s10, s6
	s_addc_u32 s11, s11, s7
	s_or_b32 s6, s12, s13
	v_bfe_u32 v3, v0, 10, 10
	s_bitset0_b32 s6, 31
	v_lshl_add_u32 v54, v3, 6, v2
	s_cmp_lg_u32 s6, 0
	s_mov_b64 s[6:7], -1
	s_cbranch_scc1 .LBB112_9
; %bb.3:
	s_movk_i32 s6, 0x100
	v_cmp_gt_u32_e32 vcc, s6, v54
	s_and_saveexec_b64 s[6:7], vcc
	s_cbranch_execz .LBB112_8
; %bb.4:
	v_lshl_or_b32 v0, s2, 8, v54
	v_mov_b32_e32 v1, 0
	s_ashr_i32 s21, s14, 31
	s_mov_b32 s20, s14
	v_cmp_gt_i64_e32 vcc, s[20:21], v[0:1]
	s_and_b64 exec, exec, vcc
	s_cbranch_execz .LBB112_8
; %bb.5:
	v_mad_u64_u32 v[4:5], s[24:25], s33, v0, 0
	s_ashr_i32 s26, s33, 31
	v_mov_b32_e32 v6, v5
	v_cmp_neq_f32_e64 s[20:21], s8, 0
	v_cmp_neq_f32_e64 s[22:23], s9, 0
	v_mad_u64_u32 v[6:7], s[24:25], s26, v0, v[6:7]
	v_mov_b32_e32 v5, v6
	s_or_b64 s[20:21], s[20:21], s[22:23]
	s_andn2_b64 vcc, exec, s[20:21]
	v_lshl_add_u64 v[4:5], v[4:5], 3, s[10:11]
	v_mov_b32_e32 v7, v1
	s_cbranch_vccnz .LBB112_7
; %bb.6:
	global_load_dwordx2 v[0:1], v[4:5], off
	s_waitcnt vmcnt(0)
	v_pk_mul_f32 v[6:7], s[8:9], v[0:1] op_sel:[0,1]
	s_nop 0
	v_pk_fma_f32 v[8:9], s[8:9], v[0:1], v[6:7] op_sel:[0,0,1] op_sel_hi:[1,1,0] neg_lo:[0,0,1] neg_hi:[0,0,1]
	v_pk_fma_f32 v[6:7], s[8:9], v[0:1], v[6:7] op_sel:[0,0,1] op_sel_hi:[1,0,0]
	v_mov_b32_e32 v1, v8
.LBB112_7:
	v_mov_b32_e32 v6, v1
	global_store_dwordx2 v[4:5], v[6:7], off
.LBB112_8:
	s_or_b64 exec, exec, s[6:7]
	s_mov_b64 s[6:7], 0
.LBB112_9:
	s_andn2_b64 vcc, exec, s[6:7]
	s_cbranch_vccnz .LBB112_45
; %bb.10:
	s_load_dwordx4 s[20:23], s[0:1], 0x30
	s_load_dword s35, s[0:1], 0x28
	s_load_dwordx2 s[6:7], s[0:1], 0x40
	s_load_dword s36, s[0:1], 0x48
	v_lshlrev_b32_e32 v56, 2, v3
	s_waitcnt lgkmcnt(0)
	s_mul_i32 s0, s3, s21
	s_mul_hi_u32 s1, s3, s20
	s_add_i32 s1, s1, s0
	s_mul_i32 s0, s3, s20
	s_lshl_b64 s[0:1], s[0:1], 3
	s_add_u32 s16, s16, s0
	s_addc_u32 s17, s17, s1
	s_lshl_b64 s[0:1], s[18:19], 3
	s_add_u32 s16, s16, s0
	s_addc_u32 s17, s17, s1
	s_mul_i32 s0, s3, s5
	s_mul_hi_u32 s1, s3, s4
	s_add_i32 s1, s1, s0
	s_mul_i32 s0, s3, s4
	s_lshl_b64 s[0:1], s[0:1], 3
	s_add_u32 s3, s22, s0
	s_addc_u32 s4, s23, s1
	s_lshl_b64 s[0:1], s[6:7], 3
	s_add_u32 s18, s3, s0
	s_addc_u32 s19, s4, s1
	s_ashr_i32 s0, s15, 31
	s_lshr_b32 s0, s0, 26
	s_add_i32 s37, s15, s0
	s_mov_b32 s20, 0
	s_lshl_b32 s34, s2, 8
	s_andn2_b32 s37, s37, 63
	s_mov_b32 s21, s20
	v_add_u32_e32 v55, s34, v2
	v_cmp_gt_i32_e32 vcc, s37, v56
	v_mov_b64_e32 v[8:9], s[20:21]
	v_mov_b32_e32 v1, 0
	v_mov_b32_e32 v0, 0
	;; [unrolled: 1-line block ×6, first 2 shown]
	s_and_saveexec_b64 s[22:23], vcc
	s_cbranch_execz .LBB112_22
; %bb.11:
	v_add_u32_e32 v0, 64, v55
	v_cmp_gt_i32_e64 s[0:1], s14, v0
	v_add_u32_e32 v0, 0x80, v55
	v_cmp_gt_i32_e64 s[2:3], s14, v0
	;; [unrolled: 2-line block ×3, first 2 shown]
	v_mul_lo_u32 v0, s35, v56
	v_add3_u32 v57, v0, s35, v2
	v_add_u32_e32 v0, 2, v56
	v_mad_u64_u32 v[10:11], s[6:7], s35, v0, v[2:3]
	v_add_u32_e32 v1, 3, v56
	v_mul_lo_u32 v4, v3, s35
	v_mad_u64_u32 v[12:13], s[6:7], s35, v1, v[2:3]
	v_lshl_add_u32 v11, v4, 2, v2
	v_mul_lo_u32 v4, s36, v56
	v_mul_lo_u32 v58, s36, v0
	;; [unrolled: 1-line block ×4, first 2 shown]
	v_mov_b32_e32 v1, 0
	v_cmp_gt_i32_e32 vcc, s14, v55
	s_lshl_b32 s38, s35, 6
	v_add_u32_e32 v13, s36, v4
	s_lshl_b32 s39, s36, 6
	v_lshlrev_b32_e32 v60, 2, v0
	s_mov_b64 s[24:25], 0
	v_mov_b64_e32 v[8:9], s[20:21]
	v_mov_b32_e32 v0, v1
	v_mov_b32_e32 v5, v1
	;; [unrolled: 1-line block ×5, first 2 shown]
	s_branch .LBB112_16
.LBB112_12:                             ;   in Loop: Header=BB112_16 Depth=1
	s_or_b64 exec, exec, s[30:31]
	s_waitcnt vmcnt(3)
	v_mul_f32_e32 v46, v21, v45
	v_mul_f32_e32 v45, v20, v45
	v_fma_f32 v46, v20, v44, -v46
	v_fmac_f32_e32 v45, v21, v44
	s_waitcnt vmcnt(2)
	v_mul_f32_e32 v44, v19, v43
	v_mul_f32_e32 v43, v18, v43
	v_add_f32_e32 v4, v4, v46
	v_add_f32_e32 v5, v5, v45
	v_fma_f32 v44, v18, v42, -v44
	v_fmac_f32_e32 v43, v19, v42
	s_waitcnt vmcnt(1)
	v_mul_f32_e32 v42, v17, v41
	v_mul_f32_e32 v41, v16, v41
	v_add_f32_e32 v4, v4, v44
	v_add_f32_e32 v5, v5, v43
	v_fma_f32 v42, v16, v40, -v42
	v_fmac_f32_e32 v41, v17, v40
	s_waitcnt vmcnt(0)
	v_mul_f32_e32 v40, v15, v39
	v_mul_f32_e32 v39, v14, v39
	v_add_f32_e32 v4, v4, v42
	v_add_f32_e32 v5, v5, v41
	v_fma_f32 v40, v14, v38, -v40
	v_fmac_f32_e32 v39, v15, v38
	v_add_f32_e32 v4, v4, v40
	v_add_f32_e32 v5, v5, v39
.LBB112_13:                             ;   in Loop: Header=BB112_16 Depth=1
	s_or_b64 exec, exec, s[28:29]
	s_waitcnt vmcnt(3)
	v_mul_f32_e32 v38, v21, v37
	v_mul_f32_e32 v37, v20, v37
	v_fma_f32 v38, v20, v36, -v38
	v_fmac_f32_e32 v37, v21, v36
	s_waitcnt vmcnt(2)
	v_mul_f32_e32 v36, v19, v35
	v_mul_f32_e32 v35, v18, v35
	v_add_f32_e32 v6, v6, v38
	v_add_f32_e32 v7, v7, v37
	v_fma_f32 v36, v18, v34, -v36
	v_fmac_f32_e32 v35, v19, v34
	s_waitcnt vmcnt(1)
	v_mul_f32_e32 v34, v17, v33
	v_mul_f32_e32 v33, v16, v33
	v_add_f32_e32 v6, v6, v36
	v_add_f32_e32 v7, v7, v35
	;; [unrolled: 7-line block ×3, first 2 shown]
	v_fma_f32 v32, v14, v30, -v32
	v_fmac_f32_e32 v31, v15, v30
	v_add_f32_e32 v6, v6, v32
	v_add_f32_e32 v7, v7, v31
.LBB112_14:                             ;   in Loop: Header=BB112_16 Depth=1
	s_or_b64 exec, exec, s[26:27]
	s_waitcnt vmcnt(3)
	v_mul_f32_e32 v30, v21, v29
	v_mul_f32_e32 v31, v20, v29
	v_fma_f32 v30, v20, v28, -v30
	v_fmac_f32_e32 v31, v21, v28
	s_waitcnt vmcnt(2)
	v_mul_f32_e32 v20, v19, v27
	v_mul_f32_e32 v21, v18, v27
	v_fma_f32 v20, v18, v26, -v20
	v_fmac_f32_e32 v21, v19, v26
	v_pk_add_f32 v[8:9], v[8:9], v[30:31]
	v_mov_b32_e32 v18, v17
	v_mov_b32_e32 v19, v16
	v_pk_add_f32 v[8:9], v[8:9], v[20:21]
	s_waitcnt vmcnt(1)
	v_mov_b32_e32 v16, v25
	v_pk_mul_f32 v[20:21], v[18:19], v[24:25] op_sel_hi:[1,0]
	s_nop 0
	v_pk_fma_f32 v[16:17], v[18:19], v[16:17], v[20:21] op_sel:[0,0,1] op_sel_hi:[1,1,0] neg_lo:[1,0,0] neg_hi:[1,0,0]
	v_pk_fma_f32 v[18:19], v[18:19], v[24:25], v[20:21] op_sel:[0,1,1] op_sel_hi:[1,1,0]
	s_nop 0
	v_mov_b32_e32 v17, v19
	v_pk_add_f32 v[8:9], v[8:9], v[16:17]
	s_waitcnt vmcnt(0)
	v_pk_mul_f32 v[16:17], v[14:15], v[22:23] op_sel:[0,1]
	s_nop 0
	v_pk_fma_f32 v[18:19], v[14:15], v[22:23], v[16:17] op_sel:[0,0,1] op_sel_hi:[1,1,0] neg_lo:[0,0,1] neg_hi:[0,0,1]
	v_pk_fma_f32 v[14:15], v[14:15], v[22:23], v[16:17] op_sel:[0,0,1] op_sel_hi:[1,0,0]
	s_nop 0
	v_mov_b32_e32 v19, v15
	v_pk_add_f32 v[8:9], v[8:9], v[18:19]
.LBB112_15:                             ;   in Loop: Header=BB112_16 Depth=1
	s_or_b64 exec, exec, s[6:7]
	v_add_u32_e32 v56, 64, v56
	s_add_i32 s20, s20, s39
	v_cmp_le_i32_e64 s[6:7], s37, v56
	v_add_u32_e32 v57, s38, v57
	v_add_u32_e32 v10, s38, v10
	;; [unrolled: 1-line block ×3, first 2 shown]
	s_or_b64 s[24:25], s[6:7], s[24:25]
	v_add_u32_e32 v11, s38, v11
	s_andn2_b64 exec, exec, s[24:25]
	s_cbranch_execz .LBB112_21
.LBB112_16:                             ; =>This Inner Loop Header: Depth=1
	s_and_saveexec_b64 s[6:7], vcc
	s_cbranch_execz .LBB112_15
; %bb.17:                               ;   in Loop: Header=BB112_16 Depth=1
	v_add_u32_e32 v14, s20, v60
	v_ashrrev_i32_e32 v15, 31, v14
	v_lshl_add_u64 v[22:23], v[14:15], 3, s[18:19]
	v_add_u32_e32 v14, s20, v13
	v_ashrrev_i32_e32 v15, 31, v14
	v_lshl_add_u64 v[24:25], v[14:15], 3, s[18:19]
	;; [unrolled: 3-line block ×4, first 2 shown]
	global_load_dwordx2 v[20:21], v[22:23], off
	global_load_dwordx2 v[18:19], v[24:25], off
	;; [unrolled: 1-line block ×4, first 2 shown]
	v_add_u32_e32 v22, s34, v11
	v_ashrrev_i32_e32 v23, 31, v22
	v_lshl_add_u64 v[52:53], v[22:23], 3, s[16:17]
	v_add_u32_e32 v22, s34, v57
	v_ashrrev_i32_e32 v23, 31, v22
	v_lshl_add_u64 v[50:51], v[22:23], 3, s[16:17]
	;; [unrolled: 3-line block ×4, first 2 shown]
	global_load_dwordx2 v[28:29], v[52:53], off
	global_load_dwordx2 v[26:27], v[50:51], off
	;; [unrolled: 1-line block ×4, first 2 shown]
	s_and_saveexec_b64 s[26:27], s[0:1]
	s_cbranch_execz .LBB112_14
; %bb.18:                               ;   in Loop: Header=BB112_16 Depth=1
	global_load_dwordx2 v[36:37], v[52:53], off offset:512
	global_load_dwordx2 v[34:35], v[50:51], off offset:512
	;; [unrolled: 1-line block ×4, first 2 shown]
	s_and_saveexec_b64 s[28:29], s[2:3]
	s_cbranch_execz .LBB112_13
; %bb.19:                               ;   in Loop: Header=BB112_16 Depth=1
	global_load_dwordx2 v[44:45], v[52:53], off offset:1024
	global_load_dwordx2 v[42:43], v[50:51], off offset:1024
	;; [unrolled: 1-line block ×4, first 2 shown]
	s_and_saveexec_b64 s[30:31], s[4:5]
	s_cbranch_execz .LBB112_12
; %bb.20:                               ;   in Loop: Header=BB112_16 Depth=1
	global_load_dwordx2 v[52:53], v[52:53], off offset:1536
	s_nop 0
	global_load_dwordx2 v[50:51], v[50:51], off offset:1536
	s_nop 0
	;; [unrolled: 2-line block ×3, first 2 shown]
	global_load_dwordx2 v[46:47], v[46:47], off offset:1536
	s_waitcnt vmcnt(3)
	v_mul_f32_e32 v61, v21, v53
	v_mul_f32_e32 v53, v20, v53
	s_waitcnt vmcnt(2)
	v_mul_f32_e32 v62, v19, v51
	v_mul_f32_e32 v51, v18, v51
	v_fma_f32 v61, v20, v52, -v61
	v_fmac_f32_e32 v53, v21, v52
	s_waitcnt vmcnt(1)
	v_mul_f32_e32 v63, v17, v49
	v_mul_f32_e32 v49, v16, v49
	v_fma_f32 v52, v18, v50, -v62
	v_fmac_f32_e32 v51, v19, v50
	v_add_f32_e32 v0, v0, v61
	v_add_f32_e32 v1, v1, v53
	s_waitcnt vmcnt(0)
	v_mul_f32_e32 v64, v15, v47
	v_mul_f32_e32 v47, v14, v47
	v_fma_f32 v50, v16, v48, -v63
	v_fmac_f32_e32 v49, v17, v48
	v_add_f32_e32 v0, v0, v52
	v_add_f32_e32 v1, v1, v51
	v_fma_f32 v48, v14, v46, -v64
	v_fmac_f32_e32 v47, v15, v46
	v_add_f32_e32 v0, v0, v50
	v_add_f32_e32 v1, v1, v49
	v_add_f32_e32 v0, v0, v48
	v_add_f32_e32 v1, v1, v47
	s_branch .LBB112_12
.LBB112_21:
	s_or_b64 exec, exec, s[24:25]
.LBB112_22:
	s_or_b64 exec, exec, s[22:23]
	s_sub_i32 s0, s15, s37
	s_cmp_lt_i32 s0, 1
	s_cbranch_scc1 .LBB112_40
; %bb.23:
	v_cmp_gt_i32_e32 vcc, s15, v56
	v_mov_b32_e32 v10, 0
	v_or_b32_e32 v20, 1, v56
	v_mov_b32_e32 v11, 0
	v_mov_b32_e32 v12, 0
	;; [unrolled: 1-line block ×7, first 2 shown]
	s_and_saveexec_b64 s[2:3], vcc
	s_cbranch_execz .LBB112_31
; %bb.24:
	v_mul_lo_u32 v10, v56, s36
	v_ashrrev_i32_e32 v11, 31, v10
	v_lshl_add_u64 v[10:11], v[10:11], 3, s[18:19]
	global_load_dwordx2 v[10:11], v[10:11], off
	v_cmp_gt_i32_e64 s[0:1], s15, v20
	v_mov_b32_e32 v17, 0
	v_mov_b32_e32 v16, 0
	;; [unrolled: 1-line block ×6, first 2 shown]
	s_and_saveexec_b64 s[4:5], s[0:1]
	s_cbranch_execz .LBB112_30
; %bb.25:
	v_mul_lo_u32 v12, v20, s36
	v_ashrrev_i32_e32 v13, 31, v12
	v_lshl_add_u64 v[12:13], v[12:13], 3, s[18:19]
	global_load_dwordx2 v[12:13], v[12:13], off
	v_or_b32_e32 v18, 2, v56
	v_cmp_gt_i32_e64 s[0:1], s15, v18
	v_mov_b32_e32 v17, 0
	v_mov_b32_e32 v16, 0
	;; [unrolled: 1-line block ×4, first 2 shown]
	s_and_saveexec_b64 s[6:7], s[0:1]
	s_cbranch_execz .LBB112_29
; %bb.26:
	v_mul_lo_u32 v14, v18, s36
	v_ashrrev_i32_e32 v15, 31, v14
	v_lshl_add_u64 v[14:15], v[14:15], 3, s[18:19]
	global_load_dwordx2 v[14:15], v[14:15], off
	v_or_b32_e32 v18, 3, v56
	v_cmp_gt_i32_e64 s[0:1], s15, v18
	v_mov_b32_e32 v17, 0
	v_mov_b32_e32 v16, 0
	s_and_saveexec_b64 s[20:21], s[0:1]
	s_cbranch_execz .LBB112_28
; %bb.27:
	v_mul_lo_u32 v16, v18, s36
	v_ashrrev_i32_e32 v17, 31, v16
	v_lshl_add_u64 v[16:17], v[16:17], 3, s[18:19]
	global_load_dwordx2 v[16:17], v[16:17], off
.LBB112_28:
	s_or_b64 exec, exec, s[20:21]
.LBB112_29:
	s_or_b64 exec, exec, s[6:7]
.LBB112_30:
	s_or_b64 exec, exec, s[4:5]
.LBB112_31:
	s_or_b64 exec, exec, s[2:3]
	v_cmp_gt_i32_e64 s[0:1], s14, v55
	s_and_saveexec_b64 s[2:3], s[0:1]
	s_cbranch_execz .LBB112_39
; %bb.32:
	v_mul_lo_u32 v18, v56, s35
	v_cndmask_b32_e32 v18, 0, v18, vcc
	v_mul_lo_u32 v21, v20, s35
	v_cmp_gt_i32_e32 vcc, s15, v20
	v_or_b32_e32 v24, 2, v56
	v_add_u32_e32 v18, v18, v55
	v_cndmask_b32_e32 v20, 0, v21, vcc
	v_mul_lo_u32 v25, v24, s35
	v_cmp_gt_i32_e32 vcc, s15, v24
	v_or_b32_e32 v26, 3, v56
	v_ashrrev_i32_e32 v19, 31, v18
	v_add_u32_e32 v20, v20, v55
	v_cndmask_b32_e32 v24, 0, v25, vcc
	v_mul_lo_u32 v27, v26, s35
	v_cmp_gt_i32_e32 vcc, s15, v26
	v_lshl_add_u64 v[18:19], v[18:19], 3, s[16:17]
	v_ashrrev_i32_e32 v21, 31, v20
	v_add_u32_e32 v24, v24, v55
	v_cndmask_b32_e32 v26, 0, v27, vcc
	v_lshl_add_u64 v[22:23], v[20:21], 3, s[16:17]
	global_load_dwordx2 v[20:21], v[18:19], off
	global_load_dwordx2 v[28:29], v[22:23], off
	v_ashrrev_i32_e32 v25, 31, v24
	v_add_u32_e32 v26, v26, v55
	v_lshl_add_u64 v[24:25], v[24:25], 3, s[16:17]
	v_ashrrev_i32_e32 v27, 31, v26
	v_lshl_add_u64 v[26:27], v[26:27], 3, s[16:17]
	global_load_dwordx2 v[30:31], v[24:25], off
	global_load_dwordx2 v[32:33], v[26:27], off
	v_add_u32_e32 v42, 64, v55
	v_cmp_gt_i32_e32 vcc, s14, v42
	s_waitcnt vmcnt(3)
	v_pk_mul_f32 v[34:35], v[10:11], v[20:21] op_sel:[0,1]
	s_waitcnt vmcnt(2)
	v_pk_mul_f32 v[36:37], v[12:13], v[28:29] op_sel:[0,1]
	v_pk_fma_f32 v[38:39], v[10:11], v[20:21], v[34:35] op_sel:[0,0,1] op_sel_hi:[1,1,0] neg_lo:[0,0,1] neg_hi:[0,0,1]
	v_pk_fma_f32 v[20:21], v[10:11], v[20:21], v[34:35] op_sel:[0,0,1] op_sel_hi:[1,0,0]
	v_pk_fma_f32 v[34:35], v[12:13], v[28:29], v[36:37] op_sel:[0,0,1] op_sel_hi:[1,1,0] neg_lo:[0,0,1] neg_hi:[0,0,1]
	v_pk_fma_f32 v[28:29], v[12:13], v[28:29], v[36:37] op_sel:[0,0,1] op_sel_hi:[1,0,0]
	s_waitcnt vmcnt(1)
	v_pk_mul_f32 v[36:37], v[14:15], v[30:31] op_sel:[0,1]
	v_mov_b32_e32 v39, v21
	s_waitcnt vmcnt(0)
	v_pk_mul_f32 v[40:41], v[16:17], v[32:33] op_sel:[0,1]
	v_mov_b32_e32 v35, v29
	v_pk_fma_f32 v[28:29], v[14:15], v[30:31], v[36:37] op_sel:[0,0,1] op_sel_hi:[1,1,0] neg_lo:[0,0,1] neg_hi:[0,0,1]
	v_pk_fma_f32 v[30:31], v[14:15], v[30:31], v[36:37] op_sel:[0,0,1] op_sel_hi:[1,0,0]
	v_pk_add_f32 v[8:9], v[8:9], v[38:39]
	v_pk_fma_f32 v[20:21], v[16:17], v[32:33], v[40:41] op_sel:[0,0,1] op_sel_hi:[1,1,0] neg_lo:[0,0,1] neg_hi:[0,0,1]
	v_pk_fma_f32 v[32:33], v[16:17], v[32:33], v[40:41] op_sel:[0,0,1] op_sel_hi:[1,0,0]
	v_mov_b32_e32 v29, v31
	v_pk_add_f32 v[8:9], v[8:9], v[34:35]
	v_mov_b32_e32 v21, v33
	v_pk_add_f32 v[8:9], v[8:9], v[28:29]
	s_and_saveexec_b64 s[0:1], vcc
	s_cbranch_execz .LBB112_38
; %bb.33:
	global_load_dwordx2 v[30:31], v[18:19], off offset:512
	global_load_dwordx2 v[32:33], v[22:23], off offset:512
	;; [unrolled: 1-line block ×4, first 2 shown]
	v_add_u32_e32 v38, 0x80, v55
	v_cmp_gt_i32_e32 vcc, s14, v38
	s_waitcnt vmcnt(3)
	v_mul_f32_e32 v29, v11, v31
	v_mul_f32_e32 v31, v10, v31
	s_waitcnt vmcnt(2)
	v_mul_f32_e32 v39, v13, v33
	v_mul_f32_e32 v33, v12, v33
	;; [unrolled: 3-line block ×3, first 2 shown]
	v_fma_f32 v37, v10, v30, -v29
	v_fmac_f32_e32 v31, v11, v30
	v_mul_f32_e32 v40, v15, v35
	v_mul_f32_e32 v35, v14, v35
	v_fma_f32 v30, v12, v32, -v39
	v_fmac_f32_e32 v33, v13, v32
	v_add_f32_e32 v6, v6, v37
	v_add_f32_e32 v7, v7, v31
	v_fma_f32 v32, v14, v34, -v40
	v_fmac_f32_e32 v35, v15, v34
	v_add_f32_e32 v6, v6, v30
	v_add_f32_e32 v7, v7, v33
	;; [unrolled: 4-line block ×3, first 2 shown]
	s_and_saveexec_b64 s[4:5], vcc
	s_cbranch_execz .LBB112_37
; %bb.34:
	global_load_dwordx2 v[32:33], v[18:19], off offset:1024
	global_load_dwordx2 v[34:35], v[22:23], off offset:1024
	;; [unrolled: 1-line block ×4, first 2 shown]
	v_add_u32_e32 v40, 0xc0, v55
	v_cmp_gt_i32_e32 vcc, s14, v40
	s_waitcnt vmcnt(3)
	v_mul_f32_e32 v31, v11, v33
	v_mul_f32_e32 v33, v10, v33
	s_waitcnt vmcnt(2)
	v_mul_f32_e32 v41, v13, v35
	v_mul_f32_e32 v35, v12, v35
	s_waitcnt vmcnt(0)
	v_mul_f32_e32 v43, v17, v39
	v_mul_f32_e32 v30, v16, v39
	v_fma_f32 v39, v10, v32, -v31
	v_fmac_f32_e32 v33, v11, v32
	v_mul_f32_e32 v42, v15, v37
	v_mul_f32_e32 v37, v14, v37
	v_fma_f32 v32, v12, v34, -v41
	v_fmac_f32_e32 v35, v13, v34
	v_add_f32_e32 v4, v4, v39
	v_add_f32_e32 v5, v5, v33
	v_fma_f32 v34, v14, v36, -v42
	v_fmac_f32_e32 v37, v15, v36
	v_add_f32_e32 v4, v4, v32
	v_add_f32_e32 v5, v5, v35
	;; [unrolled: 4-line block ×3, first 2 shown]
	s_and_saveexec_b64 s[6:7], vcc
	s_cbranch_execz .LBB112_36
; %bb.35:
	global_load_dwordx2 v[32:33], v[18:19], off offset:1536
	global_load_dwordx2 v[34:35], v[22:23], off offset:1536
	;; [unrolled: 1-line block ×4, first 2 shown]
	s_waitcnt vmcnt(3)
	v_mul_f32_e32 v18, v11, v33
	v_mul_f32_e32 v19, v10, v33
	s_waitcnt vmcnt(2)
	v_mul_f32_e32 v22, v13, v35
	v_mul_f32_e32 v23, v12, v35
	v_fma_f32 v10, v10, v32, -v18
	v_fmac_f32_e32 v19, v11, v32
	s_waitcnt vmcnt(1)
	v_mul_f32_e32 v24, v15, v37
	v_mul_f32_e32 v25, v14, v37
	v_fma_f32 v11, v12, v34, -v22
	v_fmac_f32_e32 v23, v13, v34
	v_add_f32_e32 v0, v0, v10
	v_add_f32_e32 v1, v1, v19
	s_waitcnt vmcnt(0)
	v_mul_f32_e32 v26, v17, v39
	v_mul_f32_e32 v27, v16, v39
	v_fma_f32 v12, v14, v36, -v24
	v_fmac_f32_e32 v25, v15, v36
	v_add_f32_e32 v0, v0, v11
	v_add_f32_e32 v1, v1, v23
	v_fma_f32 v13, v16, v38, -v26
	v_fmac_f32_e32 v27, v17, v38
	v_add_f32_e32 v0, v0, v12
	v_add_f32_e32 v1, v1, v25
	;; [unrolled: 1-line block ×4, first 2 shown]
.LBB112_36:
	s_or_b64 exec, exec, s[6:7]
	v_add_f32_e32 v4, v4, v31
	v_add_f32_e32 v5, v5, v30
.LBB112_37:
	s_or_b64 exec, exec, s[4:5]
	v_add_f32_e32 v6, v6, v29
	v_add_f32_e32 v7, v7, v28
.LBB112_38:
	s_or_b64 exec, exec, s[0:1]
	v_pk_add_f32 v[8:9], v[8:9], v[20:21]
.LBB112_39:
	s_or_b64 exec, exec, s[2:3]
.LBB112_40:
	v_lshlrev_b32_e32 v3, 8, v3
	s_movk_i32 s0, 0x100
	v_add_lshl_u32 v2, v3, v2, 3
	v_cmp_gt_u32_e32 vcc, s0, v54
	ds_write2st64_b64 v2, v[8:9], v[6:7] offset1:1
	ds_write2st64_b64 v2, v[4:5], v[0:1] offset0:2 offset1:3
	s_waitcnt lgkmcnt(0)
	s_barrier
	s_and_saveexec_b64 s[0:1], vcc
	s_cbranch_execz .LBB112_45
; %bb.41:
	v_lshlrev_b32_e32 v20, 3, v54
	ds_read2st64_b64 v[0:3], v20 offset1:4
	ds_read2st64_b64 v[4:7], v20 offset0:8 offset1:12
	s_waitcnt vmcnt(0)
	ds_read2st64_b64 v[8:11], v20 offset0:16 offset1:20
	ds_read2st64_b64 v[12:15], v20 offset0:24 offset1:28
	;; [unrolled: 1-line block ×3, first 2 shown]
	s_waitcnt lgkmcnt(4)
	v_pk_add_f32 v[0:1], v[0:1], v[2:3]
	s_waitcnt lgkmcnt(3)
	v_pk_add_f32 v[0:1], v[0:1], v[4:5]
	s_nop 0
	v_pk_add_f32 v[0:1], v[0:1], v[6:7]
	s_waitcnt lgkmcnt(2)
	v_pk_add_f32 v[0:1], v[0:1], v[8:9]
	s_nop 0
	v_pk_add_f32 v[0:1], v[0:1], v[10:11]
	s_waitcnt lgkmcnt(1)
	v_pk_add_f32 v[0:1], v[0:1], v[12:13]
	s_nop 0
	v_pk_add_f32 v[4:5], v[0:1], v[14:15]
	ds_read2st64_b64 v[0:3], v20 offset0:40 offset1:44
	s_waitcnt lgkmcnt(1)
	v_pk_add_f32 v[8:9], v[4:5], v[16:17]
	ds_read2st64_b64 v[4:7], v20 offset0:48 offset1:52
	v_pk_add_f32 v[12:13], v[8:9], v[18:19]
	ds_read2st64_b64 v[8:11], v20 offset0:56 offset1:60
	s_waitcnt lgkmcnt(2)
	v_pk_add_f32 v[0:1], v[12:13], v[0:1]
	s_nop 0
	v_pk_add_f32 v[0:1], v[0:1], v[2:3]
	s_waitcnt lgkmcnt(1)
	v_pk_add_f32 v[0:1], v[0:1], v[4:5]
	v_or_b32_e32 v4, s34, v54
	v_pk_add_f32 v[0:1], v[0:1], v[6:7]
	v_cmp_gt_i32_e32 vcc, s14, v4
	s_waitcnt lgkmcnt(0)
	v_pk_add_f32 v[0:1], v[0:1], v[8:9]
	s_nop 0
	v_pk_add_f32 v[2:3], v[0:1], v[10:11]
	ds_write_b64 v20, v[2:3]
	s_and_b64 exec, exec, vcc
	s_cbranch_execz .LBB112_45
; %bb.42:
	v_cmp_neq_f32_e64 s[0:1], s8, 0
	v_cmp_neq_f32_e64 s[2:3], s9, 0
	v_mul_lo_u32 v4, v4, s33
	v_pk_mul_f32 v[6:7], v[2:3], s[12:13] op_sel:[1,0]
	v_ashrrev_i32_e32 v5, 31, v4
	s_or_b64 s[0:1], s[0:1], s[2:3]
	v_pk_fma_f32 v[0:1], v[2:3], s[12:13], v[6:7] op_sel:[0,0,1] op_sel_hi:[0,1,0] neg_lo:[0,0,1] neg_hi:[0,0,1]
	v_pk_fma_f32 v[2:3], v[2:3], s[12:13], v[6:7] op_sel:[0,0,1] op_sel_hi:[0,1,0]
	s_andn2_b64 vcc, exec, s[0:1]
	v_lshl_add_u64 v[4:5], v[4:5], 3, s[10:11]
	s_cbranch_vccnz .LBB112_44
; %bb.43:
	global_load_dwordx2 v[6:7], v[4:5], off
	v_mov_b32_e32 v1, v3
	s_waitcnt vmcnt(0)
	v_pk_mul_f32 v[2:3], s[8:9], v[6:7] op_sel:[0,1]
	s_nop 0
	v_pk_fma_f32 v[8:9], s[8:9], v[6:7], v[2:3] op_sel:[0,0,1] op_sel_hi:[1,1,0] neg_lo:[0,0,1] neg_hi:[0,0,1]
	v_pk_fma_f32 v[2:3], s[8:9], v[6:7], v[2:3] op_sel:[0,0,1] op_sel_hi:[1,0,0]
	s_nop 0
	v_mov_b32_e32 v9, v3
	v_pk_add_f32 v[0:1], v[0:1], v[8:9]
	s_nop 0
	v_mov_b32_e32 v3, v1
.LBB112_44:
	v_mov_b32_e32 v1, v3
	global_store_dwordx2 v[4:5], v[0:1], off
.LBB112_45:
	s_endpgm
	.section	.rodata,"a",@progbits
	.p2align	6, 0x0
	.amdhsa_kernel _ZL20rocblas_gemvn_kernelILi64ELi16Ei19rocblas_complex_numIfEPKS1_S1_EviiT3_lPKT2_lT1_lS7_lS8_lS4_lPT4_lS8_li
		.amdhsa_group_segment_fixed_size 32768
		.amdhsa_private_segment_fixed_size 0
		.amdhsa_kernarg_size 400
		.amdhsa_user_sgpr_count 2
		.amdhsa_user_sgpr_dispatch_ptr 0
		.amdhsa_user_sgpr_queue_ptr 0
		.amdhsa_user_sgpr_kernarg_segment_ptr 1
		.amdhsa_user_sgpr_dispatch_id 0
		.amdhsa_user_sgpr_kernarg_preload_length 0
		.amdhsa_user_sgpr_kernarg_preload_offset 0
		.amdhsa_user_sgpr_private_segment_size 0
		.amdhsa_uses_dynamic_stack 0
		.amdhsa_enable_private_segment 0
		.amdhsa_system_sgpr_workgroup_id_x 1
		.amdhsa_system_sgpr_workgroup_id_y 0
		.amdhsa_system_sgpr_workgroup_id_z 1
		.amdhsa_system_sgpr_workgroup_info 0
		.amdhsa_system_vgpr_workitem_id 1
		.amdhsa_next_free_vgpr 65
		.amdhsa_next_free_sgpr 40
		.amdhsa_accum_offset 68
		.amdhsa_reserve_vcc 1
		.amdhsa_float_round_mode_32 0
		.amdhsa_float_round_mode_16_64 0
		.amdhsa_float_denorm_mode_32 3
		.amdhsa_float_denorm_mode_16_64 3
		.amdhsa_dx10_clamp 1
		.amdhsa_ieee_mode 1
		.amdhsa_fp16_overflow 0
		.amdhsa_tg_split 0
		.amdhsa_exception_fp_ieee_invalid_op 0
		.amdhsa_exception_fp_denorm_src 0
		.amdhsa_exception_fp_ieee_div_zero 0
		.amdhsa_exception_fp_ieee_overflow 0
		.amdhsa_exception_fp_ieee_underflow 0
		.amdhsa_exception_fp_ieee_inexact 0
		.amdhsa_exception_int_div_zero 0
	.end_amdhsa_kernel
	.section	.text._ZL20rocblas_gemvn_kernelILi64ELi16Ei19rocblas_complex_numIfEPKS1_S1_EviiT3_lPKT2_lT1_lS7_lS8_lS4_lPT4_lS8_li,"axG",@progbits,_ZL20rocblas_gemvn_kernelILi64ELi16Ei19rocblas_complex_numIfEPKS1_S1_EviiT3_lPKT2_lT1_lS7_lS8_lS4_lPT4_lS8_li,comdat
.Lfunc_end112:
	.size	_ZL20rocblas_gemvn_kernelILi64ELi16Ei19rocblas_complex_numIfEPKS1_S1_EviiT3_lPKT2_lT1_lS7_lS8_lS4_lPT4_lS8_li, .Lfunc_end112-_ZL20rocblas_gemvn_kernelILi64ELi16Ei19rocblas_complex_numIfEPKS1_S1_EviiT3_lPKT2_lT1_lS7_lS8_lS4_lPT4_lS8_li
                                        ; -- End function
	.section	.AMDGPU.csdata,"",@progbits
; Kernel info:
; codeLenInByte = 3496
; NumSgprs: 46
; NumVgprs: 65
; NumAgprs: 0
; TotalNumVgprs: 65
; ScratchSize: 0
; MemoryBound: 0
; FloatMode: 240
; IeeeMode: 1
; LDSByteSize: 32768 bytes/workgroup (compile time only)
; SGPRBlocks: 5
; VGPRBlocks: 8
; NumSGPRsForWavesPerEU: 46
; NumVGPRsForWavesPerEU: 65
; AccumOffset: 68
; Occupancy: 7
; WaveLimiterHint : 1
; COMPUTE_PGM_RSRC2:SCRATCH_EN: 0
; COMPUTE_PGM_RSRC2:USER_SGPR: 2
; COMPUTE_PGM_RSRC2:TRAP_HANDLER: 0
; COMPUTE_PGM_RSRC2:TGID_X_EN: 1
; COMPUTE_PGM_RSRC2:TGID_Y_EN: 0
; COMPUTE_PGM_RSRC2:TGID_Z_EN: 1
; COMPUTE_PGM_RSRC2:TIDIG_COMP_CNT: 1
; COMPUTE_PGM_RSRC3_GFX90A:ACCUM_OFFSET: 16
; COMPUTE_PGM_RSRC3_GFX90A:TG_SPLIT: 0
	.section	.text._ZL20rocblas_gemvn_kernelILi64ELi16El19rocblas_complex_numIfEPKS1_S1_EviiT3_lPKT2_lT1_lS7_lS8_lS4_lPT4_lS8_li,"axG",@progbits,_ZL20rocblas_gemvn_kernelILi64ELi16El19rocblas_complex_numIfEPKS1_S1_EviiT3_lPKT2_lT1_lS7_lS8_lS4_lPT4_lS8_li,comdat
	.globl	_ZL20rocblas_gemvn_kernelILi64ELi16El19rocblas_complex_numIfEPKS1_S1_EviiT3_lPKT2_lT1_lS7_lS8_lS4_lPT4_lS8_li ; -- Begin function _ZL20rocblas_gemvn_kernelILi64ELi16El19rocblas_complex_numIfEPKS1_S1_EviiT3_lPKT2_lT1_lS7_lS8_lS4_lPT4_lS8_li
	.p2align	8
	.type	_ZL20rocblas_gemvn_kernelILi64ELi16El19rocblas_complex_numIfEPKS1_S1_EviiT3_lPKT2_lT1_lS7_lS8_lS4_lPT4_lS8_li,@function
_ZL20rocblas_gemvn_kernelILi64ELi16El19rocblas_complex_numIfEPKS1_S1_EviiT3_lPKT2_lT1_lS7_lS8_lS4_lPT4_lS8_li: ; @_ZL20rocblas_gemvn_kernelILi64ELi16El19rocblas_complex_numIfEPKS1_S1_EviiT3_lPKT2_lT1_lS7_lS8_lS4_lPT4_lS8_li
; %bb.0:
	s_load_dwordx2 s[4:5], s[0:1], 0x9c
	s_waitcnt lgkmcnt(0)
	s_lshr_b32 s6, s4, 16
	s_and_b32 s4, s4, 0xffff
	s_and_b32 s5, s5, 0xffff
	s_mul_i32 s4, s6, s4
	s_mul_i32 s4, s4, s5
	s_cmpk_lg_i32 s4, 0x400
	s_cbranch_scc1 .LBB113_45
; %bb.1:
	s_load_dwordx16 s[36:51], s[0:1], 0x8
	s_load_dwordx16 s[8:23], s[0:1], 0x48
	s_waitcnt lgkmcnt(0)
	s_mul_i32 s5, s3, s39
	s_mul_hi_u32 s6, s3, s38
	s_mul_i32 s4, s3, s38
	s_add_i32 s5, s6, s5
	s_lshl_b64 s[4:5], s[4:5], 3
	s_mul_i32 s7, s3, s15
	s_add_u32 s4, s36, s4
	s_mul_hi_u32 s6, s3, s14
	s_addc_u32 s5, s37, s5
	s_add_i32 s7, s6, s7
	s_mul_i32 s6, s3, s14
	s_lshl_b64 s[6:7], s[6:7], 3
	s_load_dwordx2 s[14:15], s[4:5], 0x0
	s_add_u32 s4, s12, s6
	s_addc_u32 s5, s13, s7
	s_load_dwordx2 s[12:13], s[4:5], 0x0
	s_waitcnt lgkmcnt(0)
	v_cmp_eq_f32_e64 s[4:5], s14, 0
	v_cmp_eq_f32_e64 s[6:7], s15, 0
	s_and_b64 s[4:5], s[4:5], s[6:7]
	v_cmp_eq_f32_e64 s[6:7], s12, 1.0
	v_cmp_eq_f32_e64 s[24:25], s13, 0
	s_and_b64 s[6:7], s[6:7], s[24:25]
	s_and_b64 s[4:5], s[4:5], s[6:7]
	s_and_b64 vcc, exec, s[4:5]
	s_cbranch_vccnz .LBB113_45
; %bb.2:
	s_load_dwordx2 s[24:25], s[0:1], 0x0
	s_mul_i32 s0, s3, s23
	s_mul_hi_u32 s1, s3, s22
	s_add_i32 s1, s1, s0
	s_mul_i32 s0, s3, s22
	s_lshl_b64 s[0:1], s[0:1], 3
	s_add_u32 s4, s16, s0
	s_addc_u32 s5, s17, s1
	s_lshl_b64 s[0:1], s[18:19], 3
	s_add_u32 s16, s4, s0
	s_addc_u32 s17, s5, s1
	s_or_b32 s0, s14, s15
	v_and_b32_e32 v63, 0x3ff, v0
	v_bfe_u32 v64, v0, 10, 10
	s_bitset0_b32 s0, 31
	v_lshl_add_u32 v62, v64, 6, v63
	s_cmp_lg_u32 s0, 0
	s_mov_b64 s[0:1], -1
	s_cbranch_scc1 .LBB113_9
; %bb.3:
	s_movk_i32 s0, 0x100
	v_cmp_gt_u32_e32 vcc, s0, v62
	s_and_saveexec_b64 s[0:1], vcc
	s_cbranch_execz .LBB113_8
; %bb.4:
	v_lshl_or_b32 v0, s2, 8, v62
	v_mov_b32_e32 v1, 0
	s_waitcnt lgkmcnt(0)
	s_ashr_i32 s5, s24, 31
	s_mov_b32 s4, s24
	v_cmp_gt_i64_e32 vcc, s[4:5], v[0:1]
	s_and_b64 exec, exec, vcc
	s_cbranch_execz .LBB113_8
; %bb.5:
	v_mad_u64_u32 v[2:3], s[18:19], v0, s20, 0
	v_mov_b32_e32 v4, v3
	v_cmp_neq_f32_e64 s[4:5], s12, 0
	v_cmp_neq_f32_e64 s[6:7], s13, 0
	v_mad_u64_u32 v[4:5], s[18:19], v0, s21, v[4:5]
	v_mov_b32_e32 v3, v4
	s_or_b64 s[4:5], s[4:5], s[6:7]
	s_andn2_b64 vcc, exec, s[4:5]
	v_lshl_add_u64 v[2:3], v[2:3], 3, s[16:17]
	v_mov_b32_e32 v5, v1
	s_cbranch_vccnz .LBB113_7
; %bb.6:
	global_load_dwordx2 v[0:1], v[2:3], off
	s_waitcnt vmcnt(0)
	v_pk_mul_f32 v[4:5], s[12:13], v[0:1] op_sel:[0,1]
	s_nop 0
	v_pk_fma_f32 v[6:7], s[12:13], v[0:1], v[4:5] op_sel:[0,0,1] op_sel_hi:[1,1,0] neg_lo:[0,0,1] neg_hi:[0,0,1]
	v_pk_fma_f32 v[4:5], s[12:13], v[0:1], v[4:5] op_sel:[0,0,1] op_sel_hi:[1,0,0]
	v_mov_b32_e32 v1, v6
.LBB113_7:
	v_mov_b32_e32 v4, v1
	global_store_dwordx2 v[2:3], v[4:5], off
.LBB113_8:
	s_or_b64 exec, exec, s[0:1]
	s_mov_b64 s[0:1], 0
.LBB113_9:
	s_andn2_b64 vcc, exec, s[0:1]
	s_cbranch_vccnz .LBB113_45
; %bb.10:
	s_mul_i32 s0, s3, s47
	s_mul_hi_u32 s1, s3, s46
	s_add_i32 s19, s1, s0
	s_mul_i32 s0, s3, s11
	s_mul_hi_u32 s1, s3, s10
	s_add_i32 s11, s1, s0
	s_waitcnt lgkmcnt(0)
	s_ashr_i32 s0, s25, 31
	s_lshr_b32 s0, s0, 26
	s_add_i32 s52, s25, s0
	s_mov_b32 s6, 0
	s_lshl_b32 s33, s2, 8
	s_andn2_b32 s52, s52, 63
	v_lshlrev_b32_e32 v65, 2, v64
	s_mov_b32 s7, s6
	s_mul_i32 s18, s3, s46
	s_mul_i32 s10, s3, s10
	v_add_u32_e32 v2, s33, v63
	v_cmp_gt_i32_e32 vcc, s52, v65
	v_mov_b64_e32 v[8:9], s[6:7]
	v_mov_b32_e32 v1, 0
	v_mov_b32_e32 v0, 0
	;; [unrolled: 1-line block ×6, first 2 shown]
	s_and_saveexec_b64 s[22:23], vcc
	s_cbranch_execz .LBB113_22
; %bb.11:
	v_add_u32_e32 v0, 64, v2
	v_cmp_gt_i32_e64 s[0:1], s24, v0
	v_add_u32_e32 v0, 0x80, v2
	v_cmp_gt_i32_e64 s[2:3], s24, v0
	;; [unrolled: 2-line block ×3, first 2 shown]
	v_mad_u64_u32 v[0:1], s[26:27], s8, v64, 0
	v_mov_b32_e32 v4, v1
	v_mad_u64_u32 v[4:5], s[26:27], s9, v64, v[4:5]
	s_lshl_b64 s[26:27], s[10:11], 3
	s_lshl_b64 s[28:29], s[50:51], 3
	s_add_u32 s28, s48, s28
	v_ashrrev_i32_e32 v3, 31, v2
	s_addc_u32 s29, s49, s29
	v_mov_b32_e32 v1, v4
	s_add_u32 s26, s28, s26
	v_lshlrev_b64 v[12:13], 3, v[2:3]
	v_lshlrev_b32_e32 v3, 2, v64
	v_lshlrev_b64 v[0:1], 5, v[0:1]
	s_addc_u32 s27, s29, s27
	v_or_b32_e32 v5, 3, v3
	v_lshl_add_u64 v[10:11], s[26:27], 0, v[0:1]
	v_mad_u64_u32 v[0:1], s[28:29], s44, v5, 0
	v_mov_b32_e32 v4, v1
	v_mad_u64_u32 v[4:5], s[28:29], s45, v5, v[4:5]
	s_lshl_b64 s[26:27], s[8:9], 9
	s_lshl_b64 s[28:29], s[18:19], 3
	;; [unrolled: 1-line block ×3, first 2 shown]
	s_add_u32 s30, s40, s30
	s_addc_u32 s31, s41, s31
	s_add_u32 s30, s30, s28
	v_mov_b32_e32 v1, v4
	s_addc_u32 s31, s31, s29
	v_lshl_add_u64 v[14:15], v[0:1], 3, s[30:31]
	v_mad_u64_u32 v[0:1], s[34:35], s44, v64, 0
	v_mov_b32_e32 v4, v1
	v_mad_u64_u32 v[4:5], s[34:35], s45, v64, v[4:5]
	v_mov_b32_e32 v1, v4
	v_lshlrev_b64 v[0:1], 5, v[0:1]
	v_or_b32_e32 v5, 2, v3
	v_lshl_add_u64 v[16:17], s[30:31], 0, v[0:1]
	v_mad_u64_u32 v[0:1], s[34:35], s44, v5, 0
	v_mov_b32_e32 v4, v1
	v_mad_u64_u32 v[4:5], s[34:35], s45, v5, v[4:5]
	v_mov_b32_e32 v1, v4
	v_lshl_add_u64 v[18:19], v[0:1], 3, s[30:31]
	v_mov_b64_e32 v[0:1], s[44:45]
	v_mad_u64_u32 v[0:1], s[34:35], s44, v3, v[0:1]
	v_mov_b32_e32 v4, v1
	v_mad_u64_u32 v[4:5], s[34:35], s45, v3, v[4:5]
	v_mov_b32_e32 v1, v4
	v_lshl_add_u64 v[20:21], v[0:1], 3, s[30:31]
	v_mov_b32_e32 v1, 0
	v_cmp_gt_i32_e32 vcc, s24, v2
	s_lshl_b64 s[28:29], s[44:45], 9
	s_lshl_b64 s[34:35], s[8:9], 3
	s_mov_b64 s[30:31], 0
	v_mov_b64_e32 v[8:9], s[6:7]
	v_mov_b32_e32 v0, v1
	v_mov_b32_e32 v5, v1
	;; [unrolled: 1-line block ×5, first 2 shown]
	s_branch .LBB113_16
.LBB113_12:                             ;   in Loop: Header=BB113_16 Depth=1
	s_or_b64 exec, exec, s[46:47]
	s_waitcnt vmcnt(3)
	v_mul_f32_e32 v3, v33, v53
	v_mul_f32_e32 v53, v32, v53
	v_fma_f32 v3, v32, v52, -v3
	v_fmac_f32_e32 v53, v33, v52
	v_add_f32_e32 v3, v4, v3
	v_add_f32_e32 v4, v5, v53
	s_waitcnt vmcnt(2)
	v_mul_f32_e32 v5, v31, v51
	v_fma_f32 v5, v30, v50, -v5
	v_mul_f32_e32 v51, v30, v51
	v_fmac_f32_e32 v51, v31, v50
	v_add_f32_e32 v3, v3, v5
	s_waitcnt vmcnt(1)
	v_mul_f32_e32 v5, v25, v49
	v_mul_f32_e32 v49, v24, v49
	v_add_f32_e32 v4, v4, v51
	v_fma_f32 v5, v24, v48, -v5
	v_fmac_f32_e32 v49, v25, v48
	v_add_f32_e32 v3, v3, v5
	v_add_f32_e32 v5, v4, v49
	s_waitcnt vmcnt(0)
	v_mul_f32_e32 v4, v23, v47
	v_mul_f32_e32 v47, v22, v47
	v_fma_f32 v4, v22, v46, -v4
	v_fmac_f32_e32 v47, v23, v46
	v_add_f32_e32 v4, v3, v4
	v_add_f32_e32 v5, v5, v47
.LBB113_13:                             ;   in Loop: Header=BB113_16 Depth=1
	s_or_b64 exec, exec, s[38:39]
	s_waitcnt vmcnt(3)
	v_mul_f32_e32 v3, v33, v45
	v_mul_f32_e32 v45, v32, v45
	v_fma_f32 v3, v32, v44, -v3
	v_fmac_f32_e32 v45, v33, v44
	v_add_f32_e32 v3, v6, v3
	v_add_f32_e32 v6, v7, v45
	s_waitcnt vmcnt(2)
	v_mul_f32_e32 v7, v31, v43
	v_fma_f32 v7, v30, v42, -v7
	v_mul_f32_e32 v43, v30, v43
	v_fmac_f32_e32 v43, v31, v42
	v_add_f32_e32 v3, v3, v7
	s_waitcnt vmcnt(1)
	v_mul_f32_e32 v7, v25, v41
	v_mul_f32_e32 v41, v24, v41
	v_add_f32_e32 v6, v6, v43
	v_fma_f32 v7, v24, v40, -v7
	v_fmac_f32_e32 v41, v25, v40
	v_add_f32_e32 v3, v3, v7
	v_add_f32_e32 v7, v6, v41
	s_waitcnt vmcnt(0)
	v_mul_f32_e32 v6, v23, v39
	v_mul_f32_e32 v39, v22, v39
	v_fma_f32 v6, v22, v38, -v6
	v_fmac_f32_e32 v39, v23, v38
	v_add_f32_e32 v6, v3, v6
	v_add_f32_e32 v7, v7, v39
.LBB113_14:                             ;   in Loop: Header=BB113_16 Depth=1
	s_or_b64 exec, exec, s[36:37]
	s_waitcnt vmcnt(3)
	v_mul_f32_e32 v3, v33, v37
	v_mul_f32_e32 v39, v32, v37
	v_fma_f32 v38, v32, v36, -v3
	v_fmac_f32_e32 v39, v33, v36
	s_waitcnt vmcnt(2)
	v_mul_f32_e32 v3, v31, v35
	v_mul_f32_e32 v33, v30, v35
	v_fma_f32 v32, v30, v34, -v3
	v_fmac_f32_e32 v33, v31, v34
	v_pk_add_f32 v[8:9], v[8:9], v[38:39]
	v_mov_b32_e32 v30, v25
	v_mov_b32_e32 v31, v24
	v_pk_add_f32 v[8:9], v[8:9], v[32:33]
	s_waitcnt vmcnt(1)
	v_mov_b32_e32 v24, v29
	v_pk_mul_f32 v[32:33], v[30:31], v[28:29] op_sel_hi:[1,0]
	s_nop 0
	v_pk_fma_f32 v[24:25], v[30:31], v[24:25], v[32:33] op_sel:[0,0,1] op_sel_hi:[1,1,0] neg_lo:[1,0,0] neg_hi:[1,0,0]
	v_pk_fma_f32 v[28:29], v[30:31], v[28:29], v[32:33] op_sel:[0,1,1] op_sel_hi:[1,1,0]
	s_nop 0
	v_mov_b32_e32 v25, v29
	v_pk_add_f32 v[8:9], v[8:9], v[24:25]
	s_waitcnt vmcnt(0)
	v_pk_mul_f32 v[24:25], v[22:23], v[26:27] op_sel:[0,1]
	s_nop 0
	v_pk_fma_f32 v[28:29], v[22:23], v[26:27], v[24:25] op_sel:[0,0,1] op_sel_hi:[1,1,0] neg_lo:[0,0,1] neg_hi:[0,0,1]
	v_pk_fma_f32 v[22:23], v[22:23], v[26:27], v[24:25] op_sel:[0,0,1] op_sel_hi:[1,0,0]
	s_nop 0
	v_mov_b32_e32 v29, v23
	v_pk_add_f32 v[8:9], v[8:9], v[28:29]
.LBB113_15:                             ;   in Loop: Header=BB113_16 Depth=1
	s_or_b64 exec, exec, s[6:7]
	v_add_u32_e32 v65, 64, v65
	v_cmp_le_i32_e64 s[6:7], s52, v65
	v_lshl_add_u64 v[10:11], v[10:11], 0, s[26:27]
	v_lshl_add_u64 v[14:15], v[14:15], 0, s[28:29]
	;; [unrolled: 1-line block ×4, first 2 shown]
	s_or_b64 s[30:31], s[6:7], s[30:31]
	v_lshl_add_u64 v[20:21], v[20:21], 0, s[28:29]
	s_andn2_b64 exec, exec, s[30:31]
	s_cbranch_execz .LBB113_21
.LBB113_16:                             ; =>This Inner Loop Header: Depth=1
	s_and_saveexec_b64 s[6:7], vcc
	s_cbranch_execz .LBB113_15
; %bb.17:                               ;   in Loop: Header=BB113_16 Depth=1
	v_lshl_add_u64 v[22:23], v[10:11], 0, s[34:35]
	v_lshl_add_u64 v[26:27], v[22:23], 0, s[34:35]
	global_load_dwordx2 v[30:31], v[22:23], off
	global_load_dwordx2 v[24:25], v[26:27], off
	v_lshl_add_u64 v[26:27], v[26:27], 0, s[34:35]
	v_lshl_add_u64 v[60:61], v[16:17], 0, v[12:13]
	;; [unrolled: 1-line block ×5, first 2 shown]
	global_load_dwordx2 v[32:33], v[10:11], off
	global_load_dwordx2 v[22:23], v[26:27], off
	;; [unrolled: 1-line block ×5, first 2 shown]
	s_nop 0
	global_load_dwordx2 v[26:27], v[54:55], off
	s_and_saveexec_b64 s[36:37], s[0:1]
	s_cbranch_execz .LBB113_14
; %bb.18:                               ;   in Loop: Header=BB113_16 Depth=1
	global_load_dwordx2 v[44:45], v[60:61], off offset:512
	global_load_dwordx2 v[42:43], v[58:59], off offset:512
	;; [unrolled: 1-line block ×4, first 2 shown]
	s_and_saveexec_b64 s[38:39], s[2:3]
	s_cbranch_execz .LBB113_13
; %bb.19:                               ;   in Loop: Header=BB113_16 Depth=1
	global_load_dwordx2 v[52:53], v[60:61], off offset:1024
	global_load_dwordx2 v[50:51], v[58:59], off offset:1024
	;; [unrolled: 1-line block ×4, first 2 shown]
	s_and_saveexec_b64 s[46:47], s[4:5]
	s_cbranch_execz .LBB113_12
; %bb.20:                               ;   in Loop: Header=BB113_16 Depth=1
	global_load_dwordx2 v[60:61], v[60:61], off offset:1536
	s_nop 0
	global_load_dwordx2 v[58:59], v[58:59], off offset:1536
	s_nop 0
	;; [unrolled: 2-line block ×3, first 2 shown]
	global_load_dwordx2 v[54:55], v[54:55], off offset:1536
	s_waitcnt vmcnt(3)
	v_mul_f32_e32 v3, v33, v61
	v_mul_f32_e32 v61, v32, v61
	s_waitcnt vmcnt(2)
	v_mul_f32_e32 v66, v31, v59
	v_mul_f32_e32 v59, v30, v59
	v_fma_f32 v3, v32, v60, -v3
	v_fmac_f32_e32 v61, v33, v60
	s_waitcnt vmcnt(1)
	v_mul_f32_e32 v67, v25, v57
	v_mul_f32_e32 v57, v24, v57
	v_fma_f32 v60, v30, v58, -v66
	v_fmac_f32_e32 v59, v31, v58
	v_add_f32_e32 v0, v0, v3
	v_add_f32_e32 v1, v1, v61
	s_waitcnt vmcnt(0)
	v_mul_f32_e32 v68, v23, v55
	v_mul_f32_e32 v55, v22, v55
	v_fma_f32 v58, v24, v56, -v67
	v_fmac_f32_e32 v57, v25, v56
	v_add_f32_e32 v0, v0, v60
	v_add_f32_e32 v1, v1, v59
	v_fma_f32 v56, v22, v54, -v68
	v_fmac_f32_e32 v55, v23, v54
	v_add_f32_e32 v0, v0, v58
	v_add_f32_e32 v1, v1, v57
	;; [unrolled: 1-line block ×4, first 2 shown]
	s_branch .LBB113_12
.LBB113_21:
	s_or_b64 exec, exec, s[30:31]
.LBB113_22:
	s_or_b64 exec, exec, s[22:23]
	s_sub_i32 s0, s25, s52
	s_cmp_lt_i32 s0, 1
	s_cbranch_scc1 .LBB113_40
; %bb.23:
	v_cmp_gt_i32_e32 vcc, s25, v65
	v_mov_b32_e32 v10, 0
	v_or_b32_e32 v20, 1, v65
	v_mov_b32_e32 v11, 0
	v_mov_b32_e32 v12, 0
	;; [unrolled: 1-line block ×7, first 2 shown]
	s_and_saveexec_b64 s[2:3], vcc
	s_cbranch_execz .LBB113_31
; %bb.24:
	s_lshl_b64 s[0:1], s[10:11], 3
	s_add_u32 s4, s48, s0
	s_addc_u32 s5, s49, s1
	s_lshl_b64 s[0:1], s[50:51], 3
	s_add_u32 s6, s4, s0
	s_addc_u32 s7, s5, s1
	v_mad_u64_u32 v[10:11], s[0:1], v65, s8, 0
	v_mov_b32_e32 v12, v11
	v_mad_u64_u32 v[12:13], s[0:1], v65, s9, v[12:13]
	v_mov_b32_e32 v11, v12
	v_lshl_add_u64 v[10:11], v[10:11], 3, s[6:7]
	global_load_dwordx2 v[10:11], v[10:11], off
	v_cmp_gt_i32_e64 s[0:1], s25, v20
	v_mov_b32_e32 v17, 0
	v_mov_b32_e32 v16, 0
	v_mov_b32_e32 v15, 0
	v_mov_b32_e32 v14, 0
	v_mov_b32_e32 v13, 0
	v_mov_b32_e32 v12, 0
	s_and_saveexec_b64 s[4:5], s[0:1]
	s_cbranch_execz .LBB113_30
; %bb.25:
	v_mad_u64_u32 v[12:13], s[0:1], v20, s8, 0
	v_mov_b32_e32 v14, v13
	v_mad_u64_u32 v[14:15], s[0:1], v20, s9, v[14:15]
	v_mov_b32_e32 v13, v14
	v_lshl_add_u64 v[12:13], v[12:13], 3, s[6:7]
	global_load_dwordx2 v[12:13], v[12:13], off
	v_or_b32_e32 v3, 2, v65
	v_cmp_gt_i32_e64 s[0:1], s25, v3
	v_mov_b32_e32 v17, 0
	v_mov_b32_e32 v16, 0
	;; [unrolled: 1-line block ×4, first 2 shown]
	s_and_saveexec_b64 s[10:11], s[0:1]
	s_cbranch_execz .LBB113_29
; %bb.26:
	v_mad_u64_u32 v[14:15], s[0:1], v3, s8, 0
	v_mov_b32_e32 v16, v15
	v_mad_u64_u32 v[16:17], s[0:1], v3, s9, v[16:17]
	v_mov_b32_e32 v15, v16
	v_lshl_add_u64 v[14:15], v[14:15], 3, s[6:7]
	global_load_dwordx2 v[14:15], v[14:15], off
	v_or_b32_e32 v3, 3, v65
	v_cmp_gt_i32_e64 s[0:1], s25, v3
	v_mov_b32_e32 v17, 0
	v_mov_b32_e32 v16, 0
	s_and_saveexec_b64 s[22:23], s[0:1]
	s_cbranch_execz .LBB113_28
; %bb.27:
	v_mad_u64_u32 v[16:17], s[0:1], v3, s8, 0
	v_mov_b32_e32 v18, v17
	v_mad_u64_u32 v[18:19], s[0:1], v3, s9, v[18:19]
	v_mov_b32_e32 v17, v18
	v_lshl_add_u64 v[16:17], v[16:17], 3, s[6:7]
	global_load_dwordx2 v[16:17], v[16:17], off
.LBB113_28:
	s_or_b64 exec, exec, s[22:23]
.LBB113_29:
	s_or_b64 exec, exec, s[10:11]
.LBB113_30:
	s_or_b64 exec, exec, s[4:5]
.LBB113_31:
	s_or_b64 exec, exec, s[2:3]
	v_cmp_gt_i32_e64 s[0:1], s24, v2
	s_and_saveexec_b64 s[2:3], s[0:1]
	s_cbranch_execz .LBB113_39
; %bb.32:
	s_lshl_b64 s[0:1], s[18:19], 3
	s_add_u32 s4, s40, s0
	s_addc_u32 s5, s41, s1
	s_lshl_b64 s[0:1], s[42:43], 3
	s_add_u32 s0, s4, s0
	s_addc_u32 s1, s5, s1
	v_mad_u64_u32 v[18:19], s[4:5], v65, s44, 0
	v_mov_b32_e32 v22, v19
	v_ashrrev_i32_e32 v3, 31, v2
	v_mad_u64_u32 v[22:23], s[4:5], v65, s45, v[22:23]
	v_mad_u64_u32 v[24:25], s[4:5], v20, s44, 0
	v_cndmask_b32_e32 v18, 0, v18, vcc
	v_cndmask_b32_e32 v19, 0, v22, vcc
	v_lshlrev_b64 v[22:23], 3, v[2:3]
	v_mov_b32_e32 v26, v25
	v_cmp_gt_i32_e32 vcc, s25, v20
	v_or_b32_e32 v3, 2, v65
	v_mad_u64_u32 v[26:27], s[4:5], v20, s45, v[26:27]
	v_cndmask_b32_e32 v20, 0, v24, vcc
	v_mad_u64_u32 v[24:25], s[4:5], v3, s44, 0
	v_cndmask_b32_e32 v21, 0, v26, vcc
	v_mov_b32_e32 v26, v25
	v_mad_u64_u32 v[26:27], s[4:5], v3, s45, v[26:27]
	v_cmp_gt_i32_e32 vcc, s25, v3
	v_or_b32_e32 v3, 3, v65
	v_lshl_add_u64 v[18:19], v[18:19], 3, s[0:1]
	v_cndmask_b32_e32 v25, 0, v26, vcc
	v_mad_u64_u32 v[26:27], s[4:5], v3, s44, 0
	v_mov_b32_e32 v28, v27
	v_cndmask_b32_e32 v24, 0, v24, vcc
	v_mad_u64_u32 v[28:29], s[4:5], v3, s45, v[28:29]
	v_cmp_gt_i32_e32 vcc, s25, v3
	v_lshl_add_u64 v[18:19], v[18:19], 0, v[22:23]
	v_lshl_add_u64 v[20:21], v[20:21], 3, s[0:1]
	v_cndmask_b32_e32 v26, 0, v26, vcc
	v_cndmask_b32_e32 v27, 0, v28, vcc
	v_lshl_add_u64 v[24:25], v[24:25], 3, s[0:1]
	v_lshl_add_u64 v[26:27], v[26:27], 3, s[0:1]
	;; [unrolled: 1-line block ×5, first 2 shown]
	global_load_dwordx2 v[22:23], v[18:19], off
	global_load_dwordx2 v[28:29], v[20:21], off
	global_load_dwordx2 v[30:31], v[24:25], off
	global_load_dwordx2 v[32:33], v[26:27], off
	v_add_u32_e32 v3, 64, v2
	v_cmp_gt_i32_e32 vcc, s24, v3
	s_waitcnt vmcnt(3)
	v_pk_mul_f32 v[34:35], v[10:11], v[22:23] op_sel:[0,1]
	s_waitcnt vmcnt(2)
	v_pk_mul_f32 v[36:37], v[12:13], v[28:29] op_sel:[0,1]
	v_pk_fma_f32 v[42:43], v[10:11], v[22:23], v[34:35] op_sel:[0,0,1] op_sel_hi:[1,1,0] neg_lo:[0,0,1] neg_hi:[0,0,1]
	v_pk_fma_f32 v[34:35], v[10:11], v[22:23], v[34:35] op_sel:[0,0,1] op_sel_hi:[1,0,0]
	s_waitcnt vmcnt(1)
	v_pk_mul_f32 v[38:39], v[14:15], v[30:31] op_sel:[0,1]
	v_pk_fma_f32 v[44:45], v[12:13], v[28:29], v[36:37] op_sel:[0,0,1] op_sel_hi:[1,1,0] neg_lo:[0,0,1] neg_hi:[0,0,1]
	v_pk_fma_f32 v[28:29], v[12:13], v[28:29], v[36:37] op_sel:[0,0,1] op_sel_hi:[1,0,0]
	v_mov_b32_e32 v43, v35
	s_waitcnt vmcnt(0)
	v_pk_mul_f32 v[40:41], v[16:17], v[32:33] op_sel:[0,1]
	v_pk_fma_f32 v[36:37], v[14:15], v[30:31], v[38:39] op_sel:[0,0,1] op_sel_hi:[1,1,0] neg_lo:[0,0,1] neg_hi:[0,0,1]
	v_pk_fma_f32 v[30:31], v[14:15], v[30:31], v[38:39] op_sel:[0,0,1] op_sel_hi:[1,0,0]
	v_mov_b32_e32 v45, v29
	v_pk_add_f32 v[8:9], v[8:9], v[42:43]
	v_pk_fma_f32 v[22:23], v[16:17], v[32:33], v[40:41] op_sel:[0,0,1] op_sel_hi:[1,1,0] neg_lo:[0,0,1] neg_hi:[0,0,1]
	v_pk_fma_f32 v[32:33], v[16:17], v[32:33], v[40:41] op_sel:[0,0,1] op_sel_hi:[1,0,0]
	v_mov_b32_e32 v37, v31
	v_pk_add_f32 v[8:9], v[8:9], v[44:45]
	v_mov_b32_e32 v23, v33
	v_pk_add_f32 v[8:9], v[8:9], v[36:37]
	s_and_saveexec_b64 s[0:1], vcc
	s_cbranch_execz .LBB113_38
; %bb.33:
	global_load_dwordx2 v[28:29], v[18:19], off offset:512
	global_load_dwordx2 v[30:31], v[20:21], off offset:512
	;; [unrolled: 1-line block ×4, first 2 shown]
	v_add_u32_e32 v36, 0x80, v2
	v_cmp_gt_i32_e32 vcc, s24, v36
	s_waitcnt vmcnt(3)
	v_mul_f32_e32 v37, v11, v29
	v_mul_f32_e32 v29, v10, v29
	s_waitcnt vmcnt(2)
	v_mul_f32_e32 v38, v13, v31
	v_mul_f32_e32 v31, v12, v31
	;; [unrolled: 3-line block ×3, first 2 shown]
	v_fma_f32 v35, v10, v28, -v37
	v_fmac_f32_e32 v29, v11, v28
	v_mul_f32_e32 v39, v15, v33
	v_mul_f32_e32 v33, v14, v33
	v_fma_f32 v37, v12, v30, -v38
	v_fmac_f32_e32 v31, v13, v30
	v_add_f32_e32 v6, v6, v35
	v_add_f32_e32 v7, v7, v29
	v_fma_f32 v30, v14, v32, -v39
	v_fmac_f32_e32 v33, v15, v32
	v_add_f32_e32 v6, v6, v37
	v_add_f32_e32 v7, v7, v31
	;; [unrolled: 4-line block ×3, first 2 shown]
	s_and_saveexec_b64 s[4:5], vcc
	s_cbranch_execz .LBB113_37
; %bb.34:
	global_load_dwordx2 v[30:31], v[18:19], off offset:1024
	global_load_dwordx2 v[32:33], v[20:21], off offset:1024
	;; [unrolled: 1-line block ×4, first 2 shown]
	v_add_u32_e32 v38, 0xc0, v2
	v_cmp_gt_i32_e32 vcc, s24, v38
	s_waitcnt vmcnt(3)
	v_mul_f32_e32 v29, v11, v31
	v_mul_f32_e32 v31, v10, v31
	s_waitcnt vmcnt(2)
	v_mul_f32_e32 v39, v13, v33
	v_mul_f32_e32 v33, v12, v33
	;; [unrolled: 3-line block ×3, first 2 shown]
	v_fma_f32 v37, v10, v30, -v29
	v_fmac_f32_e32 v31, v11, v30
	v_mul_f32_e32 v40, v15, v35
	v_mul_f32_e32 v35, v14, v35
	v_fma_f32 v30, v12, v32, -v39
	v_fmac_f32_e32 v33, v13, v32
	v_add_f32_e32 v4, v4, v37
	v_add_f32_e32 v5, v5, v31
	v_fma_f32 v32, v14, v34, -v40
	v_fmac_f32_e32 v35, v15, v34
	v_add_f32_e32 v4, v4, v30
	v_add_f32_e32 v5, v5, v33
	;; [unrolled: 4-line block ×3, first 2 shown]
	s_and_saveexec_b64 s[6:7], vcc
	s_cbranch_execz .LBB113_36
; %bb.35:
	global_load_dwordx2 v[30:31], v[18:19], off offset:1536
	global_load_dwordx2 v[32:33], v[20:21], off offset:1536
	;; [unrolled: 1-line block ×4, first 2 shown]
	s_waitcnt vmcnt(3)
	v_mul_f32_e32 v18, v11, v31
	v_mul_f32_e32 v19, v10, v31
	s_waitcnt vmcnt(2)
	v_mul_f32_e32 v20, v13, v33
	v_mul_f32_e32 v21, v12, v33
	v_fma_f32 v10, v10, v30, -v18
	v_fmac_f32_e32 v19, v11, v30
	s_waitcnt vmcnt(1)
	v_mul_f32_e32 v24, v15, v35
	v_mul_f32_e32 v25, v14, v35
	v_fma_f32 v11, v12, v32, -v20
	v_fmac_f32_e32 v21, v13, v32
	v_add_f32_e32 v0, v0, v10
	v_add_f32_e32 v1, v1, v19
	s_waitcnt vmcnt(0)
	v_mul_f32_e32 v26, v17, v37
	v_mul_f32_e32 v27, v16, v37
	v_fma_f32 v12, v14, v34, -v24
	v_fmac_f32_e32 v25, v15, v34
	v_add_f32_e32 v0, v0, v11
	v_add_f32_e32 v1, v1, v21
	v_fma_f32 v13, v16, v36, -v26
	v_fmac_f32_e32 v27, v17, v36
	v_add_f32_e32 v0, v0, v12
	v_add_f32_e32 v1, v1, v25
	;; [unrolled: 1-line block ×4, first 2 shown]
.LBB113_36:
	s_or_b64 exec, exec, s[6:7]
	v_add_f32_e32 v4, v4, v29
	v_add_f32_e32 v5, v5, v2
.LBB113_37:
	s_or_b64 exec, exec, s[4:5]
	v_add_f32_e32 v6, v6, v28
	v_add_f32_e32 v7, v7, v3
.LBB113_38:
	s_or_b64 exec, exec, s[0:1]
	v_pk_add_f32 v[8:9], v[8:9], v[22:23]
.LBB113_39:
	s_or_b64 exec, exec, s[2:3]
.LBB113_40:
	v_lshlrev_b32_e32 v2, 8, v64
	s_movk_i32 s0, 0x100
	v_add_lshl_u32 v2, v2, v63, 3
	v_cmp_gt_u32_e32 vcc, s0, v62
	ds_write2st64_b64 v2, v[8:9], v[6:7] offset1:1
	ds_write2st64_b64 v2, v[4:5], v[0:1] offset0:2 offset1:3
	s_waitcnt lgkmcnt(0)
	s_barrier
	s_and_saveexec_b64 s[0:1], vcc
	s_cbranch_execz .LBB113_45
; %bb.41:
	v_lshlrev_b32_e32 v20, 3, v62
	ds_read2st64_b64 v[0:3], v20 offset1:4
	ds_read2st64_b64 v[4:7], v20 offset0:8 offset1:12
	s_waitcnt vmcnt(0)
	ds_read2st64_b64 v[8:11], v20 offset0:16 offset1:20
	ds_read2st64_b64 v[12:15], v20 offset0:24 offset1:28
	;; [unrolled: 1-line block ×3, first 2 shown]
	s_waitcnt lgkmcnt(4)
	v_pk_add_f32 v[0:1], v[0:1], v[2:3]
	s_waitcnt lgkmcnt(3)
	v_pk_add_f32 v[0:1], v[0:1], v[4:5]
	s_nop 0
	v_pk_add_f32 v[0:1], v[0:1], v[6:7]
	s_waitcnt lgkmcnt(2)
	v_pk_add_f32 v[0:1], v[0:1], v[8:9]
	s_nop 0
	;; [unrolled: 4-line block ×3, first 2 shown]
	v_pk_add_f32 v[4:5], v[0:1], v[14:15]
	ds_read2st64_b64 v[0:3], v20 offset0:40 offset1:44
	s_waitcnt lgkmcnt(1)
	v_pk_add_f32 v[8:9], v[4:5], v[16:17]
	ds_read2st64_b64 v[4:7], v20 offset0:48 offset1:52
	v_pk_add_f32 v[12:13], v[8:9], v[18:19]
	ds_read2st64_b64 v[8:11], v20 offset0:56 offset1:60
	s_waitcnt lgkmcnt(2)
	v_pk_add_f32 v[0:1], v[12:13], v[0:1]
	s_nop 0
	v_pk_add_f32 v[0:1], v[0:1], v[2:3]
	s_waitcnt lgkmcnt(1)
	v_pk_add_f32 v[0:1], v[0:1], v[4:5]
	v_or_b32_e32 v4, s33, v62
	v_pk_add_f32 v[0:1], v[0:1], v[6:7]
	v_cmp_gt_i32_e32 vcc, s24, v4
	s_waitcnt lgkmcnt(0)
	v_pk_add_f32 v[0:1], v[0:1], v[8:9]
	s_nop 0
	v_pk_add_f32 v[2:3], v[0:1], v[10:11]
	ds_write_b64 v20, v[2:3]
	s_and_b64 exec, exec, vcc
	s_cbranch_execz .LBB113_45
; %bb.42:
	v_pk_mul_f32 v[6:7], v[2:3], s[14:15] op_sel:[1,0]
	v_cmp_neq_f32_e64 s[0:1], s12, 0
	v_pk_fma_f32 v[0:1], v[2:3], s[14:15], v[6:7] op_sel:[0,0,1] op_sel_hi:[0,1,0] neg_lo:[0,0,1] neg_hi:[0,0,1]
	v_pk_fma_f32 v[2:3], v[2:3], s[14:15], v[6:7] op_sel:[0,0,1] op_sel_hi:[0,1,0]
	v_ashrrev_i32_e32 v1, 31, v4
	v_cmp_neq_f32_e64 s[2:3], s13, 0
	v_mul_lo_u32 v2, v4, s21
	v_mul_lo_u32 v1, v1, s20
	v_mad_u64_u32 v[4:5], s[4:5], v4, s20, 0
	v_add3_u32 v5, v5, v2, v1
	s_or_b64 s[0:1], s[0:1], s[2:3]
	s_andn2_b64 vcc, exec, s[0:1]
	v_lshl_add_u64 v[4:5], v[4:5], 3, s[16:17]
	s_cbranch_vccnz .LBB113_44
; %bb.43:
	global_load_dwordx2 v[6:7], v[4:5], off
	v_mov_b32_e32 v1, v3
	s_waitcnt vmcnt(0)
	v_pk_mul_f32 v[2:3], s[12:13], v[6:7] op_sel:[0,1]
	s_nop 0
	v_pk_fma_f32 v[8:9], s[12:13], v[6:7], v[2:3] op_sel:[0,0,1] op_sel_hi:[1,1,0] neg_lo:[0,0,1] neg_hi:[0,0,1]
	v_pk_fma_f32 v[2:3], s[12:13], v[6:7], v[2:3] op_sel:[0,0,1] op_sel_hi:[1,0,0]
	s_nop 0
	v_mov_b32_e32 v9, v3
	v_pk_add_f32 v[0:1], v[0:1], v[8:9]
	s_nop 0
	v_mov_b32_e32 v3, v1
.LBB113_44:
	v_mov_b32_e32 v1, v3
	global_store_dwordx2 v[4:5], v[0:1], off
.LBB113_45:
	s_endpgm
	.section	.rodata,"a",@progbits
	.p2align	6, 0x0
	.amdhsa_kernel _ZL20rocblas_gemvn_kernelILi64ELi16El19rocblas_complex_numIfEPKS1_S1_EviiT3_lPKT2_lT1_lS7_lS8_lS4_lPT4_lS8_li
		.amdhsa_group_segment_fixed_size 32768
		.amdhsa_private_segment_fixed_size 0
		.amdhsa_kernarg_size 400
		.amdhsa_user_sgpr_count 2
		.amdhsa_user_sgpr_dispatch_ptr 0
		.amdhsa_user_sgpr_queue_ptr 0
		.amdhsa_user_sgpr_kernarg_segment_ptr 1
		.amdhsa_user_sgpr_dispatch_id 0
		.amdhsa_user_sgpr_kernarg_preload_length 0
		.amdhsa_user_sgpr_kernarg_preload_offset 0
		.amdhsa_user_sgpr_private_segment_size 0
		.amdhsa_uses_dynamic_stack 0
		.amdhsa_enable_private_segment 0
		.amdhsa_system_sgpr_workgroup_id_x 1
		.amdhsa_system_sgpr_workgroup_id_y 0
		.amdhsa_system_sgpr_workgroup_id_z 1
		.amdhsa_system_sgpr_workgroup_info 0
		.amdhsa_system_vgpr_workitem_id 1
		.amdhsa_next_free_vgpr 69
		.amdhsa_next_free_sgpr 53
		.amdhsa_accum_offset 72
		.amdhsa_reserve_vcc 1
		.amdhsa_float_round_mode_32 0
		.amdhsa_float_round_mode_16_64 0
		.amdhsa_float_denorm_mode_32 3
		.amdhsa_float_denorm_mode_16_64 3
		.amdhsa_dx10_clamp 1
		.amdhsa_ieee_mode 1
		.amdhsa_fp16_overflow 0
		.amdhsa_tg_split 0
		.amdhsa_exception_fp_ieee_invalid_op 0
		.amdhsa_exception_fp_denorm_src 0
		.amdhsa_exception_fp_ieee_div_zero 0
		.amdhsa_exception_fp_ieee_overflow 0
		.amdhsa_exception_fp_ieee_underflow 0
		.amdhsa_exception_fp_ieee_inexact 0
		.amdhsa_exception_int_div_zero 0
	.end_amdhsa_kernel
	.section	.text._ZL20rocblas_gemvn_kernelILi64ELi16El19rocblas_complex_numIfEPKS1_S1_EviiT3_lPKT2_lT1_lS7_lS8_lS4_lPT4_lS8_li,"axG",@progbits,_ZL20rocblas_gemvn_kernelILi64ELi16El19rocblas_complex_numIfEPKS1_S1_EviiT3_lPKT2_lT1_lS7_lS8_lS4_lPT4_lS8_li,comdat
.Lfunc_end113:
	.size	_ZL20rocblas_gemvn_kernelILi64ELi16El19rocblas_complex_numIfEPKS1_S1_EviiT3_lPKT2_lT1_lS7_lS8_lS4_lPT4_lS8_li, .Lfunc_end113-_ZL20rocblas_gemvn_kernelILi64ELi16El19rocblas_complex_numIfEPKS1_S1_EviiT3_lPKT2_lT1_lS7_lS8_lS4_lPT4_lS8_li
                                        ; -- End function
	.section	.AMDGPU.csdata,"",@progbits
; Kernel info:
; codeLenInByte = 3696
; NumSgprs: 59
; NumVgprs: 69
; NumAgprs: 0
; TotalNumVgprs: 69
; ScratchSize: 0
; MemoryBound: 0
; FloatMode: 240
; IeeeMode: 1
; LDSByteSize: 32768 bytes/workgroup (compile time only)
; SGPRBlocks: 7
; VGPRBlocks: 8
; NumSGPRsForWavesPerEU: 59
; NumVGPRsForWavesPerEU: 69
; AccumOffset: 72
; Occupancy: 7
; WaveLimiterHint : 0
; COMPUTE_PGM_RSRC2:SCRATCH_EN: 0
; COMPUTE_PGM_RSRC2:USER_SGPR: 2
; COMPUTE_PGM_RSRC2:TRAP_HANDLER: 0
; COMPUTE_PGM_RSRC2:TGID_X_EN: 1
; COMPUTE_PGM_RSRC2:TGID_Y_EN: 0
; COMPUTE_PGM_RSRC2:TGID_Z_EN: 1
; COMPUTE_PGM_RSRC2:TIDIG_COMP_CNT: 1
; COMPUTE_PGM_RSRC3_GFX90A:ACCUM_OFFSET: 17
; COMPUTE_PGM_RSRC3_GFX90A:TG_SPLIT: 0
	.section	.text._ZL20rocblas_gemvn_kernelILi64ELi16Ei19rocblas_complex_numIfES1_S1_EviiT3_lPKT2_lT1_lS5_lS6_lS2_lPT4_lS6_li,"axG",@progbits,_ZL20rocblas_gemvn_kernelILi64ELi16Ei19rocblas_complex_numIfES1_S1_EviiT3_lPKT2_lT1_lS5_lS6_lS2_lPT4_lS6_li,comdat
	.globl	_ZL20rocblas_gemvn_kernelILi64ELi16Ei19rocblas_complex_numIfES1_S1_EviiT3_lPKT2_lT1_lS5_lS6_lS2_lPT4_lS6_li ; -- Begin function _ZL20rocblas_gemvn_kernelILi64ELi16Ei19rocblas_complex_numIfES1_S1_EviiT3_lPKT2_lT1_lS5_lS6_lS2_lPT4_lS6_li
	.p2align	8
	.type	_ZL20rocblas_gemvn_kernelILi64ELi16Ei19rocblas_complex_numIfES1_S1_EviiT3_lPKT2_lT1_lS5_lS6_lS2_lPT4_lS6_li,@function
_ZL20rocblas_gemvn_kernelILi64ELi16Ei19rocblas_complex_numIfES1_S1_EviiT3_lPKT2_lT1_lS5_lS6_lS2_lPT4_lS6_li: ; @_ZL20rocblas_gemvn_kernelILi64ELi16Ei19rocblas_complex_numIfES1_S1_EviiT3_lPKT2_lT1_lS5_lS6_lS2_lPT4_lS6_li
; %bb.0:
	s_load_dwordx2 s[4:5], s[0:1], 0x9c
	s_waitcnt lgkmcnt(0)
	s_lshr_b32 s6, s4, 16
	s_and_b32 s4, s4, 0xffff
	s_and_b32 s5, s5, 0xffff
	s_mul_i32 s4, s6, s4
	s_mul_i32 s4, s4, s5
	s_cmpk_lg_i32 s4, 0x400
	s_cbranch_scc1 .LBB114_45
; %bb.1:
	s_load_dwordx4 s[8:11], s[0:1], 0x0
	s_load_dwordx2 s[12:13], s[0:1], 0x58
	s_waitcnt lgkmcnt(0)
	v_cmp_eq_f32_e64 s[4:5], s10, 0
	v_cmp_eq_f32_e64 s[6:7], s11, 0
	v_cmp_eq_f32_e64 s[14:15], s12, 1.0
	v_cmp_eq_f32_e64 s[16:17], s13, 0
	s_and_b64 s[4:5], s[4:5], s[6:7]
	s_and_b64 s[6:7], s[14:15], s[16:17]
	;; [unrolled: 1-line block ×3, first 2 shown]
	s_and_b64 vcc, exec, s[4:5]
	s_cbranch_vccnz .LBB114_45
; %bb.2:
	s_load_dwordx2 s[14:15], s[0:1], 0x80
	s_load_dwordx4 s[4:7], s[0:1], 0x68
	s_load_dword s33, s[0:1], 0x78
	v_and_b32_e32 v2, 0x3ff, v0
	v_bfe_u32 v3, v0, 10, 10
	s_waitcnt lgkmcnt(0)
	s_mul_i32 s15, s3, s15
	s_mul_hi_u32 s16, s3, s14
	s_mul_i32 s14, s3, s14
	s_add_i32 s15, s16, s15
	s_lshl_b64 s[14:15], s[14:15], 3
	s_add_u32 s14, s4, s14
	s_addc_u32 s15, s5, s15
	s_lshl_b64 s[4:5], s[6:7], 3
	s_add_u32 s14, s14, s4
	s_addc_u32 s15, s15, s5
	s_or_b32 s4, s10, s11
	s_bitset0_b32 s4, 31
	v_lshl_add_u32 v54, v3, 6, v2
	s_cmp_lg_u32 s4, 0
	s_mov_b64 s[4:5], -1
	s_cbranch_scc1 .LBB114_9
; %bb.3:
	s_movk_i32 s4, 0x100
	v_cmp_gt_u32_e32 vcc, s4, v54
	s_and_saveexec_b64 s[4:5], vcc
	s_cbranch_execz .LBB114_8
; %bb.4:
	v_lshl_or_b32 v0, s2, 8, v54
	v_mov_b32_e32 v1, 0
	s_ashr_i32 s7, s8, 31
	s_mov_b32 s6, s8
	v_cmp_gt_i64_e32 vcc, s[6:7], v[0:1]
	s_and_b64 exec, exec, vcc
	s_cbranch_execz .LBB114_8
; %bb.5:
	v_mad_u64_u32 v[4:5], s[18:19], s33, v0, 0
	s_ashr_i32 s20, s33, 31
	v_mov_b32_e32 v6, v5
	v_cmp_neq_f32_e64 s[6:7], s12, 0
	v_cmp_neq_f32_e64 s[16:17], s13, 0
	v_mad_u64_u32 v[6:7], s[18:19], s20, v0, v[6:7]
	v_mov_b32_e32 v5, v6
	s_or_b64 s[6:7], s[6:7], s[16:17]
	s_andn2_b64 vcc, exec, s[6:7]
	v_lshl_add_u64 v[4:5], v[4:5], 3, s[14:15]
	v_mov_b32_e32 v7, v1
	s_cbranch_vccnz .LBB114_7
; %bb.6:
	global_load_dwordx2 v[0:1], v[4:5], off
	s_waitcnt vmcnt(0)
	v_pk_mul_f32 v[6:7], s[12:13], v[0:1] op_sel:[0,1]
	s_nop 0
	v_pk_fma_f32 v[8:9], s[12:13], v[0:1], v[6:7] op_sel:[0,0,1] op_sel_hi:[1,1,0] neg_lo:[0,0,1] neg_hi:[0,0,1]
	v_pk_fma_f32 v[6:7], s[12:13], v[0:1], v[6:7] op_sel:[0,0,1] op_sel_hi:[1,0,0]
	v_mov_b32_e32 v1, v8
.LBB114_7:
	v_mov_b32_e32 v6, v1
	global_store_dwordx2 v[4:5], v[6:7], off
.LBB114_8:
	s_or_b64 exec, exec, s[4:5]
	s_mov_b64 s[4:5], 0
.LBB114_9:
	s_andn2_b64 vcc, exec, s[4:5]
	s_cbranch_vccnz .LBB114_45
; %bb.10:
	s_load_dwordx4 s[4:7], s[0:1], 0x30
	s_load_dwordx4 s[16:19], s[0:1], 0x18
	s_load_dword s35, s[0:1], 0x28
	s_load_dwordx2 s[20:21], s[0:1], 0x40
	s_load_dword s36, s[0:1], 0x48
	s_load_dwordx2 s[22:23], s[0:1], 0x50
	s_waitcnt lgkmcnt(0)
	s_mul_i32 s0, s3, s5
	s_mul_hi_u32 s1, s3, s4
	s_add_i32 s1, s1, s0
	s_mul_i32 s0, s3, s4
	s_lshl_b64 s[0:1], s[0:1], 3
	s_add_u32 s4, s16, s0
	s_addc_u32 s5, s17, s1
	s_lshl_b64 s[0:1], s[18:19], 3
	s_add_u32 s16, s4, s0
	s_addc_u32 s17, s5, s1
	s_mul_i32 s0, s3, s23
	s_mul_hi_u32 s1, s3, s22
	s_add_i32 s1, s1, s0
	s_mul_i32 s0, s3, s22
	s_lshl_b64 s[0:1], s[0:1], 3
	s_add_u32 s3, s6, s0
	s_addc_u32 s4, s7, s1
	s_lshl_b64 s[0:1], s[20:21], 3
	s_add_u32 s18, s3, s0
	s_addc_u32 s19, s4, s1
	s_ashr_i32 s0, s9, 31
	s_lshr_b32 s0, s0, 26
	s_add_i32 s37, s9, s0
	s_mov_b32 s20, 0
	s_lshl_b32 s34, s2, 8
	s_andn2_b32 s37, s37, 63
	v_lshlrev_b32_e32 v56, 2, v3
	s_mov_b32 s21, s20
	v_add_u32_e32 v55, s34, v2
	v_cmp_gt_i32_e32 vcc, s37, v56
	v_mov_b64_e32 v[8:9], s[20:21]
	v_mov_b32_e32 v1, 0
	v_mov_b32_e32 v0, 0
	;; [unrolled: 1-line block ×6, first 2 shown]
	s_and_saveexec_b64 s[22:23], vcc
	s_cbranch_execz .LBB114_22
; %bb.11:
	v_add_u32_e32 v0, 64, v55
	v_cmp_gt_i32_e64 s[0:1], s8, v0
	v_add_u32_e32 v0, 0x80, v55
	v_cmp_gt_i32_e64 s[2:3], s8, v0
	;; [unrolled: 2-line block ×3, first 2 shown]
	v_mul_lo_u32 v0, s35, v56
	v_add3_u32 v57, v0, s35, v2
	v_add_u32_e32 v0, 2, v56
	v_mad_u64_u32 v[10:11], s[6:7], s35, v0, v[2:3]
	v_add_u32_e32 v1, 3, v56
	v_mul_lo_u32 v4, v3, s35
	v_mad_u64_u32 v[12:13], s[6:7], s35, v1, v[2:3]
	v_lshl_add_u32 v11, v4, 2, v2
	v_mul_lo_u32 v4, s36, v56
	v_mul_lo_u32 v58, s36, v0
	;; [unrolled: 1-line block ×4, first 2 shown]
	v_mov_b32_e32 v1, 0
	v_cmp_gt_i32_e32 vcc, s8, v55
	s_lshl_b32 s38, s35, 6
	v_add_u32_e32 v13, s36, v4
	s_lshl_b32 s39, s36, 6
	v_lshlrev_b32_e32 v60, 2, v0
	s_mov_b64 s[24:25], 0
	v_mov_b64_e32 v[8:9], s[20:21]
	v_mov_b32_e32 v0, v1
	v_mov_b32_e32 v5, v1
	;; [unrolled: 1-line block ×5, first 2 shown]
	s_branch .LBB114_16
.LBB114_12:                             ;   in Loop: Header=BB114_16 Depth=1
	s_or_b64 exec, exec, s[30:31]
	s_waitcnt vmcnt(3)
	v_mul_f32_e32 v46, v21, v45
	v_mul_f32_e32 v45, v20, v45
	v_fma_f32 v46, v20, v44, -v46
	v_fmac_f32_e32 v45, v21, v44
	s_waitcnt vmcnt(2)
	v_mul_f32_e32 v44, v19, v43
	v_mul_f32_e32 v43, v18, v43
	v_add_f32_e32 v4, v4, v46
	v_add_f32_e32 v5, v5, v45
	v_fma_f32 v44, v18, v42, -v44
	v_fmac_f32_e32 v43, v19, v42
	s_waitcnt vmcnt(1)
	v_mul_f32_e32 v42, v17, v41
	v_mul_f32_e32 v41, v16, v41
	v_add_f32_e32 v4, v4, v44
	v_add_f32_e32 v5, v5, v43
	;; [unrolled: 7-line block ×3, first 2 shown]
	v_fma_f32 v40, v14, v38, -v40
	v_fmac_f32_e32 v39, v15, v38
	v_add_f32_e32 v4, v4, v40
	v_add_f32_e32 v5, v5, v39
.LBB114_13:                             ;   in Loop: Header=BB114_16 Depth=1
	s_or_b64 exec, exec, s[28:29]
	s_waitcnt vmcnt(3)
	v_mul_f32_e32 v38, v21, v37
	v_mul_f32_e32 v37, v20, v37
	v_fma_f32 v38, v20, v36, -v38
	v_fmac_f32_e32 v37, v21, v36
	s_waitcnt vmcnt(2)
	v_mul_f32_e32 v36, v19, v35
	v_mul_f32_e32 v35, v18, v35
	v_add_f32_e32 v6, v6, v38
	v_add_f32_e32 v7, v7, v37
	v_fma_f32 v36, v18, v34, -v36
	v_fmac_f32_e32 v35, v19, v34
	s_waitcnt vmcnt(1)
	v_mul_f32_e32 v34, v17, v33
	v_mul_f32_e32 v33, v16, v33
	v_add_f32_e32 v6, v6, v36
	v_add_f32_e32 v7, v7, v35
	;; [unrolled: 7-line block ×3, first 2 shown]
	v_fma_f32 v32, v14, v30, -v32
	v_fmac_f32_e32 v31, v15, v30
	v_add_f32_e32 v6, v6, v32
	v_add_f32_e32 v7, v7, v31
.LBB114_14:                             ;   in Loop: Header=BB114_16 Depth=1
	s_or_b64 exec, exec, s[26:27]
	s_waitcnt vmcnt(3)
	v_mul_f32_e32 v30, v21, v29
	v_mul_f32_e32 v31, v20, v29
	v_fma_f32 v30, v20, v28, -v30
	v_fmac_f32_e32 v31, v21, v28
	s_waitcnt vmcnt(2)
	v_mul_f32_e32 v20, v19, v27
	v_mul_f32_e32 v21, v18, v27
	v_fma_f32 v20, v18, v26, -v20
	v_fmac_f32_e32 v21, v19, v26
	v_pk_add_f32 v[8:9], v[8:9], v[30:31]
	v_mov_b32_e32 v18, v17
	v_mov_b32_e32 v19, v16
	v_pk_add_f32 v[8:9], v[8:9], v[20:21]
	s_waitcnt vmcnt(1)
	v_mov_b32_e32 v16, v25
	v_pk_mul_f32 v[20:21], v[18:19], v[24:25] op_sel_hi:[1,0]
	s_nop 0
	v_pk_fma_f32 v[16:17], v[18:19], v[16:17], v[20:21] op_sel:[0,0,1] op_sel_hi:[1,1,0] neg_lo:[1,0,0] neg_hi:[1,0,0]
	v_pk_fma_f32 v[18:19], v[18:19], v[24:25], v[20:21] op_sel:[0,1,1] op_sel_hi:[1,1,0]
	s_nop 0
	v_mov_b32_e32 v17, v19
	v_pk_add_f32 v[8:9], v[8:9], v[16:17]
	s_waitcnt vmcnt(0)
	v_pk_mul_f32 v[16:17], v[14:15], v[22:23] op_sel:[0,1]
	s_nop 0
	v_pk_fma_f32 v[18:19], v[14:15], v[22:23], v[16:17] op_sel:[0,0,1] op_sel_hi:[1,1,0] neg_lo:[0,0,1] neg_hi:[0,0,1]
	v_pk_fma_f32 v[14:15], v[14:15], v[22:23], v[16:17] op_sel:[0,0,1] op_sel_hi:[1,0,0]
	s_nop 0
	v_mov_b32_e32 v19, v15
	v_pk_add_f32 v[8:9], v[8:9], v[18:19]
.LBB114_15:                             ;   in Loop: Header=BB114_16 Depth=1
	s_or_b64 exec, exec, s[6:7]
	v_add_u32_e32 v56, 64, v56
	s_add_i32 s20, s20, s39
	v_cmp_le_i32_e64 s[6:7], s37, v56
	v_add_u32_e32 v57, s38, v57
	v_add_u32_e32 v10, s38, v10
	;; [unrolled: 1-line block ×3, first 2 shown]
	s_or_b64 s[24:25], s[6:7], s[24:25]
	v_add_u32_e32 v11, s38, v11
	s_andn2_b64 exec, exec, s[24:25]
	s_cbranch_execz .LBB114_21
.LBB114_16:                             ; =>This Inner Loop Header: Depth=1
	s_and_saveexec_b64 s[6:7], vcc
	s_cbranch_execz .LBB114_15
; %bb.17:                               ;   in Loop: Header=BB114_16 Depth=1
	v_add_u32_e32 v14, s20, v60
	v_ashrrev_i32_e32 v15, 31, v14
	v_lshl_add_u64 v[22:23], v[14:15], 3, s[18:19]
	v_add_u32_e32 v14, s20, v13
	v_ashrrev_i32_e32 v15, 31, v14
	v_lshl_add_u64 v[24:25], v[14:15], 3, s[18:19]
	;; [unrolled: 3-line block ×4, first 2 shown]
	global_load_dwordx2 v[20:21], v[22:23], off
	global_load_dwordx2 v[18:19], v[24:25], off
	;; [unrolled: 1-line block ×4, first 2 shown]
	v_add_u32_e32 v22, s34, v11
	v_ashrrev_i32_e32 v23, 31, v22
	v_lshl_add_u64 v[52:53], v[22:23], 3, s[16:17]
	v_add_u32_e32 v22, s34, v57
	v_ashrrev_i32_e32 v23, 31, v22
	v_lshl_add_u64 v[50:51], v[22:23], 3, s[16:17]
	;; [unrolled: 3-line block ×4, first 2 shown]
	global_load_dwordx2 v[28:29], v[52:53], off
	global_load_dwordx2 v[26:27], v[50:51], off
	;; [unrolled: 1-line block ×4, first 2 shown]
	s_and_saveexec_b64 s[26:27], s[0:1]
	s_cbranch_execz .LBB114_14
; %bb.18:                               ;   in Loop: Header=BB114_16 Depth=1
	global_load_dwordx2 v[36:37], v[52:53], off offset:512
	global_load_dwordx2 v[34:35], v[50:51], off offset:512
	;; [unrolled: 1-line block ×4, first 2 shown]
	s_and_saveexec_b64 s[28:29], s[2:3]
	s_cbranch_execz .LBB114_13
; %bb.19:                               ;   in Loop: Header=BB114_16 Depth=1
	global_load_dwordx2 v[44:45], v[52:53], off offset:1024
	global_load_dwordx2 v[42:43], v[50:51], off offset:1024
	;; [unrolled: 1-line block ×4, first 2 shown]
	s_and_saveexec_b64 s[30:31], s[4:5]
	s_cbranch_execz .LBB114_12
; %bb.20:                               ;   in Loop: Header=BB114_16 Depth=1
	global_load_dwordx2 v[52:53], v[52:53], off offset:1536
	s_nop 0
	global_load_dwordx2 v[50:51], v[50:51], off offset:1536
	s_nop 0
	global_load_dwordx2 v[48:49], v[48:49], off offset:1536
	s_nop 0
	global_load_dwordx2 v[46:47], v[46:47], off offset:1536
	s_waitcnt vmcnt(3)
	v_mul_f32_e32 v61, v21, v53
	v_mul_f32_e32 v53, v20, v53
	s_waitcnt vmcnt(2)
	v_mul_f32_e32 v62, v19, v51
	v_mul_f32_e32 v51, v18, v51
	v_fma_f32 v61, v20, v52, -v61
	v_fmac_f32_e32 v53, v21, v52
	s_waitcnt vmcnt(1)
	v_mul_f32_e32 v63, v17, v49
	v_mul_f32_e32 v49, v16, v49
	v_fma_f32 v52, v18, v50, -v62
	v_fmac_f32_e32 v51, v19, v50
	v_add_f32_e32 v0, v0, v61
	v_add_f32_e32 v1, v1, v53
	s_waitcnt vmcnt(0)
	v_mul_f32_e32 v64, v15, v47
	v_mul_f32_e32 v47, v14, v47
	v_fma_f32 v50, v16, v48, -v63
	v_fmac_f32_e32 v49, v17, v48
	v_add_f32_e32 v0, v0, v52
	v_add_f32_e32 v1, v1, v51
	v_fma_f32 v48, v14, v46, -v64
	v_fmac_f32_e32 v47, v15, v46
	v_add_f32_e32 v0, v0, v50
	v_add_f32_e32 v1, v1, v49
	;; [unrolled: 1-line block ×4, first 2 shown]
	s_branch .LBB114_12
.LBB114_21:
	s_or_b64 exec, exec, s[24:25]
.LBB114_22:
	s_or_b64 exec, exec, s[22:23]
	s_sub_i32 s0, s9, s37
	s_cmp_lt_i32 s0, 1
	s_cbranch_scc1 .LBB114_40
; %bb.23:
	v_cmp_gt_i32_e32 vcc, s9, v56
	v_mov_b32_e32 v10, 0
	v_or_b32_e32 v20, 1, v56
	v_mov_b32_e32 v11, 0
	v_mov_b32_e32 v12, 0
	;; [unrolled: 1-line block ×7, first 2 shown]
	s_and_saveexec_b64 s[2:3], vcc
	s_cbranch_execz .LBB114_31
; %bb.24:
	v_mul_lo_u32 v10, v56, s36
	v_ashrrev_i32_e32 v11, 31, v10
	v_lshl_add_u64 v[10:11], v[10:11], 3, s[18:19]
	global_load_dwordx2 v[10:11], v[10:11], off
	v_cmp_gt_i32_e64 s[0:1], s9, v20
	v_mov_b32_e32 v17, 0
	v_mov_b32_e32 v16, 0
	;; [unrolled: 1-line block ×6, first 2 shown]
	s_and_saveexec_b64 s[4:5], s[0:1]
	s_cbranch_execz .LBB114_30
; %bb.25:
	v_mul_lo_u32 v12, v20, s36
	v_ashrrev_i32_e32 v13, 31, v12
	v_lshl_add_u64 v[12:13], v[12:13], 3, s[18:19]
	global_load_dwordx2 v[12:13], v[12:13], off
	v_or_b32_e32 v18, 2, v56
	v_cmp_gt_i32_e64 s[0:1], s9, v18
	v_mov_b32_e32 v17, 0
	v_mov_b32_e32 v16, 0
	v_mov_b32_e32 v15, 0
	v_mov_b32_e32 v14, 0
	s_and_saveexec_b64 s[6:7], s[0:1]
	s_cbranch_execz .LBB114_29
; %bb.26:
	v_mul_lo_u32 v14, v18, s36
	v_ashrrev_i32_e32 v15, 31, v14
	v_lshl_add_u64 v[14:15], v[14:15], 3, s[18:19]
	global_load_dwordx2 v[14:15], v[14:15], off
	v_or_b32_e32 v18, 3, v56
	v_cmp_gt_i32_e64 s[0:1], s9, v18
	v_mov_b32_e32 v17, 0
	v_mov_b32_e32 v16, 0
	s_and_saveexec_b64 s[20:21], s[0:1]
	s_cbranch_execz .LBB114_28
; %bb.27:
	v_mul_lo_u32 v16, v18, s36
	v_ashrrev_i32_e32 v17, 31, v16
	v_lshl_add_u64 v[16:17], v[16:17], 3, s[18:19]
	global_load_dwordx2 v[16:17], v[16:17], off
.LBB114_28:
	s_or_b64 exec, exec, s[20:21]
.LBB114_29:
	s_or_b64 exec, exec, s[6:7]
.LBB114_30:
	s_or_b64 exec, exec, s[4:5]
.LBB114_31:
	s_or_b64 exec, exec, s[2:3]
	v_cmp_gt_i32_e64 s[0:1], s8, v55
	s_and_saveexec_b64 s[2:3], s[0:1]
	s_cbranch_execz .LBB114_39
; %bb.32:
	v_mul_lo_u32 v18, v56, s35
	v_cndmask_b32_e32 v18, 0, v18, vcc
	v_mul_lo_u32 v21, v20, s35
	v_cmp_gt_i32_e32 vcc, s9, v20
	v_or_b32_e32 v24, 2, v56
	v_add_u32_e32 v18, v18, v55
	v_cndmask_b32_e32 v20, 0, v21, vcc
	v_mul_lo_u32 v25, v24, s35
	v_cmp_gt_i32_e32 vcc, s9, v24
	v_or_b32_e32 v26, 3, v56
	v_ashrrev_i32_e32 v19, 31, v18
	v_add_u32_e32 v20, v20, v55
	v_cndmask_b32_e32 v24, 0, v25, vcc
	v_mul_lo_u32 v27, v26, s35
	v_cmp_gt_i32_e32 vcc, s9, v26
	v_lshl_add_u64 v[18:19], v[18:19], 3, s[16:17]
	v_ashrrev_i32_e32 v21, 31, v20
	v_add_u32_e32 v24, v24, v55
	v_cndmask_b32_e32 v26, 0, v27, vcc
	v_lshl_add_u64 v[22:23], v[20:21], 3, s[16:17]
	global_load_dwordx2 v[20:21], v[18:19], off
	global_load_dwordx2 v[28:29], v[22:23], off
	v_ashrrev_i32_e32 v25, 31, v24
	v_add_u32_e32 v26, v26, v55
	v_lshl_add_u64 v[24:25], v[24:25], 3, s[16:17]
	v_ashrrev_i32_e32 v27, 31, v26
	v_lshl_add_u64 v[26:27], v[26:27], 3, s[16:17]
	global_load_dwordx2 v[30:31], v[24:25], off
	global_load_dwordx2 v[32:33], v[26:27], off
	v_add_u32_e32 v42, 64, v55
	v_cmp_gt_i32_e32 vcc, s8, v42
	s_waitcnt vmcnt(3)
	v_pk_mul_f32 v[34:35], v[10:11], v[20:21] op_sel:[0,1]
	s_waitcnt vmcnt(2)
	v_pk_mul_f32 v[36:37], v[12:13], v[28:29] op_sel:[0,1]
	v_pk_fma_f32 v[38:39], v[10:11], v[20:21], v[34:35] op_sel:[0,0,1] op_sel_hi:[1,1,0] neg_lo:[0,0,1] neg_hi:[0,0,1]
	v_pk_fma_f32 v[20:21], v[10:11], v[20:21], v[34:35] op_sel:[0,0,1] op_sel_hi:[1,0,0]
	v_pk_fma_f32 v[34:35], v[12:13], v[28:29], v[36:37] op_sel:[0,0,1] op_sel_hi:[1,1,0] neg_lo:[0,0,1] neg_hi:[0,0,1]
	v_pk_fma_f32 v[28:29], v[12:13], v[28:29], v[36:37] op_sel:[0,0,1] op_sel_hi:[1,0,0]
	s_waitcnt vmcnt(1)
	v_pk_mul_f32 v[36:37], v[14:15], v[30:31] op_sel:[0,1]
	v_mov_b32_e32 v39, v21
	s_waitcnt vmcnt(0)
	v_pk_mul_f32 v[40:41], v[16:17], v[32:33] op_sel:[0,1]
	v_mov_b32_e32 v35, v29
	v_pk_fma_f32 v[28:29], v[14:15], v[30:31], v[36:37] op_sel:[0,0,1] op_sel_hi:[1,1,0] neg_lo:[0,0,1] neg_hi:[0,0,1]
	v_pk_fma_f32 v[30:31], v[14:15], v[30:31], v[36:37] op_sel:[0,0,1] op_sel_hi:[1,0,0]
	v_pk_add_f32 v[8:9], v[8:9], v[38:39]
	v_pk_fma_f32 v[20:21], v[16:17], v[32:33], v[40:41] op_sel:[0,0,1] op_sel_hi:[1,1,0] neg_lo:[0,0,1] neg_hi:[0,0,1]
	v_pk_fma_f32 v[32:33], v[16:17], v[32:33], v[40:41] op_sel:[0,0,1] op_sel_hi:[1,0,0]
	v_mov_b32_e32 v29, v31
	v_pk_add_f32 v[8:9], v[8:9], v[34:35]
	v_mov_b32_e32 v21, v33
	v_pk_add_f32 v[8:9], v[8:9], v[28:29]
	s_and_saveexec_b64 s[0:1], vcc
	s_cbranch_execz .LBB114_38
; %bb.33:
	global_load_dwordx2 v[30:31], v[18:19], off offset:512
	global_load_dwordx2 v[32:33], v[22:23], off offset:512
	;; [unrolled: 1-line block ×4, first 2 shown]
	v_add_u32_e32 v38, 0x80, v55
	v_cmp_gt_i32_e32 vcc, s8, v38
	s_waitcnt vmcnt(3)
	v_mul_f32_e32 v29, v11, v31
	v_mul_f32_e32 v31, v10, v31
	s_waitcnt vmcnt(2)
	v_mul_f32_e32 v39, v13, v33
	v_mul_f32_e32 v33, v12, v33
	;; [unrolled: 3-line block ×3, first 2 shown]
	v_fma_f32 v37, v10, v30, -v29
	v_fmac_f32_e32 v31, v11, v30
	v_mul_f32_e32 v40, v15, v35
	v_mul_f32_e32 v35, v14, v35
	v_fma_f32 v30, v12, v32, -v39
	v_fmac_f32_e32 v33, v13, v32
	v_add_f32_e32 v6, v6, v37
	v_add_f32_e32 v7, v7, v31
	v_fma_f32 v32, v14, v34, -v40
	v_fmac_f32_e32 v35, v15, v34
	v_add_f32_e32 v6, v6, v30
	v_add_f32_e32 v7, v7, v33
	;; [unrolled: 4-line block ×3, first 2 shown]
	s_and_saveexec_b64 s[4:5], vcc
	s_cbranch_execz .LBB114_37
; %bb.34:
	global_load_dwordx2 v[32:33], v[18:19], off offset:1024
	global_load_dwordx2 v[34:35], v[22:23], off offset:1024
	;; [unrolled: 1-line block ×4, first 2 shown]
	v_add_u32_e32 v40, 0xc0, v55
	v_cmp_gt_i32_e32 vcc, s8, v40
	s_waitcnt vmcnt(3)
	v_mul_f32_e32 v31, v11, v33
	v_mul_f32_e32 v33, v10, v33
	s_waitcnt vmcnt(2)
	v_mul_f32_e32 v41, v13, v35
	v_mul_f32_e32 v35, v12, v35
	s_waitcnt vmcnt(0)
	v_mul_f32_e32 v43, v17, v39
	v_mul_f32_e32 v30, v16, v39
	v_fma_f32 v39, v10, v32, -v31
	v_fmac_f32_e32 v33, v11, v32
	v_mul_f32_e32 v42, v15, v37
	v_mul_f32_e32 v37, v14, v37
	v_fma_f32 v32, v12, v34, -v41
	v_fmac_f32_e32 v35, v13, v34
	v_add_f32_e32 v4, v4, v39
	v_add_f32_e32 v5, v5, v33
	v_fma_f32 v34, v14, v36, -v42
	v_fmac_f32_e32 v37, v15, v36
	v_add_f32_e32 v4, v4, v32
	v_add_f32_e32 v5, v5, v35
	;; [unrolled: 4-line block ×3, first 2 shown]
	s_and_saveexec_b64 s[6:7], vcc
	s_cbranch_execz .LBB114_36
; %bb.35:
	global_load_dwordx2 v[32:33], v[18:19], off offset:1536
	global_load_dwordx2 v[34:35], v[22:23], off offset:1536
	;; [unrolled: 1-line block ×4, first 2 shown]
	s_waitcnt vmcnt(3)
	v_mul_f32_e32 v18, v11, v33
	v_mul_f32_e32 v19, v10, v33
	s_waitcnt vmcnt(2)
	v_mul_f32_e32 v22, v13, v35
	v_mul_f32_e32 v23, v12, v35
	v_fma_f32 v10, v10, v32, -v18
	v_fmac_f32_e32 v19, v11, v32
	s_waitcnt vmcnt(1)
	v_mul_f32_e32 v24, v15, v37
	v_mul_f32_e32 v25, v14, v37
	v_fma_f32 v11, v12, v34, -v22
	v_fmac_f32_e32 v23, v13, v34
	v_add_f32_e32 v0, v0, v10
	v_add_f32_e32 v1, v1, v19
	s_waitcnt vmcnt(0)
	v_mul_f32_e32 v26, v17, v39
	v_mul_f32_e32 v27, v16, v39
	v_fma_f32 v12, v14, v36, -v24
	v_fmac_f32_e32 v25, v15, v36
	v_add_f32_e32 v0, v0, v11
	v_add_f32_e32 v1, v1, v23
	v_fma_f32 v13, v16, v38, -v26
	v_fmac_f32_e32 v27, v17, v38
	v_add_f32_e32 v0, v0, v12
	v_add_f32_e32 v1, v1, v25
	;; [unrolled: 1-line block ×4, first 2 shown]
.LBB114_36:
	s_or_b64 exec, exec, s[6:7]
	v_add_f32_e32 v4, v4, v31
	v_add_f32_e32 v5, v5, v30
.LBB114_37:
	s_or_b64 exec, exec, s[4:5]
	v_add_f32_e32 v6, v6, v29
	v_add_f32_e32 v7, v7, v28
.LBB114_38:
	s_or_b64 exec, exec, s[0:1]
	v_pk_add_f32 v[8:9], v[8:9], v[20:21]
.LBB114_39:
	s_or_b64 exec, exec, s[2:3]
.LBB114_40:
	v_lshlrev_b32_e32 v3, 8, v3
	s_movk_i32 s0, 0x100
	v_add_lshl_u32 v2, v3, v2, 3
	v_cmp_gt_u32_e32 vcc, s0, v54
	ds_write2st64_b64 v2, v[8:9], v[6:7] offset1:1
	ds_write2st64_b64 v2, v[4:5], v[0:1] offset0:2 offset1:3
	s_waitcnt lgkmcnt(0)
	s_barrier
	s_and_saveexec_b64 s[0:1], vcc
	s_cbranch_execz .LBB114_45
; %bb.41:
	v_lshlrev_b32_e32 v20, 3, v54
	ds_read2st64_b64 v[0:3], v20 offset1:4
	ds_read2st64_b64 v[4:7], v20 offset0:8 offset1:12
	s_waitcnt vmcnt(0)
	ds_read2st64_b64 v[8:11], v20 offset0:16 offset1:20
	ds_read2st64_b64 v[12:15], v20 offset0:24 offset1:28
	ds_read2st64_b64 v[16:19], v20 offset0:32 offset1:36
	s_waitcnt lgkmcnt(4)
	v_pk_add_f32 v[0:1], v[0:1], v[2:3]
	s_waitcnt lgkmcnt(3)
	v_pk_add_f32 v[0:1], v[0:1], v[4:5]
	s_nop 0
	v_pk_add_f32 v[0:1], v[0:1], v[6:7]
	s_waitcnt lgkmcnt(2)
	v_pk_add_f32 v[0:1], v[0:1], v[8:9]
	s_nop 0
	;; [unrolled: 4-line block ×3, first 2 shown]
	v_pk_add_f32 v[4:5], v[0:1], v[14:15]
	ds_read2st64_b64 v[0:3], v20 offset0:40 offset1:44
	s_waitcnt lgkmcnt(1)
	v_pk_add_f32 v[8:9], v[4:5], v[16:17]
	ds_read2st64_b64 v[4:7], v20 offset0:48 offset1:52
	v_pk_add_f32 v[12:13], v[8:9], v[18:19]
	ds_read2st64_b64 v[8:11], v20 offset0:56 offset1:60
	s_waitcnt lgkmcnt(2)
	v_pk_add_f32 v[0:1], v[12:13], v[0:1]
	s_nop 0
	v_pk_add_f32 v[0:1], v[0:1], v[2:3]
	s_waitcnt lgkmcnt(1)
	v_pk_add_f32 v[0:1], v[0:1], v[4:5]
	v_or_b32_e32 v4, s34, v54
	v_pk_add_f32 v[0:1], v[0:1], v[6:7]
	v_cmp_gt_i32_e32 vcc, s8, v4
	s_waitcnt lgkmcnt(0)
	v_pk_add_f32 v[0:1], v[0:1], v[8:9]
	s_nop 0
	v_pk_add_f32 v[2:3], v[0:1], v[10:11]
	ds_write_b64 v20, v[2:3]
	s_and_b64 exec, exec, vcc
	s_cbranch_execz .LBB114_45
; %bb.42:
	v_cmp_neq_f32_e64 s[0:1], s12, 0
	v_cmp_neq_f32_e64 s[2:3], s13, 0
	v_mul_lo_u32 v4, v4, s33
	v_pk_mul_f32 v[6:7], v[2:3], s[10:11] op_sel:[1,0]
	v_ashrrev_i32_e32 v5, 31, v4
	s_or_b64 s[0:1], s[0:1], s[2:3]
	v_pk_fma_f32 v[0:1], v[2:3], s[10:11], v[6:7] op_sel:[0,0,1] op_sel_hi:[0,1,0] neg_lo:[0,0,1] neg_hi:[0,0,1]
	v_pk_fma_f32 v[2:3], v[2:3], s[10:11], v[6:7] op_sel:[0,0,1] op_sel_hi:[0,1,0]
	s_andn2_b64 vcc, exec, s[0:1]
	v_lshl_add_u64 v[4:5], v[4:5], 3, s[14:15]
	s_cbranch_vccnz .LBB114_44
; %bb.43:
	global_load_dwordx2 v[6:7], v[4:5], off
	v_mov_b32_e32 v1, v3
	s_waitcnt vmcnt(0)
	v_pk_mul_f32 v[2:3], s[12:13], v[6:7] op_sel:[0,1]
	s_nop 0
	v_pk_fma_f32 v[8:9], s[12:13], v[6:7], v[2:3] op_sel:[0,0,1] op_sel_hi:[1,1,0] neg_lo:[0,0,1] neg_hi:[0,0,1]
	v_pk_fma_f32 v[2:3], s[12:13], v[6:7], v[2:3] op_sel:[0,0,1] op_sel_hi:[1,0,0]
	s_nop 0
	v_mov_b32_e32 v9, v3
	v_pk_add_f32 v[0:1], v[0:1], v[8:9]
	s_nop 0
	v_mov_b32_e32 v3, v1
.LBB114_44:
	v_mov_b32_e32 v1, v3
	global_store_dwordx2 v[4:5], v[0:1], off
.LBB114_45:
	s_endpgm
	.section	.rodata,"a",@progbits
	.p2align	6, 0x0
	.amdhsa_kernel _ZL20rocblas_gemvn_kernelILi64ELi16Ei19rocblas_complex_numIfES1_S1_EviiT3_lPKT2_lT1_lS5_lS6_lS2_lPT4_lS6_li
		.amdhsa_group_segment_fixed_size 32768
		.amdhsa_private_segment_fixed_size 0
		.amdhsa_kernarg_size 400
		.amdhsa_user_sgpr_count 2
		.amdhsa_user_sgpr_dispatch_ptr 0
		.amdhsa_user_sgpr_queue_ptr 0
		.amdhsa_user_sgpr_kernarg_segment_ptr 1
		.amdhsa_user_sgpr_dispatch_id 0
		.amdhsa_user_sgpr_kernarg_preload_length 0
		.amdhsa_user_sgpr_kernarg_preload_offset 0
		.amdhsa_user_sgpr_private_segment_size 0
		.amdhsa_uses_dynamic_stack 0
		.amdhsa_enable_private_segment 0
		.amdhsa_system_sgpr_workgroup_id_x 1
		.amdhsa_system_sgpr_workgroup_id_y 0
		.amdhsa_system_sgpr_workgroup_id_z 1
		.amdhsa_system_sgpr_workgroup_info 0
		.amdhsa_system_vgpr_workitem_id 1
		.amdhsa_next_free_vgpr 65
		.amdhsa_next_free_sgpr 40
		.amdhsa_accum_offset 68
		.amdhsa_reserve_vcc 1
		.amdhsa_float_round_mode_32 0
		.amdhsa_float_round_mode_16_64 0
		.amdhsa_float_denorm_mode_32 3
		.amdhsa_float_denorm_mode_16_64 3
		.amdhsa_dx10_clamp 1
		.amdhsa_ieee_mode 1
		.amdhsa_fp16_overflow 0
		.amdhsa_tg_split 0
		.amdhsa_exception_fp_ieee_invalid_op 0
		.amdhsa_exception_fp_denorm_src 0
		.amdhsa_exception_fp_ieee_div_zero 0
		.amdhsa_exception_fp_ieee_overflow 0
		.amdhsa_exception_fp_ieee_underflow 0
		.amdhsa_exception_fp_ieee_inexact 0
		.amdhsa_exception_int_div_zero 0
	.end_amdhsa_kernel
	.section	.text._ZL20rocblas_gemvn_kernelILi64ELi16Ei19rocblas_complex_numIfES1_S1_EviiT3_lPKT2_lT1_lS5_lS6_lS2_lPT4_lS6_li,"axG",@progbits,_ZL20rocblas_gemvn_kernelILi64ELi16Ei19rocblas_complex_numIfES1_S1_EviiT3_lPKT2_lT1_lS5_lS6_lS2_lPT4_lS6_li,comdat
.Lfunc_end114:
	.size	_ZL20rocblas_gemvn_kernelILi64ELi16Ei19rocblas_complex_numIfES1_S1_EviiT3_lPKT2_lT1_lS5_lS6_lS2_lPT4_lS6_li, .Lfunc_end114-_ZL20rocblas_gemvn_kernelILi64ELi16Ei19rocblas_complex_numIfES1_S1_EviiT3_lPKT2_lT1_lS5_lS6_lS2_lPT4_lS6_li
                                        ; -- End function
	.section	.AMDGPU.csdata,"",@progbits
; Kernel info:
; codeLenInByte = 3428
; NumSgprs: 46
; NumVgprs: 65
; NumAgprs: 0
; TotalNumVgprs: 65
; ScratchSize: 0
; MemoryBound: 0
; FloatMode: 240
; IeeeMode: 1
; LDSByteSize: 32768 bytes/workgroup (compile time only)
; SGPRBlocks: 5
; VGPRBlocks: 8
; NumSGPRsForWavesPerEU: 46
; NumVGPRsForWavesPerEU: 65
; AccumOffset: 68
; Occupancy: 7
; WaveLimiterHint : 1
; COMPUTE_PGM_RSRC2:SCRATCH_EN: 0
; COMPUTE_PGM_RSRC2:USER_SGPR: 2
; COMPUTE_PGM_RSRC2:TRAP_HANDLER: 0
; COMPUTE_PGM_RSRC2:TGID_X_EN: 1
; COMPUTE_PGM_RSRC2:TGID_Y_EN: 0
; COMPUTE_PGM_RSRC2:TGID_Z_EN: 1
; COMPUTE_PGM_RSRC2:TIDIG_COMP_CNT: 1
; COMPUTE_PGM_RSRC3_GFX90A:ACCUM_OFFSET: 16
; COMPUTE_PGM_RSRC3_GFX90A:TG_SPLIT: 0
	.section	.text._ZL20rocblas_gemvn_kernelILi64ELi16El19rocblas_complex_numIfES1_S1_EviiT3_lPKT2_lT1_lS5_lS6_lS2_lPT4_lS6_li,"axG",@progbits,_ZL20rocblas_gemvn_kernelILi64ELi16El19rocblas_complex_numIfES1_S1_EviiT3_lPKT2_lT1_lS5_lS6_lS2_lPT4_lS6_li,comdat
	.globl	_ZL20rocblas_gemvn_kernelILi64ELi16El19rocblas_complex_numIfES1_S1_EviiT3_lPKT2_lT1_lS5_lS6_lS2_lPT4_lS6_li ; -- Begin function _ZL20rocblas_gemvn_kernelILi64ELi16El19rocblas_complex_numIfES1_S1_EviiT3_lPKT2_lT1_lS5_lS6_lS2_lPT4_lS6_li
	.p2align	8
	.type	_ZL20rocblas_gemvn_kernelILi64ELi16El19rocblas_complex_numIfES1_S1_EviiT3_lPKT2_lT1_lS5_lS6_lS2_lPT4_lS6_li,@function
_ZL20rocblas_gemvn_kernelILi64ELi16El19rocblas_complex_numIfES1_S1_EviiT3_lPKT2_lT1_lS5_lS6_lS2_lPT4_lS6_li: ; @_ZL20rocblas_gemvn_kernelILi64ELi16El19rocblas_complex_numIfES1_S1_EviiT3_lPKT2_lT1_lS5_lS6_lS2_lPT4_lS6_li
; %bb.0:
	s_load_dwordx2 s[4:5], s[0:1], 0x9c
	s_waitcnt lgkmcnt(0)
	s_lshr_b32 s6, s4, 16
	s_and_b32 s4, s4, 0xffff
	s_and_b32 s5, s5, 0xffff
	s_mul_i32 s4, s6, s4
	s_mul_i32 s4, s4, s5
	s_cmpk_lg_i32 s4, 0x400
	s_cbranch_scc1 .LBB115_45
; %bb.1:
	s_load_dwordx4 s[28:31], s[0:1], 0x0
	s_load_dwordx2 s[34:35], s[0:1], 0x58
	s_waitcnt lgkmcnt(0)
	v_cmp_eq_f32_e64 s[4:5], s30, 0
	v_cmp_eq_f32_e64 s[6:7], s31, 0
	v_cmp_eq_f32_e64 s[8:9], s34, 1.0
	v_cmp_eq_f32_e64 s[10:11], s35, 0
	s_and_b64 s[4:5], s[4:5], s[6:7]
	s_and_b64 s[6:7], s[8:9], s[10:11]
	;; [unrolled: 1-line block ×3, first 2 shown]
	s_and_b64 vcc, exec, s[4:5]
	s_cbranch_vccnz .LBB115_45
; %bb.2:
	s_load_dwordx8 s[20:27], s[0:1], 0x68
	v_and_b32_e32 v63, 0x3ff, v0
	v_bfe_u32 v64, v0, 10, 10
	v_lshl_add_u32 v62, v64, 6, v63
	s_waitcnt lgkmcnt(0)
	s_mul_i32 s5, s3, s27
	s_mul_hi_u32 s6, s3, s26
	s_mul_i32 s4, s3, s26
	s_add_i32 s5, s6, s5
	s_lshl_b64 s[4:5], s[4:5], 3
	s_add_u32 s6, s20, s4
	s_addc_u32 s7, s21, s5
	s_lshl_b64 s[4:5], s[22:23], 3
	s_add_u32 s26, s6, s4
	s_addc_u32 s27, s7, s5
	s_or_b32 s4, s30, s31
	s_bitset0_b32 s4, 31
	s_cmp_lg_u32 s4, 0
	s_mov_b64 s[4:5], -1
	s_cbranch_scc1 .LBB115_9
; %bb.3:
	s_movk_i32 s4, 0x100
	v_cmp_gt_u32_e32 vcc, s4, v62
	s_and_saveexec_b64 s[4:5], vcc
	s_cbranch_execz .LBB115_8
; %bb.4:
	v_lshl_or_b32 v0, s2, 8, v62
	v_mov_b32_e32 v1, 0
	s_ashr_i32 s7, s28, 31
	s_mov_b32 s6, s28
	v_cmp_gt_i64_e32 vcc, s[6:7], v[0:1]
	s_and_b64 exec, exec, vcc
	s_cbranch_execz .LBB115_8
; %bb.5:
	v_mad_u64_u32 v[2:3], s[10:11], v0, s24, 0
	v_mov_b32_e32 v4, v3
	v_cmp_neq_f32_e64 s[6:7], s34, 0
	v_cmp_neq_f32_e64 s[8:9], s35, 0
	v_mad_u64_u32 v[4:5], s[10:11], v0, s25, v[4:5]
	v_mov_b32_e32 v3, v4
	s_or_b64 s[6:7], s[6:7], s[8:9]
	s_andn2_b64 vcc, exec, s[6:7]
	v_lshl_add_u64 v[2:3], v[2:3], 3, s[26:27]
	v_mov_b32_e32 v5, v1
	s_cbranch_vccnz .LBB115_7
; %bb.6:
	global_load_dwordx2 v[0:1], v[2:3], off
	s_waitcnt vmcnt(0)
	v_pk_mul_f32 v[4:5], s[34:35], v[0:1] op_sel:[0,1]
	s_nop 0
	v_pk_fma_f32 v[6:7], s[34:35], v[0:1], v[4:5] op_sel:[0,0,1] op_sel_hi:[1,1,0] neg_lo:[0,0,1] neg_hi:[0,0,1]
	v_pk_fma_f32 v[4:5], s[34:35], v[0:1], v[4:5] op_sel:[0,0,1] op_sel_hi:[1,0,0]
	v_mov_b32_e32 v1, v6
.LBB115_7:
	v_mov_b32_e32 v4, v1
	global_store_dwordx2 v[2:3], v[4:5], off
.LBB115_8:
	s_or_b64 exec, exec, s[4:5]
	s_mov_b64 s[4:5], 0
.LBB115_9:
	s_andn2_b64 vcc, exec, s[4:5]
	s_cbranch_vccnz .LBB115_45
; %bb.10:
	s_load_dwordx16 s[8:23], s[0:1], 0x18
	s_mov_b32 s6, 0
	s_lshl_b32 s33, s2, 8
	v_lshlrev_b32_e32 v65, 2, v64
	s_mov_b32 s7, s6
	s_waitcnt lgkmcnt(0)
	s_mul_i32 s0, s3, s15
	s_mul_hi_u32 s1, s3, s14
	s_add_i32 s15, s1, s0
	s_ashr_i32 s0, s29, 31
	s_lshr_b32 s0, s0, 26
	s_add_i32 s52, s29, s0
	s_mul_i32 s4, s3, s23
	s_mul_hi_u32 s5, s3, s22
	s_andn2_b32 s52, s52, 63
	s_mul_i32 s14, s3, s14
	s_add_i32 s23, s5, s4
	s_mul_i32 s22, s3, s22
	v_add_u32_e32 v2, s33, v63
	v_cmp_gt_i32_e32 vcc, s52, v65
	v_mov_b64_e32 v[8:9], s[6:7]
	v_mov_b32_e32 v1, 0
	v_mov_b32_e32 v0, 0
	;; [unrolled: 1-line block ×6, first 2 shown]
	s_and_saveexec_b64 s[36:37], vcc
	s_cbranch_execz .LBB115_22
; %bb.11:
	v_add_u32_e32 v0, 64, v2
	v_cmp_gt_i32_e64 s[0:1], s28, v0
	v_add_u32_e32 v0, 0x80, v2
	v_cmp_gt_i32_e64 s[2:3], s28, v0
	;; [unrolled: 2-line block ×3, first 2 shown]
	v_mad_u64_u32 v[0:1], s[38:39], s20, v64, 0
	v_mov_b32_e32 v4, v1
	v_mad_u64_u32 v[4:5], s[38:39], s21, v64, v[4:5]
	s_lshl_b64 s[38:39], s[22:23], 3
	s_lshl_b64 s[40:41], s[18:19], 3
	s_add_u32 s40, s16, s40
	v_ashrrev_i32_e32 v3, 31, v2
	s_addc_u32 s41, s17, s41
	v_mov_b32_e32 v1, v4
	s_add_u32 s38, s40, s38
	v_lshlrev_b64 v[12:13], 3, v[2:3]
	v_lshlrev_b32_e32 v3, 2, v64
	v_lshlrev_b64 v[0:1], 5, v[0:1]
	s_addc_u32 s39, s41, s39
	v_or_b32_e32 v5, 3, v3
	v_lshl_add_u64 v[10:11], s[38:39], 0, v[0:1]
	v_mad_u64_u32 v[0:1], s[40:41], s12, v5, 0
	v_mov_b32_e32 v4, v1
	v_mad_u64_u32 v[4:5], s[40:41], s13, v5, v[4:5]
	s_lshl_b64 s[38:39], s[20:21], 9
	s_lshl_b64 s[40:41], s[14:15], 3
	;; [unrolled: 1-line block ×3, first 2 shown]
	s_add_u32 s42, s8, s42
	s_addc_u32 s43, s9, s43
	s_add_u32 s42, s42, s40
	v_mov_b32_e32 v1, v4
	s_addc_u32 s43, s43, s41
	v_lshl_add_u64 v[14:15], v[0:1], 3, s[42:43]
	v_mad_u64_u32 v[0:1], s[44:45], s12, v64, 0
	v_mov_b32_e32 v4, v1
	v_mad_u64_u32 v[4:5], s[44:45], s13, v64, v[4:5]
	v_mov_b32_e32 v1, v4
	v_lshlrev_b64 v[0:1], 5, v[0:1]
	v_or_b32_e32 v5, 2, v3
	v_lshl_add_u64 v[16:17], s[42:43], 0, v[0:1]
	v_mad_u64_u32 v[0:1], s[44:45], s12, v5, 0
	v_mov_b32_e32 v4, v1
	v_mad_u64_u32 v[4:5], s[44:45], s13, v5, v[4:5]
	v_mov_b32_e32 v1, v4
	v_lshl_add_u64 v[18:19], v[0:1], 3, s[42:43]
	v_mov_b64_e32 v[0:1], s[12:13]
	v_mad_u64_u32 v[0:1], s[44:45], s12, v3, v[0:1]
	v_mov_b32_e32 v4, v1
	v_mad_u64_u32 v[4:5], s[44:45], s13, v3, v[4:5]
	v_mov_b32_e32 v1, v4
	v_lshl_add_u64 v[20:21], v[0:1], 3, s[42:43]
	v_mov_b32_e32 v1, 0
	v_cmp_gt_i32_e32 vcc, s28, v2
	s_lshl_b64 s[40:41], s[12:13], 9
	s_lshl_b64 s[44:45], s[20:21], 3
	s_mov_b64 s[42:43], 0
	v_mov_b64_e32 v[8:9], s[6:7]
	v_mov_b32_e32 v0, v1
	v_mov_b32_e32 v5, v1
	;; [unrolled: 1-line block ×5, first 2 shown]
	s_branch .LBB115_16
.LBB115_12:                             ;   in Loop: Header=BB115_16 Depth=1
	s_or_b64 exec, exec, s[50:51]
	s_waitcnt vmcnt(3)
	v_mul_f32_e32 v3, v33, v53
	v_mul_f32_e32 v53, v32, v53
	v_fma_f32 v3, v32, v52, -v3
	v_fmac_f32_e32 v53, v33, v52
	v_add_f32_e32 v3, v4, v3
	v_add_f32_e32 v4, v5, v53
	s_waitcnt vmcnt(2)
	v_mul_f32_e32 v5, v31, v51
	v_fma_f32 v5, v30, v50, -v5
	v_mul_f32_e32 v51, v30, v51
	v_fmac_f32_e32 v51, v31, v50
	v_add_f32_e32 v3, v3, v5
	s_waitcnt vmcnt(1)
	v_mul_f32_e32 v5, v25, v49
	v_mul_f32_e32 v49, v24, v49
	v_add_f32_e32 v4, v4, v51
	v_fma_f32 v5, v24, v48, -v5
	v_fmac_f32_e32 v49, v25, v48
	v_add_f32_e32 v3, v3, v5
	v_add_f32_e32 v5, v4, v49
	s_waitcnt vmcnt(0)
	v_mul_f32_e32 v4, v23, v47
	v_mul_f32_e32 v47, v22, v47
	v_fma_f32 v4, v22, v46, -v4
	v_fmac_f32_e32 v47, v23, v46
	v_add_f32_e32 v4, v3, v4
	v_add_f32_e32 v5, v5, v47
.LBB115_13:                             ;   in Loop: Header=BB115_16 Depth=1
	s_or_b64 exec, exec, s[48:49]
	s_waitcnt vmcnt(3)
	v_mul_f32_e32 v3, v33, v45
	v_mul_f32_e32 v45, v32, v45
	v_fma_f32 v3, v32, v44, -v3
	v_fmac_f32_e32 v45, v33, v44
	v_add_f32_e32 v3, v6, v3
	v_add_f32_e32 v6, v7, v45
	s_waitcnt vmcnt(2)
	v_mul_f32_e32 v7, v31, v43
	v_fma_f32 v7, v30, v42, -v7
	v_mul_f32_e32 v43, v30, v43
	v_fmac_f32_e32 v43, v31, v42
	v_add_f32_e32 v3, v3, v7
	s_waitcnt vmcnt(1)
	v_mul_f32_e32 v7, v25, v41
	v_mul_f32_e32 v41, v24, v41
	v_add_f32_e32 v6, v6, v43
	v_fma_f32 v7, v24, v40, -v7
	v_fmac_f32_e32 v41, v25, v40
	v_add_f32_e32 v3, v3, v7
	v_add_f32_e32 v7, v6, v41
	s_waitcnt vmcnt(0)
	v_mul_f32_e32 v6, v23, v39
	v_mul_f32_e32 v39, v22, v39
	v_fma_f32 v6, v22, v38, -v6
	v_fmac_f32_e32 v39, v23, v38
	v_add_f32_e32 v6, v3, v6
	v_add_f32_e32 v7, v7, v39
.LBB115_14:                             ;   in Loop: Header=BB115_16 Depth=1
	s_or_b64 exec, exec, s[46:47]
	s_waitcnt vmcnt(3)
	v_mul_f32_e32 v3, v33, v37
	v_mul_f32_e32 v39, v32, v37
	v_fma_f32 v38, v32, v36, -v3
	v_fmac_f32_e32 v39, v33, v36
	s_waitcnt vmcnt(2)
	v_mul_f32_e32 v3, v31, v35
	v_mul_f32_e32 v33, v30, v35
	v_fma_f32 v32, v30, v34, -v3
	v_fmac_f32_e32 v33, v31, v34
	v_pk_add_f32 v[8:9], v[8:9], v[38:39]
	v_mov_b32_e32 v30, v25
	v_mov_b32_e32 v31, v24
	v_pk_add_f32 v[8:9], v[8:9], v[32:33]
	s_waitcnt vmcnt(1)
	v_mov_b32_e32 v24, v29
	v_pk_mul_f32 v[32:33], v[30:31], v[28:29] op_sel_hi:[1,0]
	s_nop 0
	v_pk_fma_f32 v[24:25], v[30:31], v[24:25], v[32:33] op_sel:[0,0,1] op_sel_hi:[1,1,0] neg_lo:[1,0,0] neg_hi:[1,0,0]
	v_pk_fma_f32 v[28:29], v[30:31], v[28:29], v[32:33] op_sel:[0,1,1] op_sel_hi:[1,1,0]
	s_nop 0
	v_mov_b32_e32 v25, v29
	v_pk_add_f32 v[8:9], v[8:9], v[24:25]
	s_waitcnt vmcnt(0)
	v_pk_mul_f32 v[24:25], v[22:23], v[26:27] op_sel:[0,1]
	s_nop 0
	v_pk_fma_f32 v[28:29], v[22:23], v[26:27], v[24:25] op_sel:[0,0,1] op_sel_hi:[1,1,0] neg_lo:[0,0,1] neg_hi:[0,0,1]
	v_pk_fma_f32 v[22:23], v[22:23], v[26:27], v[24:25] op_sel:[0,0,1] op_sel_hi:[1,0,0]
	s_nop 0
	v_mov_b32_e32 v29, v23
	v_pk_add_f32 v[8:9], v[8:9], v[28:29]
.LBB115_15:                             ;   in Loop: Header=BB115_16 Depth=1
	s_or_b64 exec, exec, s[6:7]
	v_add_u32_e32 v65, 64, v65
	v_cmp_le_i32_e64 s[6:7], s52, v65
	v_lshl_add_u64 v[10:11], v[10:11], 0, s[38:39]
	v_lshl_add_u64 v[14:15], v[14:15], 0, s[40:41]
	;; [unrolled: 1-line block ×4, first 2 shown]
	s_or_b64 s[42:43], s[6:7], s[42:43]
	v_lshl_add_u64 v[20:21], v[20:21], 0, s[40:41]
	s_andn2_b64 exec, exec, s[42:43]
	s_cbranch_execz .LBB115_21
.LBB115_16:                             ; =>This Inner Loop Header: Depth=1
	s_and_saveexec_b64 s[6:7], vcc
	s_cbranch_execz .LBB115_15
; %bb.17:                               ;   in Loop: Header=BB115_16 Depth=1
	v_lshl_add_u64 v[22:23], v[10:11], 0, s[44:45]
	v_lshl_add_u64 v[26:27], v[22:23], 0, s[44:45]
	global_load_dwordx2 v[30:31], v[22:23], off
	global_load_dwordx2 v[24:25], v[26:27], off
	v_lshl_add_u64 v[26:27], v[26:27], 0, s[44:45]
	v_lshl_add_u64 v[60:61], v[16:17], 0, v[12:13]
	v_lshl_add_u64 v[58:59], v[20:21], 0, v[12:13]
	v_lshl_add_u64 v[56:57], v[18:19], 0, v[12:13]
	v_lshl_add_u64 v[54:55], v[14:15], 0, v[12:13]
	global_load_dwordx2 v[32:33], v[10:11], off
	global_load_dwordx2 v[22:23], v[26:27], off
	;; [unrolled: 1-line block ×5, first 2 shown]
	s_nop 0
	global_load_dwordx2 v[26:27], v[54:55], off
	s_and_saveexec_b64 s[46:47], s[0:1]
	s_cbranch_execz .LBB115_14
; %bb.18:                               ;   in Loop: Header=BB115_16 Depth=1
	global_load_dwordx2 v[44:45], v[60:61], off offset:512
	global_load_dwordx2 v[42:43], v[58:59], off offset:512
	;; [unrolled: 1-line block ×4, first 2 shown]
	s_and_saveexec_b64 s[48:49], s[2:3]
	s_cbranch_execz .LBB115_13
; %bb.19:                               ;   in Loop: Header=BB115_16 Depth=1
	global_load_dwordx2 v[52:53], v[60:61], off offset:1024
	global_load_dwordx2 v[50:51], v[58:59], off offset:1024
	;; [unrolled: 1-line block ×4, first 2 shown]
	s_and_saveexec_b64 s[50:51], s[4:5]
	s_cbranch_execz .LBB115_12
; %bb.20:                               ;   in Loop: Header=BB115_16 Depth=1
	global_load_dwordx2 v[60:61], v[60:61], off offset:1536
	s_nop 0
	global_load_dwordx2 v[58:59], v[58:59], off offset:1536
	s_nop 0
	;; [unrolled: 2-line block ×3, first 2 shown]
	global_load_dwordx2 v[54:55], v[54:55], off offset:1536
	s_waitcnt vmcnt(3)
	v_mul_f32_e32 v3, v33, v61
	v_mul_f32_e32 v61, v32, v61
	s_waitcnt vmcnt(2)
	v_mul_f32_e32 v66, v31, v59
	v_mul_f32_e32 v59, v30, v59
	v_fma_f32 v3, v32, v60, -v3
	v_fmac_f32_e32 v61, v33, v60
	s_waitcnt vmcnt(1)
	v_mul_f32_e32 v67, v25, v57
	v_mul_f32_e32 v57, v24, v57
	v_fma_f32 v60, v30, v58, -v66
	v_fmac_f32_e32 v59, v31, v58
	v_add_f32_e32 v0, v0, v3
	v_add_f32_e32 v1, v1, v61
	s_waitcnt vmcnt(0)
	v_mul_f32_e32 v68, v23, v55
	v_mul_f32_e32 v55, v22, v55
	v_fma_f32 v58, v24, v56, -v67
	v_fmac_f32_e32 v57, v25, v56
	v_add_f32_e32 v0, v0, v60
	v_add_f32_e32 v1, v1, v59
	v_fma_f32 v56, v22, v54, -v68
	v_fmac_f32_e32 v55, v23, v54
	v_add_f32_e32 v0, v0, v58
	v_add_f32_e32 v1, v1, v57
	v_add_f32_e32 v0, v0, v56
	v_add_f32_e32 v1, v1, v55
	s_branch .LBB115_12
.LBB115_21:
	s_or_b64 exec, exec, s[42:43]
.LBB115_22:
	s_or_b64 exec, exec, s[36:37]
	s_sub_i32 s0, s29, s52
	s_cmp_lt_i32 s0, 1
	s_cbranch_scc1 .LBB115_40
; %bb.23:
	v_cmp_gt_i32_e32 vcc, s29, v65
	v_mov_b32_e32 v10, 0
	v_or_b32_e32 v20, 1, v65
	v_mov_b32_e32 v11, 0
	v_mov_b32_e32 v12, 0
	;; [unrolled: 1-line block ×7, first 2 shown]
	s_and_saveexec_b64 s[2:3], vcc
	s_cbranch_execz .LBB115_31
; %bb.24:
	s_lshl_b64 s[0:1], s[22:23], 3
	s_add_u32 s4, s16, s0
	s_addc_u32 s5, s17, s1
	s_lshl_b64 s[0:1], s[18:19], 3
	s_add_u32 s6, s4, s0
	s_addc_u32 s7, s5, s1
	v_mad_u64_u32 v[10:11], s[0:1], v65, s20, 0
	v_mov_b32_e32 v12, v11
	v_mad_u64_u32 v[12:13], s[0:1], v65, s21, v[12:13]
	v_mov_b32_e32 v11, v12
	v_lshl_add_u64 v[10:11], v[10:11], 3, s[6:7]
	global_load_dwordx2 v[10:11], v[10:11], off
	v_cmp_gt_i32_e64 s[0:1], s29, v20
	v_mov_b32_e32 v17, 0
	v_mov_b32_e32 v16, 0
	;; [unrolled: 1-line block ×6, first 2 shown]
	s_and_saveexec_b64 s[4:5], s[0:1]
	s_cbranch_execz .LBB115_30
; %bb.25:
	v_mad_u64_u32 v[12:13], s[0:1], v20, s20, 0
	v_mov_b32_e32 v14, v13
	v_mad_u64_u32 v[14:15], s[0:1], v20, s21, v[14:15]
	v_mov_b32_e32 v13, v14
	v_lshl_add_u64 v[12:13], v[12:13], 3, s[6:7]
	global_load_dwordx2 v[12:13], v[12:13], off
	v_or_b32_e32 v3, 2, v65
	v_cmp_gt_i32_e64 s[0:1], s29, v3
	v_mov_b32_e32 v17, 0
	v_mov_b32_e32 v16, 0
	;; [unrolled: 1-line block ×4, first 2 shown]
	s_and_saveexec_b64 s[16:17], s[0:1]
	s_cbranch_execz .LBB115_29
; %bb.26:
	v_mad_u64_u32 v[14:15], s[0:1], v3, s20, 0
	v_mov_b32_e32 v16, v15
	v_mad_u64_u32 v[16:17], s[0:1], v3, s21, v[16:17]
	v_mov_b32_e32 v15, v16
	v_lshl_add_u64 v[14:15], v[14:15], 3, s[6:7]
	global_load_dwordx2 v[14:15], v[14:15], off
	v_or_b32_e32 v3, 3, v65
	v_cmp_gt_i32_e64 s[0:1], s29, v3
	v_mov_b32_e32 v17, 0
	v_mov_b32_e32 v16, 0
	s_and_saveexec_b64 s[18:19], s[0:1]
	s_cbranch_execz .LBB115_28
; %bb.27:
	v_mad_u64_u32 v[16:17], s[0:1], v3, s20, 0
	v_mov_b32_e32 v18, v17
	v_mad_u64_u32 v[18:19], s[0:1], v3, s21, v[18:19]
	v_mov_b32_e32 v17, v18
	v_lshl_add_u64 v[16:17], v[16:17], 3, s[6:7]
	global_load_dwordx2 v[16:17], v[16:17], off
.LBB115_28:
	s_or_b64 exec, exec, s[18:19]
.LBB115_29:
	s_or_b64 exec, exec, s[16:17]
.LBB115_30:
	s_or_b64 exec, exec, s[4:5]
.LBB115_31:
	s_or_b64 exec, exec, s[2:3]
	v_cmp_gt_i32_e64 s[0:1], s28, v2
	s_and_saveexec_b64 s[2:3], s[0:1]
	s_cbranch_execz .LBB115_39
; %bb.32:
	s_lshl_b64 s[0:1], s[14:15], 3
	s_add_u32 s4, s8, s0
	s_addc_u32 s5, s9, s1
	s_lshl_b64 s[0:1], s[10:11], 3
	s_add_u32 s0, s4, s0
	s_addc_u32 s1, s5, s1
	v_mad_u64_u32 v[18:19], s[4:5], v65, s12, 0
	v_mov_b32_e32 v22, v19
	v_mad_u64_u32 v[22:23], s[4:5], v65, s13, v[22:23]
	v_cndmask_b32_e32 v19, 0, v22, vcc
	v_mad_u64_u32 v[22:23], s[4:5], v20, s12, 0
	v_mov_b32_e32 v24, v23
	v_cndmask_b32_e32 v18, 0, v18, vcc
	v_mad_u64_u32 v[24:25], s[4:5], v20, s13, v[24:25]
	v_cmp_gt_i32_e32 vcc, s29, v20
	v_ashrrev_i32_e32 v3, 31, v2
	v_lshlrev_b64 v[26:27], 3, v[2:3]
	v_cndmask_b32_e32 v20, 0, v22, vcc
	v_cndmask_b32_e32 v21, 0, v24, vcc
	v_lshl_add_u64 v[20:21], v[20:21], 3, s[0:1]
	v_or_b32_e32 v3, 2, v65
	v_lshl_add_u64 v[22:23], v[20:21], 0, v[26:27]
	v_mad_u64_u32 v[20:21], s[4:5], v3, s12, 0
	v_mov_b32_e32 v24, v21
	v_mad_u64_u32 v[24:25], s[4:5], v3, s13, v[24:25]
	v_cmp_gt_i32_e32 vcc, s29, v3
	v_or_b32_e32 v3, 3, v65
	v_lshl_add_u64 v[18:19], v[18:19], 3, s[0:1]
	v_cndmask_b32_e32 v20, 0, v20, vcc
	v_cndmask_b32_e32 v21, 0, v24, vcc
	v_lshl_add_u64 v[20:21], v[20:21], 3, s[0:1]
	v_lshl_add_u64 v[24:25], v[20:21], 0, v[26:27]
	v_mad_u64_u32 v[20:21], s[4:5], v3, s12, 0
	v_mov_b32_e32 v28, v21
	v_mad_u64_u32 v[28:29], s[4:5], v3, s13, v[28:29]
	v_cmp_gt_i32_e32 vcc, s29, v3
	v_lshl_add_u64 v[18:19], v[18:19], 0, v[26:27]
	v_add_u32_e32 v3, 64, v2
	v_cndmask_b32_e32 v20, 0, v20, vcc
	v_cndmask_b32_e32 v21, 0, v28, vcc
	v_lshl_add_u64 v[20:21], v[20:21], 3, s[0:1]
	v_lshl_add_u64 v[26:27], v[20:21], 0, v[26:27]
	global_load_dwordx2 v[20:21], v[18:19], off
	global_load_dwordx2 v[28:29], v[22:23], off
	;; [unrolled: 1-line block ×4, first 2 shown]
	v_cmp_gt_i32_e32 vcc, s28, v3
	s_waitcnt vmcnt(3)
	v_pk_mul_f32 v[34:35], v[10:11], v[20:21] op_sel:[0,1]
	s_waitcnt vmcnt(2)
	v_pk_mul_f32 v[36:37], v[12:13], v[28:29] op_sel:[0,1]
	v_pk_fma_f32 v[42:43], v[10:11], v[20:21], v[34:35] op_sel:[0,0,1] op_sel_hi:[1,1,0] neg_lo:[0,0,1] neg_hi:[0,0,1]
	v_pk_fma_f32 v[34:35], v[10:11], v[20:21], v[34:35] op_sel:[0,0,1] op_sel_hi:[1,0,0]
	s_waitcnt vmcnt(1)
	v_pk_mul_f32 v[38:39], v[14:15], v[30:31] op_sel:[0,1]
	v_pk_fma_f32 v[44:45], v[12:13], v[28:29], v[36:37] op_sel:[0,0,1] op_sel_hi:[1,1,0] neg_lo:[0,0,1] neg_hi:[0,0,1]
	v_pk_fma_f32 v[28:29], v[12:13], v[28:29], v[36:37] op_sel:[0,0,1] op_sel_hi:[1,0,0]
	v_mov_b32_e32 v43, v35
	s_waitcnt vmcnt(0)
	v_pk_mul_f32 v[40:41], v[16:17], v[32:33] op_sel:[0,1]
	v_pk_fma_f32 v[36:37], v[14:15], v[30:31], v[38:39] op_sel:[0,0,1] op_sel_hi:[1,1,0] neg_lo:[0,0,1] neg_hi:[0,0,1]
	v_pk_fma_f32 v[30:31], v[14:15], v[30:31], v[38:39] op_sel:[0,0,1] op_sel_hi:[1,0,0]
	v_mov_b32_e32 v45, v29
	v_pk_add_f32 v[8:9], v[8:9], v[42:43]
	v_pk_fma_f32 v[20:21], v[16:17], v[32:33], v[40:41] op_sel:[0,0,1] op_sel_hi:[1,1,0] neg_lo:[0,0,1] neg_hi:[0,0,1]
	v_pk_fma_f32 v[32:33], v[16:17], v[32:33], v[40:41] op_sel:[0,0,1] op_sel_hi:[1,0,0]
	v_mov_b32_e32 v37, v31
	v_pk_add_f32 v[8:9], v[8:9], v[44:45]
	v_mov_b32_e32 v21, v33
	v_pk_add_f32 v[8:9], v[8:9], v[36:37]
	s_and_saveexec_b64 s[0:1], vcc
	s_cbranch_execz .LBB115_38
; %bb.33:
	global_load_dwordx2 v[28:29], v[18:19], off offset:512
	global_load_dwordx2 v[30:31], v[22:23], off offset:512
	;; [unrolled: 1-line block ×4, first 2 shown]
	v_add_u32_e32 v36, 0x80, v2
	v_cmp_gt_i32_e32 vcc, s28, v36
	s_waitcnt vmcnt(3)
	v_mul_f32_e32 v37, v11, v29
	v_mul_f32_e32 v29, v10, v29
	s_waitcnt vmcnt(2)
	v_mul_f32_e32 v38, v13, v31
	v_mul_f32_e32 v31, v12, v31
	;; [unrolled: 3-line block ×3, first 2 shown]
	v_fma_f32 v35, v10, v28, -v37
	v_fmac_f32_e32 v29, v11, v28
	v_mul_f32_e32 v39, v15, v33
	v_mul_f32_e32 v33, v14, v33
	v_fma_f32 v37, v12, v30, -v38
	v_fmac_f32_e32 v31, v13, v30
	v_add_f32_e32 v6, v6, v35
	v_add_f32_e32 v7, v7, v29
	v_fma_f32 v30, v14, v32, -v39
	v_fmac_f32_e32 v33, v15, v32
	v_add_f32_e32 v6, v6, v37
	v_add_f32_e32 v7, v7, v31
	;; [unrolled: 4-line block ×3, first 2 shown]
	s_and_saveexec_b64 s[4:5], vcc
	s_cbranch_execz .LBB115_37
; %bb.34:
	global_load_dwordx2 v[30:31], v[18:19], off offset:1024
	global_load_dwordx2 v[32:33], v[22:23], off offset:1024
	;; [unrolled: 1-line block ×4, first 2 shown]
	v_add_u32_e32 v38, 0xc0, v2
	v_cmp_gt_i32_e32 vcc, s28, v38
	s_waitcnt vmcnt(3)
	v_mul_f32_e32 v29, v11, v31
	v_mul_f32_e32 v31, v10, v31
	s_waitcnt vmcnt(2)
	v_mul_f32_e32 v39, v13, v33
	v_mul_f32_e32 v33, v12, v33
	;; [unrolled: 3-line block ×3, first 2 shown]
	v_fma_f32 v37, v10, v30, -v29
	v_fmac_f32_e32 v31, v11, v30
	v_mul_f32_e32 v40, v15, v35
	v_mul_f32_e32 v35, v14, v35
	v_fma_f32 v30, v12, v32, -v39
	v_fmac_f32_e32 v33, v13, v32
	v_add_f32_e32 v4, v4, v37
	v_add_f32_e32 v5, v5, v31
	v_fma_f32 v32, v14, v34, -v40
	v_fmac_f32_e32 v35, v15, v34
	v_add_f32_e32 v4, v4, v30
	v_add_f32_e32 v5, v5, v33
	v_fma_f32 v29, v16, v36, -v41
	v_fmac_f32_e32 v2, v17, v36
	v_add_f32_e32 v4, v4, v32
	v_add_f32_e32 v5, v5, v35
	s_and_saveexec_b64 s[6:7], vcc
	s_cbranch_execz .LBB115_36
; %bb.35:
	global_load_dwordx2 v[30:31], v[18:19], off offset:1536
	global_load_dwordx2 v[32:33], v[22:23], off offset:1536
	;; [unrolled: 1-line block ×4, first 2 shown]
	s_waitcnt vmcnt(3)
	v_mul_f32_e32 v18, v11, v31
	v_mul_f32_e32 v19, v10, v31
	s_waitcnt vmcnt(2)
	v_mul_f32_e32 v22, v13, v33
	v_mul_f32_e32 v23, v12, v33
	v_fma_f32 v10, v10, v30, -v18
	v_fmac_f32_e32 v19, v11, v30
	s_waitcnt vmcnt(1)
	v_mul_f32_e32 v24, v15, v35
	v_mul_f32_e32 v25, v14, v35
	v_fma_f32 v11, v12, v32, -v22
	v_fmac_f32_e32 v23, v13, v32
	v_add_f32_e32 v0, v0, v10
	v_add_f32_e32 v1, v1, v19
	s_waitcnt vmcnt(0)
	v_mul_f32_e32 v26, v17, v37
	v_mul_f32_e32 v27, v16, v37
	v_fma_f32 v12, v14, v34, -v24
	v_fmac_f32_e32 v25, v15, v34
	v_add_f32_e32 v0, v0, v11
	v_add_f32_e32 v1, v1, v23
	v_fma_f32 v13, v16, v36, -v26
	v_fmac_f32_e32 v27, v17, v36
	v_add_f32_e32 v0, v0, v12
	v_add_f32_e32 v1, v1, v25
	;; [unrolled: 1-line block ×4, first 2 shown]
.LBB115_36:
	s_or_b64 exec, exec, s[6:7]
	v_add_f32_e32 v4, v4, v29
	v_add_f32_e32 v5, v5, v2
.LBB115_37:
	s_or_b64 exec, exec, s[4:5]
	v_add_f32_e32 v6, v6, v28
	v_add_f32_e32 v7, v7, v3
.LBB115_38:
	s_or_b64 exec, exec, s[0:1]
	v_pk_add_f32 v[8:9], v[8:9], v[20:21]
.LBB115_39:
	s_or_b64 exec, exec, s[2:3]
.LBB115_40:
	v_lshlrev_b32_e32 v2, 8, v64
	s_movk_i32 s0, 0x100
	v_add_lshl_u32 v2, v2, v63, 3
	v_cmp_gt_u32_e32 vcc, s0, v62
	ds_write2st64_b64 v2, v[8:9], v[6:7] offset1:1
	ds_write2st64_b64 v2, v[4:5], v[0:1] offset0:2 offset1:3
	s_waitcnt lgkmcnt(0)
	s_barrier
	s_and_saveexec_b64 s[0:1], vcc
	s_cbranch_execz .LBB115_45
; %bb.41:
	v_lshlrev_b32_e32 v20, 3, v62
	ds_read2st64_b64 v[0:3], v20 offset1:4
	ds_read2st64_b64 v[4:7], v20 offset0:8 offset1:12
	s_waitcnt vmcnt(0)
	ds_read2st64_b64 v[8:11], v20 offset0:16 offset1:20
	ds_read2st64_b64 v[12:15], v20 offset0:24 offset1:28
	;; [unrolled: 1-line block ×3, first 2 shown]
	s_waitcnt lgkmcnt(4)
	v_pk_add_f32 v[0:1], v[0:1], v[2:3]
	s_waitcnt lgkmcnt(3)
	v_pk_add_f32 v[0:1], v[0:1], v[4:5]
	s_nop 0
	v_pk_add_f32 v[0:1], v[0:1], v[6:7]
	s_waitcnt lgkmcnt(2)
	v_pk_add_f32 v[0:1], v[0:1], v[8:9]
	s_nop 0
	;; [unrolled: 4-line block ×3, first 2 shown]
	v_pk_add_f32 v[4:5], v[0:1], v[14:15]
	ds_read2st64_b64 v[0:3], v20 offset0:40 offset1:44
	s_waitcnt lgkmcnt(1)
	v_pk_add_f32 v[8:9], v[4:5], v[16:17]
	ds_read2st64_b64 v[4:7], v20 offset0:48 offset1:52
	v_pk_add_f32 v[12:13], v[8:9], v[18:19]
	ds_read2st64_b64 v[8:11], v20 offset0:56 offset1:60
	s_waitcnt lgkmcnt(2)
	v_pk_add_f32 v[0:1], v[12:13], v[0:1]
	s_nop 0
	v_pk_add_f32 v[0:1], v[0:1], v[2:3]
	s_waitcnt lgkmcnt(1)
	v_pk_add_f32 v[0:1], v[0:1], v[4:5]
	v_or_b32_e32 v4, s33, v62
	v_pk_add_f32 v[0:1], v[0:1], v[6:7]
	v_cmp_gt_i32_e32 vcc, s28, v4
	s_waitcnt lgkmcnt(0)
	v_pk_add_f32 v[0:1], v[0:1], v[8:9]
	s_nop 0
	v_pk_add_f32 v[2:3], v[0:1], v[10:11]
	ds_write_b64 v20, v[2:3]
	s_and_b64 exec, exec, vcc
	s_cbranch_execz .LBB115_45
; %bb.42:
	v_pk_mul_f32 v[6:7], v[2:3], s[30:31] op_sel:[1,0]
	v_cmp_neq_f32_e64 s[0:1], s34, 0
	v_pk_fma_f32 v[0:1], v[2:3], s[30:31], v[6:7] op_sel:[0,0,1] op_sel_hi:[0,1,0] neg_lo:[0,0,1] neg_hi:[0,0,1]
	v_pk_fma_f32 v[2:3], v[2:3], s[30:31], v[6:7] op_sel:[0,0,1] op_sel_hi:[0,1,0]
	v_ashrrev_i32_e32 v1, 31, v4
	v_cmp_neq_f32_e64 s[2:3], s35, 0
	v_mul_lo_u32 v2, v4, s25
	v_mul_lo_u32 v1, v1, s24
	v_mad_u64_u32 v[4:5], s[4:5], v4, s24, 0
	v_add3_u32 v5, v5, v2, v1
	s_or_b64 s[0:1], s[0:1], s[2:3]
	s_andn2_b64 vcc, exec, s[0:1]
	v_lshl_add_u64 v[4:5], v[4:5], 3, s[26:27]
	s_cbranch_vccnz .LBB115_44
; %bb.43:
	global_load_dwordx2 v[6:7], v[4:5], off
	v_mov_b32_e32 v1, v3
	s_waitcnt vmcnt(0)
	v_pk_mul_f32 v[2:3], s[34:35], v[6:7] op_sel:[0,1]
	s_nop 0
	v_pk_fma_f32 v[8:9], s[34:35], v[6:7], v[2:3] op_sel:[0,0,1] op_sel_hi:[1,1,0] neg_lo:[0,0,1] neg_hi:[0,0,1]
	v_pk_fma_f32 v[2:3], s[34:35], v[6:7], v[2:3] op_sel:[0,0,1] op_sel_hi:[1,0,0]
	s_nop 0
	v_mov_b32_e32 v9, v3
	v_pk_add_f32 v[0:1], v[0:1], v[8:9]
	s_nop 0
	v_mov_b32_e32 v3, v1
.LBB115_44:
	v_mov_b32_e32 v1, v3
	global_store_dwordx2 v[4:5], v[0:1], off
.LBB115_45:
	s_endpgm
	.section	.rodata,"a",@progbits
	.p2align	6, 0x0
	.amdhsa_kernel _ZL20rocblas_gemvn_kernelILi64ELi16El19rocblas_complex_numIfES1_S1_EviiT3_lPKT2_lT1_lS5_lS6_lS2_lPT4_lS6_li
		.amdhsa_group_segment_fixed_size 32768
		.amdhsa_private_segment_fixed_size 0
		.amdhsa_kernarg_size 400
		.amdhsa_user_sgpr_count 2
		.amdhsa_user_sgpr_dispatch_ptr 0
		.amdhsa_user_sgpr_queue_ptr 0
		.amdhsa_user_sgpr_kernarg_segment_ptr 1
		.amdhsa_user_sgpr_dispatch_id 0
		.amdhsa_user_sgpr_kernarg_preload_length 0
		.amdhsa_user_sgpr_kernarg_preload_offset 0
		.amdhsa_user_sgpr_private_segment_size 0
		.amdhsa_uses_dynamic_stack 0
		.amdhsa_enable_private_segment 0
		.amdhsa_system_sgpr_workgroup_id_x 1
		.amdhsa_system_sgpr_workgroup_id_y 0
		.amdhsa_system_sgpr_workgroup_id_z 1
		.amdhsa_system_sgpr_workgroup_info 0
		.amdhsa_system_vgpr_workitem_id 1
		.amdhsa_next_free_vgpr 69
		.amdhsa_next_free_sgpr 53
		.amdhsa_accum_offset 72
		.amdhsa_reserve_vcc 1
		.amdhsa_float_round_mode_32 0
		.amdhsa_float_round_mode_16_64 0
		.amdhsa_float_denorm_mode_32 3
		.amdhsa_float_denorm_mode_16_64 3
		.amdhsa_dx10_clamp 1
		.amdhsa_ieee_mode 1
		.amdhsa_fp16_overflow 0
		.amdhsa_tg_split 0
		.amdhsa_exception_fp_ieee_invalid_op 0
		.amdhsa_exception_fp_denorm_src 0
		.amdhsa_exception_fp_ieee_div_zero 0
		.amdhsa_exception_fp_ieee_overflow 0
		.amdhsa_exception_fp_ieee_underflow 0
		.amdhsa_exception_fp_ieee_inexact 0
		.amdhsa_exception_int_div_zero 0
	.end_amdhsa_kernel
	.section	.text._ZL20rocblas_gemvn_kernelILi64ELi16El19rocblas_complex_numIfES1_S1_EviiT3_lPKT2_lT1_lS5_lS6_lS2_lPT4_lS6_li,"axG",@progbits,_ZL20rocblas_gemvn_kernelILi64ELi16El19rocblas_complex_numIfES1_S1_EviiT3_lPKT2_lT1_lS5_lS6_lS2_lPT4_lS6_li,comdat
.Lfunc_end115:
	.size	_ZL20rocblas_gemvn_kernelILi64ELi16El19rocblas_complex_numIfES1_S1_EviiT3_lPKT2_lT1_lS5_lS6_lS2_lPT4_lS6_li, .Lfunc_end115-_ZL20rocblas_gemvn_kernelILi64ELi16El19rocblas_complex_numIfES1_S1_EviiT3_lPKT2_lT1_lS5_lS6_lS2_lPT4_lS6_li
                                        ; -- End function
	.section	.AMDGPU.csdata,"",@progbits
; Kernel info:
; codeLenInByte = 3628
; NumSgprs: 59
; NumVgprs: 69
; NumAgprs: 0
; TotalNumVgprs: 69
; ScratchSize: 0
; MemoryBound: 0
; FloatMode: 240
; IeeeMode: 1
; LDSByteSize: 32768 bytes/workgroup (compile time only)
; SGPRBlocks: 7
; VGPRBlocks: 8
; NumSGPRsForWavesPerEU: 59
; NumVGPRsForWavesPerEU: 69
; AccumOffset: 72
; Occupancy: 7
; WaveLimiterHint : 1
; COMPUTE_PGM_RSRC2:SCRATCH_EN: 0
; COMPUTE_PGM_RSRC2:USER_SGPR: 2
; COMPUTE_PGM_RSRC2:TRAP_HANDLER: 0
; COMPUTE_PGM_RSRC2:TGID_X_EN: 1
; COMPUTE_PGM_RSRC2:TGID_Y_EN: 0
; COMPUTE_PGM_RSRC2:TGID_Z_EN: 1
; COMPUTE_PGM_RSRC2:TIDIG_COMP_CNT: 1
; COMPUTE_PGM_RSRC3_GFX90A:ACCUM_OFFSET: 17
; COMPUTE_PGM_RSRC3_GFX90A:TG_SPLIT: 0
	.section	.text._ZL22rocblas_gemvtsm_kernelILb0ELi256E19rocblas_complex_numIfEPKS1_S1_EviiT2_lPKT1_lilS7_lilS4_lPT3_lil,"axG",@progbits,_ZL22rocblas_gemvtsm_kernelILb0ELi256E19rocblas_complex_numIfEPKS1_S1_EviiT2_lPKT1_lilS7_lilS4_lPT3_lil,comdat
	.globl	_ZL22rocblas_gemvtsm_kernelILb0ELi256E19rocblas_complex_numIfEPKS1_S1_EviiT2_lPKT1_lilS7_lilS4_lPT3_lil ; -- Begin function _ZL22rocblas_gemvtsm_kernelILb0ELi256E19rocblas_complex_numIfEPKS1_S1_EviiT2_lPKT1_lilS7_lilS4_lPT3_lil
	.p2align	8
	.type	_ZL22rocblas_gemvtsm_kernelILb0ELi256E19rocblas_complex_numIfEPKS1_S1_EviiT2_lPKT1_lilS7_lilS4_lPT3_lil,@function
_ZL22rocblas_gemvtsm_kernelILb0ELi256E19rocblas_complex_numIfEPKS1_S1_EviiT2_lPKT1_lilS7_lilS4_lPT3_lil: ; @_ZL22rocblas_gemvtsm_kernelILb0ELi256E19rocblas_complex_numIfEPKS1_S1_EviiT2_lPKT1_lilS7_lilS4_lPT3_lil
; %bb.0:
	s_load_dwordx8 s[4:11], s[0:1], 0x8
	s_load_dwordx8 s[12:19], s[0:1], 0x50
	s_waitcnt lgkmcnt(0)
	s_mul_i32 s3, s2, s7
	s_mul_hi_u32 s7, s2, s6
	s_add_i32 s7, s7, s3
	s_mul_i32 s6, s2, s6
	s_lshl_b64 s[6:7], s[6:7], 3
	s_add_u32 s4, s4, s6
	s_addc_u32 s5, s5, s7
	s_load_dwordx2 s[22:23], s[4:5], 0x0
	s_mul_i32 s3, s2, s17
	s_mul_hi_u32 s4, s2, s16
	s_add_i32 s5, s4, s3
	s_mul_i32 s4, s2, s16
	s_lshl_b64 s[4:5], s[4:5], 3
	s_add_u32 s4, s14, s4
	s_addc_u32 s5, s15, s5
	s_load_dwordx2 s[14:15], s[4:5], 0x0
	s_waitcnt lgkmcnt(0)
	v_cmp_eq_f32_e64 s[4:5], s22, 0
	v_cmp_eq_f32_e64 s[6:7], s23, 0
	s_and_b64 s[4:5], s[4:5], s[6:7]
	v_cmp_eq_f32_e64 s[6:7], s14, 1.0
	v_cmp_eq_f32_e64 s[16:17], s15, 0
	s_and_b64 s[6:7], s[6:7], s[16:17]
	s_and_b64 s[4:5], s[4:5], s[6:7]
	s_and_b64 vcc, exec, s[4:5]
	s_cbranch_vccnz .LBB116_34
; %bb.1:
	s_load_dwordx2 s[4:5], s[0:1], 0x80
	s_load_dword s16, s[0:1], 0x78
	s_load_dwordx2 s[24:25], s[0:1], 0x70
	s_load_dwordx2 s[20:21], s[0:1], 0x0
	s_waitcnt lgkmcnt(0)
	s_mul_i32 s3, s2, s5
	s_mul_hi_u32 s5, s2, s4
	s_add_i32 s27, s5, s3
	s_or_b32 s3, s22, s23
	s_bitset0_b32 s3, 31
	s_mul_i32 s26, s2, s4
	s_cmp_lg_u32 s3, 0
	s_mov_b64 s[4:5], -1
	s_cbranch_scc1 .LBB116_16
; %bb.2:
	v_cmp_neq_f32_e64 s[4:5], s14, 0
	v_cmp_neq_f32_e64 s[6:7], s15, 0
	s_or_b64 s[28:29], s[4:5], s[6:7]
	s_cmp_gt_i32 s21, 0
	s_mov_b64 s[6:7], -1
	s_cselect_b64 s[4:5], -1, 0
	s_and_b64 vcc, exec, s[28:29]
	s_cbranch_vccnz .LBB116_9
; %bb.3:
	s_andn2_b64 vcc, exec, s[4:5]
	s_cbranch_vccnz .LBB116_8
; %bb.4:
	v_mad_i64_i32 v[2:3], s[28:29], s16, v0, 0
	s_ashr_i32 s17, s16, 31
	s_lshl_b64 s[6:7], s[26:27], 3
	s_lshl_b64 s[28:29], s[24:25], 3
	s_add_u32 s3, s18, s28
	s_addc_u32 s28, s19, s29
	s_add_u32 s6, s3, s6
	s_addc_u32 s7, s28, s7
	v_lshl_add_u64 v[2:3], v[2:3], 3, s[6:7]
	s_lshl_b64 s[6:7], s[16:17], 11
	s_mov_b32 s3, 0
	v_mov_b32_e32 v4, 0
	s_branch .LBB116_6
.LBB116_5:                              ;   in Loop: Header=BB116_6 Depth=1
	s_or_b64 exec, exec, s[28:29]
	s_addk_i32 s3, 0x100
	s_cmp_ge_i32 s3, s21
	v_lshl_add_u64 v[2:3], v[2:3], 0, s[6:7]
	s_cbranch_scc1 .LBB116_8
.LBB116_6:                              ; =>This Inner Loop Header: Depth=1
	v_add_u32_e32 v1, s3, v0
	v_cmp_gt_i32_e32 vcc, s21, v1
	s_and_saveexec_b64 s[28:29], vcc
	s_cbranch_execz .LBB116_5
; %bb.7:                                ;   in Loop: Header=BB116_6 Depth=1
	v_mov_b32_e32 v5, v4
	global_store_dwordx2 v[2:3], v[4:5], off
	s_branch .LBB116_5
.LBB116_8:
	s_mov_b64 s[6:7], 0
.LBB116_9:
	s_andn2_b64 vcc, exec, s[6:7]
	s_cbranch_vccnz .LBB116_15
; %bb.10:
	s_andn2_b64 vcc, exec, s[4:5]
	s_cbranch_vccnz .LBB116_15
; %bb.11:
	v_mad_i64_i32 v[2:3], s[6:7], s16, v0, 0
	s_ashr_i32 s17, s16, 31
	s_lshl_b64 s[4:5], s[26:27], 3
	s_lshl_b64 s[6:7], s[24:25], 3
	s_add_u32 s3, s18, s6
	s_addc_u32 s6, s19, s7
	s_add_u32 s4, s3, s4
	s_addc_u32 s5, s6, s5
	v_lshl_add_u64 v[2:3], v[2:3], 3, s[4:5]
	v_lshl_add_u64 v[2:3], v[2:3], 0, 4
	s_lshl_b64 s[4:5], s[16:17], 11
	s_mov_b32 s3, 0
	s_branch .LBB116_13
.LBB116_12:                             ;   in Loop: Header=BB116_13 Depth=1
	s_or_b64 exec, exec, s[6:7]
	s_addk_i32 s3, 0x100
	s_cmp_ge_i32 s3, s21
	v_lshl_add_u64 v[2:3], v[2:3], 0, s[4:5]
	s_cbranch_scc1 .LBB116_15
.LBB116_13:                             ; =>This Inner Loop Header: Depth=1
	v_add_u32_e32 v1, s3, v0
	v_cmp_gt_i32_e32 vcc, s21, v1
	s_and_saveexec_b64 s[6:7], vcc
	s_cbranch_execz .LBB116_12
; %bb.14:                               ;   in Loop: Header=BB116_13 Depth=1
	global_load_dwordx2 v[4:5], v[2:3], off offset:-4
	s_waitcnt vmcnt(0)
	v_mul_f32_e32 v1, s15, v5
	v_mul_f32_e32 v7, s14, v5
	v_fma_f32 v6, s14, v4, -v1
	v_fmac_f32_e32 v7, s15, v4
	global_store_dwordx2 v[2:3], v[6:7], off offset:-4
	s_branch .LBB116_12
.LBB116_15:
	s_mov_b64 s[4:5], 0
.LBB116_16:
	s_andn2_b64 vcc, exec, s[4:5]
	s_cbranch_vccnz .LBB116_34
; %bb.17:
	s_load_dwordx4 s[4:7], s[0:1], 0x30
	s_load_dwordx2 s[30:31], s[0:1], 0x40
	v_cmp_gt_i32_e32 vcc, s20, v0
	s_and_saveexec_b64 s[28:29], vcc
	s_cbranch_execz .LBB116_19
; %bb.18:
	s_mul_i32 s3, s2, s13
	s_mul_hi_u32 s13, s2, s12
	s_add_i32 s13, s13, s3
	s_mul_i32 s12, s2, s12
	s_lshl_b64 s[12:13], s[12:13], 3
	s_waitcnt lgkmcnt(0)
	s_add_u32 s3, s6, s12
	s_addc_u32 s12, s7, s13
	s_load_dword s13, s[0:1], 0x48
	s_lshl_b64 s[6:7], s[30:31], 3
	s_add_u32 s6, s3, s6
	s_addc_u32 s7, s12, s7
	s_waitcnt lgkmcnt(0)
	v_mad_i64_i32 v[2:3], s[12:13], s13, v0, 0
	v_lshl_add_u64 v[2:3], v[2:3], 3, s[6:7]
	global_load_dwordx2 v[2:3], v[2:3], off
	s_waitcnt vmcnt(0)
	v_mul_f32_e32 v1, s23, v3
	v_mul_f32_e32 v5, s22, v3
	v_fma_f32 v4, v2, s22, -v1
	v_fmac_f32_e32 v5, s23, v2
	v_lshlrev_b32_e32 v1, 3, v0
	ds_write_b64 v1, v[4:5]
.LBB116_19:
	s_or_b64 exec, exec, s[28:29]
	s_cmp_lt_i32 s21, 1
	s_waitcnt lgkmcnt(0)
	s_barrier
	s_cbranch_scc1 .LBB116_34
; %bb.20:
	s_load_dword s0, s[0:1], 0x28
	s_lshl_b64 s[6:7], s[26:27], 3
	s_add_u32 s3, s18, s6
	s_addc_u32 s1, s19, s7
	s_lshl_b64 s[6:7], s[24:25], 3
	s_add_u32 s6, s3, s6
	v_cmp_neq_f32_e64 s[18:19], s14, 0
	v_cmp_neq_f32_e64 s[22:23], s15, 0
	s_addc_u32 s7, s1, s7
	s_waitcnt lgkmcnt(0)
	s_ashr_i32 s1, s0, 31
	s_ashr_i32 s17, s16, 31
	s_or_b64 s[24:25], s[18:19], s[22:23]
	s_cmp_gt_i32 s20, 0
	s_cselect_b64 s[26:27], -1, 0
	s_and_b32 s23, s20, 7
	s_cmp_gt_u32 s20, 7
	s_cselect_b64 s[28:29], -1, 0
	s_and_b32 s20, s20, 0x7ffffff8
	s_cmp_lg_u32 s23, 0
	s_mul_i32 s3, s5, s2
	s_mul_hi_u32 s5, s4, s2
	s_cselect_b64 s[18:19], -1, 0
	s_add_i32 s3, s5, s3
	s_mul_i32 s2, s4, s2
	v_mad_i64_i32 v[2:3], s[4:5], s0, v0, 0
	s_lshl_b64 s[2:3], s[2:3], 3
	s_lshl_b64 s[4:5], s[10:11], 3
	s_add_u32 s4, s8, s4
	s_addc_u32 s5, s9, s5
	s_add_u32 s2, s4, s2
	s_addc_u32 s3, s5, s3
	v_lshl_add_u64 v[2:3], v[2:3], 3, s[2:3]
	v_cndmask_b32_e64 v1, 0, 1, s[24:25]
	v_cndmask_b32_e64 v6, 0, 1, s[26:27]
	;; [unrolled: 1-line block ×3, first 2 shown]
	s_mov_b32 s13, 0
	s_mov_b32 s22, s15
	v_lshl_add_u64 v[4:5], v[2:3], 0, 60
	s_lshl_b64 s[8:9], s[0:1], 11
	v_cmp_ne_u32_e64 s[0:1], 1, v1
	v_cmp_ne_u32_e64 s[2:3], 1, v6
	;; [unrolled: 1-line block ×3, first 2 shown]
	s_mov_b32 s24, 0
	s_branch .LBB116_23
.LBB116_21:                             ;   in Loop: Header=BB116_23 Depth=1
	global_store_dwordx2 v[6:7], v[8:9], off
.LBB116_22:                             ;   in Loop: Header=BB116_23 Depth=1
	s_or_b64 exec, exec, s[10:11]
	s_addk_i32 s24, 0x100
	v_lshl_add_u64 v[4:5], v[4:5], 0, s[8:9]
	s_cmp_ge_i32 s24, s21
	v_lshl_add_u64 v[2:3], v[2:3], 0, s[8:9]
	s_cbranch_scc1 .LBB116_34
.LBB116_23:                             ; =>This Loop Header: Depth=1
                                        ;     Child Loop BB116_29 Depth 2
                                        ;     Child Loop BB116_33 Depth 2
	v_add_u32_e32 v1, s24, v0
	v_cmp_gt_i32_e32 vcc, s21, v1
	s_and_saveexec_b64 s[10:11], vcc
	s_cbranch_execz .LBB116_22
; %bb.24:                               ;   in Loop: Header=BB116_23 Depth=1
	v_mad_u64_u32 v[6:7], s[26:27], v1, s16, 0
	v_mov_b32_e32 v8, v7
	v_mad_u64_u32 v[8:9], s[26:27], v1, s17, v[8:9]
	v_mov_b32_e32 v7, v8
	s_and_b64 vcc, exec, s[0:1]
	v_mov_b32_e32 v8, 0
	v_lshl_add_u64 v[6:7], v[6:7], 3, s[6:7]
	v_mov_b32_e32 v9, 0
	s_cbranch_vccnz .LBB116_26
; %bb.25:                               ;   in Loop: Header=BB116_23 Depth=1
	global_load_dwordx2 v[10:11], v[6:7], off
	s_waitcnt vmcnt(0)
	v_pk_mul_f32 v[12:13], s[14:15], v[10:11]
	v_mul_f32_e32 v9, s22, v10
	v_sub_f32_e32 v8, v12, v13
	v_fmac_f32_e32 v9, s14, v11
.LBB116_26:                             ;   in Loop: Header=BB116_23 Depth=1
	s_and_b64 vcc, exec, s[2:3]
	s_cbranch_vccnz .LBB116_21
; %bb.27:                               ;   in Loop: Header=BB116_23 Depth=1
	s_mov_b32 s12, 0
	s_and_b64 vcc, exec, s[4:5]
	s_cbranch_vccnz .LBB116_31
; %bb.28:                               ;   in Loop: Header=BB116_23 Depth=1
	s_mov_b32 s25, 0
	v_mov_b64_e32 v[10:11], v[4:5]
.LBB116_29:                             ;   Parent Loop BB116_23 Depth=1
                                        ; =>  This Inner Loop Header: Depth=2
	global_load_dwordx4 v[12:15], v[10:11], off offset:-60
	global_load_dwordx4 v[16:19], v[10:11], off offset:-44
	;; [unrolled: 1-line block ×4, first 2 shown]
	v_mov_b32_e32 v1, s12
	ds_read_b128 v[28:31], v1
	ds_read_b128 v[32:35], v1 offset:16
	ds_read_b128 v[36:39], v1 offset:32
	;; [unrolled: 1-line block ×3, first 2 shown]
	s_add_i32 s25, s25, 8
	s_add_i32 s12, s12, 64
	v_lshl_add_u64 v[10:11], v[10:11], 0, 64
	s_cmp_eq_u32 s20, s25
	s_waitcnt vmcnt(3) lgkmcnt(3)
	v_mul_f32_e32 v1, v13, v29
	v_mul_f32_e32 v29, v12, v29
	;; [unrolled: 1-line block ×4, first 2 shown]
	v_fma_f32 v1, v12, v28, -v1
	v_fmac_f32_e32 v29, v13, v28
	s_waitcnt vmcnt(2) lgkmcnt(2)
	v_mul_f32_e32 v45, v17, v33
	v_mul_f32_e32 v33, v16, v33
	v_fma_f32 v12, v14, v30, -v44
	v_fmac_f32_e32 v31, v15, v30
	v_add_f32_e32 v1, v8, v1
	v_add_f32_e32 v8, v9, v29
	v_mul_f32_e32 v46, v19, v35
	v_mul_f32_e32 v35, v18, v35
	v_fma_f32 v13, v16, v32, -v45
	v_fmac_f32_e32 v33, v17, v32
	v_add_f32_e32 v1, v1, v12
	v_add_f32_e32 v8, v8, v31
	s_waitcnt vmcnt(1) lgkmcnt(1)
	v_mul_f32_e32 v47, v21, v37
	v_mul_f32_e32 v37, v20, v37
	v_fma_f32 v14, v18, v34, -v46
	v_fmac_f32_e32 v35, v19, v34
	v_add_f32_e32 v1, v1, v13
	v_add_f32_e32 v8, v8, v33
	v_mul_f32_e32 v48, v23, v39
	v_mul_f32_e32 v39, v22, v39
	v_fma_f32 v15, v20, v36, -v47
	v_fmac_f32_e32 v37, v21, v36
	v_add_f32_e32 v1, v1, v14
	v_add_f32_e32 v8, v8, v35
	;; [unrolled: 13-line block ×3, first 2 shown]
	v_fma_f32 v18, v26, v42, -v50
	v_fmac_f32_e32 v43, v27, v42
	v_add_f32_e32 v1, v1, v17
	v_add_f32_e32 v9, v8, v41
	;; [unrolled: 1-line block ×4, first 2 shown]
	s_cbranch_scc0 .LBB116_29
; %bb.30:                               ;   in Loop: Header=BB116_23 Depth=1
	s_mov_b32 s12, s20
.LBB116_31:                             ;   in Loop: Header=BB116_23 Depth=1
	s_andn2_b64 vcc, exec, s[18:19]
	s_cbranch_vccnz .LBB116_21
; %bb.32:                               ;   in Loop: Header=BB116_23 Depth=1
	s_lshl_b32 s25, s12, 3
	v_lshl_add_u64 v[10:11], s[12:13], 3, v[2:3]
	s_mov_b32 s12, s23
.LBB116_33:                             ;   Parent Loop BB116_23 Depth=1
                                        ; =>  This Inner Loop Header: Depth=2
	global_load_dwordx2 v[12:13], v[10:11], off
	v_mov_b32_e32 v1, s25
	ds_read_b64 v[14:15], v1
	s_add_i32 s25, s25, 8
	s_add_i32 s12, s12, -1
	v_lshl_add_u64 v[10:11], v[10:11], 0, 8
	s_cmp_lg_u32 s12, 0
	s_waitcnt vmcnt(0) lgkmcnt(0)
	v_mul_f32_e32 v1, v13, v15
	v_mul_f32_e32 v15, v12, v15
	v_fma_f32 v1, v12, v14, -v1
	v_fmac_f32_e32 v15, v13, v14
	v_add_f32_e32 v8, v8, v1
	v_add_f32_e32 v9, v9, v15
	s_cbranch_scc1 .LBB116_33
	s_branch .LBB116_21
.LBB116_34:
	s_endpgm
	.section	.rodata,"a",@progbits
	.p2align	6, 0x0
	.amdhsa_kernel _ZL22rocblas_gemvtsm_kernelILb0ELi256E19rocblas_complex_numIfEPKS1_S1_EviiT2_lPKT1_lilS7_lilS4_lPT3_lil
		.amdhsa_group_segment_fixed_size 512
		.amdhsa_private_segment_fixed_size 0
		.amdhsa_kernarg_size 136
		.amdhsa_user_sgpr_count 2
		.amdhsa_user_sgpr_dispatch_ptr 0
		.amdhsa_user_sgpr_queue_ptr 0
		.amdhsa_user_sgpr_kernarg_segment_ptr 1
		.amdhsa_user_sgpr_dispatch_id 0
		.amdhsa_user_sgpr_kernarg_preload_length 0
		.amdhsa_user_sgpr_kernarg_preload_offset 0
		.amdhsa_user_sgpr_private_segment_size 0
		.amdhsa_uses_dynamic_stack 0
		.amdhsa_enable_private_segment 0
		.amdhsa_system_sgpr_workgroup_id_x 1
		.amdhsa_system_sgpr_workgroup_id_y 0
		.amdhsa_system_sgpr_workgroup_id_z 0
		.amdhsa_system_sgpr_workgroup_info 0
		.amdhsa_system_vgpr_workitem_id 0
		.amdhsa_next_free_vgpr 51
		.amdhsa_next_free_sgpr 32
		.amdhsa_accum_offset 52
		.amdhsa_reserve_vcc 1
		.amdhsa_float_round_mode_32 0
		.amdhsa_float_round_mode_16_64 0
		.amdhsa_float_denorm_mode_32 3
		.amdhsa_float_denorm_mode_16_64 3
		.amdhsa_dx10_clamp 1
		.amdhsa_ieee_mode 1
		.amdhsa_fp16_overflow 0
		.amdhsa_tg_split 0
		.amdhsa_exception_fp_ieee_invalid_op 0
		.amdhsa_exception_fp_denorm_src 0
		.amdhsa_exception_fp_ieee_div_zero 0
		.amdhsa_exception_fp_ieee_overflow 0
		.amdhsa_exception_fp_ieee_underflow 0
		.amdhsa_exception_fp_ieee_inexact 0
		.amdhsa_exception_int_div_zero 0
	.end_amdhsa_kernel
	.section	.text._ZL22rocblas_gemvtsm_kernelILb0ELi256E19rocblas_complex_numIfEPKS1_S1_EviiT2_lPKT1_lilS7_lilS4_lPT3_lil,"axG",@progbits,_ZL22rocblas_gemvtsm_kernelILb0ELi256E19rocblas_complex_numIfEPKS1_S1_EviiT2_lPKT1_lilS7_lilS4_lPT3_lil,comdat
.Lfunc_end116:
	.size	_ZL22rocblas_gemvtsm_kernelILb0ELi256E19rocblas_complex_numIfEPKS1_S1_EviiT2_lPKT1_lilS7_lilS4_lPT3_lil, .Lfunc_end116-_ZL22rocblas_gemvtsm_kernelILb0ELi256E19rocblas_complex_numIfEPKS1_S1_EviiT2_lPKT1_lilS7_lilS4_lPT3_lil
                                        ; -- End function
	.section	.AMDGPU.csdata,"",@progbits
; Kernel info:
; codeLenInByte = 1568
; NumSgprs: 38
; NumVgprs: 51
; NumAgprs: 0
; TotalNumVgprs: 51
; ScratchSize: 0
; MemoryBound: 0
; FloatMode: 240
; IeeeMode: 1
; LDSByteSize: 512 bytes/workgroup (compile time only)
; SGPRBlocks: 4
; VGPRBlocks: 6
; NumSGPRsForWavesPerEU: 38
; NumVGPRsForWavesPerEU: 51
; AccumOffset: 52
; Occupancy: 8
; WaveLimiterHint : 1
; COMPUTE_PGM_RSRC2:SCRATCH_EN: 0
; COMPUTE_PGM_RSRC2:USER_SGPR: 2
; COMPUTE_PGM_RSRC2:TRAP_HANDLER: 0
; COMPUTE_PGM_RSRC2:TGID_X_EN: 1
; COMPUTE_PGM_RSRC2:TGID_Y_EN: 0
; COMPUTE_PGM_RSRC2:TGID_Z_EN: 0
; COMPUTE_PGM_RSRC2:TIDIG_COMP_CNT: 0
; COMPUTE_PGM_RSRC3_GFX90A:ACCUM_OFFSET: 12
; COMPUTE_PGM_RSRC3_GFX90A:TG_SPLIT: 0
	.section	.text._ZL22rocblas_gemvtsm_kernelILb0ELi256E19rocblas_complex_numIfES1_S1_EviiT2_lPKT1_lilS5_lilS2_lPT3_lil,"axG",@progbits,_ZL22rocblas_gemvtsm_kernelILb0ELi256E19rocblas_complex_numIfES1_S1_EviiT2_lPKT1_lilS5_lilS2_lPT3_lil,comdat
	.globl	_ZL22rocblas_gemvtsm_kernelILb0ELi256E19rocblas_complex_numIfES1_S1_EviiT2_lPKT1_lilS5_lilS2_lPT3_lil ; -- Begin function _ZL22rocblas_gemvtsm_kernelILb0ELi256E19rocblas_complex_numIfES1_S1_EviiT2_lPKT1_lilS5_lilS2_lPT3_lil
	.p2align	8
	.type	_ZL22rocblas_gemvtsm_kernelILb0ELi256E19rocblas_complex_numIfES1_S1_EviiT2_lPKT1_lilS5_lilS2_lPT3_lil,@function
_ZL22rocblas_gemvtsm_kernelILb0ELi256E19rocblas_complex_numIfES1_S1_EviiT2_lPKT1_lilS5_lilS2_lPT3_lil: ; @_ZL22rocblas_gemvtsm_kernelILb0ELi256E19rocblas_complex_numIfES1_S1_EviiT2_lPKT1_lilS5_lilS2_lPT3_lil
; %bb.0:
	s_load_dwordx4 s[8:11], s[0:1], 0x0
	s_load_dwordx2 s[16:17], s[0:1], 0x58
	s_waitcnt lgkmcnt(0)
	v_cmp_eq_f32_e64 s[4:5], s10, 0
	v_cmp_eq_f32_e64 s[6:7], s11, 0
	s_and_b64 s[4:5], s[4:5], s[6:7]
	v_cmp_eq_f32_e64 s[6:7], s16, 1.0
	v_cmp_eq_f32_e64 s[12:13], s17, 0
	s_and_b64 s[6:7], s[6:7], s[12:13]
	s_and_b64 s[4:5], s[4:5], s[6:7]
	s_and_b64 vcc, exec, s[4:5]
	s_cbranch_vccnz .LBB117_34
; %bb.1:
	s_load_dwordx2 s[12:13], s[0:1], 0x80
	s_load_dwordx4 s[4:7], s[0:1], 0x68
	s_load_dword s18, s[0:1], 0x78
	s_waitcnt lgkmcnt(0)
	s_mul_i32 s3, s2, s13
	s_mul_hi_u32 s13, s2, s12
	s_add_i32 s21, s13, s3
	s_or_b32 s3, s10, s11
	s_bitset0_b32 s3, 31
	s_mul_i32 s20, s2, s12
	s_cmp_lg_u32 s3, 0
	s_mov_b64 s[12:13], -1
	s_cbranch_scc1 .LBB117_16
; %bb.2:
	v_cmp_neq_f32_e64 s[12:13], s16, 0
	v_cmp_neq_f32_e64 s[14:15], s17, 0
	s_or_b64 s[22:23], s[12:13], s[14:15]
	s_cmp_gt_i32 s9, 0
	s_mov_b64 s[14:15], -1
	s_cselect_b64 s[12:13], -1, 0
	s_and_b64 vcc, exec, s[22:23]
	s_cbranch_vccnz .LBB117_9
; %bb.3:
	s_andn2_b64 vcc, exec, s[12:13]
	s_cbranch_vccnz .LBB117_8
; %bb.4:
	v_mad_i64_i32 v[2:3], s[22:23], s18, v0, 0
	s_ashr_i32 s19, s18, 31
	s_lshl_b64 s[14:15], s[20:21], 3
	s_lshl_b64 s[22:23], s[6:7], 3
	s_add_u32 s3, s4, s22
	s_addc_u32 s22, s5, s23
	s_add_u32 s14, s3, s14
	s_addc_u32 s15, s22, s15
	v_lshl_add_u64 v[2:3], v[2:3], 3, s[14:15]
	s_lshl_b64 s[14:15], s[18:19], 11
	s_mov_b32 s3, 0
	v_mov_b32_e32 v4, 0
	s_branch .LBB117_6
.LBB117_5:                              ;   in Loop: Header=BB117_6 Depth=1
	s_or_b64 exec, exec, s[22:23]
	s_addk_i32 s3, 0x100
	s_cmp_ge_i32 s3, s9
	v_lshl_add_u64 v[2:3], v[2:3], 0, s[14:15]
	s_cbranch_scc1 .LBB117_8
.LBB117_6:                              ; =>This Inner Loop Header: Depth=1
	v_add_u32_e32 v1, s3, v0
	v_cmp_gt_i32_e32 vcc, s9, v1
	s_and_saveexec_b64 s[22:23], vcc
	s_cbranch_execz .LBB117_5
; %bb.7:                                ;   in Loop: Header=BB117_6 Depth=1
	v_mov_b32_e32 v5, v4
	global_store_dwordx2 v[2:3], v[4:5], off
	s_branch .LBB117_5
.LBB117_8:
	s_mov_b64 s[14:15], 0
.LBB117_9:
	s_andn2_b64 vcc, exec, s[14:15]
	s_cbranch_vccnz .LBB117_15
; %bb.10:
	s_andn2_b64 vcc, exec, s[12:13]
	s_cbranch_vccnz .LBB117_15
; %bb.11:
	v_mad_i64_i32 v[2:3], s[14:15], s18, v0, 0
	s_ashr_i32 s19, s18, 31
	s_lshl_b64 s[12:13], s[20:21], 3
	s_lshl_b64 s[14:15], s[6:7], 3
	s_add_u32 s3, s4, s14
	s_addc_u32 s14, s5, s15
	s_add_u32 s12, s3, s12
	s_addc_u32 s13, s14, s13
	v_lshl_add_u64 v[2:3], v[2:3], 3, s[12:13]
	v_lshl_add_u64 v[2:3], v[2:3], 0, 4
	s_lshl_b64 s[12:13], s[18:19], 11
	s_mov_b32 s3, 0
	s_branch .LBB117_13
.LBB117_12:                             ;   in Loop: Header=BB117_13 Depth=1
	s_or_b64 exec, exec, s[14:15]
	s_addk_i32 s3, 0x100
	s_cmp_ge_i32 s3, s9
	v_lshl_add_u64 v[2:3], v[2:3], 0, s[12:13]
	s_cbranch_scc1 .LBB117_15
.LBB117_13:                             ; =>This Inner Loop Header: Depth=1
	v_add_u32_e32 v1, s3, v0
	v_cmp_gt_i32_e32 vcc, s9, v1
	s_and_saveexec_b64 s[14:15], vcc
	s_cbranch_execz .LBB117_12
; %bb.14:                               ;   in Loop: Header=BB117_13 Depth=1
	global_load_dwordx2 v[4:5], v[2:3], off offset:-4
	s_waitcnt vmcnt(0)
	v_mul_f32_e32 v1, s17, v5
	v_mul_f32_e32 v7, s16, v5
	v_fma_f32 v6, s16, v4, -v1
	v_fmac_f32_e32 v7, s17, v4
	global_store_dwordx2 v[2:3], v[6:7], off offset:-4
	s_branch .LBB117_12
.LBB117_15:
	s_mov_b64 s[12:13], 0
.LBB117_16:
	s_andn2_b64 vcc, exec, s[12:13]
	s_cbranch_vccnz .LBB117_34
; %bb.17:
	s_load_dwordx4 s[12:15], s[0:1], 0x30
	s_load_dwordx2 s[24:25], s[0:1], 0x40
	v_cmp_gt_i32_e32 vcc, s8, v0
	s_and_saveexec_b64 s[22:23], vcc
	s_cbranch_execz .LBB117_19
; %bb.18:
	s_load_dwordx2 s[26:27], s[0:1], 0x50
	s_load_dword s3, s[0:1], 0x48
	s_waitcnt lgkmcnt(0)
	s_mul_i32 s19, s2, s27
	s_mul_hi_u32 s27, s2, s26
	s_mul_i32 s26, s2, s26
	s_add_i32 s27, s27, s19
	s_lshl_b64 s[26:27], s[26:27], 3
	s_add_u32 s19, s14, s26
	s_addc_u32 s26, s15, s27
	s_lshl_b64 s[14:15], s[24:25], 3
	s_add_u32 s14, s19, s14
	s_addc_u32 s15, s26, s15
	v_mad_i64_i32 v[2:3], s[24:25], s3, v0, 0
	v_lshl_add_u64 v[2:3], v[2:3], 3, s[14:15]
	global_load_dwordx2 v[2:3], v[2:3], off
	s_waitcnt vmcnt(0)
	v_mul_f32_e32 v1, s11, v3
	v_mul_f32_e32 v5, s10, v3
	v_fma_f32 v4, v2, s10, -v1
	v_fmac_f32_e32 v5, s11, v2
	v_lshlrev_b32_e32 v1, 3, v0
	ds_write_b64 v1, v[4:5]
.LBB117_19:
	s_or_b64 exec, exec, s[22:23]
	s_cmp_lt_i32 s9, 1
	s_waitcnt lgkmcnt(0)
	s_barrier
	s_cbranch_scc1 .LBB117_34
; %bb.20:
	s_lshl_b64 s[10:11], s[20:21], 3
	s_add_u32 s3, s4, s10
	s_load_dwordx4 s[24:27], s[0:1], 0x18
	s_load_dword s4, s[0:1], 0x28
	s_addc_u32 s5, s5, s11
	s_lshl_b64 s[0:1], s[6:7], 3
	s_add_u32 s6, s3, s0
	s_addc_u32 s7, s5, s1
	v_cmp_neq_f32_e64 s[0:1], s16, 0
	v_cmp_neq_f32_e64 s[14:15], s17, 0
	s_waitcnt lgkmcnt(0)
	s_ashr_i32 s5, s4, 31
	s_ashr_i32 s19, s18, 31
	s_or_b64 s[0:1], s[0:1], s[14:15]
	s_cmp_gt_i32 s8, 0
	s_cselect_b64 s[20:21], -1, 0
	s_and_b32 s23, s8, 7
	s_cmp_gt_u32 s8, 7
	s_cselect_b64 s[28:29], -1, 0
	s_and_b32 s8, s8, 0x7ffffff8
	s_cmp_lg_u32 s23, 0
	s_mul_i32 s3, s13, s2
	s_mul_hi_u32 s10, s12, s2
	s_cselect_b64 s[14:15], -1, 0
	s_add_i32 s3, s10, s3
	s_mul_i32 s2, s12, s2
	v_mad_i64_i32 v[2:3], s[12:13], s4, v0, 0
	s_lshl_b64 s[2:3], s[2:3], 3
	s_lshl_b64 s[12:13], s[26:27], 3
	s_add_u32 s10, s24, s12
	s_addc_u32 s12, s25, s13
	s_add_u32 s2, s10, s2
	s_addc_u32 s3, s12, s3
	v_lshl_add_u64 v[2:3], v[2:3], 3, s[2:3]
	v_cndmask_b32_e64 v1, 0, 1, s[0:1]
	v_cndmask_b32_e64 v6, 0, 1, s[20:21]
	v_cndmask_b32_e64 v7, 0, 1, s[28:29]
	s_mov_b32 s11, 0
	s_mov_b32 s22, s17
	v_lshl_add_u64 v[4:5], v[2:3], 0, 60
	s_lshl_b64 s[12:13], s[4:5], 11
	v_cmp_ne_u32_e64 s[0:1], 1, v7
	v_cmp_ne_u32_e64 s[2:3], 1, v1
	;; [unrolled: 1-line block ×3, first 2 shown]
	s_mov_b32 s24, 0
	s_branch .LBB117_23
.LBB117_21:                             ;   in Loop: Header=BB117_23 Depth=1
	global_store_dwordx2 v[6:7], v[8:9], off
.LBB117_22:                             ;   in Loop: Header=BB117_23 Depth=1
	s_or_b64 exec, exec, s[20:21]
	s_addk_i32 s24, 0x100
	v_lshl_add_u64 v[4:5], v[4:5], 0, s[12:13]
	s_cmp_ge_i32 s24, s9
	v_lshl_add_u64 v[2:3], v[2:3], 0, s[12:13]
	s_cbranch_scc1 .LBB117_34
.LBB117_23:                             ; =>This Loop Header: Depth=1
                                        ;     Child Loop BB117_29 Depth 2
                                        ;     Child Loop BB117_33 Depth 2
	v_add_u32_e32 v1, s24, v0
	v_cmp_gt_i32_e32 vcc, s9, v1
	s_and_saveexec_b64 s[20:21], vcc
	s_cbranch_execz .LBB117_22
; %bb.24:                               ;   in Loop: Header=BB117_23 Depth=1
	v_mad_u64_u32 v[6:7], s[26:27], v1, s18, 0
	v_mov_b32_e32 v8, v7
	v_mad_u64_u32 v[8:9], s[26:27], v1, s19, v[8:9]
	v_mov_b32_e32 v7, v8
	s_and_b64 vcc, exec, s[2:3]
	v_mov_b32_e32 v8, 0
	v_lshl_add_u64 v[6:7], v[6:7], 3, s[6:7]
	v_mov_b32_e32 v9, 0
	s_cbranch_vccnz .LBB117_26
; %bb.25:                               ;   in Loop: Header=BB117_23 Depth=1
	global_load_dwordx2 v[10:11], v[6:7], off
	s_waitcnt vmcnt(0)
	v_pk_mul_f32 v[12:13], s[16:17], v[10:11]
	v_mul_f32_e32 v9, s22, v10
	v_sub_f32_e32 v8, v12, v13
	v_fmac_f32_e32 v9, s16, v11
.LBB117_26:                             ;   in Loop: Header=BB117_23 Depth=1
	s_and_b64 vcc, exec, s[4:5]
	s_cbranch_vccnz .LBB117_21
; %bb.27:                               ;   in Loop: Header=BB117_23 Depth=1
	s_mov_b32 s10, 0
	s_and_b64 vcc, exec, s[0:1]
	s_cbranch_vccnz .LBB117_31
; %bb.28:                               ;   in Loop: Header=BB117_23 Depth=1
	s_mov_b32 s25, 0
	v_mov_b64_e32 v[10:11], v[4:5]
.LBB117_29:                             ;   Parent Loop BB117_23 Depth=1
                                        ; =>  This Inner Loop Header: Depth=2
	global_load_dwordx4 v[12:15], v[10:11], off offset:-60
	global_load_dwordx4 v[16:19], v[10:11], off offset:-44
	;; [unrolled: 1-line block ×4, first 2 shown]
	v_mov_b32_e32 v1, s10
	ds_read_b128 v[28:31], v1
	ds_read_b128 v[32:35], v1 offset:16
	ds_read_b128 v[36:39], v1 offset:32
	;; [unrolled: 1-line block ×3, first 2 shown]
	s_add_i32 s25, s25, 8
	s_add_i32 s10, s10, 64
	v_lshl_add_u64 v[10:11], v[10:11], 0, 64
	s_cmp_eq_u32 s8, s25
	s_waitcnt vmcnt(3) lgkmcnt(3)
	v_mul_f32_e32 v1, v13, v29
	v_mul_f32_e32 v29, v12, v29
	;; [unrolled: 1-line block ×4, first 2 shown]
	v_fma_f32 v1, v12, v28, -v1
	v_fmac_f32_e32 v29, v13, v28
	s_waitcnt vmcnt(2) lgkmcnt(2)
	v_mul_f32_e32 v45, v17, v33
	v_mul_f32_e32 v33, v16, v33
	v_fma_f32 v12, v14, v30, -v44
	v_fmac_f32_e32 v31, v15, v30
	v_add_f32_e32 v1, v8, v1
	v_add_f32_e32 v8, v9, v29
	v_mul_f32_e32 v46, v19, v35
	v_mul_f32_e32 v35, v18, v35
	v_fma_f32 v13, v16, v32, -v45
	v_fmac_f32_e32 v33, v17, v32
	v_add_f32_e32 v1, v1, v12
	v_add_f32_e32 v8, v8, v31
	s_waitcnt vmcnt(1) lgkmcnt(1)
	v_mul_f32_e32 v47, v21, v37
	v_mul_f32_e32 v37, v20, v37
	v_fma_f32 v14, v18, v34, -v46
	v_fmac_f32_e32 v35, v19, v34
	v_add_f32_e32 v1, v1, v13
	v_add_f32_e32 v8, v8, v33
	v_mul_f32_e32 v48, v23, v39
	v_mul_f32_e32 v39, v22, v39
	v_fma_f32 v15, v20, v36, -v47
	v_fmac_f32_e32 v37, v21, v36
	v_add_f32_e32 v1, v1, v14
	v_add_f32_e32 v8, v8, v35
	;; [unrolled: 13-line block ×3, first 2 shown]
	v_fma_f32 v18, v26, v42, -v50
	v_fmac_f32_e32 v43, v27, v42
	v_add_f32_e32 v1, v1, v17
	v_add_f32_e32 v9, v8, v41
	;; [unrolled: 1-line block ×4, first 2 shown]
	s_cbranch_scc0 .LBB117_29
; %bb.30:                               ;   in Loop: Header=BB117_23 Depth=1
	s_mov_b32 s10, s8
.LBB117_31:                             ;   in Loop: Header=BB117_23 Depth=1
	s_andn2_b64 vcc, exec, s[14:15]
	s_cbranch_vccnz .LBB117_21
; %bb.32:                               ;   in Loop: Header=BB117_23 Depth=1
	s_lshl_b32 s25, s10, 3
	v_lshl_add_u64 v[10:11], s[10:11], 3, v[2:3]
	s_mov_b32 s10, s23
.LBB117_33:                             ;   Parent Loop BB117_23 Depth=1
                                        ; =>  This Inner Loop Header: Depth=2
	global_load_dwordx2 v[12:13], v[10:11], off
	v_mov_b32_e32 v1, s25
	ds_read_b64 v[14:15], v1
	s_add_i32 s25, s25, 8
	s_add_i32 s10, s10, -1
	v_lshl_add_u64 v[10:11], v[10:11], 0, 8
	s_cmp_lg_u32 s10, 0
	s_waitcnt vmcnt(0) lgkmcnt(0)
	v_mul_f32_e32 v1, v13, v15
	v_mul_f32_e32 v15, v12, v15
	v_fma_f32 v1, v12, v14, -v1
	v_fmac_f32_e32 v15, v13, v14
	v_add_f32_e32 v8, v8, v1
	v_add_f32_e32 v9, v9, v15
	s_cbranch_scc1 .LBB117_33
	s_branch .LBB117_21
.LBB117_34:
	s_endpgm
	.section	.rodata,"a",@progbits
	.p2align	6, 0x0
	.amdhsa_kernel _ZL22rocblas_gemvtsm_kernelILb0ELi256E19rocblas_complex_numIfES1_S1_EviiT2_lPKT1_lilS5_lilS2_lPT3_lil
		.amdhsa_group_segment_fixed_size 512
		.amdhsa_private_segment_fixed_size 0
		.amdhsa_kernarg_size 136
		.amdhsa_user_sgpr_count 2
		.amdhsa_user_sgpr_dispatch_ptr 0
		.amdhsa_user_sgpr_queue_ptr 0
		.amdhsa_user_sgpr_kernarg_segment_ptr 1
		.amdhsa_user_sgpr_dispatch_id 0
		.amdhsa_user_sgpr_kernarg_preload_length 0
		.amdhsa_user_sgpr_kernarg_preload_offset 0
		.amdhsa_user_sgpr_private_segment_size 0
		.amdhsa_uses_dynamic_stack 0
		.amdhsa_enable_private_segment 0
		.amdhsa_system_sgpr_workgroup_id_x 1
		.amdhsa_system_sgpr_workgroup_id_y 0
		.amdhsa_system_sgpr_workgroup_id_z 0
		.amdhsa_system_sgpr_workgroup_info 0
		.amdhsa_system_vgpr_workitem_id 0
		.amdhsa_next_free_vgpr 51
		.amdhsa_next_free_sgpr 30
		.amdhsa_accum_offset 52
		.amdhsa_reserve_vcc 1
		.amdhsa_float_round_mode_32 0
		.amdhsa_float_round_mode_16_64 0
		.amdhsa_float_denorm_mode_32 3
		.amdhsa_float_denorm_mode_16_64 3
		.amdhsa_dx10_clamp 1
		.amdhsa_ieee_mode 1
		.amdhsa_fp16_overflow 0
		.amdhsa_tg_split 0
		.amdhsa_exception_fp_ieee_invalid_op 0
		.amdhsa_exception_fp_denorm_src 0
		.amdhsa_exception_fp_ieee_div_zero 0
		.amdhsa_exception_fp_ieee_overflow 0
		.amdhsa_exception_fp_ieee_underflow 0
		.amdhsa_exception_fp_ieee_inexact 0
		.amdhsa_exception_int_div_zero 0
	.end_amdhsa_kernel
	.section	.text._ZL22rocblas_gemvtsm_kernelILb0ELi256E19rocblas_complex_numIfES1_S1_EviiT2_lPKT1_lilS5_lilS2_lPT3_lil,"axG",@progbits,_ZL22rocblas_gemvtsm_kernelILb0ELi256E19rocblas_complex_numIfES1_S1_EviiT2_lPKT1_lilS5_lilS2_lPT3_lil,comdat
.Lfunc_end117:
	.size	_ZL22rocblas_gemvtsm_kernelILb0ELi256E19rocblas_complex_numIfES1_S1_EviiT2_lPKT1_lilS5_lilS2_lPT3_lil, .Lfunc_end117-_ZL22rocblas_gemvtsm_kernelILb0ELi256E19rocblas_complex_numIfES1_S1_EviiT2_lPKT1_lilS5_lilS2_lPT3_lil
                                        ; -- End function
	.section	.AMDGPU.csdata,"",@progbits
; Kernel info:
; codeLenInByte = 1496
; NumSgprs: 36
; NumVgprs: 51
; NumAgprs: 0
; TotalNumVgprs: 51
; ScratchSize: 0
; MemoryBound: 0
; FloatMode: 240
; IeeeMode: 1
; LDSByteSize: 512 bytes/workgroup (compile time only)
; SGPRBlocks: 4
; VGPRBlocks: 6
; NumSGPRsForWavesPerEU: 36
; NumVGPRsForWavesPerEU: 51
; AccumOffset: 52
; Occupancy: 8
; WaveLimiterHint : 1
; COMPUTE_PGM_RSRC2:SCRATCH_EN: 0
; COMPUTE_PGM_RSRC2:USER_SGPR: 2
; COMPUTE_PGM_RSRC2:TRAP_HANDLER: 0
; COMPUTE_PGM_RSRC2:TGID_X_EN: 1
; COMPUTE_PGM_RSRC2:TGID_Y_EN: 0
; COMPUTE_PGM_RSRC2:TGID_Z_EN: 0
; COMPUTE_PGM_RSRC2:TIDIG_COMP_CNT: 0
; COMPUTE_PGM_RSRC3_GFX90A:ACCUM_OFFSET: 12
; COMPUTE_PGM_RSRC3_GFX90A:TG_SPLIT: 0
	.section	.text._ZL23rocblas_gemvt_sn_kernelILb0ELi256ELi4Ei19rocblas_complex_numIfEPKS1_S1_EviiT4_lPKT3_lilS7_lilPT5_i,"axG",@progbits,_ZL23rocblas_gemvt_sn_kernelILb0ELi256ELi4Ei19rocblas_complex_numIfEPKS1_S1_EviiT4_lPKT3_lilS7_lilPT5_i,comdat
	.globl	_ZL23rocblas_gemvt_sn_kernelILb0ELi256ELi4Ei19rocblas_complex_numIfEPKS1_S1_EviiT4_lPKT3_lilS7_lilPT5_i ; -- Begin function _ZL23rocblas_gemvt_sn_kernelILb0ELi256ELi4Ei19rocblas_complex_numIfEPKS1_S1_EviiT4_lPKT3_lilS7_lilPT5_i
	.p2align	8
	.type	_ZL23rocblas_gemvt_sn_kernelILb0ELi256ELi4Ei19rocblas_complex_numIfEPKS1_S1_EviiT4_lPKT3_lilS7_lilPT5_i,@function
_ZL23rocblas_gemvt_sn_kernelILb0ELi256ELi4Ei19rocblas_complex_numIfEPKS1_S1_EviiT4_lPKT3_lilS7_lilPT5_i: ; @_ZL23rocblas_gemvt_sn_kernelILb0ELi256ELi4Ei19rocblas_complex_numIfEPKS1_S1_EviiT4_lPKT3_lilS7_lilPT5_i
; %bb.0:
	s_load_dwordx8 s[12:19], s[0:1], 0x8
	s_load_dwordx2 s[20:21], s[0:1], 0x0
	s_mov_b32 s4, s3
	s_mov_b32 s23, 0
	v_cmp_eq_u32_e32 vcc, 0, v0
	s_waitcnt lgkmcnt(0)
	s_mul_i32 s3, s3, s15
	s_mul_hi_u32 s5, s4, s14
	s_add_i32 s7, s5, s3
	s_mul_i32 s6, s4, s14
	s_lshl_b64 s[6:7], s[6:7], 3
	s_add_u32 s6, s12, s6
	s_addc_u32 s7, s13, s7
	s_load_dwordx2 s[14:15], s[6:7], 0x0
	s_load_dwordx4 s[8:11], s[0:1], 0x50
	s_load_dword s22, s[0:1], 0x68
	s_ashr_i32 s5, s21, 31
	s_mul_hi_u32 s3, s21, s4
	s_mul_i32 s6, s5, s4
	s_add_i32 s13, s3, s6
	s_mul_i32 s12, s21, s4
	s_waitcnt lgkmcnt(0)
	s_mul_i32 s3, s13, s22
	s_mul_hi_u32 s6, s12, s22
	s_add_i32 s7, s6, s3
	s_mul_i32 s6, s12, s22
	s_lshl_b64 s[6:7], s[6:7], 3
	s_add_u32 s49, s10, s6
	s_addc_u32 s50, s11, s7
	s_or_b32 s3, s14, s15
	s_bitset0_b32 s3, 31
	s_cmp_lg_u32 s3, 0
	s_mov_b64 s[6:7], -1
	s_cbranch_scc1 .LBB118_10
; %bb.1:
	s_cmp_gt_i32 s21, 0
	s_cselect_b64 s[6:7], -1, 0
	s_and_b64 s[24:25], vcc, s[6:7]
	s_and_saveexec_b64 s[6:7], s[24:25]
	s_cbranch_execz .LBB118_9
; %bb.2:
	s_cmp_gt_u32 s21, 3
	s_cselect_b64 s[24:25], -1, 0
	s_cmp_eq_u32 s22, 1
	s_cselect_b64 s[30:31], -1, 0
	s_mov_b32 s3, 0
	s_and_b64 s[24:25], s[24:25], s[30:31]
	s_mov_b32 s26, 1
	s_mov_b64 s[28:29], -1
	s_andn2_b64 vcc, exec, s[24:25]
	s_mov_b32 s24, s3
	s_cbranch_vccnz .LBB118_6
; %bb.3:
	s_lshl_b64 s[28:29], s[2:3], 3
	s_add_u32 s25, s49, s28
	s_addc_u32 s30, s50, s29
	s_mov_b32 s29, 0
	s_and_b32 s24, s21, 0x7ffffffc
	s_mov_b32 s28, s29
	v_mov_b32_e32 v1, 0
	v_mov_b64_e32 v[2:3], s[28:29]
	s_mov_b32 s31, s24
.LBB118_4:                              ; =>This Inner Loop Header: Depth=1
	s_add_i32 s34, s26, 2
	s_add_i32 s36, s28, 2
	s_lshl_b64 s[38:39], s[28:29], 3
	s_mov_b32 s27, s29
	s_add_u32 s38, s25, s38
	s_addc_u32 s39, s30, s39
	s_lshl_b64 s[40:41], s[26:27], 3
	s_mov_b32 s37, s29
	s_add_u32 s40, s25, s40
	s_addc_u32 s41, s30, s41
	;; [unrolled: 4-line block ×3, first 2 shown]
	s_lshl_b64 s[34:35], s[34:35], 3
	s_add_u32 s34, s25, s34
	s_addc_u32 s35, s30, s35
	s_add_i32 s28, s28, 4
	s_add_i32 s26, s26, 4
	s_add_i32 s31, s31, -4
	s_cmp_lg_u32 s31, 0
	global_store_dwordx2 v1, v[2:3], s[38:39]
	global_store_dwordx2 v1, v[2:3], s[40:41]
	;; [unrolled: 1-line block ×4, first 2 shown]
	s_cbranch_scc1 .LBB118_4
; %bb.5:
	s_cmp_lg_u32 s24, s21
	s_cselect_b64 s[28:29], -1, 0
.LBB118_6:
	s_and_b64 vcc, exec, s[28:29]
	s_cbranch_vccz .LBB118_9
; %bb.7:
	s_mov_b32 s25, 0
	s_sub_i32 s26, s21, s24
	s_lshl_b64 s[12:13], s[12:13], 3
	s_lshl_b64 s[24:25], s[24:25], 3
	s_add_u32 s12, s12, s24
	s_addc_u32 s13, s13, s25
	s_mul_i32 s13, s13, s22
	s_mul_hi_u32 s24, s12, s22
	s_add_i32 s24, s24, s13
	s_mul_i32 s25, s12, s22
	s_lshl_b64 s[12:13], s[2:3], 3
	s_add_u32 s3, s25, s12
	s_addc_u32 s12, s24, s13
	s_add_u32 s10, s10, s3
	v_mov_b32_e32 v2, 0
	s_addc_u32 s11, s11, s12
	s_lshl_b64 s[12:13], s[22:23], 3
	v_mov_b32_e32 v3, v2
.LBB118_8:                              ; =>This Inner Loop Header: Depth=1
	s_add_i32 s26, s26, -1
	global_store_dwordx2 v2, v[2:3], s[10:11]
	s_add_u32 s10, s10, s12
	s_addc_u32 s11, s11, s13
	s_cmp_eq_u32 s26, 0
	s_cbranch_scc0 .LBB118_8
.LBB118_9:
	s_or_b64 exec, exec, s[6:7]
	s_mov_b64 s[6:7], 0
.LBB118_10:
	s_andn2_b64 vcc, exec, s[6:7]
	s_cbranch_vccnz .LBB118_81
; %bb.11:
	s_load_dword s23, s[0:1], 0x28
	s_load_dwordx4 s[28:31], s[0:1], 0x30
	s_load_dwordx2 s[6:7], s[0:1], 0x40
	s_load_dword s33, s[0:1], 0x48
	s_mul_i32 s0, s4, s9
	s_mul_hi_u32 s1, s4, s8
	s_add_i32 s1, s1, s0
	s_mul_i32 s0, s4, s8
	s_lshl_b64 s[0:1], s[0:1], 3
	s_waitcnt lgkmcnt(0)
	s_add_u32 s3, s30, s0
	s_addc_u32 s8, s31, s1
	s_lshl_b64 s[0:1], s[6:7], 3
	s_add_u32 s24, s3, s0
	s_addc_u32 s25, s8, s1
	s_mul_i32 s0, s4, s29
	s_mul_hi_u32 s1, s4, s28
	s_add_i32 s1, s1, s0
	s_mul_i32 s0, s4, s28
	s_lshl_b64 s[26:27], s[0:1], 3
	s_add_u32 s0, s16, s26
	s_addc_u32 s1, s17, s27
	s_lshl_b64 s[18:19], s[18:19], 3
	s_add_u32 s0, s0, s18
	s_addc_u32 s1, s1, s19
	s_lshl_b32 s3, s2, 10
	v_lshl_or_b32 v6, v0, 2, s3
	v_ashrrev_i32_e32 v7, 31, v6
	v_lshl_add_u64 v[2:3], v[6:7], 3, s[0:1]
	s_lshr_b32 s0, s5, 30
	s_add_i32 s0, s21, s0
	s_and_b32 s3, s0, -4
	s_ashr_i32 s0, s20, 31
	s_lshr_b32 s0, s0, 30
	s_add_i32 s0, s20, s0
	s_and_b32 s0, s0, -4
	s_sub_i32 s35, s20, s0
	s_cmp_lt_i32 s3, 1
	v_add_u32_e32 v33, 4, v6
	v_add_u32_e32 v34, s35, v6
	v_and_b32_e32 v1, 63, v0
	v_cmp_gt_u32_e64 s[0:1], 64, v0
	v_mbcnt_lo_u32_b32 v32, -1, 0
	v_cmp_gt_u32_e64 s[4:5], 4, v0
	v_lshrrev_b32_e32 v5, 3, v0
	v_mul_lo_u32 v4, v6, s33
	s_cbranch_scc1 .LBB118_58
; %bb.12:
	v_mbcnt_hi_u32_b32 v8, -1, v32
	v_and_b32_e32 v9, 63, v8
	v_cmp_gt_u32_e32 vcc, 32, v9
	s_cmp_gt_i32 s35, 0
	s_cselect_b64 s[30:31], -1, 0
	v_cndmask_b32_e64 v10, 0, 1, vcc
	v_lshlrev_b32_e32 v10, 5, v10
	v_cmp_gt_u32_e32 vcc, 48, v9
	v_add_lshl_u32 v35, v10, v8, 2
	s_lshl_b32 s51, s23, 2
	v_cndmask_b32_e64 v10, 0, 1, vcc
	v_lshlrev_b32_e32 v10, 4, v10
	v_cmp_gt_u32_e32 vcc, 56, v9
	v_add_lshl_u32 v36, v10, v8, 2
	s_lshl_b32 s52, s23, 1
	v_cndmask_b32_e64 v10, 0, 1, vcc
	v_lshlrev_b32_e32 v10, 3, v10
	v_cmp_gt_u32_e32 vcc, 60, v9
	v_add_lshl_u32 v37, v10, v8, 2
	s_add_u32 s29, s26, s18
	v_cndmask_b32_e64 v10, 0, 1, vcc
	v_lshlrev_b32_e32 v10, 2, v10
	v_cmp_gt_u32_e32 vcc, 62, v9
	v_add_lshl_u32 v38, v10, v8, 2
	s_addc_u32 s37, s27, s19
	v_cndmask_b32_e64 v10, 0, 1, vcc
	v_lshlrev_b32_e32 v10, 1, v10
	v_cmp_ne_u32_e32 vcc, 63, v9
	v_add_lshl_u32 v39, v10, v8, 2
	s_add_u32 s36, s16, s29
	v_addc_co_u32_e32 v8, vcc, 0, v8, vcc
	v_lshlrev_b32_e32 v40, 2, v8
	v_mul_lo_u32 v8, v6, s33
	v_add_u32_e32 v14, s33, v8
	v_add_u32_e32 v16, s33, v14
	v_ashrrev_i32_e32 v15, 31, v14
	v_ashrrev_i32_e32 v17, 31, v16
	v_lshl_add_u64 v[12:13], v[14:15], 3, s[24:25]
	v_lshl_add_u64 v[14:15], v[16:17], 3, s[24:25]
	v_add_u32_e32 v16, s33, v16
	v_ashrrev_i32_e32 v9, 31, v8
	v_ashrrev_i32_e32 v17, 31, v16
	s_addc_u32 s37, s17, s37
	v_cmp_ge_i32_e64 s[6:7], s20, v33
	v_cmp_ge_i32_e64 s[8:9], s20, v34
	s_mov_b32 s28, 0
	v_cmp_eq_u32_e64 s[10:11], 0, v1
	v_lshlrev_b32_e32 v41, 3, v1
	v_and_b32_e32 v42, 24, v5
	v_cmp_eq_u32_e64 s[12:13], 0, v0
	v_lshl_add_u64 v[10:11], v[8:9], 3, s[24:25]
	v_lshl_add_u64 v[16:17], v[16:17], 3, s[24:25]
	s_mov_b32 s34, s15
	s_mul_i32 s53, s23, 3
	v_lshl_add_u64 v[18:19], v[6:7], 3, s[36:37]
	v_mov_b32_e32 v20, 0
	s_mov_b32 s36, 0
	s_mov_b32 s54, s23
	;; [unrolled: 1-line block ×3, first 2 shown]
	s_branch .LBB118_14
.LBB118_13:                             ;   in Loop: Header=BB118_14 Depth=1
	s_or_b64 exec, exec, s[38:39]
	s_add_i32 s48, s48, 4
	s_add_i32 s54, s54, s51
	;; [unrolled: 1-line block ×5, first 2 shown]
	s_cmp_ge_i32 s48, s3
	s_cbranch_scc1 .LBB118_59
.LBB118_14:                             ; =>This Loop Header: Depth=1
                                        ;     Child Loop BB118_45 Depth 2
                                        ;     Child Loop BB118_47 Depth 2
                                        ; implicit-def: $vgpr29
                                        ; implicit-def: $vgpr27
                                        ; implicit-def: $vgpr25
                                        ; implicit-def: $vgpr23
	s_and_saveexec_b64 s[38:39], s[6:7]
	s_xor_b64 s[38:39], exec, s[38:39]
	s_cbranch_execnz .LBB118_41
; %bb.15:                               ;   in Loop: Header=BB118_14 Depth=1
	s_andn2_saveexec_b64 s[38:39], s[38:39]
	s_cbranch_execnz .LBB118_42
.LBB118_16:                             ;   in Loop: Header=BB118_14 Depth=1
	s_or_b64 exec, exec, s[38:39]
	s_and_saveexec_b64 s[38:39], s[0:1]
	s_cbranch_execz .LBB118_18
.LBB118_17:                             ;   in Loop: Header=BB118_14 Depth=1
	v_mov_b32_e32 v21, v20
	ds_write_b64 v41, v[20:21]
.LBB118_18:                             ;   in Loop: Header=BB118_14 Depth=1
	s_or_b64 exec, exec, s[38:39]
	ds_bpermute_b32 v30, v35, v28
	ds_bpermute_b32 v31, v35, v29
	s_waitcnt lgkmcnt(0)
	s_barrier
	v_pk_add_f32 v[28:29], v[28:29], v[30:31]
	ds_bpermute_b32 v30, v36, v28
	ds_bpermute_b32 v31, v36, v29
	s_waitcnt lgkmcnt(0)
	v_pk_add_f32 v[28:29], v[28:29], v[30:31]
	ds_bpermute_b32 v30, v37, v28
	ds_bpermute_b32 v31, v37, v29
	s_waitcnt lgkmcnt(0)
	;; [unrolled: 4-line block ×4, first 2 shown]
	v_pk_add_f32 v[28:29], v[28:29], v[30:31]
	ds_bpermute_b32 v30, v40, v28
	ds_bpermute_b32 v31, v40, v29
	s_and_saveexec_b64 s[38:39], s[10:11]
	s_cbranch_execz .LBB118_20
; %bb.19:                               ;   in Loop: Header=BB118_14 Depth=1
	s_waitcnt lgkmcnt(0)
	v_pk_add_f32 v[28:29], v[28:29], v[30:31]
	ds_write_b64 v42, v[28:29]
.LBB118_20:                             ;   in Loop: Header=BB118_14 Depth=1
	s_or_b64 exec, exec, s[38:39]
	s_mov_b32 s29, s28
	v_mov_b64_e32 v[28:29], s[28:29]
	s_waitcnt lgkmcnt(0)
	s_barrier
	s_and_saveexec_b64 s[38:39], s[4:5]
	s_cbranch_execnz .LBB118_49
; %bb.21:                               ;   in Loop: Header=BB118_14 Depth=1
	s_or_b64 exec, exec, s[38:39]
	s_and_saveexec_b64 s[38:39], s[0:1]
	s_cbranch_execnz .LBB118_50
.LBB118_22:                             ;   in Loop: Header=BB118_14 Depth=1
	s_or_b64 exec, exec, s[38:39]
	s_and_saveexec_b64 s[38:39], s[0:1]
	s_cbranch_execz .LBB118_24
.LBB118_23:                             ;   in Loop: Header=BB118_14 Depth=1
	v_mov_b32_e32 v21, v20
	ds_write_b64 v41, v[20:21]
.LBB118_24:                             ;   in Loop: Header=BB118_14 Depth=1
	s_or_b64 exec, exec, s[38:39]
	ds_bpermute_b32 v30, v35, v26
	ds_bpermute_b32 v31, v35, v27
	s_waitcnt lgkmcnt(0)
	s_barrier
	v_pk_add_f32 v[26:27], v[26:27], v[30:31]
	ds_bpermute_b32 v30, v36, v26
	ds_bpermute_b32 v31, v36, v27
	s_waitcnt lgkmcnt(0)
	v_pk_add_f32 v[26:27], v[26:27], v[30:31]
	ds_bpermute_b32 v30, v37, v26
	ds_bpermute_b32 v31, v37, v27
	s_waitcnt lgkmcnt(0)
	;; [unrolled: 4-line block ×4, first 2 shown]
	v_pk_add_f32 v[26:27], v[26:27], v[30:31]
	ds_bpermute_b32 v30, v40, v26
	ds_bpermute_b32 v31, v40, v27
	s_and_saveexec_b64 s[38:39], s[10:11]
	s_cbranch_execz .LBB118_26
; %bb.25:                               ;   in Loop: Header=BB118_14 Depth=1
	s_waitcnt lgkmcnt(0)
	v_pk_add_f32 v[26:27], v[26:27], v[30:31]
	ds_write_b64 v42, v[26:27]
.LBB118_26:                             ;   in Loop: Header=BB118_14 Depth=1
	s_or_b64 exec, exec, s[38:39]
	s_mov_b32 s29, s28
	v_mov_b64_e32 v[26:27], s[28:29]
	s_waitcnt lgkmcnt(0)
	s_barrier
	s_and_saveexec_b64 s[38:39], s[4:5]
	s_cbranch_execnz .LBB118_51
; %bb.27:                               ;   in Loop: Header=BB118_14 Depth=1
	s_or_b64 exec, exec, s[38:39]
	s_and_saveexec_b64 s[38:39], s[0:1]
	s_cbranch_execnz .LBB118_52
.LBB118_28:                             ;   in Loop: Header=BB118_14 Depth=1
	s_or_b64 exec, exec, s[38:39]
	s_and_saveexec_b64 s[38:39], s[0:1]
	s_cbranch_execz .LBB118_30
.LBB118_29:                             ;   in Loop: Header=BB118_14 Depth=1
	v_mov_b32_e32 v21, v20
	ds_write_b64 v41, v[20:21]
.LBB118_30:                             ;   in Loop: Header=BB118_14 Depth=1
	s_or_b64 exec, exec, s[38:39]
	ds_bpermute_b32 v30, v35, v24
	ds_bpermute_b32 v31, v35, v25
	s_waitcnt lgkmcnt(0)
	s_barrier
	v_pk_add_f32 v[24:25], v[24:25], v[30:31]
	ds_bpermute_b32 v30, v36, v24
	ds_bpermute_b32 v31, v36, v25
	s_waitcnt lgkmcnt(0)
	v_pk_add_f32 v[24:25], v[24:25], v[30:31]
	ds_bpermute_b32 v30, v37, v24
	ds_bpermute_b32 v31, v37, v25
	s_waitcnt lgkmcnt(0)
	;; [unrolled: 4-line block ×4, first 2 shown]
	v_pk_add_f32 v[24:25], v[24:25], v[30:31]
	ds_bpermute_b32 v30, v40, v24
	ds_bpermute_b32 v31, v40, v25
	s_and_saveexec_b64 s[38:39], s[10:11]
	s_cbranch_execz .LBB118_32
; %bb.31:                               ;   in Loop: Header=BB118_14 Depth=1
	s_waitcnt lgkmcnt(0)
	v_pk_add_f32 v[24:25], v[24:25], v[30:31]
	ds_write_b64 v42, v[24:25]
.LBB118_32:                             ;   in Loop: Header=BB118_14 Depth=1
	s_or_b64 exec, exec, s[38:39]
	s_mov_b32 s29, s28
	v_mov_b64_e32 v[24:25], s[28:29]
	s_waitcnt lgkmcnt(0)
	s_barrier
	s_and_saveexec_b64 s[38:39], s[4:5]
	s_cbranch_execnz .LBB118_53
; %bb.33:                               ;   in Loop: Header=BB118_14 Depth=1
	s_or_b64 exec, exec, s[38:39]
	s_and_saveexec_b64 s[38:39], s[0:1]
	s_cbranch_execnz .LBB118_54
.LBB118_34:                             ;   in Loop: Header=BB118_14 Depth=1
	s_or_b64 exec, exec, s[38:39]
	s_and_saveexec_b64 s[38:39], s[0:1]
	s_cbranch_execz .LBB118_36
.LBB118_35:                             ;   in Loop: Header=BB118_14 Depth=1
	v_mov_b32_e32 v21, v20
	ds_write_b64 v41, v[20:21]
.LBB118_36:                             ;   in Loop: Header=BB118_14 Depth=1
	s_or_b64 exec, exec, s[38:39]
	ds_bpermute_b32 v30, v35, v22
	ds_bpermute_b32 v31, v35, v23
	s_waitcnt lgkmcnt(0)
	s_barrier
	v_pk_add_f32 v[22:23], v[22:23], v[30:31]
	ds_bpermute_b32 v30, v36, v22
	ds_bpermute_b32 v31, v36, v23
	s_waitcnt lgkmcnt(0)
	v_pk_add_f32 v[22:23], v[22:23], v[30:31]
	ds_bpermute_b32 v30, v37, v22
	ds_bpermute_b32 v31, v37, v23
	s_waitcnt lgkmcnt(0)
	;; [unrolled: 4-line block ×4, first 2 shown]
	v_pk_add_f32 v[22:23], v[22:23], v[30:31]
	ds_bpermute_b32 v30, v40, v22
	ds_bpermute_b32 v31, v40, v23
	s_and_saveexec_b64 s[38:39], s[10:11]
	s_cbranch_execz .LBB118_38
; %bb.37:                               ;   in Loop: Header=BB118_14 Depth=1
	s_waitcnt lgkmcnt(0)
	v_pk_add_f32 v[22:23], v[22:23], v[30:31]
	ds_write_b64 v42, v[22:23]
.LBB118_38:                             ;   in Loop: Header=BB118_14 Depth=1
	s_or_b64 exec, exec, s[38:39]
	s_mov_b32 s29, s28
	v_mov_b64_e32 v[22:23], s[28:29]
	s_waitcnt lgkmcnt(0)
	s_barrier
	s_and_saveexec_b64 s[38:39], s[4:5]
	s_cbranch_execnz .LBB118_55
; %bb.39:                               ;   in Loop: Header=BB118_14 Depth=1
	s_or_b64 exec, exec, s[38:39]
	s_and_saveexec_b64 s[38:39], s[0:1]
	s_cbranch_execnz .LBB118_56
.LBB118_40:                             ;   in Loop: Header=BB118_14 Depth=1
	s_or_b64 exec, exec, s[38:39]
	s_and_saveexec_b64 s[38:39], s[12:13]
	s_cbranch_execz .LBB118_13
	s_branch .LBB118_57
.LBB118_41:                             ;   in Loop: Header=BB118_14 Depth=1
	s_mul_i32 s40, s48, s23
	s_ashr_i32 s41, s40, 31
	v_lshl_add_u64 v[30:31], s[40:41], 3, v[2:3]
	s_add_i32 s40, s40, s23
	s_ashr_i32 s41, s40, 31
	s_waitcnt lgkmcnt(0)
	global_load_dwordx2 v[22:23], v[10:11], off
	global_load_dwordx2 v[24:25], v[12:13], off
	;; [unrolled: 1-line block ×4, first 2 shown]
	global_load_dwordx4 v[26:29], v[30:31], off
	global_load_dwordx4 v[48:51], v[30:31], off offset:16
	v_lshl_add_u64 v[30:31], s[40:41], 3, v[2:3]
	s_add_i32 s40, s40, s23
	s_ashr_i32 s41, s40, 31
	global_load_dwordx4 v[52:55], v[30:31], off
	global_load_dwordx4 v[56:59], v[30:31], off offset:16
	v_lshl_add_u64 v[30:31], s[40:41], 3, v[2:3]
	global_load_dwordx4 v[60:63], v[30:31], off
	s_add_i32 s40, s40, s23
	s_ashr_i32 s41, s40, 31
	v_lshl_add_u64 v[76:77], s[40:41], 3, v[2:3]
	global_load_dwordx4 v[64:67], v[76:77], off
	global_load_dwordx4 v[68:71], v[76:77], off offset:16
	global_load_dwordx4 v[72:75], v[30:31], off offset:16
	s_waitcnt vmcnt(10)
	scratch_store_dwordx4 off, v[22:25], off
	s_waitcnt vmcnt(9)
	scratch_store_dwordx4 off, v[44:47], off offset:16
	s_waitcnt vmcnt(9)
	v_mul_f32_e32 v9, v23, v27
	s_waitcnt vmcnt(8)
	v_pk_mul_f32 v[76:77], v[44:45], v[48:49] op_sel:[1,1] op_sel_hi:[0,1]
	v_mul_f32_e32 v31, v22, v27
	v_mul_f32_e32 v21, v25, v29
	;; [unrolled: 1-line block ×3, first 2 shown]
	v_mov_b32_e32 v78, v51
	v_fma_f32 v30, v22, v26, -v9
	s_waitcnt vmcnt(7)
	v_mul_f32_e32 v9, v23, v53
	v_mul_f32_e32 v79, v24, v55
	v_pk_fma_f32 v[80:81], v[44:45], v[48:49], v[76:77] neg_lo:[0,0,1] neg_hi:[0,0,1]
	v_pk_fma_f32 v[48:49], v[44:45], v[48:49], v[76:77] op_sel_hi:[1,0,1]
	v_fmac_f32_e32 v31, v23, v26
	v_fma_f32 v26, v24, v28, -v21
	v_fmac_f32_e32 v27, v25, v28
	v_mul_f32_e32 v29, v22, v53
	v_mul_f32_e32 v21, v25, v55
	v_pk_mul_f32 v[76:77], v[46:47], v[78:79] op_sel_hi:[1,0]
	s_waitcnt vmcnt(6)
	v_pk_mul_f32 v[82:83], v[44:45], v[56:57] op_sel:[1,1] op_sel_hi:[0,1]
	v_mov_b32_e32 v48, v59
	v_fma_f32 v28, v22, v52, -v9
	s_waitcnt vmcnt(5)
	v_mul_f32_e32 v9, v23, v61
	v_mov_b32_e32 v81, v49
	v_mul_f32_e32 v49, v22, v61
	v_fma_f32 v78, v24, v54, -v21
	v_fmac_f32_e32 v29, v23, v52
	v_pk_fma_f32 v[52:53], v[46:47], v[50:51], v[76:77] op_sel:[0,0,1] op_sel_hi:[1,1,0] neg_lo:[0,0,1] neg_hi:[0,0,1]
	v_pk_fma_f32 v[50:51], v[46:47], v[50:51], v[76:77] op_sel:[0,0,1] op_sel_hi:[1,0,0]
	v_mul_f32_e32 v21, v25, v63
	v_mul_f32_e32 v55, v24, v63
	v_pk_add_f32 v[30:31], v[30:31], 0 op_sel_hi:[1,0]
	v_pk_fma_f32 v[76:77], v[44:45], v[56:57], v[82:83] neg_lo:[0,0,1] neg_hi:[0,0,1]
	v_pk_fma_f32 v[56:57], v[44:45], v[56:57], v[82:83] op_sel_hi:[1,0,1]
	v_pk_mul_f32 v[82:83], v[46:47], v[48:49] op_sel_hi:[1,0]
	v_fma_f32 v48, v22, v60, -v9
	s_waitcnt vmcnt(4)
	v_mul_f32_e32 v9, v23, v65
	v_mul_f32_e32 v63, v22, v65
	v_fmac_f32_e32 v79, v25, v54
	v_fma_f32 v54, v24, v62, -v21
	v_fmac_f32_e32 v55, v25, v62
	v_mul_f32_e32 v21, v25, v67
	v_pk_add_f32 v[26:27], v[30:31], v[26:27]
	v_mul_f32_e32 v31, v24, v67
	v_mov_b32_e32 v53, v51
	s_waitcnt vmcnt(3)
	v_pk_mul_f32 v[50:51], v[44:45], v[68:69] op_sel:[1,1] op_sel_hi:[0,1]
	v_fma_f32 v62, v22, v64, -v9
	v_fmac_f32_e32 v63, v23, v64
	v_fmac_f32_e32 v49, v23, v60
	v_pk_add_f32 v[28:29], v[28:29], 0 op_sel_hi:[1,0]
	v_mov_b32_e32 v77, v57
	v_fma_f32 v30, v24, v66, -v21
	v_fmac_f32_e32 v31, v25, v66
	v_pk_fma_f32 v[22:23], v[44:45], v[68:69], v[50:51] neg_lo:[0,0,1] neg_hi:[0,0,1]
	v_pk_fma_f32 v[24:25], v[44:45], v[68:69], v[50:51] op_sel_hi:[1,0,1]
	v_pk_add_f32 v[56:57], v[62:63], 0 op_sel_hi:[1,0]
	v_pk_fma_f32 v[60:61], v[46:47], v[58:59], v[82:83] op_sel:[0,0,1] op_sel_hi:[1,1,0] neg_lo:[0,0,1] neg_hi:[0,0,1]
	v_pk_fma_f32 v[58:59], v[46:47], v[58:59], v[82:83] op_sel:[0,0,1] op_sel_hi:[1,0,0]
	v_pk_add_f32 v[50:51], v[28:29], v[78:79]
	v_mov_b32_e32 v23, v25
	v_pk_add_f32 v[30:31], v[56:57], v[30:31]
	v_pk_add_f32 v[26:27], v[26:27], v[80:81]
	v_mov_b32_e32 v61, v59
	v_pk_add_f32 v[24:25], v[50:51], v[76:77]
	v_pk_add_f32 v[22:23], v[30:31], v[22:23]
	s_waitcnt vmcnt(2)
	v_pk_mul_f32 v[30:31], v[44:45], v[72:73] op_sel:[1,1] op_sel_hi:[0,1]
	v_pk_add_f32 v[28:29], v[26:27], v[52:53]
	v_pk_add_f32 v[26:27], v[24:25], v[60:61]
	v_pk_add_f32 v[24:25], v[48:49], 0 op_sel_hi:[1,0]
	v_pk_fma_f32 v[48:49], v[44:45], v[72:73], v[30:31] neg_lo:[0,0,1] neg_hi:[0,0,1]
	v_pk_fma_f32 v[30:31], v[44:45], v[72:73], v[30:31] op_sel_hi:[1,0,1]
	v_pk_add_f32 v[24:25], v[24:25], v[54:55]
	v_mov_b32_e32 v30, v75
	v_mov_b32_e32 v49, v31
	v_pk_mul_f32 v[30:31], v[46:47], v[30:31] op_sel_hi:[1,0]
	v_pk_add_f32 v[24:25], v[24:25], v[48:49]
	v_pk_fma_f32 v[44:45], v[46:47], v[74:75], v[30:31] op_sel:[0,0,1] op_sel_hi:[1,1,0] neg_lo:[0,0,1] neg_hi:[0,0,1]
	v_pk_fma_f32 v[30:31], v[46:47], v[74:75], v[30:31] op_sel:[0,0,1] op_sel_hi:[1,0,0]
	s_nop 0
	v_mov_b32_e32 v30, v71
	v_mov_b32_e32 v45, v31
	v_pk_mul_f32 v[30:31], v[46:47], v[30:31] op_sel_hi:[1,0]
	v_pk_add_f32 v[24:25], v[24:25], v[44:45]
	v_pk_fma_f32 v[44:45], v[46:47], v[70:71], v[30:31] op_sel:[0,0,1] op_sel_hi:[1,1,0] neg_lo:[0,0,1] neg_hi:[0,0,1]
	v_pk_fma_f32 v[30:31], v[46:47], v[70:71], v[30:31] op_sel:[0,0,1] op_sel_hi:[1,0,0]
	s_nop 0
	v_mov_b32_e32 v45, v31
	v_pk_add_f32 v[22:23], v[22:23], v[44:45]
	s_andn2_saveexec_b64 s[38:39], s[38:39]
	s_cbranch_execz .LBB118_16
.LBB118_42:                             ;   in Loop: Header=BB118_14 Depth=1
	v_mov_b32_e32 v29, 0
	v_mov_b32_e32 v28, 0
	;; [unrolled: 1-line block ×6, first 2 shown]
	s_waitcnt lgkmcnt(0)
	v_mov_b32_e32 v23, 0
	v_mov_b32_e32 v22, 0
	s_and_saveexec_b64 s[40:41], s[8:9]
	s_cbranch_execz .LBB118_48
; %bb.43:                               ;   in Loop: Header=BB118_14 Depth=1
	v_mov_b32_e32 v29, 0
	s_andn2_b64 vcc, exec, s[30:31]
	v_mov_b32_e32 v28, v29
	v_mov_b32_e32 v27, v29
	;; [unrolled: 1-line block ×7, first 2 shown]
	s_cbranch_vccnz .LBB118_48
; %bb.44:                               ;   in Loop: Header=BB118_14 Depth=1
	v_mov_b32_e32 v9, 0
	v_mov_b32_e32 v22, v8
	s_mov_b32 s29, s35
.LBB118_45:                             ;   Parent Loop BB118_14 Depth=1
                                        ; =>  This Inner Loop Header: Depth=2
	v_ashrrev_i32_e32 v23, 31, v22
	v_lshl_add_u64 v[24:25], v[22:23], 3, s[24:25]
	global_load_dwordx2 v[24:25], v[24:25], off
	s_add_i32 s29, s29, -1
	v_add_u32_e32 v22, s33, v22
	s_cmp_eq_u32 s29, 0
	s_waitcnt vmcnt(0)
	scratch_store_dwordx2 v9, v[24:25], off
	v_add_u32_e32 v9, 8, v9
	s_cbranch_scc0 .LBB118_45
; %bb.46:                               ;   in Loop: Header=BB118_14 Depth=1
	s_ashr_i32 s37, s36, 31
	v_mov_b32_e32 v22, 0
	v_lshl_add_u64 v[30:31], s[36:37], 3, v[18:19]
	v_mov_b32_e32 v9, 0
	s_mov_b32 s42, s53
	s_mov_b32 s44, s52
	;; [unrolled: 1-line block ×4, first 2 shown]
	v_mov_b32_e32 v23, v22
	v_mov_b32_e32 v24, v22
	;; [unrolled: 1-line block ×7, first 2 shown]
.LBB118_47:                             ;   Parent Loop BB118_14 Depth=1
                                        ; =>  This Inner Loop Header: Depth=2
	global_load_dwordx2 v[44:45], v[30:31], off
	s_ashr_i32 s47, s46, 31
	s_ashr_i32 s45, s44, 31
	;; [unrolled: 1-line block ×3, first 2 shown]
	scratch_load_dwordx2 v[46:47], v9, off
	v_lshl_add_u64 v[48:49], s[46:47], 3, v[2:3]
	v_lshl_add_u64 v[50:51], s[44:45], 3, v[2:3]
	;; [unrolled: 1-line block ×3, first 2 shown]
	global_load_dwordx2 v[48:49], v[48:49], off
	s_nop 0
	global_load_dwordx2 v[50:51], v[50:51], off
	s_nop 0
	global_load_dwordx2 v[52:53], v[52:53], off
	s_add_i32 s29, s29, -1
	s_add_i32 s46, s46, 1
	s_add_i32 s44, s44, 1
	;; [unrolled: 1-line block ×3, first 2 shown]
	v_lshl_add_u64 v[30:31], v[30:31], 0, 8
	v_add_u32_e32 v9, 8, v9
	s_cmp_lg_u32 s29, 0
	s_waitcnt vmcnt(3)
	v_pk_mul_f32 v[54:55], v[46:47], v[44:45] op_sel:[0,1]
	s_nop 0
	v_pk_fma_f32 v[56:57], v[46:47], v[44:45], v[54:55] op_sel:[0,0,1] op_sel_hi:[1,1,0] neg_lo:[0,0,1] neg_hi:[0,0,1]
	v_pk_fma_f32 v[44:45], v[46:47], v[44:45], v[54:55] op_sel:[0,0,1] op_sel_hi:[1,0,0]
	s_waitcnt vmcnt(1)
	v_pk_mul_f32 v[54:55], v[46:47], v[50:51] op_sel:[0,1]
	v_mov_b32_e32 v57, v45
	v_pk_mul_f32 v[44:45], v[46:47], v[48:49] op_sel:[0,1]
	s_waitcnt vmcnt(0)
	v_pk_mul_f32 v[58:59], v[46:47], v[52:53] op_sel:[0,1]
	v_pk_add_f32 v[28:29], v[28:29], v[56:57]
	v_pk_fma_f32 v[56:57], v[46:47], v[48:49], v[44:45] op_sel:[0,0,1] op_sel_hi:[1,1,0] neg_lo:[0,0,1] neg_hi:[0,0,1]
	v_pk_fma_f32 v[44:45], v[46:47], v[48:49], v[44:45] op_sel:[0,0,1] op_sel_hi:[1,0,0]
	v_pk_fma_f32 v[48:49], v[46:47], v[50:51], v[54:55] op_sel:[0,0,1] op_sel_hi:[1,1,0] neg_lo:[0,0,1] neg_hi:[0,0,1]
	v_pk_fma_f32 v[50:51], v[46:47], v[50:51], v[54:55] op_sel:[0,0,1] op_sel_hi:[1,0,0]
	;; [unrolled: 2-line block ×3, first 2 shown]
	v_mov_b32_e32 v57, v45
	v_mov_b32_e32 v49, v51
	;; [unrolled: 1-line block ×3, first 2 shown]
	v_pk_add_f32 v[26:27], v[26:27], v[56:57]
	v_pk_add_f32 v[24:25], v[24:25], v[48:49]
	;; [unrolled: 1-line block ×3, first 2 shown]
	s_cbranch_scc1 .LBB118_47
.LBB118_48:                             ;   in Loop: Header=BB118_14 Depth=1
	s_or_b64 exec, exec, s[40:41]
	s_or_b64 exec, exec, s[38:39]
	s_and_saveexec_b64 s[38:39], s[0:1]
	s_cbranch_execnz .LBB118_17
	s_branch .LBB118_18
.LBB118_49:                             ;   in Loop: Header=BB118_14 Depth=1
	ds_read_b64 v[28:29], v41
	s_or_b64 exec, exec, s[38:39]
	s_and_saveexec_b64 s[38:39], s[0:1]
	s_cbranch_execz .LBB118_22
.LBB118_50:                             ;   in Loop: Header=BB118_14 Depth=1
	s_waitcnt lgkmcnt(0)
	ds_bpermute_b32 v30, v39, v28
	ds_bpermute_b32 v31, v39, v29
	s_waitcnt lgkmcnt(0)
	v_pk_add_f32 v[28:29], v[28:29], v[30:31]
	ds_bpermute_b32 v30, v40, v28
	ds_bpermute_b32 v31, v40, v29
	s_waitcnt lgkmcnt(0)
	v_pk_add_f32 v[28:29], v[28:29], v[30:31]
	s_or_b64 exec, exec, s[38:39]
	s_and_saveexec_b64 s[38:39], s[0:1]
	s_cbranch_execnz .LBB118_23
	s_branch .LBB118_24
.LBB118_51:                             ;   in Loop: Header=BB118_14 Depth=1
	ds_read_b64 v[26:27], v41
	s_or_b64 exec, exec, s[38:39]
	s_and_saveexec_b64 s[38:39], s[0:1]
	s_cbranch_execz .LBB118_28
.LBB118_52:                             ;   in Loop: Header=BB118_14 Depth=1
	s_waitcnt lgkmcnt(0)
	ds_bpermute_b32 v30, v39, v26
	ds_bpermute_b32 v31, v39, v27
	s_waitcnt lgkmcnt(0)
	v_pk_add_f32 v[26:27], v[26:27], v[30:31]
	ds_bpermute_b32 v30, v40, v26
	ds_bpermute_b32 v31, v40, v27
	s_waitcnt lgkmcnt(0)
	v_pk_add_f32 v[26:27], v[26:27], v[30:31]
	s_or_b64 exec, exec, s[38:39]
	s_and_saveexec_b64 s[38:39], s[0:1]
	s_cbranch_execnz .LBB118_29
	s_branch .LBB118_30
.LBB118_53:                             ;   in Loop: Header=BB118_14 Depth=1
	ds_read_b64 v[24:25], v41
	s_or_b64 exec, exec, s[38:39]
	s_and_saveexec_b64 s[38:39], s[0:1]
	s_cbranch_execz .LBB118_34
.LBB118_54:                             ;   in Loop: Header=BB118_14 Depth=1
	s_waitcnt lgkmcnt(0)
	ds_bpermute_b32 v30, v39, v24
	ds_bpermute_b32 v31, v39, v25
	s_waitcnt lgkmcnt(0)
	v_pk_add_f32 v[24:25], v[24:25], v[30:31]
	ds_bpermute_b32 v30, v40, v24
	ds_bpermute_b32 v31, v40, v25
	s_waitcnt lgkmcnt(0)
	v_pk_add_f32 v[24:25], v[24:25], v[30:31]
	s_or_b64 exec, exec, s[38:39]
	s_and_saveexec_b64 s[38:39], s[0:1]
	s_cbranch_execnz .LBB118_35
	s_branch .LBB118_36
.LBB118_55:                             ;   in Loop: Header=BB118_14 Depth=1
	ds_read_b64 v[22:23], v41
	s_or_b64 exec, exec, s[38:39]
	s_and_saveexec_b64 s[38:39], s[0:1]
	s_cbranch_execz .LBB118_40
.LBB118_56:                             ;   in Loop: Header=BB118_14 Depth=1
	s_waitcnt lgkmcnt(0)
	ds_bpermute_b32 v30, v39, v22
	ds_bpermute_b32 v31, v39, v23
	s_waitcnt lgkmcnt(0)
	v_pk_add_f32 v[22:23], v[22:23], v[30:31]
	ds_bpermute_b32 v30, v40, v22
	ds_bpermute_b32 v31, v40, v23
	s_waitcnt lgkmcnt(0)
	v_pk_add_f32 v[22:23], v[22:23], v[30:31]
	s_or_b64 exec, exec, s[38:39]
	s_and_saveexec_b64 s[38:39], s[12:13]
	s_cbranch_execz .LBB118_13
.LBB118_57:                             ;   in Loop: Header=BB118_14 Depth=1
	s_mul_i32 s29, s48, s22
	v_pk_mul_f32 v[30:31], v[28:29], s[14:15]
	v_mov_b32_e32 v44, v29
	s_add_i32 s40, s29, s2
	s_mov_b32 s41, s28
	v_mov_b32_e32 v30, v31
	v_pk_mul_f32 v[44:45], v[44:45], s[14:15]
	s_lshl_b64 s[42:43], s[40:41], 3
	v_pk_fma_f32 v[30:31], v[28:29], s[14:15], v[30:31] neg_lo:[0,0,1] neg_hi:[0,0,1]
	v_pk_fma_f32 v[28:29], v[28:29], s[34:35], v[44:45]
	s_add_u32 s42, s49, s42
	s_addc_u32 s43, s50, s43
	v_mov_b32_e32 v31, v28
	global_store_dwordx2 v20, v[30:31], s[42:43]
	v_pk_mul_f32 v[28:29], v[26:27], s[14:15]
	v_mov_b32_e32 v30, v27
	s_add_i32 s40, s40, s22
	v_mov_b32_e32 v28, v29
	v_pk_mul_f32 v[30:31], v[30:31], s[14:15]
	s_lshl_b64 s[42:43], s[40:41], 3
	v_pk_fma_f32 v[28:29], v[26:27], s[14:15], v[28:29] neg_lo:[0,0,1] neg_hi:[0,0,1]
	v_pk_fma_f32 v[26:27], v[26:27], s[34:35], v[30:31]
	s_add_u32 s42, s49, s42
	s_addc_u32 s43, s50, s43
	v_mov_b32_e32 v29, v26
	s_add_i32 s40, s40, s22
	global_store_dwordx2 v20, v[28:29], s[42:43]
	v_pk_mul_f32 v[26:27], v[24:25], s[14:15]
	v_mov_b32_e32 v28, v25
	s_lshl_b64 s[42:43], s[40:41], 3
	v_mov_b32_e32 v26, v27
	v_pk_mul_f32 v[28:29], v[28:29], s[14:15]
	s_add_u32 s42, s49, s42
	v_pk_fma_f32 v[26:27], v[24:25], s[14:15], v[26:27] neg_lo:[0,0,1] neg_hi:[0,0,1]
	v_pk_fma_f32 v[24:25], v[24:25], s[34:35], v[28:29]
	s_addc_u32 s43, s50, s43
	s_add_i32 s40, s40, s22
	v_mov_b32_e32 v27, v24
	s_waitcnt lgkmcnt(0)
	v_pk_mul_f32 v[24:25], v[22:23], s[14:15] op_sel:[1,0]
	s_lshl_b64 s[40:41], s[40:41], 3
	global_store_dwordx2 v20, v[26:27], s[42:43]
	s_add_u32 s40, s49, s40
	v_pk_fma_f32 v[26:27], v[22:23], s[14:15], v[24:25] op_sel:[0,0,1] op_sel_hi:[1,1,0] neg_lo:[0,0,1] neg_hi:[0,0,1]
	v_pk_fma_f32 v[22:23], v[22:23], s[14:15], v[24:25] op_sel:[0,0,1] op_sel_hi:[0,1,0]
	s_addc_u32 s41, s50, s41
	v_mov_b32_e32 v27, v23
	global_store_dwordx2 v20, v[26:27], s[40:41]
	s_branch .LBB118_13
.LBB118_58:
	s_mov_b32 s48, 0
.LBB118_59:
	s_cmp_ge_i32 s48, s21
	s_cbranch_scc1 .LBB118_81
; %bb.60:
	v_mbcnt_hi_u32_b32 v8, -1, v32
	v_and_b32_e32 v9, 63, v8
	v_cmp_gt_u32_e64 s[4:5], 32, v9
	s_mov_b32 s12, 0
	s_cmp_gt_i32 s35, 0
	v_cndmask_b32_e64 v10, 0, 1, s[4:5]
	v_lshlrev_b32_e32 v10, 5, v10
	v_cmp_gt_u32_e64 s[4:5], 48, v9
	v_add_lshl_u32 v21, v10, v8, 2
	s_mov_b32 s3, s12
	v_cndmask_b32_e64 v10, 0, 1, s[4:5]
	v_lshlrev_b32_e32 v10, 4, v10
	v_cmp_gt_u32_e64 s[4:5], 56, v9
	s_waitcnt lgkmcnt(0)
	v_add_lshl_u32 v22, v10, v8, 2
	s_cselect_b64 s[30:31], -1, 0
	v_cndmask_b32_e64 v10, 0, 1, s[4:5]
	v_lshlrev_b32_e32 v10, 3, v10
	v_cmp_gt_u32_e64 s[4:5], 60, v9
	v_add_lshl_u32 v23, v10, v8, 2
	s_lshl_b64 s[2:3], s[2:3], 3
	v_cndmask_b32_e64 v10, 0, 1, s[4:5]
	v_lshlrev_b32_e32 v10, 2, v10
	v_cmp_gt_u32_e64 s[4:5], 62, v9
	v_add_lshl_u32 v24, v10, v8, 2
	v_cmp_ge_i32_e32 vcc, s20, v33
	v_cndmask_b32_e64 v10, 0, 1, s[4:5]
	v_cmp_ge_i32_e64 s[10:11], s20, v34
	v_lshlrev_b32_e32 v10, 1, v10
	s_add_u32 s20, s49, s2
	v_add_lshl_u32 v25, v10, v8, 2
	s_addc_u32 s28, s50, s3
	v_add_u32_e32 v10, s33, v4
	s_and_b64 s[2:3], s[30:31], s[10:11]
	v_cmp_ne_u32_e64 s[4:5], 63, v9
	v_add_u32_e32 v12, s33, v10
	s_add_u32 s10, s26, s18
	v_addc_co_u32_e64 v8, s[4:5], 0, v8, s[4:5]
	v_ashrrev_i32_e32 v11, 31, v10
	v_ashrrev_i32_e32 v13, 31, v12
	s_addc_u32 s11, s27, s19
	v_lshlrev_b32_e32 v26, 2, v8
	v_lshl_add_u64 v[8:9], v[10:11], 3, s[24:25]
	v_lshl_add_u64 v[10:11], v[12:13], 3, s[24:25]
	v_add_u32_e32 v12, s33, v12
	s_add_u32 s10, s16, s10
	v_and_b32_e32 v27, 24, v5
	v_ashrrev_i32_e32 v5, 31, v4
	v_ashrrev_i32_e32 v13, 31, v12
	s_addc_u32 s11, s17, s11
	v_cmp_gt_u32_e64 s[0:1], 64, v0
	v_lshlrev_b32_e32 v20, 3, v1
	v_cmp_eq_u32_e64 s[4:5], 0, v1
	v_cmp_gt_u32_e64 s[6:7], 4, v0
	v_cmp_eq_u32_e64 s[8:9], 0, v0
	v_lshl_add_u64 v[0:1], v[4:5], 3, s[24:25]
	v_lshl_add_u64 v[12:13], v[12:13], 3, s[24:25]
	;; [unrolled: 1-line block ×3, first 2 shown]
	s_mul_i32 s10, s48, s23
	v_mov_b32_e32 v14, 0
	s_branch .LBB118_62
.LBB118_61:                             ;   in Loop: Header=BB118_62 Depth=1
	s_or_b64 exec, exec, s[16:17]
	s_add_i32 s48, s48, 1
	s_add_i32 s10, s10, s23
	s_cmp_lt_i32 s48, s21
	s_cbranch_scc0 .LBB118_81
.LBB118_62:                             ; =>This Loop Header: Depth=1
                                        ;     Child Loop BB118_74 Depth 2
                                        ;     Child Loop BB118_76 Depth 2
                                        ; implicit-def: $vgpr17
	s_and_saveexec_b64 s[16:17], vcc
	s_xor_b64 s[16:17], exec, s[16:17]
	s_cbranch_execnz .LBB118_71
; %bb.63:                               ;   in Loop: Header=BB118_62 Depth=1
	s_andn2_saveexec_b64 s[16:17], s[16:17]
	s_cbranch_execnz .LBB118_72
.LBB118_64:                             ;   in Loop: Header=BB118_62 Depth=1
	s_or_b64 exec, exec, s[16:17]
	s_and_saveexec_b64 s[16:17], s[0:1]
	s_cbranch_execz .LBB118_66
.LBB118_65:                             ;   in Loop: Header=BB118_62 Depth=1
	v_mov_b32_e32 v15, v14
	ds_write_b64 v20, v[14:15]
.LBB118_66:                             ;   in Loop: Header=BB118_62 Depth=1
	s_or_b64 exec, exec, s[16:17]
	s_waitcnt lgkmcnt(0)
	ds_bpermute_b32 v18, v21, v16
	ds_bpermute_b32 v19, v21, v17
	s_waitcnt lgkmcnt(0)
	s_barrier
	v_pk_add_f32 v[16:17], v[16:17], v[18:19]
	ds_bpermute_b32 v18, v22, v16
	ds_bpermute_b32 v19, v22, v17
	s_waitcnt lgkmcnt(0)
	v_pk_add_f32 v[16:17], v[16:17], v[18:19]
	ds_bpermute_b32 v18, v23, v16
	ds_bpermute_b32 v19, v23, v17
	s_waitcnt lgkmcnt(0)
	;; [unrolled: 4-line block ×4, first 2 shown]
	v_pk_add_f32 v[16:17], v[16:17], v[18:19]
	ds_bpermute_b32 v18, v26, v16
	ds_bpermute_b32 v19, v26, v17
	s_and_saveexec_b64 s[16:17], s[4:5]
	s_cbranch_execz .LBB118_68
; %bb.67:                               ;   in Loop: Header=BB118_62 Depth=1
	s_waitcnt lgkmcnt(0)
	v_pk_add_f32 v[16:17], v[16:17], v[18:19]
	ds_write_b64 v27, v[16:17]
.LBB118_68:                             ;   in Loop: Header=BB118_62 Depth=1
	s_or_b64 exec, exec, s[16:17]
	s_mov_b32 s13, s12
	v_mov_b64_e32 v[16:17], s[12:13]
	s_waitcnt lgkmcnt(0)
	s_barrier
	s_and_saveexec_b64 s[16:17], s[6:7]
	s_cbranch_execnz .LBB118_78
; %bb.69:                               ;   in Loop: Header=BB118_62 Depth=1
	s_or_b64 exec, exec, s[16:17]
	s_and_saveexec_b64 s[16:17], s[0:1]
	s_cbranch_execnz .LBB118_79
.LBB118_70:                             ;   in Loop: Header=BB118_62 Depth=1
	s_or_b64 exec, exec, s[16:17]
	s_and_saveexec_b64 s[16:17], s[8:9]
	s_cbranch_execz .LBB118_61
	s_branch .LBB118_80
.LBB118_71:                             ;   in Loop: Header=BB118_62 Depth=1
	s_mul_i32 s18, s48, s23
	s_ashr_i32 s19, s18, 31
	v_lshl_add_u64 v[40:41], s[18:19], 3, v[2:3]
	s_waitcnt lgkmcnt(0)
	global_load_dwordx2 v[16:17], v[0:1], off
	global_load_dwordx2 v[18:19], v[8:9], off
	;; [unrolled: 1-line block ×4, first 2 shown]
	global_load_dwordx4 v[32:35], v[40:41], off
	global_load_dwordx4 v[36:39], v[40:41], off offset:16
	s_waitcnt vmcnt(4)
	scratch_store_dwordx4 off, v[16:19], off
	s_waitcnt vmcnt(3)
	scratch_store_dwordx4 off, v[28:31], off offset:16
	s_waitcnt vmcnt(3)
	v_mul_f32_e32 v5, v17, v33
	v_mul_f32_e32 v41, v16, v33
	v_mul_f32_e32 v15, v19, v35
	v_mul_f32_e32 v33, v18, v35
	s_waitcnt vmcnt(2)
	v_pk_mul_f32 v[42:43], v[28:29], v[36:37] op_sel:[1,0]
	v_fma_f32 v40, v16, v32, -v5
	v_fmac_f32_e32 v41, v17, v32
	v_pk_mul_f32 v[44:45], v[30:31], v[38:39] op_sel:[1,0]
	v_fma_f32 v32, v18, v34, -v15
	v_fmac_f32_e32 v33, v19, v34
	v_pk_fma_f32 v[16:17], v[28:29], v[36:37], v[42:43] op_sel:[0,0,1] op_sel_hi:[1,1,0] neg_lo:[0,0,1] neg_hi:[0,0,1]
	v_pk_fma_f32 v[18:19], v[28:29], v[36:37], v[42:43] op_sel:[0,0,1] op_sel_hi:[0,1,0]
	v_pk_add_f32 v[34:35], v[40:41], 0 op_sel_hi:[1,0]
	v_pk_fma_f32 v[28:29], v[30:31], v[38:39], v[44:45] op_sel:[0,0,1] op_sel_hi:[1,1,0] neg_lo:[0,0,1] neg_hi:[0,0,1]
	v_pk_fma_f32 v[30:31], v[30:31], v[38:39], v[44:45] op_sel:[0,0,1] op_sel_hi:[0,1,0]
	v_mov_b32_e32 v17, v19
	v_pk_add_f32 v[18:19], v[34:35], v[32:33]
	v_mov_b32_e32 v29, v31
	v_pk_add_f32 v[16:17], v[18:19], v[16:17]
	s_nop 0
	v_pk_add_f32 v[16:17], v[16:17], v[28:29]
	s_andn2_saveexec_b64 s[16:17], s[16:17]
	s_cbranch_execz .LBB118_64
.LBB118_72:                             ;   in Loop: Header=BB118_62 Depth=1
	s_waitcnt lgkmcnt(0)
	v_mov_b32_e32 v17, 0
	v_mov_b32_e32 v16, v17
	s_and_saveexec_b64 s[18:19], s[2:3]
	s_cbranch_execz .LBB118_77
; %bb.73:                               ;   in Loop: Header=BB118_62 Depth=1
	v_mov_b32_e32 v5, 0
	v_mov_b32_e32 v16, v4
	s_mov_b32 s11, s35
.LBB118_74:                             ;   Parent Loop BB118_62 Depth=1
                                        ; =>  This Inner Loop Header: Depth=2
	v_ashrrev_i32_e32 v17, 31, v16
	v_lshl_add_u64 v[18:19], v[16:17], 3, s[24:25]
	global_load_dwordx2 v[18:19], v[18:19], off
	s_add_i32 s11, s11, -1
	v_add_u32_e32 v16, s33, v16
	s_cmp_eq_u32 s11, 0
	s_waitcnt vmcnt(0)
	scratch_store_dwordx2 v5, v[18:19], off
	v_add_u32_e32 v5, 8, v5
	s_cbranch_scc0 .LBB118_74
; %bb.75:                               ;   in Loop: Header=BB118_62 Depth=1
	s_ashr_i32 s11, s10, 31
	v_mov_b32_e32 v16, 0
	v_lshl_add_u64 v[18:19], s[10:11], 3, v[6:7]
	v_mov_b32_e32 v5, 0
	s_mov_b32 s11, s35
	v_mov_b32_e32 v17, v16
.LBB118_76:                             ;   Parent Loop BB118_62 Depth=1
                                        ; =>  This Inner Loop Header: Depth=2
	global_load_dwordx2 v[28:29], v[18:19], off
	scratch_load_dwordx2 v[30:31], v5, off
	s_add_i32 s11, s11, -1
	v_add_u32_e32 v5, 8, v5
	v_lshl_add_u64 v[18:19], v[18:19], 0, 8
	s_cmp_lg_u32 s11, 0
	s_waitcnt vmcnt(0)
	v_pk_mul_f32 v[32:33], v[30:31], v[28:29] op_sel:[0,1]
	s_nop 0
	v_pk_fma_f32 v[34:35], v[30:31], v[28:29], v[32:33] op_sel:[0,0,1] op_sel_hi:[1,1,0] neg_lo:[0,0,1] neg_hi:[0,0,1]
	v_pk_fma_f32 v[28:29], v[30:31], v[28:29], v[32:33] op_sel:[0,0,1] op_sel_hi:[1,0,0]
	s_nop 0
	v_mov_b32_e32 v35, v29
	v_pk_add_f32 v[16:17], v[16:17], v[34:35]
	s_cbranch_scc1 .LBB118_76
.LBB118_77:                             ;   in Loop: Header=BB118_62 Depth=1
	s_or_b64 exec, exec, s[18:19]
	s_or_b64 exec, exec, s[16:17]
	s_and_saveexec_b64 s[16:17], s[0:1]
	s_cbranch_execnz .LBB118_65
	s_branch .LBB118_66
.LBB118_78:                             ;   in Loop: Header=BB118_62 Depth=1
	ds_read_b64 v[16:17], v20
	s_or_b64 exec, exec, s[16:17]
	s_and_saveexec_b64 s[16:17], s[0:1]
	s_cbranch_execz .LBB118_70
.LBB118_79:                             ;   in Loop: Header=BB118_62 Depth=1
	s_waitcnt lgkmcnt(0)
	ds_bpermute_b32 v18, v25, v16
	ds_bpermute_b32 v19, v25, v17
	s_waitcnt lgkmcnt(0)
	v_pk_add_f32 v[16:17], v[16:17], v[18:19]
	ds_bpermute_b32 v18, v26, v16
	ds_bpermute_b32 v19, v26, v17
	s_waitcnt lgkmcnt(0)
	v_pk_add_f32 v[16:17], v[16:17], v[18:19]
	s_or_b64 exec, exec, s[16:17]
	s_and_saveexec_b64 s[16:17], s[8:9]
	s_cbranch_execz .LBB118_61
.LBB118_80:                             ;   in Loop: Header=BB118_62 Depth=1
	s_mul_hi_u32 s19, s48, s22
	s_mul_i32 s18, s48, s22
	s_waitcnt lgkmcnt(0)
	v_pk_mul_f32 v[18:19], v[16:17], s[14:15] op_sel:[1,0]
	s_lshl_b64 s[18:19], s[18:19], 3
	s_add_u32 s18, s20, s18
	v_pk_fma_f32 v[28:29], v[16:17], s[14:15], v[18:19] op_sel:[0,0,1] op_sel_hi:[1,1,0] neg_lo:[0,0,1] neg_hi:[0,0,1]
	v_pk_fma_f32 v[16:17], v[16:17], s[14:15], v[18:19] op_sel:[0,0,1] op_sel_hi:[0,1,0]
	s_addc_u32 s19, s28, s19
	v_mov_b32_e32 v29, v17
	global_store_dwordx2 v14, v[28:29], s[18:19]
	s_branch .LBB118_61
.LBB118_81:
	s_endpgm
	.section	.rodata,"a",@progbits
	.p2align	6, 0x0
	.amdhsa_kernel _ZL23rocblas_gemvt_sn_kernelILb0ELi256ELi4Ei19rocblas_complex_numIfEPKS1_S1_EviiT4_lPKT3_lilS7_lilPT5_i
		.amdhsa_group_segment_fixed_size 512
		.amdhsa_private_segment_fixed_size 48
		.amdhsa_kernarg_size 360
		.amdhsa_user_sgpr_count 2
		.amdhsa_user_sgpr_dispatch_ptr 0
		.amdhsa_user_sgpr_queue_ptr 0
		.amdhsa_user_sgpr_kernarg_segment_ptr 1
		.amdhsa_user_sgpr_dispatch_id 0
		.amdhsa_user_sgpr_kernarg_preload_length 0
		.amdhsa_user_sgpr_kernarg_preload_offset 0
		.amdhsa_user_sgpr_private_segment_size 0
		.amdhsa_uses_dynamic_stack 0
		.amdhsa_enable_private_segment 1
		.amdhsa_system_sgpr_workgroup_id_x 1
		.amdhsa_system_sgpr_workgroup_id_y 0
		.amdhsa_system_sgpr_workgroup_id_z 1
		.amdhsa_system_sgpr_workgroup_info 0
		.amdhsa_system_vgpr_workitem_id 0
		.amdhsa_next_free_vgpr 84
		.amdhsa_next_free_sgpr 55
		.amdhsa_accum_offset 84
		.amdhsa_reserve_vcc 1
		.amdhsa_float_round_mode_32 0
		.amdhsa_float_round_mode_16_64 0
		.amdhsa_float_denorm_mode_32 3
		.amdhsa_float_denorm_mode_16_64 3
		.amdhsa_dx10_clamp 1
		.amdhsa_ieee_mode 1
		.amdhsa_fp16_overflow 0
		.amdhsa_tg_split 0
		.amdhsa_exception_fp_ieee_invalid_op 0
		.amdhsa_exception_fp_denorm_src 0
		.amdhsa_exception_fp_ieee_div_zero 0
		.amdhsa_exception_fp_ieee_overflow 0
		.amdhsa_exception_fp_ieee_underflow 0
		.amdhsa_exception_fp_ieee_inexact 0
		.amdhsa_exception_int_div_zero 0
	.end_amdhsa_kernel
	.section	.text._ZL23rocblas_gemvt_sn_kernelILb0ELi256ELi4Ei19rocblas_complex_numIfEPKS1_S1_EviiT4_lPKT3_lilS7_lilPT5_i,"axG",@progbits,_ZL23rocblas_gemvt_sn_kernelILb0ELi256ELi4Ei19rocblas_complex_numIfEPKS1_S1_EviiT4_lPKT3_lilS7_lilPT5_i,comdat
.Lfunc_end118:
	.size	_ZL23rocblas_gemvt_sn_kernelILb0ELi256ELi4Ei19rocblas_complex_numIfEPKS1_S1_EviiT4_lPKT3_lilS7_lilPT5_i, .Lfunc_end118-_ZL23rocblas_gemvt_sn_kernelILb0ELi256ELi4Ei19rocblas_complex_numIfEPKS1_S1_EviiT4_lPKT3_lilS7_lilPT5_i
                                        ; -- End function
	.section	.AMDGPU.csdata,"",@progbits
; Kernel info:
; codeLenInByte = 5388
; NumSgprs: 61
; NumVgprs: 84
; NumAgprs: 0
; TotalNumVgprs: 84
; ScratchSize: 48
; MemoryBound: 0
; FloatMode: 240
; IeeeMode: 1
; LDSByteSize: 512 bytes/workgroup (compile time only)
; SGPRBlocks: 7
; VGPRBlocks: 10
; NumSGPRsForWavesPerEU: 61
; NumVGPRsForWavesPerEU: 84
; AccumOffset: 84
; Occupancy: 5
; WaveLimiterHint : 1
; COMPUTE_PGM_RSRC2:SCRATCH_EN: 1
; COMPUTE_PGM_RSRC2:USER_SGPR: 2
; COMPUTE_PGM_RSRC2:TRAP_HANDLER: 0
; COMPUTE_PGM_RSRC2:TGID_X_EN: 1
; COMPUTE_PGM_RSRC2:TGID_Y_EN: 0
; COMPUTE_PGM_RSRC2:TGID_Z_EN: 1
; COMPUTE_PGM_RSRC2:TIDIG_COMP_CNT: 0
; COMPUTE_PGM_RSRC3_GFX90A:ACCUM_OFFSET: 20
; COMPUTE_PGM_RSRC3_GFX90A:TG_SPLIT: 0
	.section	.text._ZL23rocblas_gemvt_sn_kernelILb0ELi256ELi4El19rocblas_complex_numIfEPKS1_S1_EviiT4_lPKT3_lilS7_lilPT5_i,"axG",@progbits,_ZL23rocblas_gemvt_sn_kernelILb0ELi256ELi4El19rocblas_complex_numIfEPKS1_S1_EviiT4_lPKT3_lilS7_lilPT5_i,comdat
	.globl	_ZL23rocblas_gemvt_sn_kernelILb0ELi256ELi4El19rocblas_complex_numIfEPKS1_S1_EviiT4_lPKT3_lilS7_lilPT5_i ; -- Begin function _ZL23rocblas_gemvt_sn_kernelILb0ELi256ELi4El19rocblas_complex_numIfEPKS1_S1_EviiT4_lPKT3_lilS7_lilPT5_i
	.p2align	8
	.type	_ZL23rocblas_gemvt_sn_kernelILb0ELi256ELi4El19rocblas_complex_numIfEPKS1_S1_EviiT4_lPKT3_lilS7_lilPT5_i,@function
_ZL23rocblas_gemvt_sn_kernelILb0ELi256ELi4El19rocblas_complex_numIfEPKS1_S1_EviiT4_lPKT3_lilS7_lilPT5_i: ; @_ZL23rocblas_gemvt_sn_kernelILb0ELi256ELi4El19rocblas_complex_numIfEPKS1_S1_EviiT4_lPKT3_lilS7_lilPT5_i
; %bb.0:
	s_load_dwordx8 s[12:19], s[0:1], 0x8
	s_load_dwordx2 s[20:21], s[0:1], 0x0
	s_mov_b32 s4, s3
	s_mov_b32 s23, 0
	v_cmp_eq_u32_e32 vcc, 0, v0
	s_waitcnt lgkmcnt(0)
	s_mul_i32 s3, s3, s15
	s_mul_hi_u32 s5, s4, s14
	s_add_i32 s7, s5, s3
	s_mul_i32 s6, s4, s14
	s_lshl_b64 s[6:7], s[6:7], 3
	s_add_u32 s6, s12, s6
	s_addc_u32 s7, s13, s7
	s_load_dwordx2 s[24:25], s[6:7], 0x0
	s_load_dwordx4 s[8:11], s[0:1], 0x50
	s_load_dword s22, s[0:1], 0x68
	s_ashr_i32 s5, s21, 31
	s_mul_hi_u32 s3, s21, s4
	s_mul_i32 s6, s5, s4
	s_add_i32 s13, s3, s6
	s_mul_i32 s12, s21, s4
	s_waitcnt lgkmcnt(0)
	s_mul_i32 s3, s13, s22
	s_mul_hi_u32 s6, s12, s22
	s_add_i32 s7, s6, s3
	s_mul_i32 s6, s12, s22
	s_lshl_b64 s[6:7], s[6:7], 3
	s_add_u32 s45, s10, s6
	s_addc_u32 s60, s11, s7
	s_or_b32 s3, s24, s25
	s_bitset0_b32 s3, 31
	s_cmp_lg_u32 s3, 0
	s_mov_b64 s[6:7], -1
	s_cbranch_scc1 .LBB119_10
; %bb.1:
	s_cmp_gt_i32 s21, 0
	s_cselect_b64 s[6:7], -1, 0
	s_and_b64 s[14:15], vcc, s[6:7]
	s_and_saveexec_b64 s[6:7], s[14:15]
	s_cbranch_execz .LBB119_9
; %bb.2:
	s_cmp_gt_u32 s21, 3
	s_cselect_b64 s[14:15], -1, 0
	s_cmp_eq_u32 s22, 1
	s_cselect_b64 s[30:31], -1, 0
	s_mov_b32 s3, 0
	s_and_b64 s[14:15], s[14:15], s[30:31]
	s_mov_b32 s26, 1
	s_mov_b64 s[28:29], -1
	s_andn2_b64 vcc, exec, s[14:15]
	s_mov_b32 s14, s3
	s_cbranch_vccnz .LBB119_6
; %bb.3:
	s_lshl_b64 s[28:29], s[2:3], 3
	s_add_u32 s15, s45, s28
	s_addc_u32 s30, s60, s29
	s_mov_b32 s29, 0
	s_and_b32 s14, s21, 0x7ffffffc
	s_mov_b32 s28, s29
	v_mov_b32_e32 v1, 0
	v_mov_b64_e32 v[2:3], s[28:29]
	s_mov_b32 s31, s14
.LBB119_4:                              ; =>This Inner Loop Header: Depth=1
	s_add_i32 s34, s26, 2
	s_add_i32 s36, s28, 2
	s_lshl_b64 s[38:39], s[28:29], 3
	s_mov_b32 s27, s29
	s_add_u32 s38, s15, s38
	s_addc_u32 s39, s30, s39
	s_lshl_b64 s[40:41], s[26:27], 3
	s_mov_b32 s37, s29
	s_add_u32 s40, s15, s40
	s_addc_u32 s41, s30, s41
	;; [unrolled: 4-line block ×3, first 2 shown]
	s_lshl_b64 s[34:35], s[34:35], 3
	s_add_u32 s34, s15, s34
	s_addc_u32 s35, s30, s35
	s_add_i32 s28, s28, 4
	s_add_i32 s26, s26, 4
	s_add_i32 s31, s31, -4
	s_cmp_lg_u32 s31, 0
	global_store_dwordx2 v1, v[2:3], s[38:39]
	global_store_dwordx2 v1, v[2:3], s[40:41]
	;; [unrolled: 1-line block ×4, first 2 shown]
	s_cbranch_scc1 .LBB119_4
; %bb.5:
	s_cmp_lg_u32 s14, s21
	s_cselect_b64 s[28:29], -1, 0
.LBB119_6:
	s_and_b64 vcc, exec, s[28:29]
	s_cbranch_vccz .LBB119_9
; %bb.7:
	s_mov_b32 s15, 0
	s_sub_i32 s26, s21, s14
	s_lshl_b64 s[12:13], s[12:13], 3
	s_lshl_b64 s[14:15], s[14:15], 3
	s_add_u32 s12, s12, s14
	s_addc_u32 s13, s13, s15
	s_mul_i32 s13, s13, s22
	s_mul_hi_u32 s14, s12, s22
	s_add_i32 s14, s14, s13
	s_mul_i32 s15, s12, s22
	s_lshl_b64 s[12:13], s[2:3], 3
	s_add_u32 s3, s15, s12
	s_addc_u32 s12, s14, s13
	s_add_u32 s10, s10, s3
	v_mov_b32_e32 v2, 0
	s_addc_u32 s11, s11, s12
	s_lshl_b64 s[12:13], s[22:23], 3
	v_mov_b32_e32 v3, v2
.LBB119_8:                              ; =>This Inner Loop Header: Depth=1
	s_add_i32 s26, s26, -1
	global_store_dwordx2 v2, v[2:3], s[10:11]
	s_add_u32 s10, s10, s12
	s_addc_u32 s11, s11, s13
	s_cmp_eq_u32 s26, 0
	s_cbranch_scc0 .LBB119_8
.LBB119_9:
	s_or_b64 exec, exec, s[6:7]
	s_mov_b64 s[6:7], 0
.LBB119_10:
	s_andn2_b64 vcc, exec, s[6:7]
	s_cbranch_vccnz .LBB119_81
; %bb.11:
	s_load_dword s26, s[0:1], 0x28
	s_load_dword s28, s[0:1], 0x48
	s_load_dwordx2 s[6:7], s[0:1], 0x40
	s_load_dwordx4 s[12:15], s[0:1], 0x30
	s_mul_i32 s0, s4, s9
	s_mul_hi_u32 s1, s4, s8
	s_add_i32 s1, s1, s0
	s_mul_i32 s0, s4, s8
	s_waitcnt lgkmcnt(0)
	s_ashr_i32 s27, s26, 31
	s_ashr_i32 s29, s28, 31
	s_lshl_b64 s[30:31], s[0:1], 3
	s_add_u32 s0, s14, s30
	s_addc_u32 s1, s15, s31
	s_lshl_b64 s[36:37], s[6:7], 3
	s_add_u32 s38, s0, s36
	s_addc_u32 s39, s1, s37
	s_mul_i32 s0, s4, s13
	s_mul_hi_u32 s1, s4, s12
	s_add_i32 s1, s1, s0
	s_mul_i32 s0, s4, s12
	s_lshl_b64 s[34:35], s[0:1], 3
	s_add_u32 s0, s16, s34
	s_addc_u32 s1, s17, s35
	s_lshl_b64 s[18:19], s[18:19], 3
	s_add_u32 s0, s0, s18
	s_addc_u32 s1, s1, s19
	s_lshl_b32 s3, s2, 10
	v_lshl_or_b32 v4, v0, 2, s3
	v_ashrrev_i32_e32 v5, 31, v4
	v_lshl_add_u64 v[2:3], v[4:5], 3, s[0:1]
	s_lshr_b32 s0, s5, 30
	s_add_i32 s0, s21, s0
	s_and_b32 s61, s0, -4
	s_ashr_i32 s0, s20, 31
	s_lshr_b32 s0, s0, 30
	s_add_i32 s0, s20, s0
	s_and_b32 s0, s0, -4
	s_sub_i32 s23, s20, s0
	s_cmp_lt_i32 s61, 1
	v_add_u32_e32 v35, 4, v4
	v_add_u32_e32 v36, s23, v4
	v_and_b32_e32 v1, 63, v0
	v_cmp_gt_u32_e64 s[0:1], 64, v0
	v_mbcnt_lo_u32_b32 v34, -1, 0
	v_cmp_gt_u32_e64 s[4:5], 4, v0
	v_lshrrev_b32_e32 v33, 3, v0
	v_or_b32_e32 v32, 1, v4
	v_or_b32_e32 v31, 2, v4
	v_or_b32_e32 v30, 3, v4
	s_cbranch_scc1 .LBB119_58
; %bb.12:
	v_mbcnt_hi_u32_b32 v6, -1, v34
	v_and_b32_e32 v7, 63, v6
	v_cmp_gt_u32_e32 vcc, 32, v7
	s_mov_b32 s40, 0
	s_cmp_gt_i32 s23, 0
	v_cndmask_b32_e64 v8, 0, 1, vcc
	v_lshlrev_b32_e32 v8, 5, v8
	v_cmp_gt_u32_e32 vcc, 48, v7
	v_add_lshl_u32 v37, v8, v6, 2
	s_mov_b32 s3, s40
	v_cndmask_b32_e64 v8, 0, 1, vcc
	v_lshlrev_b32_e32 v8, 4, v8
	v_cmp_gt_u32_e32 vcc, 56, v7
	v_add_lshl_u32 v38, v8, v6, 2
	s_cselect_b64 s[42:43], -1, 0
	v_cndmask_b32_e64 v8, 0, 1, vcc
	v_lshlrev_b32_e32 v8, 3, v8
	v_cmp_gt_u32_e32 vcc, 60, v7
	v_add_lshl_u32 v39, v8, v6, 2
	s_lshl_b64 s[46:47], s[2:3], 3
	v_cndmask_b32_e64 v8, 0, 1, vcc
	v_lshlrev_b32_e32 v8, 2, v8
	v_cmp_gt_u32_e32 vcc, 62, v7
	v_add_lshl_u32 v40, v8, v6, 2
	s_add_u32 s3, s45, s46
	v_cndmask_b32_e64 v8, 0, 1, vcc
	v_lshlrev_b32_e32 v8, 1, v8
	v_cmp_ne_u32_e32 vcc, 63, v7
	s_addc_u32 s62, s60, s47
	v_add_lshl_u32 v41, v8, v6, 2
	v_addc_co_u32_e32 v6, vcc, 0, v6, vcc
	s_add_u32 s33, s14, s36
	v_lshlrev_b32_e32 v42, 2, v6
	v_mad_i64_i32 v[6:7], s[46:47], s28, v4, 0
	v_mad_i64_i32 v[8:9], s[46:47], s28, v32, 0
	;; [unrolled: 1-line block ×4, first 2 shown]
	s_addc_u32 s41, s15, s37
	s_add_u32 s46, s33, s30
	v_lshlrev_b64 v[14:15], 3, v[6:7]
	s_addc_u32 s47, s41, s31
	v_cmp_ge_i32_e64 s[6:7], s20, v35
	v_cmp_ge_i32_e64 s[8:9], s20, v36
	v_cmp_eq_u32_e64 s[10:11], 0, v1
	v_lshlrev_b32_e32 v43, 3, v1
	v_and_b32_e32 v44, 24, v33
	v_cmp_eq_u32_e64 s[12:13], 0, v0
	v_lshl_add_u64 v[6:7], s[38:39], 0, v[14:15]
	v_lshl_add_u64 v[8:9], v[8:9], 3, s[38:39]
	;; [unrolled: 1-line block ×4, first 2 shown]
	s_mov_b32 s44, s25
	v_lshl_add_u64 v[14:15], s[46:47], 0, v[14:15]
	s_lshl_b64 s[46:47], s[28:29], 3
	s_lshl_b64 s[48:49], s[26:27], 5
	;; [unrolled: 1-line block ×4, first 2 shown]
	s_mul_hi_i32 s55, s26, 24
	s_mul_i32 s54, s26, 24
	v_mov_b32_e32 v16, 0
	v_mov_b64_e32 v[18:19], v[2:3]
	s_mov_b32 s33, 0
	s_branch .LBB119_14
.LBB119_13:                             ;   in Loop: Header=BB119_14 Depth=1
	s_or_b64 exec, exec, s[56:57]
	s_add_i32 s33, s33, 4
	s_cmp_ge_i32 s33, s61
	v_lshl_add_u64 v[18:19], v[18:19], 0, s[48:49]
	s_cbranch_scc1 .LBB119_59
.LBB119_14:                             ; =>This Loop Header: Depth=1
                                        ;     Child Loop BB119_45 Depth 2
                                        ;     Child Loop BB119_47 Depth 2
                                        ; implicit-def: $vgpr27
                                        ; implicit-def: $vgpr25
                                        ; implicit-def: $vgpr23
                                        ; implicit-def: $vgpr21
	s_and_saveexec_b64 s[56:57], s[6:7]
	s_xor_b64 s[56:57], exec, s[56:57]
	s_cbranch_execnz .LBB119_41
; %bb.15:                               ;   in Loop: Header=BB119_14 Depth=1
	s_andn2_saveexec_b64 s[56:57], s[56:57]
	s_cbranch_execnz .LBB119_42
.LBB119_16:                             ;   in Loop: Header=BB119_14 Depth=1
	s_or_b64 exec, exec, s[56:57]
	s_and_saveexec_b64 s[56:57], s[0:1]
	s_cbranch_execz .LBB119_18
.LBB119_17:                             ;   in Loop: Header=BB119_14 Depth=1
	v_mov_b32_e32 v17, v16
	ds_write_b64 v43, v[16:17]
.LBB119_18:                             ;   in Loop: Header=BB119_14 Depth=1
	s_or_b64 exec, exec, s[56:57]
	ds_bpermute_b32 v28, v37, v26
	ds_bpermute_b32 v29, v37, v27
	s_waitcnt lgkmcnt(0)
	s_barrier
	v_pk_add_f32 v[26:27], v[26:27], v[28:29]
	ds_bpermute_b32 v28, v38, v26
	ds_bpermute_b32 v29, v38, v27
	s_waitcnt lgkmcnt(0)
	v_pk_add_f32 v[26:27], v[26:27], v[28:29]
	ds_bpermute_b32 v28, v39, v26
	ds_bpermute_b32 v29, v39, v27
	s_waitcnt lgkmcnt(0)
	;; [unrolled: 4-line block ×4, first 2 shown]
	v_pk_add_f32 v[26:27], v[26:27], v[28:29]
	ds_bpermute_b32 v28, v42, v26
	ds_bpermute_b32 v29, v42, v27
	s_and_saveexec_b64 s[56:57], s[10:11]
	s_cbranch_execz .LBB119_20
; %bb.19:                               ;   in Loop: Header=BB119_14 Depth=1
	s_waitcnt lgkmcnt(0)
	v_pk_add_f32 v[26:27], v[26:27], v[28:29]
	ds_write_b64 v44, v[26:27]
.LBB119_20:                             ;   in Loop: Header=BB119_14 Depth=1
	s_or_b64 exec, exec, s[56:57]
	s_mov_b32 s41, s40
	v_mov_b64_e32 v[26:27], s[40:41]
	s_waitcnt lgkmcnt(0)
	s_barrier
	s_and_saveexec_b64 s[56:57], s[4:5]
	s_cbranch_execnz .LBB119_49
; %bb.21:                               ;   in Loop: Header=BB119_14 Depth=1
	s_or_b64 exec, exec, s[56:57]
	s_and_saveexec_b64 s[56:57], s[0:1]
	s_cbranch_execnz .LBB119_50
.LBB119_22:                             ;   in Loop: Header=BB119_14 Depth=1
	s_or_b64 exec, exec, s[56:57]
	s_and_saveexec_b64 s[56:57], s[0:1]
	s_cbranch_execz .LBB119_24
.LBB119_23:                             ;   in Loop: Header=BB119_14 Depth=1
	v_mov_b32_e32 v17, v16
	ds_write_b64 v43, v[16:17]
.LBB119_24:                             ;   in Loop: Header=BB119_14 Depth=1
	s_or_b64 exec, exec, s[56:57]
	ds_bpermute_b32 v28, v37, v24
	ds_bpermute_b32 v29, v37, v25
	s_waitcnt lgkmcnt(0)
	s_barrier
	v_pk_add_f32 v[24:25], v[24:25], v[28:29]
	ds_bpermute_b32 v28, v38, v24
	ds_bpermute_b32 v29, v38, v25
	s_waitcnt lgkmcnt(0)
	v_pk_add_f32 v[24:25], v[24:25], v[28:29]
	ds_bpermute_b32 v28, v39, v24
	ds_bpermute_b32 v29, v39, v25
	s_waitcnt lgkmcnt(0)
	;; [unrolled: 4-line block ×4, first 2 shown]
	v_pk_add_f32 v[24:25], v[24:25], v[28:29]
	ds_bpermute_b32 v28, v42, v24
	ds_bpermute_b32 v29, v42, v25
	s_and_saveexec_b64 s[56:57], s[10:11]
	s_cbranch_execz .LBB119_26
; %bb.25:                               ;   in Loop: Header=BB119_14 Depth=1
	s_waitcnt lgkmcnt(0)
	v_pk_add_f32 v[24:25], v[24:25], v[28:29]
	ds_write_b64 v44, v[24:25]
.LBB119_26:                             ;   in Loop: Header=BB119_14 Depth=1
	s_or_b64 exec, exec, s[56:57]
	s_mov_b32 s41, s40
	v_mov_b64_e32 v[24:25], s[40:41]
	s_waitcnt lgkmcnt(0)
	s_barrier
	s_and_saveexec_b64 s[56:57], s[4:5]
	s_cbranch_execnz .LBB119_51
; %bb.27:                               ;   in Loop: Header=BB119_14 Depth=1
	s_or_b64 exec, exec, s[56:57]
	s_and_saveexec_b64 s[56:57], s[0:1]
	s_cbranch_execnz .LBB119_52
.LBB119_28:                             ;   in Loop: Header=BB119_14 Depth=1
	s_or_b64 exec, exec, s[56:57]
	s_and_saveexec_b64 s[56:57], s[0:1]
	s_cbranch_execz .LBB119_30
.LBB119_29:                             ;   in Loop: Header=BB119_14 Depth=1
	v_mov_b32_e32 v17, v16
	ds_write_b64 v43, v[16:17]
.LBB119_30:                             ;   in Loop: Header=BB119_14 Depth=1
	s_or_b64 exec, exec, s[56:57]
	ds_bpermute_b32 v28, v37, v22
	ds_bpermute_b32 v29, v37, v23
	s_waitcnt lgkmcnt(0)
	s_barrier
	v_pk_add_f32 v[22:23], v[22:23], v[28:29]
	ds_bpermute_b32 v28, v38, v22
	ds_bpermute_b32 v29, v38, v23
	s_waitcnt lgkmcnt(0)
	v_pk_add_f32 v[22:23], v[22:23], v[28:29]
	ds_bpermute_b32 v28, v39, v22
	ds_bpermute_b32 v29, v39, v23
	s_waitcnt lgkmcnt(0)
	;; [unrolled: 4-line block ×4, first 2 shown]
	v_pk_add_f32 v[22:23], v[22:23], v[28:29]
	ds_bpermute_b32 v28, v42, v22
	ds_bpermute_b32 v29, v42, v23
	s_and_saveexec_b64 s[56:57], s[10:11]
	s_cbranch_execz .LBB119_32
; %bb.31:                               ;   in Loop: Header=BB119_14 Depth=1
	s_waitcnt lgkmcnt(0)
	v_pk_add_f32 v[22:23], v[22:23], v[28:29]
	ds_write_b64 v44, v[22:23]
.LBB119_32:                             ;   in Loop: Header=BB119_14 Depth=1
	s_or_b64 exec, exec, s[56:57]
	s_mov_b32 s41, s40
	v_mov_b64_e32 v[22:23], s[40:41]
	s_waitcnt lgkmcnt(0)
	s_barrier
	s_and_saveexec_b64 s[56:57], s[4:5]
	s_cbranch_execnz .LBB119_53
; %bb.33:                               ;   in Loop: Header=BB119_14 Depth=1
	s_or_b64 exec, exec, s[56:57]
	s_and_saveexec_b64 s[56:57], s[0:1]
	s_cbranch_execnz .LBB119_54
.LBB119_34:                             ;   in Loop: Header=BB119_14 Depth=1
	s_or_b64 exec, exec, s[56:57]
	s_and_saveexec_b64 s[56:57], s[0:1]
	s_cbranch_execz .LBB119_36
.LBB119_35:                             ;   in Loop: Header=BB119_14 Depth=1
	v_mov_b32_e32 v17, v16
	ds_write_b64 v43, v[16:17]
.LBB119_36:                             ;   in Loop: Header=BB119_14 Depth=1
	s_or_b64 exec, exec, s[56:57]
	ds_bpermute_b32 v28, v37, v20
	ds_bpermute_b32 v29, v37, v21
	s_waitcnt lgkmcnt(0)
	s_barrier
	v_pk_add_f32 v[20:21], v[20:21], v[28:29]
	ds_bpermute_b32 v28, v38, v20
	ds_bpermute_b32 v29, v38, v21
	s_waitcnt lgkmcnt(0)
	v_pk_add_f32 v[20:21], v[20:21], v[28:29]
	ds_bpermute_b32 v28, v39, v20
	ds_bpermute_b32 v29, v39, v21
	s_waitcnt lgkmcnt(0)
	;; [unrolled: 4-line block ×4, first 2 shown]
	v_pk_add_f32 v[20:21], v[20:21], v[28:29]
	ds_bpermute_b32 v28, v42, v20
	ds_bpermute_b32 v29, v42, v21
	s_and_saveexec_b64 s[56:57], s[10:11]
	s_cbranch_execz .LBB119_38
; %bb.37:                               ;   in Loop: Header=BB119_14 Depth=1
	s_waitcnt lgkmcnt(0)
	v_pk_add_f32 v[20:21], v[20:21], v[28:29]
	ds_write_b64 v44, v[20:21]
.LBB119_38:                             ;   in Loop: Header=BB119_14 Depth=1
	s_or_b64 exec, exec, s[56:57]
	s_mov_b32 s41, s40
	v_mov_b64_e32 v[20:21], s[40:41]
	s_waitcnt lgkmcnt(0)
	s_barrier
	s_and_saveexec_b64 s[56:57], s[4:5]
	s_cbranch_execnz .LBB119_55
; %bb.39:                               ;   in Loop: Header=BB119_14 Depth=1
	s_or_b64 exec, exec, s[56:57]
	s_and_saveexec_b64 s[56:57], s[0:1]
	s_cbranch_execnz .LBB119_56
.LBB119_40:                             ;   in Loop: Header=BB119_14 Depth=1
	s_or_b64 exec, exec, s[56:57]
	s_and_saveexec_b64 s[56:57], s[12:13]
	s_cbranch_execz .LBB119_13
	s_branch .LBB119_57
.LBB119_41:                             ;   in Loop: Header=BB119_14 Depth=1
	s_mul_i32 s41, s33, s27
	s_mul_hi_u32 s58, s33, s26
	s_add_i32 s59, s58, s41
	s_mul_i32 s58, s33, s26
	s_or_b32 s41, s33, 1
	v_lshl_add_u64 v[28:29], s[58:59], 3, v[2:3]
	s_mul_i32 s58, s41, s27
	s_mul_hi_u32 s59, s41, s26
	s_add_i32 s59, s59, s58
	s_mul_i32 s58, s41, s26
	s_or_b32 s41, s33, 2
	s_waitcnt lgkmcnt(0)
	global_load_dwordx2 v[20:21], v[6:7], off
	global_load_dwordx2 v[22:23], v[8:9], off
	;; [unrolled: 1-line block ×4, first 2 shown]
	global_load_dwordx4 v[24:27], v[28:29], off
	global_load_dwordx4 v[50:53], v[28:29], off offset:16
	v_lshl_add_u64 v[28:29], s[58:59], 3, v[2:3]
	s_mul_i32 s58, s41, s27
	s_mul_hi_u32 s59, s41, s26
	s_add_i32 s59, s59, s58
	s_mul_i32 s58, s41, s26
	v_lshl_add_u64 v[74:75], s[58:59], 3, v[2:3]
	s_or_b32 s41, s33, 3
	global_load_dwordx4 v[54:57], v[28:29], off
	global_load_dwordx4 v[58:61], v[74:75], off
	s_mul_i32 s58, s41, s27
	s_mul_hi_u32 s59, s41, s26
	s_add_i32 s59, s59, s58
	s_mul_i32 s58, s41, s26
	v_lshl_add_u64 v[66:67], s[58:59], 3, v[2:3]
	global_load_dwordx4 v[62:65], v[66:67], off
	s_nop 0
	global_load_dwordx4 v[66:69], v[66:67], off offset:16
	s_nop 0
	global_load_dwordx4 v[70:73], v[28:29], off offset:16
	;; [unrolled: 2-line block ×3, first 2 shown]
	s_waitcnt vmcnt(10)
	scratch_store_dwordx4 off, v[20:23], off
	s_waitcnt vmcnt(9)
	scratch_store_dwordx4 off, v[46:49], off offset:16
	s_waitcnt vmcnt(9)
	v_mul_f32_e32 v17, v21, v25
	v_mul_f32_e32 v29, v20, v25
	v_mul_f32_e32 v45, v23, v27
	v_mul_f32_e32 v25, v22, v27
	s_waitcnt vmcnt(8)
	v_pk_mul_f32 v[78:79], v[46:47], v[50:51] op_sel:[1,1] op_sel_hi:[0,1]
	v_mov_b32_e32 v80, v53
	v_fma_f32 v28, v20, v24, -v17
	v_fmac_f32_e32 v29, v21, v24
	s_waitcnt vmcnt(7)
	v_mul_f32_e32 v17, v21, v55
	v_fma_f32 v24, v22, v26, -v45
	v_fmac_f32_e32 v25, v23, v26
	v_mul_f32_e32 v81, v20, v55
	s_waitcnt vmcnt(6)
	v_mul_f32_e32 v26, v21, v59
	v_mul_f32_e32 v45, v23, v57
	;; [unrolled: 1-line block ×3, first 2 shown]
	s_waitcnt vmcnt(5)
	v_mul_f32_e32 v86, v21, v63
	v_mul_f32_e32 v27, v20, v63
	;; [unrolled: 1-line block ×7, first 2 shown]
	s_waitcnt vmcnt(4)
	v_pk_mul_f32 v[82:83], v[46:47], v[66:67] op_sel:[1,1] op_sel_hi:[0,1]
	v_pk_fma_f32 v[84:85], v[46:47], v[50:51], v[78:79] neg_lo:[0,0,1] neg_hi:[0,0,1]
	v_pk_fma_f32 v[50:51], v[46:47], v[50:51], v[78:79] op_sel_hi:[1,0,1]
	v_pk_mul_f32 v[78:79], v[48:49], v[80:81] op_sel_hi:[1,0]
	v_fma_f32 v80, v20, v54, -v17
	v_fmac_f32_e32 v81, v21, v54
	v_fma_f32 v54, v22, v56, -v45
	v_fmac_f32_e32 v55, v23, v56
	v_fma_f32 v56, v20, v58, -v26
	v_fma_f32 v26, v20, v62, -v86
	v_fmac_f32_e32 v27, v21, v62
	v_fmac_f32_e32 v57, v21, v58
	v_fma_f32 v58, v22, v60, -v87
	v_fmac_f32_e32 v59, v23, v60
	v_fma_f32 v60, v22, v64, -v63
	v_fmac_f32_e32 v61, v23, v64
	v_pk_fma_f32 v[20:21], v[46:47], v[66:67], v[82:83] neg_lo:[0,0,1] neg_hi:[0,0,1]
	v_pk_fma_f32 v[22:23], v[46:47], v[66:67], v[82:83] op_sel_hi:[1,0,1]
	v_pk_add_f32 v[28:29], v[28:29], 0 op_sel_hi:[1,0]
	v_pk_add_f32 v[26:27], v[26:27], 0 op_sel_hi:[1,0]
	v_mov_b32_e32 v21, v23
	v_pk_add_f32 v[22:23], v[28:29], v[24:25]
	v_pk_add_f32 v[24:25], v[26:27], v[60:61]
	v_mov_b32_e32 v85, v51
	v_pk_fma_f32 v[50:51], v[48:49], v[52:53], v[78:79] op_sel:[0,0,1] op_sel_hi:[1,1,0] neg_lo:[0,0,1] neg_hi:[0,0,1]
	v_pk_fma_f32 v[52:53], v[48:49], v[52:53], v[78:79] op_sel:[0,0,1] op_sel_hi:[1,0,0]
	v_pk_add_f32 v[20:21], v[24:25], v[20:21]
	s_waitcnt vmcnt(3)
	v_pk_mul_f32 v[24:25], v[46:47], v[70:71] op_sel:[1,1] op_sel_hi:[0,1]
	v_mov_b32_e32 v51, v53
	v_pk_add_f32 v[22:23], v[22:23], v[84:85]
	v_pk_fma_f32 v[28:29], v[46:47], v[70:71], v[24:25] neg_lo:[0,0,1] neg_hi:[0,0,1]
	v_pk_fma_f32 v[24:25], v[46:47], v[70:71], v[24:25] op_sel_hi:[1,0,1]
	v_pk_add_f32 v[26:27], v[22:23], v[50:51]
	v_pk_add_f32 v[22:23], v[80:81], 0 op_sel_hi:[1,0]
	v_mov_b32_e32 v24, v73
	v_pk_add_f32 v[22:23], v[22:23], v[54:55]
	v_mov_b32_e32 v29, v25
	v_pk_mul_f32 v[24:25], v[48:49], v[24:25] op_sel_hi:[1,0]
	v_pk_add_f32 v[22:23], v[22:23], v[28:29]
	v_pk_fma_f32 v[28:29], v[48:49], v[72:73], v[24:25] op_sel:[0,0,1] op_sel_hi:[1,1,0] neg_lo:[0,0,1] neg_hi:[0,0,1]
	v_pk_fma_f32 v[24:25], v[48:49], v[72:73], v[24:25] op_sel:[0,0,1] op_sel_hi:[1,0,0]
	s_nop 0
	v_mov_b32_e32 v29, v25
	v_pk_add_f32 v[24:25], v[22:23], v[28:29]
	s_waitcnt vmcnt(2)
	v_pk_mul_f32 v[28:29], v[46:47], v[74:75] op_sel:[1,1] op_sel_hi:[0,1]
	v_pk_fma_f32 v[50:51], v[46:47], v[74:75], v[28:29] neg_lo:[0,0,1] neg_hi:[0,0,1]
	v_pk_fma_f32 v[28:29], v[46:47], v[74:75], v[28:29] op_sel_hi:[1,0,1]
	v_pk_add_f32 v[22:23], v[56:57], 0 op_sel_hi:[1,0]
	v_mov_b32_e32 v28, v77
	v_mov_b32_e32 v51, v29
	v_pk_mul_f32 v[28:29], v[48:49], v[28:29] op_sel_hi:[1,0]
	v_pk_add_f32 v[22:23], v[22:23], v[58:59]
	v_pk_fma_f32 v[46:47], v[48:49], v[76:77], v[28:29] op_sel:[0,0,1] op_sel_hi:[1,1,0] neg_lo:[0,0,1] neg_hi:[0,0,1]
	v_pk_fma_f32 v[28:29], v[48:49], v[76:77], v[28:29] op_sel:[0,0,1] op_sel_hi:[1,0,0]
	v_pk_add_f32 v[22:23], v[22:23], v[50:51]
	v_mov_b32_e32 v28, v69
	v_mov_b32_e32 v47, v29
	v_pk_mul_f32 v[28:29], v[48:49], v[28:29] op_sel_hi:[1,0]
	v_pk_add_f32 v[22:23], v[22:23], v[46:47]
	v_pk_fma_f32 v[46:47], v[48:49], v[68:69], v[28:29] op_sel:[0,0,1] op_sel_hi:[1,1,0] neg_lo:[0,0,1] neg_hi:[0,0,1]
	v_pk_fma_f32 v[28:29], v[48:49], v[68:69], v[28:29] op_sel:[0,0,1] op_sel_hi:[1,0,0]
	s_nop 0
	v_mov_b32_e32 v47, v29
	v_pk_add_f32 v[20:21], v[20:21], v[46:47]
	s_andn2_saveexec_b64 s[56:57], s[56:57]
	s_cbranch_execz .LBB119_16
.LBB119_42:                             ;   in Loop: Header=BB119_14 Depth=1
	v_mov_b32_e32 v27, 0
	v_mov_b32_e32 v26, 0
	;; [unrolled: 1-line block ×6, first 2 shown]
	s_waitcnt lgkmcnt(0)
	v_mov_b32_e32 v21, 0
	v_mov_b32_e32 v20, 0
	s_and_saveexec_b64 s[58:59], s[8:9]
	s_cbranch_execz .LBB119_48
; %bb.43:                               ;   in Loop: Header=BB119_14 Depth=1
	v_mov_b32_e32 v27, 0
	s_andn2_b64 vcc, exec, s[42:43]
	v_mov_b32_e32 v26, v27
	v_mov_b32_e32 v25, v27
	;; [unrolled: 1-line block ×7, first 2 shown]
	s_cbranch_vccnz .LBB119_48
; %bb.44:                               ;   in Loop: Header=BB119_14 Depth=1
	v_mov_b32_e32 v17, 0
	v_mov_b64_e32 v[20:21], v[14:15]
	s_mov_b32 s41, s23
.LBB119_45:                             ;   Parent Loop BB119_14 Depth=1
                                        ; =>  This Inner Loop Header: Depth=2
	global_load_dwordx2 v[22:23], v[20:21], off
	s_add_i32 s41, s41, -1
	v_lshl_add_u64 v[20:21], v[20:21], 0, s[46:47]
	s_cmp_eq_u32 s41, 0
	s_waitcnt vmcnt(0)
	scratch_store_dwordx2 v17, v[22:23], off
	v_add_u32_e32 v17, 8, v17
	s_cbranch_scc0 .LBB119_45
; %bb.46:                               ;   in Loop: Header=BB119_14 Depth=1
	v_mov_b32_e32 v20, 0
	v_mov_b32_e32 v17, 0
	v_mov_b64_e32 v[28:29], v[18:19]
	s_mov_b32 s41, s23
	v_mov_b32_e32 v21, v20
	v_mov_b32_e32 v22, v20
	;; [unrolled: 1-line block ×7, first 2 shown]
.LBB119_47:                             ;   Parent Loop BB119_14 Depth=1
                                        ; =>  This Inner Loop Header: Depth=2
	global_load_dwordx2 v[46:47], v[28:29], off
	v_lshl_add_u64 v[48:49], v[28:29], 0, s[50:51]
	scratch_load_dwordx2 v[50:51], v17, off
	v_lshl_add_u64 v[52:53], v[28:29], 0, s[52:53]
	v_lshl_add_u64 v[54:55], v[28:29], 0, s[54:55]
	global_load_dwordx2 v[48:49], v[48:49], off
	s_nop 0
	global_load_dwordx2 v[52:53], v[52:53], off
	s_nop 0
	global_load_dwordx2 v[54:55], v[54:55], off
	s_add_i32 s41, s41, -1
	v_add_u32_e32 v17, 8, v17
	v_lshl_add_u64 v[28:29], v[28:29], 0, 8
	s_cmp_lg_u32 s41, 0
	s_waitcnt vmcnt(3)
	v_pk_mul_f32 v[56:57], v[50:51], v[46:47] op_sel:[0,1]
	s_nop 0
	v_pk_fma_f32 v[58:59], v[50:51], v[46:47], v[56:57] op_sel:[0,0,1] op_sel_hi:[1,1,0] neg_lo:[0,0,1] neg_hi:[0,0,1]
	v_pk_fma_f32 v[46:47], v[50:51], v[46:47], v[56:57] op_sel:[0,0,1] op_sel_hi:[1,0,0]
	s_waitcnt vmcnt(2)
	v_pk_mul_f32 v[56:57], v[50:51], v[48:49] op_sel:[0,1]
	s_waitcnt vmcnt(1)
	v_pk_mul_f32 v[60:61], v[50:51], v[52:53] op_sel:[0,1]
	;; [unrolled: 2-line block ×3, first 2 shown]
	v_mov_b32_e32 v59, v47
	v_pk_fma_f32 v[46:47], v[50:51], v[48:49], v[56:57] op_sel:[0,0,1] op_sel_hi:[1,1,0] neg_lo:[0,0,1] neg_hi:[0,0,1]
	v_pk_fma_f32 v[48:49], v[50:51], v[48:49], v[56:57] op_sel:[0,0,1] op_sel_hi:[1,0,0]
	v_pk_fma_f32 v[56:57], v[50:51], v[52:53], v[60:61] op_sel:[0,0,1] op_sel_hi:[1,1,0] neg_lo:[0,0,1] neg_hi:[0,0,1]
	v_pk_fma_f32 v[52:53], v[50:51], v[52:53], v[60:61] op_sel:[0,0,1] op_sel_hi:[1,0,0]
	;; [unrolled: 2-line block ×3, first 2 shown]
	v_mov_b32_e32 v47, v49
	v_mov_b32_e32 v57, v53
	v_mov_b32_e32 v61, v51
	v_pk_add_f32 v[26:27], v[26:27], v[58:59]
	v_pk_add_f32 v[24:25], v[24:25], v[46:47]
	;; [unrolled: 1-line block ×4, first 2 shown]
	s_cbranch_scc1 .LBB119_47
.LBB119_48:                             ;   in Loop: Header=BB119_14 Depth=1
	s_or_b64 exec, exec, s[58:59]
	s_or_b64 exec, exec, s[56:57]
	s_and_saveexec_b64 s[56:57], s[0:1]
	s_cbranch_execnz .LBB119_17
	s_branch .LBB119_18
.LBB119_49:                             ;   in Loop: Header=BB119_14 Depth=1
	ds_read_b64 v[26:27], v43
	s_or_b64 exec, exec, s[56:57]
	s_and_saveexec_b64 s[56:57], s[0:1]
	s_cbranch_execz .LBB119_22
.LBB119_50:                             ;   in Loop: Header=BB119_14 Depth=1
	s_waitcnt lgkmcnt(0)
	ds_bpermute_b32 v28, v41, v26
	ds_bpermute_b32 v29, v41, v27
	s_waitcnt lgkmcnt(0)
	v_pk_add_f32 v[26:27], v[26:27], v[28:29]
	ds_bpermute_b32 v28, v42, v26
	ds_bpermute_b32 v29, v42, v27
	s_waitcnt lgkmcnt(0)
	v_pk_add_f32 v[26:27], v[26:27], v[28:29]
	s_or_b64 exec, exec, s[56:57]
	s_and_saveexec_b64 s[56:57], s[0:1]
	s_cbranch_execnz .LBB119_23
	s_branch .LBB119_24
.LBB119_51:                             ;   in Loop: Header=BB119_14 Depth=1
	ds_read_b64 v[24:25], v43
	s_or_b64 exec, exec, s[56:57]
	s_and_saveexec_b64 s[56:57], s[0:1]
	s_cbranch_execz .LBB119_28
.LBB119_52:                             ;   in Loop: Header=BB119_14 Depth=1
	s_waitcnt lgkmcnt(0)
	ds_bpermute_b32 v28, v41, v24
	ds_bpermute_b32 v29, v41, v25
	s_waitcnt lgkmcnt(0)
	v_pk_add_f32 v[24:25], v[24:25], v[28:29]
	ds_bpermute_b32 v28, v42, v24
	ds_bpermute_b32 v29, v42, v25
	s_waitcnt lgkmcnt(0)
	v_pk_add_f32 v[24:25], v[24:25], v[28:29]
	s_or_b64 exec, exec, s[56:57]
	s_and_saveexec_b64 s[56:57], s[0:1]
	s_cbranch_execnz .LBB119_29
	s_branch .LBB119_30
.LBB119_53:                             ;   in Loop: Header=BB119_14 Depth=1
	ds_read_b64 v[22:23], v43
	s_or_b64 exec, exec, s[56:57]
	s_and_saveexec_b64 s[56:57], s[0:1]
	s_cbranch_execz .LBB119_34
.LBB119_54:                             ;   in Loop: Header=BB119_14 Depth=1
	s_waitcnt lgkmcnt(0)
	ds_bpermute_b32 v28, v41, v22
	ds_bpermute_b32 v29, v41, v23
	s_waitcnt lgkmcnt(0)
	v_pk_add_f32 v[22:23], v[22:23], v[28:29]
	ds_bpermute_b32 v28, v42, v22
	ds_bpermute_b32 v29, v42, v23
	s_waitcnt lgkmcnt(0)
	v_pk_add_f32 v[22:23], v[22:23], v[28:29]
	s_or_b64 exec, exec, s[56:57]
	s_and_saveexec_b64 s[56:57], s[0:1]
	s_cbranch_execnz .LBB119_35
	s_branch .LBB119_36
.LBB119_55:                             ;   in Loop: Header=BB119_14 Depth=1
	ds_read_b64 v[20:21], v43
	s_or_b64 exec, exec, s[56:57]
	s_and_saveexec_b64 s[56:57], s[0:1]
	s_cbranch_execz .LBB119_40
.LBB119_56:                             ;   in Loop: Header=BB119_14 Depth=1
	s_waitcnt lgkmcnt(0)
	ds_bpermute_b32 v28, v41, v20
	ds_bpermute_b32 v29, v41, v21
	s_waitcnt lgkmcnt(0)
	v_pk_add_f32 v[20:21], v[20:21], v[28:29]
	ds_bpermute_b32 v28, v42, v20
	ds_bpermute_b32 v29, v42, v21
	s_waitcnt lgkmcnt(0)
	v_pk_add_f32 v[20:21], v[20:21], v[28:29]
	s_or_b64 exec, exec, s[56:57]
	s_and_saveexec_b64 s[56:57], s[12:13]
	s_cbranch_execz .LBB119_13
.LBB119_57:                             ;   in Loop: Header=BB119_14 Depth=1
	v_pk_mul_f32 v[28:29], v[26:27], s[24:25]
	v_mov_b32_e32 v46, v27
	s_mul_hi_u32 s59, s33, s22
	s_mul_i32 s58, s33, s22
	v_mov_b32_e32 v28, v29
	v_pk_mul_f32 v[46:47], v[46:47], s[24:25]
	s_lshl_b64 s[58:59], s[58:59], 3
	v_pk_fma_f32 v[28:29], v[26:27], s[24:25], v[28:29] neg_lo:[0,0,1] neg_hi:[0,0,1]
	v_pk_fma_f32 v[26:27], v[26:27], s[44:45], v[46:47]
	s_add_u32 s58, s3, s58
	s_addc_u32 s59, s62, s59
	v_mov_b32_e32 v29, v26
	s_or_b32 s41, s33, 1
	global_store_dwordx2 v16, v[28:29], s[58:59]
	v_pk_mul_f32 v[26:27], v[24:25], s[24:25]
	v_mov_b32_e32 v28, v25
	s_mul_hi_u32 s59, s41, s22
	s_mul_i32 s58, s41, s22
	v_mov_b32_e32 v26, v27
	v_pk_mul_f32 v[28:29], v[28:29], s[24:25]
	s_lshl_b64 s[58:59], s[58:59], 3
	v_pk_fma_f32 v[26:27], v[24:25], s[24:25], v[26:27] neg_lo:[0,0,1] neg_hi:[0,0,1]
	v_pk_fma_f32 v[24:25], v[24:25], s[44:45], v[28:29]
	s_add_u32 s58, s3, s58
	s_addc_u32 s59, s62, s59
	v_mov_b32_e32 v27, v24
	s_or_b32 s41, s33, 2
	global_store_dwordx2 v16, v[26:27], s[58:59]
	;; [unrolled: 14-line block ×3, first 2 shown]
	s_mul_hi_u32 s59, s41, s22
	s_mul_i32 s58, s41, s22
	s_waitcnt lgkmcnt(0)
	v_pk_mul_f32 v[22:23], v[20:21], s[24:25] op_sel:[1,0]
	s_lshl_b64 s[58:59], s[58:59], 3
	s_add_u32 s58, s3, s58
	v_pk_fma_f32 v[24:25], v[20:21], s[24:25], v[22:23] op_sel:[0,0,1] op_sel_hi:[1,1,0] neg_lo:[0,0,1] neg_hi:[0,0,1]
	v_pk_fma_f32 v[20:21], v[20:21], s[24:25], v[22:23] op_sel:[0,0,1] op_sel_hi:[0,1,0]
	s_addc_u32 s59, s62, s59
	v_mov_b32_e32 v25, v21
	global_store_dwordx2 v16, v[24:25], s[58:59]
	s_branch .LBB119_13
.LBB119_58:
	s_mov_b32 s33, 0
.LBB119_59:
	s_cmp_ge_i32 s33, s21
	s_cbranch_scc1 .LBB119_81
; %bb.60:
	v_mbcnt_hi_u32_b32 v6, -1, v34
	v_and_b32_e32 v7, 63, v6
	v_cmp_gt_u32_e64 s[4:5], 32, v7
	s_mov_b32 s12, 0
	s_cmp_gt_i32 s23, 0
	v_cndmask_b32_e64 v8, 0, 1, s[4:5]
	v_lshlrev_b32_e32 v8, 5, v8
	v_cmp_gt_u32_e64 s[4:5], 48, v7
	s_waitcnt lgkmcnt(0)
	v_add_lshl_u32 v21, v8, v6, 2
	s_mov_b32 s3, s12
	v_cndmask_b32_e64 v8, 0, 1, s[4:5]
	v_lshlrev_b32_e32 v8, 4, v8
	v_cmp_gt_u32_e64 s[4:5], 56, v7
	v_add_lshl_u32 v22, v8, v6, 2
	s_cselect_b64 s[42:43], -1, 0
	v_cndmask_b32_e64 v8, 0, 1, s[4:5]
	v_lshlrev_b32_e32 v8, 3, v8
	v_cmp_gt_u32_e64 s[4:5], 60, v7
	v_add_lshl_u32 v23, v8, v6, 2
	s_lshl_b64 s[2:3], s[2:3], 3
	v_cndmask_b32_e64 v8, 0, 1, s[4:5]
	v_lshlrev_b32_e32 v8, 2, v8
	v_cmp_gt_u32_e64 s[4:5], 62, v7
	v_add_lshl_u32 v24, v8, v6, 2
	v_cmp_ge_i32_e32 vcc, s20, v35
	v_cndmask_b32_e64 v8, 0, 1, s[4:5]
	v_lshlrev_b32_e32 v8, 1, v8
	v_cmp_ne_u32_e64 s[4:5], 63, v7
	v_cmp_ge_i32_e64 s[10:11], s20, v36
	v_add_lshl_u32 v25, v8, v6, 2
	v_addc_co_u32_e64 v6, s[4:5], 0, v6, s[4:5]
	s_add_u32 s20, s45, s2
	v_cmp_gt_u32_e64 s[0:1], 64, v0
	v_lshlrev_b32_e32 v20, 3, v1
	v_lshlrev_b32_e32 v26, 2, v6
	v_cmp_eq_u32_e64 s[4:5], 0, v1
	v_cmp_gt_u32_e64 s[6:7], 4, v0
	v_cmp_eq_u32_e64 s[8:9], 0, v0
	s_addc_u32 s40, s60, s3
	v_mad_i64_i32 v[0:1], s[2:3], s28, v4, 0
	v_mad_i64_i32 v[6:7], s[2:3], s28, v32, 0
	;; [unrolled: 1-line block ×4, first 2 shown]
	s_and_b64 s[2:3], s[42:43], s[10:11]
	s_add_u32 s10, s14, s36
	s_addc_u32 s11, s15, s37
	s_add_u32 s10, s10, s30
	s_mul_i32 s13, s27, s33
	s_mul_hi_u32 s14, s26, s33
	v_lshlrev_b64 v[12:13], 3, v[0:1]
	s_addc_u32 s11, s11, s31
	s_add_i32 s15, s14, s13
	s_mul_i32 s14, s26, s33
	v_lshl_add_u64 v[0:1], s[38:39], 0, v[12:13]
	v_lshl_add_u64 v[12:13], s[10:11], 0, v[12:13]
	s_lshl_b64 s[10:11], s[28:29], 3
	s_lshl_b64 s[14:15], s[14:15], 3
	s_add_u32 s13, s34, s14
	s_addc_u32 s14, s35, s15
	s_add_u32 s13, s13, s18
	s_addc_u32 s15, s14, s19
	;; [unrolled: 2-line block ×3, first 2 shown]
	v_and_b32_e32 v27, 24, v33
	v_lshl_add_u64 v[6:7], v[6:7], 3, s[38:39]
	v_lshl_add_u64 v[8:9], v[8:9], 3, s[38:39]
	;; [unrolled: 1-line block ×4, first 2 shown]
	s_lshl_b64 s[14:15], s[26:27], 3
	v_mov_b32_e32 v14, 0
	s_branch .LBB119_62
.LBB119_61:                             ;   in Loop: Header=BB119_62 Depth=1
	s_or_b64 exec, exec, s[16:17]
	s_add_i32 s33, s33, 1
	s_cmp_lt_i32 s33, s21
	v_lshl_add_u64 v[4:5], v[4:5], 0, s[14:15]
	s_cbranch_scc0 .LBB119_81
.LBB119_62:                             ; =>This Loop Header: Depth=1
                                        ;     Child Loop BB119_74 Depth 2
                                        ;     Child Loop BB119_76 Depth 2
                                        ; implicit-def: $vgpr17
	s_and_saveexec_b64 s[16:17], vcc
	s_xor_b64 s[16:17], exec, s[16:17]
	s_cbranch_execnz .LBB119_71
; %bb.63:                               ;   in Loop: Header=BB119_62 Depth=1
	s_andn2_saveexec_b64 s[16:17], s[16:17]
	s_cbranch_execnz .LBB119_72
.LBB119_64:                             ;   in Loop: Header=BB119_62 Depth=1
	s_or_b64 exec, exec, s[16:17]
	s_and_saveexec_b64 s[16:17], s[0:1]
	s_cbranch_execz .LBB119_66
.LBB119_65:                             ;   in Loop: Header=BB119_62 Depth=1
	v_mov_b32_e32 v15, v14
	ds_write_b64 v20, v[14:15]
.LBB119_66:                             ;   in Loop: Header=BB119_62 Depth=1
	s_or_b64 exec, exec, s[16:17]
	s_waitcnt lgkmcnt(0)
	ds_bpermute_b32 v18, v21, v16
	ds_bpermute_b32 v19, v21, v17
	s_waitcnt lgkmcnt(0)
	s_barrier
	v_pk_add_f32 v[16:17], v[16:17], v[18:19]
	ds_bpermute_b32 v18, v22, v16
	ds_bpermute_b32 v19, v22, v17
	s_waitcnt lgkmcnt(0)
	v_pk_add_f32 v[16:17], v[16:17], v[18:19]
	ds_bpermute_b32 v18, v23, v16
	ds_bpermute_b32 v19, v23, v17
	s_waitcnt lgkmcnt(0)
	;; [unrolled: 4-line block ×4, first 2 shown]
	v_pk_add_f32 v[16:17], v[16:17], v[18:19]
	ds_bpermute_b32 v18, v26, v16
	ds_bpermute_b32 v19, v26, v17
	s_and_saveexec_b64 s[16:17], s[4:5]
	s_cbranch_execz .LBB119_68
; %bb.67:                               ;   in Loop: Header=BB119_62 Depth=1
	s_waitcnt lgkmcnt(0)
	v_pk_add_f32 v[16:17], v[16:17], v[18:19]
	ds_write_b64 v27, v[16:17]
.LBB119_68:                             ;   in Loop: Header=BB119_62 Depth=1
	s_or_b64 exec, exec, s[16:17]
	s_mov_b32 s13, s12
	v_mov_b64_e32 v[16:17], s[12:13]
	s_waitcnt lgkmcnt(0)
	s_barrier
	s_and_saveexec_b64 s[16:17], s[6:7]
	s_cbranch_execnz .LBB119_78
; %bb.69:                               ;   in Loop: Header=BB119_62 Depth=1
	s_or_b64 exec, exec, s[16:17]
	s_and_saveexec_b64 s[16:17], s[0:1]
	s_cbranch_execnz .LBB119_79
.LBB119_70:                             ;   in Loop: Header=BB119_62 Depth=1
	s_or_b64 exec, exec, s[16:17]
	s_and_saveexec_b64 s[16:17], s[8:9]
	s_cbranch_execz .LBB119_61
	s_branch .LBB119_80
.LBB119_71:                             ;   in Loop: Header=BB119_62 Depth=1
	s_mul_i32 s13, s33, s27
	s_mul_hi_u32 s18, s33, s26
	s_add_i32 s19, s18, s13
	s_mul_i32 s18, s33, s26
	v_lshl_add_u64 v[40:41], s[18:19], 3, v[2:3]
	s_waitcnt lgkmcnt(0)
	global_load_dwordx2 v[16:17], v[0:1], off
	global_load_dwordx2 v[18:19], v[6:7], off
	;; [unrolled: 1-line block ×4, first 2 shown]
	global_load_dwordx4 v[32:35], v[40:41], off
	global_load_dwordx4 v[36:39], v[40:41], off offset:16
	s_waitcnt vmcnt(4)
	scratch_store_dwordx4 off, v[16:19], off
	s_waitcnt vmcnt(3)
	scratch_store_dwordx4 off, v[28:31], off offset:16
	s_waitcnt vmcnt(3)
	v_mul_f32_e32 v15, v17, v33
	v_mul_f32_e32 v41, v16, v33
	;; [unrolled: 1-line block ×4, first 2 shown]
	s_waitcnt vmcnt(2)
	v_pk_mul_f32 v[42:43], v[28:29], v[36:37] op_sel:[1,0]
	v_fma_f32 v40, v16, v32, -v15
	v_fmac_f32_e32 v41, v17, v32
	v_pk_mul_f32 v[44:45], v[30:31], v[38:39] op_sel:[1,0]
	v_fma_f32 v32, v18, v34, -v46
	v_fmac_f32_e32 v33, v19, v34
	v_pk_fma_f32 v[16:17], v[28:29], v[36:37], v[42:43] op_sel:[0,0,1] op_sel_hi:[1,1,0] neg_lo:[0,0,1] neg_hi:[0,0,1]
	v_pk_fma_f32 v[18:19], v[28:29], v[36:37], v[42:43] op_sel:[0,0,1] op_sel_hi:[0,1,0]
	v_pk_add_f32 v[34:35], v[40:41], 0 op_sel_hi:[1,0]
	v_pk_fma_f32 v[28:29], v[30:31], v[38:39], v[44:45] op_sel:[0,0,1] op_sel_hi:[1,1,0] neg_lo:[0,0,1] neg_hi:[0,0,1]
	v_pk_fma_f32 v[30:31], v[30:31], v[38:39], v[44:45] op_sel:[0,0,1] op_sel_hi:[0,1,0]
	v_mov_b32_e32 v17, v19
	v_pk_add_f32 v[18:19], v[34:35], v[32:33]
	v_mov_b32_e32 v29, v31
	v_pk_add_f32 v[16:17], v[18:19], v[16:17]
	s_nop 0
	v_pk_add_f32 v[16:17], v[16:17], v[28:29]
	s_andn2_saveexec_b64 s[16:17], s[16:17]
	s_cbranch_execz .LBB119_64
.LBB119_72:                             ;   in Loop: Header=BB119_62 Depth=1
	s_waitcnt lgkmcnt(0)
	v_mov_b32_e32 v17, 0
	v_mov_b32_e32 v16, v17
	s_and_saveexec_b64 s[18:19], s[2:3]
	s_cbranch_execz .LBB119_77
; %bb.73:                               ;   in Loop: Header=BB119_62 Depth=1
	v_mov_b32_e32 v15, 0
	v_mov_b64_e32 v[16:17], v[12:13]
	s_mov_b32 s13, s23
.LBB119_74:                             ;   Parent Loop BB119_62 Depth=1
                                        ; =>  This Inner Loop Header: Depth=2
	global_load_dwordx2 v[18:19], v[16:17], off
	s_add_i32 s13, s13, -1
	v_lshl_add_u64 v[16:17], v[16:17], 0, s[10:11]
	s_cmp_eq_u32 s13, 0
	s_waitcnt vmcnt(0)
	scratch_store_dwordx2 v15, v[18:19], off
	v_add_u32_e32 v15, 8, v15
	s_cbranch_scc0 .LBB119_74
; %bb.75:                               ;   in Loop: Header=BB119_62 Depth=1
	v_mov_b32_e32 v16, 0
	v_mov_b32_e32 v15, 0
	v_mov_b64_e32 v[18:19], v[4:5]
	s_mov_b32 s13, s23
	v_mov_b32_e32 v17, v16
.LBB119_76:                             ;   Parent Loop BB119_62 Depth=1
                                        ; =>  This Inner Loop Header: Depth=2
	global_load_dwordx2 v[28:29], v[18:19], off
	scratch_load_dwordx2 v[30:31], v15, off
	s_add_i32 s13, s13, -1
	v_add_u32_e32 v15, 8, v15
	v_lshl_add_u64 v[18:19], v[18:19], 0, 8
	s_cmp_lg_u32 s13, 0
	s_waitcnt vmcnt(0)
	v_pk_mul_f32 v[32:33], v[30:31], v[28:29] op_sel:[0,1]
	s_nop 0
	v_pk_fma_f32 v[34:35], v[30:31], v[28:29], v[32:33] op_sel:[0,0,1] op_sel_hi:[1,1,0] neg_lo:[0,0,1] neg_hi:[0,0,1]
	v_pk_fma_f32 v[28:29], v[30:31], v[28:29], v[32:33] op_sel:[0,0,1] op_sel_hi:[1,0,0]
	s_nop 0
	v_mov_b32_e32 v35, v29
	v_pk_add_f32 v[16:17], v[16:17], v[34:35]
	s_cbranch_scc1 .LBB119_76
.LBB119_77:                             ;   in Loop: Header=BB119_62 Depth=1
	s_or_b64 exec, exec, s[18:19]
	s_or_b64 exec, exec, s[16:17]
	s_and_saveexec_b64 s[16:17], s[0:1]
	s_cbranch_execnz .LBB119_65
	s_branch .LBB119_66
.LBB119_78:                             ;   in Loop: Header=BB119_62 Depth=1
	ds_read_b64 v[16:17], v20
	s_or_b64 exec, exec, s[16:17]
	s_and_saveexec_b64 s[16:17], s[0:1]
	s_cbranch_execz .LBB119_70
.LBB119_79:                             ;   in Loop: Header=BB119_62 Depth=1
	s_waitcnt lgkmcnt(0)
	ds_bpermute_b32 v18, v25, v16
	ds_bpermute_b32 v19, v25, v17
	s_waitcnt lgkmcnt(0)
	v_pk_add_f32 v[16:17], v[16:17], v[18:19]
	ds_bpermute_b32 v18, v26, v16
	ds_bpermute_b32 v19, v26, v17
	s_waitcnt lgkmcnt(0)
	v_pk_add_f32 v[16:17], v[16:17], v[18:19]
	s_or_b64 exec, exec, s[16:17]
	s_and_saveexec_b64 s[16:17], s[8:9]
	s_cbranch_execz .LBB119_61
.LBB119_80:                             ;   in Loop: Header=BB119_62 Depth=1
	s_mul_hi_u32 s19, s33, s22
	s_mul_i32 s18, s33, s22
	s_waitcnt lgkmcnt(0)
	v_pk_mul_f32 v[18:19], v[16:17], s[24:25] op_sel:[1,0]
	s_lshl_b64 s[18:19], s[18:19], 3
	s_add_u32 s18, s20, s18
	v_pk_fma_f32 v[28:29], v[16:17], s[24:25], v[18:19] op_sel:[0,0,1] op_sel_hi:[1,1,0] neg_lo:[0,0,1] neg_hi:[0,0,1]
	v_pk_fma_f32 v[16:17], v[16:17], s[24:25], v[18:19] op_sel:[0,0,1] op_sel_hi:[0,1,0]
	s_addc_u32 s19, s40, s19
	v_mov_b32_e32 v29, v17
	global_store_dwordx2 v14, v[28:29], s[18:19]
	s_branch .LBB119_61
.LBB119_81:
	s_endpgm
	.section	.rodata,"a",@progbits
	.p2align	6, 0x0
	.amdhsa_kernel _ZL23rocblas_gemvt_sn_kernelILb0ELi256ELi4El19rocblas_complex_numIfEPKS1_S1_EviiT4_lPKT3_lilS7_lilPT5_i
		.amdhsa_group_segment_fixed_size 512
		.amdhsa_private_segment_fixed_size 48
		.amdhsa_kernarg_size 360
		.amdhsa_user_sgpr_count 2
		.amdhsa_user_sgpr_dispatch_ptr 0
		.amdhsa_user_sgpr_queue_ptr 0
		.amdhsa_user_sgpr_kernarg_segment_ptr 1
		.amdhsa_user_sgpr_dispatch_id 0
		.amdhsa_user_sgpr_kernarg_preload_length 0
		.amdhsa_user_sgpr_kernarg_preload_offset 0
		.amdhsa_user_sgpr_private_segment_size 0
		.amdhsa_uses_dynamic_stack 0
		.amdhsa_enable_private_segment 1
		.amdhsa_system_sgpr_workgroup_id_x 1
		.amdhsa_system_sgpr_workgroup_id_y 0
		.amdhsa_system_sgpr_workgroup_id_z 1
		.amdhsa_system_sgpr_workgroup_info 0
		.amdhsa_system_vgpr_workitem_id 0
		.amdhsa_next_free_vgpr 88
		.amdhsa_next_free_sgpr 63
		.amdhsa_accum_offset 88
		.amdhsa_reserve_vcc 1
		.amdhsa_float_round_mode_32 0
		.amdhsa_float_round_mode_16_64 0
		.amdhsa_float_denorm_mode_32 3
		.amdhsa_float_denorm_mode_16_64 3
		.amdhsa_dx10_clamp 1
		.amdhsa_ieee_mode 1
		.amdhsa_fp16_overflow 0
		.amdhsa_tg_split 0
		.amdhsa_exception_fp_ieee_invalid_op 0
		.amdhsa_exception_fp_denorm_src 0
		.amdhsa_exception_fp_ieee_div_zero 0
		.amdhsa_exception_fp_ieee_overflow 0
		.amdhsa_exception_fp_ieee_underflow 0
		.amdhsa_exception_fp_ieee_inexact 0
		.amdhsa_exception_int_div_zero 0
	.end_amdhsa_kernel
	.section	.text._ZL23rocblas_gemvt_sn_kernelILb0ELi256ELi4El19rocblas_complex_numIfEPKS1_S1_EviiT4_lPKT3_lilS7_lilPT5_i,"axG",@progbits,_ZL23rocblas_gemvt_sn_kernelILb0ELi256ELi4El19rocblas_complex_numIfEPKS1_S1_EviiT4_lPKT3_lilS7_lilPT5_i,comdat
.Lfunc_end119:
	.size	_ZL23rocblas_gemvt_sn_kernelILb0ELi256ELi4El19rocblas_complex_numIfEPKS1_S1_EviiT4_lPKT3_lilS7_lilPT5_i, .Lfunc_end119-_ZL23rocblas_gemvt_sn_kernelILb0ELi256ELi4El19rocblas_complex_numIfEPKS1_S1_EviiT4_lPKT3_lilS7_lilPT5_i
                                        ; -- End function
	.section	.AMDGPU.csdata,"",@progbits
; Kernel info:
; codeLenInByte = 5512
; NumSgprs: 69
; NumVgprs: 88
; NumAgprs: 0
; TotalNumVgprs: 88
; ScratchSize: 48
; MemoryBound: 0
; FloatMode: 240
; IeeeMode: 1
; LDSByteSize: 512 bytes/workgroup (compile time only)
; SGPRBlocks: 8
; VGPRBlocks: 10
; NumSGPRsForWavesPerEU: 69
; NumVGPRsForWavesPerEU: 88
; AccumOffset: 88
; Occupancy: 5
; WaveLimiterHint : 1
; COMPUTE_PGM_RSRC2:SCRATCH_EN: 1
; COMPUTE_PGM_RSRC2:USER_SGPR: 2
; COMPUTE_PGM_RSRC2:TRAP_HANDLER: 0
; COMPUTE_PGM_RSRC2:TGID_X_EN: 1
; COMPUTE_PGM_RSRC2:TGID_Y_EN: 0
; COMPUTE_PGM_RSRC2:TGID_Z_EN: 1
; COMPUTE_PGM_RSRC2:TIDIG_COMP_CNT: 0
; COMPUTE_PGM_RSRC3_GFX90A:ACCUM_OFFSET: 21
; COMPUTE_PGM_RSRC3_GFX90A:TG_SPLIT: 0
	.section	.text._ZL23rocblas_gemvt_sn_reduceILi256ELi8E19rocblas_complex_numIfEPKS1_S1_EviT2_lPT3_lilPT1_i,"axG",@progbits,_ZL23rocblas_gemvt_sn_reduceILi256ELi8E19rocblas_complex_numIfEPKS1_S1_EviT2_lPT3_lilPT1_i,comdat
	.globl	_ZL23rocblas_gemvt_sn_reduceILi256ELi8E19rocblas_complex_numIfEPKS1_S1_EviT2_lPT3_lilPT1_i ; -- Begin function _ZL23rocblas_gemvt_sn_reduceILi256ELi8E19rocblas_complex_numIfEPKS1_S1_EviT2_lPT3_lilPT1_i
	.p2align	8
	.type	_ZL23rocblas_gemvt_sn_reduceILi256ELi8E19rocblas_complex_numIfEPKS1_S1_EviT2_lPT3_lilPT1_i,@function
_ZL23rocblas_gemvt_sn_reduceILi256ELi8E19rocblas_complex_numIfEPKS1_S1_EviT2_lPT3_lilPT1_i: ; @_ZL23rocblas_gemvt_sn_reduceILi256ELi8E19rocblas_complex_numIfEPKS1_S1_EviT2_lPT3_lilPT1_i
; %bb.0:
	s_load_dword s2, s[0:1], 0x0
	s_load_dwordx8 s[8:15], s[0:1], 0x8
	s_mov_b32 s17, 0
	v_lshlrev_b32_e32 v1, 3, v0
	s_waitcnt lgkmcnt(0)
	s_ashr_i32 s5, s2, 31
	s_mul_i32 s6, s4, s11
	s_mul_hi_u32 s7, s4, s10
	s_add_i32 s7, s7, s6
	s_mul_i32 s6, s4, s10
	s_lshl_b64 s[10:11], s[6:7], 3
	s_add_u32 s8, s8, s10
	s_load_dwordx2 s[6:7], s[0:1], 0x38
	s_load_dword s10, s[0:1], 0x4c
	s_addc_u32 s9, s9, s11
	s_add_u32 s20, s0, 0x48
	s_load_dwordx2 s[8:9], s[8:9], 0x0
	s_addc_u32 s21, s1, 0
	s_waitcnt lgkmcnt(0)
	s_mul_i32 s10, s10, s4
	s_add_i32 s10, s10, s3
	s_mul_i32 s11, s10, s5
	s_lshr_b32 s5, s5, 29
	s_mul_hi_u32 s16, s10, s2
	s_add_i32 s5, s2, s5
	s_add_i32 s11, s16, s11
	s_and_b32 s5, s5, -8
	s_mov_b32 s16, s17
	s_mul_i32 s10, s10, s2
	v_cmp_gt_i32_e32 vcc, s5, v1
	v_mov_b64_e32 v[2:3], s[16:17]
	s_and_saveexec_b64 s[18:19], vcc
	s_cbranch_execz .LBB120_4
; %bb.1:
	s_load_dword s16, s[20:21], 0xc
	s_lshl_b64 s[20:21], s[10:11], 3
	v_lshlrev_b32_e32 v2, 6, v0
	v_mov_b32_e32 v3, 0
	s_waitcnt lgkmcnt(0)
	s_and_b32 s16, s16, 0xffff
	s_lshl_b32 s22, s16, 3
	s_add_u32 s20, s6, s20
	s_addc_u32 s21, s7, s21
	v_lshl_add_u64 v[4:5], s[20:21], 0, v[2:3]
	s_lshl_b32 s16, s16, 6
	v_lshl_add_u64 v[4:5], v[4:5], 0, 56
	s_mov_b64 s[20:21], 0
	v_mov_b32_e32 v2, v3
.LBB120_2:                              ; =>This Inner Loop Header: Depth=1
	global_load_dwordx4 v[6:9], v[4:5], off offset:-56
	global_load_dwordx4 v[10:13], v[4:5], off offset:-40
	;; [unrolled: 1-line block ×4, first 2 shown]
	v_add_u32_e32 v1, s22, v1
	v_cmp_le_i32_e32 vcc, s5, v1
	v_lshl_add_u64 v[4:5], v[4:5], 0, s[16:17]
	s_or_b64 s[20:21], vcc, s[20:21]
	s_waitcnt vmcnt(3)
	v_pk_add_f32 v[2:3], v[2:3], v[6:7]
	s_nop 0
	v_pk_add_f32 v[2:3], v[2:3], v[8:9]
	s_waitcnt vmcnt(2)
	v_pk_add_f32 v[2:3], v[2:3], v[10:11]
	s_nop 0
	v_pk_add_f32 v[2:3], v[2:3], v[12:13]
	;; [unrolled: 4-line block ×4, first 2 shown]
	s_andn2_b64 exec, exec, s[20:21]
	s_cbranch_execnz .LBB120_2
; %bb.3:
	s_or_b64 exec, exec, s[20:21]
.LBB120_4:
	s_or_b64 exec, exec, s[18:19]
	s_sub_i32 s5, s2, s5
	v_cmp_gt_u32_e32 vcc, s5, v0
	s_and_saveexec_b64 s[16:17], vcc
	s_cbranch_execz .LBB120_6
; %bb.5:
	s_lshl_b64 s[10:11], s[10:11], 3
	s_add_u32 s6, s6, s10
	s_addc_u32 s7, s7, s11
	v_xad_u32 v4, v0, -1, s2
	v_mov_b32_e32 v5, 0
	v_lshl_add_u64 v[4:5], v[4:5], 3, s[6:7]
	global_load_dwordx2 v[4:5], v[4:5], off
	s_waitcnt vmcnt(0)
	v_pk_add_f32 v[2:3], v[2:3], v[4:5]
.LBB120_6:
	s_or_b64 exec, exec, s[16:17]
	v_and_b32_e32 v6, 63, v0
	v_cmp_gt_u32_e32 vcc, 64, v0
	v_lshlrev_b32_e32 v1, 3, v6
	s_and_saveexec_b64 s[6:7], vcc
	s_cbranch_execz .LBB120_8
; %bb.7:
	v_mov_b32_e32 v4, 0
	v_mov_b32_e32 v5, v4
	ds_write_b64 v1, v[4:5]
.LBB120_8:
	s_or_b64 exec, exec, s[6:7]
	v_mbcnt_lo_u32_b32 v4, -1, 0
	v_mbcnt_hi_u32_b32 v8, -1, v4
	v_and_b32_e32 v9, 63, v8
	v_cmp_gt_u32_e64 s[6:7], 32, v9
	s_waitcnt lgkmcnt(0)
	s_barrier
	v_cndmask_b32_e64 v4, 0, 1, s[6:7]
	v_lshlrev_b32_e32 v4, 5, v4
	v_add_lshl_u32 v5, v4, v8, 2
	ds_bpermute_b32 v4, v5, v2
	ds_bpermute_b32 v5, v5, v3
	v_cmp_gt_u32_e64 s[6:7], 48, v9
	s_waitcnt lgkmcnt(0)
	v_pk_add_f32 v[2:3], v[2:3], v[4:5]
	v_cndmask_b32_e64 v7, 0, 1, s[6:7]
	v_lshlrev_b32_e32 v7, 4, v7
	v_add_lshl_u32 v7, v7, v8, 2
	ds_bpermute_b32 v4, v7, v2
	ds_bpermute_b32 v5, v7, v3
	v_cmp_gt_u32_e64 s[6:7], 56, v9
	s_waitcnt lgkmcnt(0)
	v_pk_add_f32 v[2:3], v[2:3], v[4:5]
	;; [unrolled: 8-line block ×4, first 2 shown]
	v_cndmask_b32_e64 v7, 0, 1, s[6:7]
	v_lshlrev_b32_e32 v7, 1, v7
	v_add_lshl_u32 v7, v7, v8, 2
	ds_bpermute_b32 v4, v7, v2
	ds_bpermute_b32 v5, v7, v3
	v_cmp_ne_u32_e64 s[6:7], 63, v9
	s_waitcnt lgkmcnt(0)
	v_pk_add_f32 v[2:3], v[2:3], v[4:5]
	v_addc_co_u32_e64 v4, s[6:7], 0, v8, s[6:7]
	v_lshlrev_b32_e32 v8, 2, v4
	ds_bpermute_b32 v4, v8, v2
	ds_bpermute_b32 v5, v8, v3
	v_cmp_eq_u32_e64 s[6:7], 0, v6
	s_and_saveexec_b64 s[10:11], s[6:7]
	s_cbranch_execz .LBB120_10
; %bb.9:
	v_lshrrev_b32_e32 v6, 3, v0
	v_and_b32_e32 v6, 24, v6
	s_waitcnt lgkmcnt(0)
	v_pk_add_f32 v[2:3], v[2:3], v[4:5]
	ds_write_b64 v6, v[2:3]
.LBB120_10:
	s_or_b64 exec, exec, s[10:11]
	v_cmp_gt_u32_e64 s[6:7], 4, v0
	v_mov_b32_e32 v2, 0
	v_mov_b32_e32 v3, 0
	s_waitcnt lgkmcnt(0)
	s_barrier
	s_and_saveexec_b64 s[10:11], s[6:7]
	s_cbranch_execnz .LBB120_14
; %bb.11:
	s_or_b64 exec, exec, s[10:11]
	s_and_saveexec_b64 s[6:7], vcc
	s_cbranch_execnz .LBB120_15
.LBB120_12:
	s_or_b64 exec, exec, s[6:7]
	v_cmp_eq_u32_e32 vcc, 0, v0
	s_and_saveexec_b64 s[6:7], vcc
	s_cbranch_execnz .LBB120_16
.LBB120_13:
	s_endpgm
.LBB120_14:
	ds_read_b64 v[2:3], v1
	s_or_b64 exec, exec, s[10:11]
	s_and_saveexec_b64 s[6:7], vcc
	s_cbranch_execz .LBB120_12
.LBB120_15:
	s_waitcnt lgkmcnt(0)
	ds_bpermute_b32 v4, v7, v2
	ds_bpermute_b32 v5, v7, v3
	s_waitcnt lgkmcnt(0)
	v_pk_add_f32 v[2:3], v[2:3], v[4:5]
	ds_bpermute_b32 v4, v8, v2
	ds_bpermute_b32 v5, v8, v3
	s_waitcnt lgkmcnt(0)
	v_pk_add_f32 v[2:3], v[2:3], v[4:5]
	s_or_b64 exec, exec, s[6:7]
	v_cmp_eq_u32_e32 vcc, 0, v0
	s_and_saveexec_b64 s[6:7], vcc
	s_cbranch_execz .LBB120_13
.LBB120_16:
	s_load_dword s5, s[0:1], 0x28
	s_load_dwordx2 s[6:7], s[0:1], 0x30
	v_cmp_neq_f32_e64 s[10:11], s9, 0
	s_waitcnt lgkmcnt(0)
	s_ashr_i32 s16, s5, 31
	s_mul_i32 s1, s4, s7
	s_mul_hi_u32 s2, s4, s6
	s_mul_i32 s0, s4, s6
	s_add_i32 s1, s2, s1
	s_lshl_b64 s[0:1], s[0:1], 3
	s_add_u32 s2, s12, s0
	s_addc_u32 s4, s13, s1
	s_lshl_b64 s[0:1], s[14:15], 3
	s_add_u32 s2, s2, s0
	v_cmp_neq_f32_e64 s[6:7], s8, 0
	s_addc_u32 s4, s4, s1
	s_mul_hi_u32 s0, s5, s3
	s_mul_i32 s16, s16, s3
	s_or_b64 s[6:7], s[6:7], s[10:11]
	s_add_i32 s1, s0, s16
	s_andn2_b64 vcc, exec, s[6:7]
	s_mul_i32 s0, s5, s3
	s_cbranch_vccnz .LBB120_18
; %bb.17:
	s_lshl_b64 s[6:7], s[0:1], 3
	s_add_u32 s6, s2, s6
	s_addc_u32 s7, s4, s7
	s_load_dwordx2 s[6:7], s[6:7], 0x0
	s_waitcnt lgkmcnt(0)
	v_mov_b64_e32 v[0:1], s[6:7]
	v_pk_mul_f32 v[4:5], s[8:9], v[0:1] op_sel:[0,1]
	s_nop 0
	v_pk_fma_f32 v[6:7], s[8:9], v[0:1], v[4:5] op_sel:[0,0,1] op_sel_hi:[1,1,0] neg_lo:[0,0,1] neg_hi:[0,0,1]
	v_pk_fma_f32 v[0:1], s[8:9], v[0:1], v[4:5] op_sel:[0,0,1] op_sel_hi:[1,0,0]
	s_nop 0
	v_mov_b32_e32 v7, v1
	v_pk_add_f32 v[2:3], v[6:7], v[2:3]
.LBB120_18:
	s_lshl_b64 s[0:1], s[0:1], 3
	s_add_u32 s0, s2, s0
	s_addc_u32 s1, s4, s1
	v_mov_b32_e32 v0, 0
	global_store_dwordx2 v0, v[2:3], s[0:1]
	s_endpgm
	.section	.rodata,"a",@progbits
	.p2align	6, 0x0
	.amdhsa_kernel _ZL23rocblas_gemvt_sn_reduceILi256ELi8E19rocblas_complex_numIfEPKS1_S1_EviT2_lPT3_lilPT1_i
		.amdhsa_group_segment_fixed_size 512
		.amdhsa_private_segment_fixed_size 0
		.amdhsa_kernarg_size 328
		.amdhsa_user_sgpr_count 2
		.amdhsa_user_sgpr_dispatch_ptr 0
		.amdhsa_user_sgpr_queue_ptr 0
		.amdhsa_user_sgpr_kernarg_segment_ptr 1
		.amdhsa_user_sgpr_dispatch_id 0
		.amdhsa_user_sgpr_kernarg_preload_length 0
		.amdhsa_user_sgpr_kernarg_preload_offset 0
		.amdhsa_user_sgpr_private_segment_size 0
		.amdhsa_uses_dynamic_stack 0
		.amdhsa_enable_private_segment 0
		.amdhsa_system_sgpr_workgroup_id_x 1
		.amdhsa_system_sgpr_workgroup_id_y 1
		.amdhsa_system_sgpr_workgroup_id_z 1
		.amdhsa_system_sgpr_workgroup_info 0
		.amdhsa_system_vgpr_workitem_id 0
		.amdhsa_next_free_vgpr 22
		.amdhsa_next_free_sgpr 23
		.amdhsa_accum_offset 24
		.amdhsa_reserve_vcc 1
		.amdhsa_float_round_mode_32 0
		.amdhsa_float_round_mode_16_64 0
		.amdhsa_float_denorm_mode_32 3
		.amdhsa_float_denorm_mode_16_64 3
		.amdhsa_dx10_clamp 1
		.amdhsa_ieee_mode 1
		.amdhsa_fp16_overflow 0
		.amdhsa_tg_split 0
		.amdhsa_exception_fp_ieee_invalid_op 0
		.amdhsa_exception_fp_denorm_src 0
		.amdhsa_exception_fp_ieee_div_zero 0
		.amdhsa_exception_fp_ieee_overflow 0
		.amdhsa_exception_fp_ieee_underflow 0
		.amdhsa_exception_fp_ieee_inexact 0
		.amdhsa_exception_int_div_zero 0
	.end_amdhsa_kernel
	.section	.text._ZL23rocblas_gemvt_sn_reduceILi256ELi8E19rocblas_complex_numIfEPKS1_S1_EviT2_lPT3_lilPT1_i,"axG",@progbits,_ZL23rocblas_gemvt_sn_reduceILi256ELi8E19rocblas_complex_numIfEPKS1_S1_EviT2_lPT3_lilPT1_i,comdat
.Lfunc_end120:
	.size	_ZL23rocblas_gemvt_sn_reduceILi256ELi8E19rocblas_complex_numIfEPKS1_S1_EviT2_lPT3_lilPT1_i, .Lfunc_end120-_ZL23rocblas_gemvt_sn_reduceILi256ELi8E19rocblas_complex_numIfEPKS1_S1_EviT2_lPT3_lilPT1_i
                                        ; -- End function
	.section	.AMDGPU.csdata,"",@progbits
; Kernel info:
; codeLenInByte = 1264
; NumSgprs: 29
; NumVgprs: 22
; NumAgprs: 0
; TotalNumVgprs: 22
; ScratchSize: 0
; MemoryBound: 0
; FloatMode: 240
; IeeeMode: 1
; LDSByteSize: 512 bytes/workgroup (compile time only)
; SGPRBlocks: 3
; VGPRBlocks: 2
; NumSGPRsForWavesPerEU: 29
; NumVGPRsForWavesPerEU: 22
; AccumOffset: 24
; Occupancy: 8
; WaveLimiterHint : 0
; COMPUTE_PGM_RSRC2:SCRATCH_EN: 0
; COMPUTE_PGM_RSRC2:USER_SGPR: 2
; COMPUTE_PGM_RSRC2:TRAP_HANDLER: 0
; COMPUTE_PGM_RSRC2:TGID_X_EN: 1
; COMPUTE_PGM_RSRC2:TGID_Y_EN: 1
; COMPUTE_PGM_RSRC2:TGID_Z_EN: 1
; COMPUTE_PGM_RSRC2:TIDIG_COMP_CNT: 0
; COMPUTE_PGM_RSRC3_GFX90A:ACCUM_OFFSET: 5
; COMPUTE_PGM_RSRC3_GFX90A:TG_SPLIT: 0
	.section	.text._ZL23rocblas_gemvt_sn_kernelILb0ELi256ELi4Ei19rocblas_complex_numIfES1_S1_EviiT4_lPKT3_lilS5_lilPT5_i,"axG",@progbits,_ZL23rocblas_gemvt_sn_kernelILb0ELi256ELi4Ei19rocblas_complex_numIfES1_S1_EviiT4_lPKT3_lilS5_lilPT5_i,comdat
	.globl	_ZL23rocblas_gemvt_sn_kernelILb0ELi256ELi4Ei19rocblas_complex_numIfES1_S1_EviiT4_lPKT3_lilS5_lilPT5_i ; -- Begin function _ZL23rocblas_gemvt_sn_kernelILb0ELi256ELi4Ei19rocblas_complex_numIfES1_S1_EviiT4_lPKT3_lilS5_lilPT5_i
	.p2align	8
	.type	_ZL23rocblas_gemvt_sn_kernelILb0ELi256ELi4Ei19rocblas_complex_numIfES1_S1_EviiT4_lPKT3_lilS5_lilPT5_i,@function
_ZL23rocblas_gemvt_sn_kernelILb0ELi256ELi4Ei19rocblas_complex_numIfES1_S1_EviiT4_lPKT3_lilS5_lilPT5_i: ; @_ZL23rocblas_gemvt_sn_kernelILb0ELi256ELi4Ei19rocblas_complex_numIfES1_S1_EviiT4_lPKT3_lilS5_lilPT5_i
; %bb.0:
	s_load_dwordx4 s[16:19], s[0:1], 0x0
	s_load_dwordx4 s[8:11], s[0:1], 0x50
	s_load_dword s14, s[0:1], 0x68
	s_mov_b32 s4, s3
	s_mov_b32 s15, 0
	s_waitcnt lgkmcnt(0)
	s_ashr_i32 s5, s17, 31
	s_mul_hi_u32 s3, s17, s3
	s_mul_i32 s6, s5, s4
	s_add_i32 s13, s3, s6
	s_mul_i32 s12, s17, s4
	s_mul_i32 s3, s13, s14
	s_mul_hi_u32 s6, s12, s14
	s_add_i32 s7, s6, s3
	s_mul_i32 s6, s12, s14
	s_lshl_b64 s[6:7], s[6:7], 3
	s_add_u32 s49, s10, s6
	s_addc_u32 s50, s11, s7
	s_or_b32 s3, s18, s19
	s_bitset0_b32 s3, 31
	s_cmp_lg_u32 s3, 0
	s_mov_b64 s[6:7], -1
	v_cmp_eq_u32_e32 vcc, 0, v0
	s_cbranch_scc1 .LBB121_10
; %bb.1:
	s_cmp_gt_i32 s17, 0
	s_cselect_b64 s[6:7], -1, 0
	s_and_b64 s[20:21], vcc, s[6:7]
	s_and_saveexec_b64 s[6:7], s[20:21]
	s_cbranch_execz .LBB121_9
; %bb.2:
	s_cmp_gt_u32 s17, 3
	s_cselect_b64 s[20:21], -1, 0
	s_cmp_eq_u32 s14, 1
	s_cselect_b64 s[26:27], -1, 0
	s_mov_b32 s3, 0
	s_and_b64 s[20:21], s[20:21], s[26:27]
	s_mov_b32 s22, 1
	s_mov_b64 s[24:25], -1
	s_andn2_b64 vcc, exec, s[20:21]
	s_mov_b32 s20, s3
	s_cbranch_vccnz .LBB121_6
; %bb.3:
	s_lshl_b64 s[24:25], s[2:3], 3
	s_add_u32 s21, s49, s24
	s_addc_u32 s26, s50, s25
	s_mov_b32 s25, 0
	s_and_b32 s20, s17, 0x7ffffffc
	s_mov_b32 s24, s25
	v_mov_b32_e32 v1, 0
	v_mov_b64_e32 v[2:3], s[24:25]
	s_mov_b32 s27, s20
.LBB121_4:                              ; =>This Inner Loop Header: Depth=1
	s_add_i32 s28, s22, 2
	s_add_i32 s30, s24, 2
	s_lshl_b64 s[34:35], s[24:25], 3
	s_mov_b32 s23, s25
	s_add_u32 s34, s21, s34
	s_addc_u32 s35, s26, s35
	s_lshl_b64 s[36:37], s[22:23], 3
	s_mov_b32 s31, s25
	s_add_u32 s36, s21, s36
	s_addc_u32 s37, s26, s37
	;; [unrolled: 4-line block ×3, first 2 shown]
	s_lshl_b64 s[28:29], s[28:29], 3
	s_add_u32 s28, s21, s28
	s_addc_u32 s29, s26, s29
	s_add_i32 s24, s24, 4
	s_add_i32 s22, s22, 4
	s_add_i32 s27, s27, -4
	s_cmp_lg_u32 s27, 0
	global_store_dwordx2 v1, v[2:3], s[34:35]
	global_store_dwordx2 v1, v[2:3], s[36:37]
	;; [unrolled: 1-line block ×4, first 2 shown]
	s_cbranch_scc1 .LBB121_4
; %bb.5:
	s_cmp_lg_u32 s20, s17
	s_cselect_b64 s[24:25], -1, 0
.LBB121_6:
	s_and_b64 vcc, exec, s[24:25]
	s_cbranch_vccz .LBB121_9
; %bb.7:
	s_mov_b32 s21, 0
	s_sub_i32 s22, s17, s20
	s_lshl_b64 s[12:13], s[12:13], 3
	s_lshl_b64 s[20:21], s[20:21], 3
	s_add_u32 s12, s12, s20
	s_addc_u32 s13, s13, s21
	s_mul_i32 s13, s13, s14
	s_mul_hi_u32 s20, s12, s14
	s_add_i32 s20, s20, s13
	s_mul_i32 s21, s12, s14
	s_lshl_b64 s[12:13], s[2:3], 3
	s_add_u32 s3, s21, s12
	s_addc_u32 s12, s20, s13
	s_add_u32 s10, s10, s3
	v_mov_b32_e32 v2, 0
	s_addc_u32 s11, s11, s12
	s_lshl_b64 s[12:13], s[14:15], 3
	v_mov_b32_e32 v3, v2
.LBB121_8:                              ; =>This Inner Loop Header: Depth=1
	s_add_i32 s22, s22, -1
	global_store_dwordx2 v2, v[2:3], s[10:11]
	s_add_u32 s10, s10, s12
	s_addc_u32 s11, s11, s13
	s_cmp_eq_u32 s22, 0
	s_cbranch_scc0 .LBB121_8
.LBB121_9:
	s_or_b64 exec, exec, s[6:7]
	s_mov_b64 s[6:7], 0
.LBB121_10:
	s_andn2_b64 vcc, exec, s[6:7]
	s_cbranch_vccnz .LBB121_81
; %bb.11:
	s_load_dwordx4 s[20:23], s[0:1], 0x18
	s_load_dword s15, s[0:1], 0x28
	s_load_dwordx4 s[28:31], s[0:1], 0x30
	s_load_dwordx2 s[6:7], s[0:1], 0x40
	s_load_dword s33, s[0:1], 0x48
	s_mul_i32 s0, s4, s9
	s_mul_hi_u32 s1, s4, s8
	s_add_i32 s1, s1, s0
	s_mul_i32 s0, s4, s8
	s_lshl_b64 s[0:1], s[0:1], 3
	s_waitcnt lgkmcnt(0)
	s_add_u32 s3, s30, s0
	s_addc_u32 s8, s31, s1
	s_lshl_b64 s[0:1], s[6:7], 3
	s_add_u32 s24, s3, s0
	s_addc_u32 s25, s8, s1
	s_mul_i32 s0, s4, s29
	s_mul_hi_u32 s1, s4, s28
	s_add_i32 s1, s1, s0
	s_mul_i32 s0, s4, s28
	s_lshl_b64 s[26:27], s[0:1], 3
	s_add_u32 s0, s20, s26
	s_addc_u32 s1, s21, s27
	s_lshl_b64 s[22:23], s[22:23], 3
	s_add_u32 s0, s0, s22
	s_addc_u32 s1, s1, s23
	s_lshl_b32 s3, s2, 10
	v_lshl_or_b32 v6, v0, 2, s3
	v_ashrrev_i32_e32 v7, 31, v6
	v_lshl_add_u64 v[2:3], v[6:7], 3, s[0:1]
	s_lshr_b32 s0, s5, 30
	s_add_i32 s0, s17, s0
	s_and_b32 s3, s0, -4
	s_ashr_i32 s0, s16, 31
	s_lshr_b32 s0, s0, 30
	s_add_i32 s0, s16, s0
	s_and_b32 s0, s0, -4
	s_sub_i32 s35, s16, s0
	s_cmp_lt_i32 s3, 1
	v_add_u32_e32 v33, 4, v6
	v_add_u32_e32 v34, s35, v6
	v_and_b32_e32 v1, 63, v0
	v_cmp_gt_u32_e64 s[0:1], 64, v0
	v_mbcnt_lo_u32_b32 v32, -1, 0
	v_cmp_gt_u32_e64 s[4:5], 4, v0
	v_lshrrev_b32_e32 v5, 3, v0
	v_mul_lo_u32 v4, v6, s33
	s_cbranch_scc1 .LBB121_58
; %bb.12:
	v_mbcnt_hi_u32_b32 v8, -1, v32
	v_and_b32_e32 v9, 63, v8
	v_cmp_gt_u32_e32 vcc, 32, v9
	s_cmp_gt_i32 s35, 0
	s_cselect_b64 s[30:31], -1, 0
	v_cndmask_b32_e64 v10, 0, 1, vcc
	v_lshlrev_b32_e32 v10, 5, v10
	v_cmp_gt_u32_e32 vcc, 48, v9
	v_add_lshl_u32 v35, v10, v8, 2
	s_lshl_b32 s51, s15, 2
	v_cndmask_b32_e64 v10, 0, 1, vcc
	v_lshlrev_b32_e32 v10, 4, v10
	v_cmp_gt_u32_e32 vcc, 56, v9
	v_add_lshl_u32 v36, v10, v8, 2
	s_lshl_b32 s52, s15, 1
	v_cndmask_b32_e64 v10, 0, 1, vcc
	v_lshlrev_b32_e32 v10, 3, v10
	v_cmp_gt_u32_e32 vcc, 60, v9
	v_add_lshl_u32 v37, v10, v8, 2
	s_add_u32 s29, s26, s22
	v_cndmask_b32_e64 v10, 0, 1, vcc
	v_lshlrev_b32_e32 v10, 2, v10
	v_cmp_gt_u32_e32 vcc, 62, v9
	v_add_lshl_u32 v38, v10, v8, 2
	s_addc_u32 s37, s27, s23
	v_cndmask_b32_e64 v10, 0, 1, vcc
	v_lshlrev_b32_e32 v10, 1, v10
	v_cmp_ne_u32_e32 vcc, 63, v9
	v_add_lshl_u32 v39, v10, v8, 2
	s_add_u32 s36, s20, s29
	v_addc_co_u32_e32 v8, vcc, 0, v8, vcc
	v_lshlrev_b32_e32 v40, 2, v8
	v_mul_lo_u32 v8, v6, s33
	v_add_u32_e32 v14, s33, v8
	v_add_u32_e32 v16, s33, v14
	v_ashrrev_i32_e32 v15, 31, v14
	v_ashrrev_i32_e32 v17, 31, v16
	v_lshl_add_u64 v[12:13], v[14:15], 3, s[24:25]
	v_lshl_add_u64 v[14:15], v[16:17], 3, s[24:25]
	v_add_u32_e32 v16, s33, v16
	v_ashrrev_i32_e32 v9, 31, v8
	v_ashrrev_i32_e32 v17, 31, v16
	s_addc_u32 s37, s21, s37
	v_cmp_ge_i32_e64 s[6:7], s16, v33
	v_cmp_ge_i32_e64 s[8:9], s16, v34
	s_mov_b32 s28, 0
	v_cmp_eq_u32_e64 s[10:11], 0, v1
	v_lshlrev_b32_e32 v41, 3, v1
	v_and_b32_e32 v42, 24, v5
	v_cmp_eq_u32_e64 s[12:13], 0, v0
	v_lshl_add_u64 v[10:11], v[8:9], 3, s[24:25]
	v_lshl_add_u64 v[16:17], v[16:17], 3, s[24:25]
	s_mov_b32 s34, s19
	s_mul_i32 s53, s15, 3
	v_lshl_add_u64 v[18:19], v[6:7], 3, s[36:37]
	v_mov_b32_e32 v20, 0
	s_mov_b32 s36, 0
	s_mov_b32 s54, s15
	;; [unrolled: 1-line block ×3, first 2 shown]
	s_branch .LBB121_14
.LBB121_13:                             ;   in Loop: Header=BB121_14 Depth=1
	s_or_b64 exec, exec, s[38:39]
	s_add_i32 s48, s48, 4
	s_add_i32 s54, s54, s51
	;; [unrolled: 1-line block ×5, first 2 shown]
	s_cmp_ge_i32 s48, s3
	s_cbranch_scc1 .LBB121_59
.LBB121_14:                             ; =>This Loop Header: Depth=1
                                        ;     Child Loop BB121_45 Depth 2
                                        ;     Child Loop BB121_47 Depth 2
                                        ; implicit-def: $vgpr29
                                        ; implicit-def: $vgpr27
                                        ; implicit-def: $vgpr25
                                        ; implicit-def: $vgpr23
	s_and_saveexec_b64 s[38:39], s[6:7]
	s_xor_b64 s[38:39], exec, s[38:39]
	s_cbranch_execnz .LBB121_41
; %bb.15:                               ;   in Loop: Header=BB121_14 Depth=1
	s_andn2_saveexec_b64 s[38:39], s[38:39]
	s_cbranch_execnz .LBB121_42
.LBB121_16:                             ;   in Loop: Header=BB121_14 Depth=1
	s_or_b64 exec, exec, s[38:39]
	s_and_saveexec_b64 s[38:39], s[0:1]
	s_cbranch_execz .LBB121_18
.LBB121_17:                             ;   in Loop: Header=BB121_14 Depth=1
	v_mov_b32_e32 v21, v20
	ds_write_b64 v41, v[20:21]
.LBB121_18:                             ;   in Loop: Header=BB121_14 Depth=1
	s_or_b64 exec, exec, s[38:39]
	ds_bpermute_b32 v30, v35, v28
	ds_bpermute_b32 v31, v35, v29
	s_waitcnt lgkmcnt(0)
	s_barrier
	v_pk_add_f32 v[28:29], v[28:29], v[30:31]
	ds_bpermute_b32 v30, v36, v28
	ds_bpermute_b32 v31, v36, v29
	s_waitcnt lgkmcnt(0)
	v_pk_add_f32 v[28:29], v[28:29], v[30:31]
	ds_bpermute_b32 v30, v37, v28
	ds_bpermute_b32 v31, v37, v29
	s_waitcnt lgkmcnt(0)
	;; [unrolled: 4-line block ×4, first 2 shown]
	v_pk_add_f32 v[28:29], v[28:29], v[30:31]
	ds_bpermute_b32 v30, v40, v28
	ds_bpermute_b32 v31, v40, v29
	s_and_saveexec_b64 s[38:39], s[10:11]
	s_cbranch_execz .LBB121_20
; %bb.19:                               ;   in Loop: Header=BB121_14 Depth=1
	s_waitcnt lgkmcnt(0)
	v_pk_add_f32 v[28:29], v[28:29], v[30:31]
	ds_write_b64 v42, v[28:29]
.LBB121_20:                             ;   in Loop: Header=BB121_14 Depth=1
	s_or_b64 exec, exec, s[38:39]
	s_mov_b32 s29, s28
	v_mov_b64_e32 v[28:29], s[28:29]
	s_waitcnt lgkmcnt(0)
	s_barrier
	s_and_saveexec_b64 s[38:39], s[4:5]
	s_cbranch_execnz .LBB121_49
; %bb.21:                               ;   in Loop: Header=BB121_14 Depth=1
	s_or_b64 exec, exec, s[38:39]
	s_and_saveexec_b64 s[38:39], s[0:1]
	s_cbranch_execnz .LBB121_50
.LBB121_22:                             ;   in Loop: Header=BB121_14 Depth=1
	s_or_b64 exec, exec, s[38:39]
	s_and_saveexec_b64 s[38:39], s[0:1]
	s_cbranch_execz .LBB121_24
.LBB121_23:                             ;   in Loop: Header=BB121_14 Depth=1
	v_mov_b32_e32 v21, v20
	ds_write_b64 v41, v[20:21]
.LBB121_24:                             ;   in Loop: Header=BB121_14 Depth=1
	s_or_b64 exec, exec, s[38:39]
	ds_bpermute_b32 v30, v35, v26
	ds_bpermute_b32 v31, v35, v27
	s_waitcnt lgkmcnt(0)
	s_barrier
	v_pk_add_f32 v[26:27], v[26:27], v[30:31]
	ds_bpermute_b32 v30, v36, v26
	ds_bpermute_b32 v31, v36, v27
	s_waitcnt lgkmcnt(0)
	v_pk_add_f32 v[26:27], v[26:27], v[30:31]
	ds_bpermute_b32 v30, v37, v26
	ds_bpermute_b32 v31, v37, v27
	s_waitcnt lgkmcnt(0)
	;; [unrolled: 4-line block ×4, first 2 shown]
	v_pk_add_f32 v[26:27], v[26:27], v[30:31]
	ds_bpermute_b32 v30, v40, v26
	ds_bpermute_b32 v31, v40, v27
	s_and_saveexec_b64 s[38:39], s[10:11]
	s_cbranch_execz .LBB121_26
; %bb.25:                               ;   in Loop: Header=BB121_14 Depth=1
	s_waitcnt lgkmcnt(0)
	v_pk_add_f32 v[26:27], v[26:27], v[30:31]
	ds_write_b64 v42, v[26:27]
.LBB121_26:                             ;   in Loop: Header=BB121_14 Depth=1
	s_or_b64 exec, exec, s[38:39]
	s_mov_b32 s29, s28
	v_mov_b64_e32 v[26:27], s[28:29]
	s_waitcnt lgkmcnt(0)
	s_barrier
	s_and_saveexec_b64 s[38:39], s[4:5]
	s_cbranch_execnz .LBB121_51
; %bb.27:                               ;   in Loop: Header=BB121_14 Depth=1
	s_or_b64 exec, exec, s[38:39]
	s_and_saveexec_b64 s[38:39], s[0:1]
	s_cbranch_execnz .LBB121_52
.LBB121_28:                             ;   in Loop: Header=BB121_14 Depth=1
	s_or_b64 exec, exec, s[38:39]
	s_and_saveexec_b64 s[38:39], s[0:1]
	s_cbranch_execz .LBB121_30
.LBB121_29:                             ;   in Loop: Header=BB121_14 Depth=1
	v_mov_b32_e32 v21, v20
	ds_write_b64 v41, v[20:21]
.LBB121_30:                             ;   in Loop: Header=BB121_14 Depth=1
	s_or_b64 exec, exec, s[38:39]
	ds_bpermute_b32 v30, v35, v24
	ds_bpermute_b32 v31, v35, v25
	s_waitcnt lgkmcnt(0)
	s_barrier
	v_pk_add_f32 v[24:25], v[24:25], v[30:31]
	ds_bpermute_b32 v30, v36, v24
	ds_bpermute_b32 v31, v36, v25
	s_waitcnt lgkmcnt(0)
	v_pk_add_f32 v[24:25], v[24:25], v[30:31]
	ds_bpermute_b32 v30, v37, v24
	ds_bpermute_b32 v31, v37, v25
	s_waitcnt lgkmcnt(0)
	;; [unrolled: 4-line block ×4, first 2 shown]
	v_pk_add_f32 v[24:25], v[24:25], v[30:31]
	ds_bpermute_b32 v30, v40, v24
	ds_bpermute_b32 v31, v40, v25
	s_and_saveexec_b64 s[38:39], s[10:11]
	s_cbranch_execz .LBB121_32
; %bb.31:                               ;   in Loop: Header=BB121_14 Depth=1
	s_waitcnt lgkmcnt(0)
	v_pk_add_f32 v[24:25], v[24:25], v[30:31]
	ds_write_b64 v42, v[24:25]
.LBB121_32:                             ;   in Loop: Header=BB121_14 Depth=1
	s_or_b64 exec, exec, s[38:39]
	s_mov_b32 s29, s28
	v_mov_b64_e32 v[24:25], s[28:29]
	s_waitcnt lgkmcnt(0)
	s_barrier
	s_and_saveexec_b64 s[38:39], s[4:5]
	s_cbranch_execnz .LBB121_53
; %bb.33:                               ;   in Loop: Header=BB121_14 Depth=1
	s_or_b64 exec, exec, s[38:39]
	s_and_saveexec_b64 s[38:39], s[0:1]
	s_cbranch_execnz .LBB121_54
.LBB121_34:                             ;   in Loop: Header=BB121_14 Depth=1
	s_or_b64 exec, exec, s[38:39]
	s_and_saveexec_b64 s[38:39], s[0:1]
	s_cbranch_execz .LBB121_36
.LBB121_35:                             ;   in Loop: Header=BB121_14 Depth=1
	v_mov_b32_e32 v21, v20
	ds_write_b64 v41, v[20:21]
.LBB121_36:                             ;   in Loop: Header=BB121_14 Depth=1
	s_or_b64 exec, exec, s[38:39]
	ds_bpermute_b32 v30, v35, v22
	ds_bpermute_b32 v31, v35, v23
	s_waitcnt lgkmcnt(0)
	s_barrier
	v_pk_add_f32 v[22:23], v[22:23], v[30:31]
	ds_bpermute_b32 v30, v36, v22
	ds_bpermute_b32 v31, v36, v23
	s_waitcnt lgkmcnt(0)
	v_pk_add_f32 v[22:23], v[22:23], v[30:31]
	ds_bpermute_b32 v30, v37, v22
	ds_bpermute_b32 v31, v37, v23
	s_waitcnt lgkmcnt(0)
	;; [unrolled: 4-line block ×4, first 2 shown]
	v_pk_add_f32 v[22:23], v[22:23], v[30:31]
	ds_bpermute_b32 v30, v40, v22
	ds_bpermute_b32 v31, v40, v23
	s_and_saveexec_b64 s[38:39], s[10:11]
	s_cbranch_execz .LBB121_38
; %bb.37:                               ;   in Loop: Header=BB121_14 Depth=1
	s_waitcnt lgkmcnt(0)
	v_pk_add_f32 v[22:23], v[22:23], v[30:31]
	ds_write_b64 v42, v[22:23]
.LBB121_38:                             ;   in Loop: Header=BB121_14 Depth=1
	s_or_b64 exec, exec, s[38:39]
	s_mov_b32 s29, s28
	v_mov_b64_e32 v[22:23], s[28:29]
	s_waitcnt lgkmcnt(0)
	s_barrier
	s_and_saveexec_b64 s[38:39], s[4:5]
	s_cbranch_execnz .LBB121_55
; %bb.39:                               ;   in Loop: Header=BB121_14 Depth=1
	s_or_b64 exec, exec, s[38:39]
	s_and_saveexec_b64 s[38:39], s[0:1]
	s_cbranch_execnz .LBB121_56
.LBB121_40:                             ;   in Loop: Header=BB121_14 Depth=1
	s_or_b64 exec, exec, s[38:39]
	s_and_saveexec_b64 s[38:39], s[12:13]
	s_cbranch_execz .LBB121_13
	s_branch .LBB121_57
.LBB121_41:                             ;   in Loop: Header=BB121_14 Depth=1
	s_mul_i32 s40, s48, s15
	s_ashr_i32 s41, s40, 31
	v_lshl_add_u64 v[30:31], s[40:41], 3, v[2:3]
	s_add_i32 s40, s40, s15
	s_ashr_i32 s41, s40, 31
	s_waitcnt lgkmcnt(0)
	global_load_dwordx2 v[22:23], v[10:11], off
	global_load_dwordx2 v[24:25], v[12:13], off
	;; [unrolled: 1-line block ×4, first 2 shown]
	global_load_dwordx4 v[26:29], v[30:31], off
	global_load_dwordx4 v[48:51], v[30:31], off offset:16
	v_lshl_add_u64 v[30:31], s[40:41], 3, v[2:3]
	s_add_i32 s40, s40, s15
	s_ashr_i32 s41, s40, 31
	global_load_dwordx4 v[52:55], v[30:31], off
	global_load_dwordx4 v[56:59], v[30:31], off offset:16
	v_lshl_add_u64 v[30:31], s[40:41], 3, v[2:3]
	global_load_dwordx4 v[60:63], v[30:31], off
	s_add_i32 s40, s40, s15
	s_ashr_i32 s41, s40, 31
	v_lshl_add_u64 v[76:77], s[40:41], 3, v[2:3]
	global_load_dwordx4 v[64:67], v[76:77], off
	global_load_dwordx4 v[68:71], v[76:77], off offset:16
	global_load_dwordx4 v[72:75], v[30:31], off offset:16
	s_waitcnt vmcnt(10)
	scratch_store_dwordx4 off, v[22:25], off
	s_waitcnt vmcnt(9)
	scratch_store_dwordx4 off, v[44:47], off offset:16
	s_waitcnt vmcnt(9)
	v_mul_f32_e32 v9, v23, v27
	s_waitcnt vmcnt(8)
	v_pk_mul_f32 v[76:77], v[44:45], v[48:49] op_sel:[1,1] op_sel_hi:[0,1]
	v_mul_f32_e32 v31, v22, v27
	v_mul_f32_e32 v21, v25, v29
	;; [unrolled: 1-line block ×3, first 2 shown]
	v_mov_b32_e32 v78, v51
	v_fma_f32 v30, v22, v26, -v9
	s_waitcnt vmcnt(7)
	v_mul_f32_e32 v9, v23, v53
	v_mul_f32_e32 v79, v24, v55
	v_pk_fma_f32 v[80:81], v[44:45], v[48:49], v[76:77] neg_lo:[0,0,1] neg_hi:[0,0,1]
	v_pk_fma_f32 v[48:49], v[44:45], v[48:49], v[76:77] op_sel_hi:[1,0,1]
	v_fmac_f32_e32 v31, v23, v26
	v_fma_f32 v26, v24, v28, -v21
	v_fmac_f32_e32 v27, v25, v28
	v_mul_f32_e32 v29, v22, v53
	v_mul_f32_e32 v21, v25, v55
	v_pk_mul_f32 v[76:77], v[46:47], v[78:79] op_sel_hi:[1,0]
	s_waitcnt vmcnt(6)
	v_pk_mul_f32 v[82:83], v[44:45], v[56:57] op_sel:[1,1] op_sel_hi:[0,1]
	v_mov_b32_e32 v48, v59
	v_fma_f32 v28, v22, v52, -v9
	s_waitcnt vmcnt(5)
	v_mul_f32_e32 v9, v23, v61
	v_mov_b32_e32 v81, v49
	v_mul_f32_e32 v49, v22, v61
	v_fma_f32 v78, v24, v54, -v21
	v_fmac_f32_e32 v29, v23, v52
	v_pk_fma_f32 v[52:53], v[46:47], v[50:51], v[76:77] op_sel:[0,0,1] op_sel_hi:[1,1,0] neg_lo:[0,0,1] neg_hi:[0,0,1]
	v_pk_fma_f32 v[50:51], v[46:47], v[50:51], v[76:77] op_sel:[0,0,1] op_sel_hi:[1,0,0]
	v_mul_f32_e32 v21, v25, v63
	v_mul_f32_e32 v55, v24, v63
	v_pk_add_f32 v[30:31], v[30:31], 0 op_sel_hi:[1,0]
	v_pk_fma_f32 v[76:77], v[44:45], v[56:57], v[82:83] neg_lo:[0,0,1] neg_hi:[0,0,1]
	v_pk_fma_f32 v[56:57], v[44:45], v[56:57], v[82:83] op_sel_hi:[1,0,1]
	v_pk_mul_f32 v[82:83], v[46:47], v[48:49] op_sel_hi:[1,0]
	v_fma_f32 v48, v22, v60, -v9
	s_waitcnt vmcnt(4)
	v_mul_f32_e32 v9, v23, v65
	v_mul_f32_e32 v63, v22, v65
	v_fmac_f32_e32 v79, v25, v54
	v_fma_f32 v54, v24, v62, -v21
	v_fmac_f32_e32 v55, v25, v62
	v_mul_f32_e32 v21, v25, v67
	v_pk_add_f32 v[26:27], v[30:31], v[26:27]
	v_mul_f32_e32 v31, v24, v67
	v_mov_b32_e32 v53, v51
	s_waitcnt vmcnt(3)
	v_pk_mul_f32 v[50:51], v[44:45], v[68:69] op_sel:[1,1] op_sel_hi:[0,1]
	v_fma_f32 v62, v22, v64, -v9
	v_fmac_f32_e32 v63, v23, v64
	v_fmac_f32_e32 v49, v23, v60
	v_pk_add_f32 v[28:29], v[28:29], 0 op_sel_hi:[1,0]
	v_mov_b32_e32 v77, v57
	v_fma_f32 v30, v24, v66, -v21
	v_fmac_f32_e32 v31, v25, v66
	v_pk_fma_f32 v[22:23], v[44:45], v[68:69], v[50:51] neg_lo:[0,0,1] neg_hi:[0,0,1]
	v_pk_fma_f32 v[24:25], v[44:45], v[68:69], v[50:51] op_sel_hi:[1,0,1]
	v_pk_add_f32 v[56:57], v[62:63], 0 op_sel_hi:[1,0]
	v_pk_fma_f32 v[60:61], v[46:47], v[58:59], v[82:83] op_sel:[0,0,1] op_sel_hi:[1,1,0] neg_lo:[0,0,1] neg_hi:[0,0,1]
	v_pk_fma_f32 v[58:59], v[46:47], v[58:59], v[82:83] op_sel:[0,0,1] op_sel_hi:[1,0,0]
	v_pk_add_f32 v[50:51], v[28:29], v[78:79]
	v_mov_b32_e32 v23, v25
	v_pk_add_f32 v[30:31], v[56:57], v[30:31]
	v_pk_add_f32 v[26:27], v[26:27], v[80:81]
	v_mov_b32_e32 v61, v59
	v_pk_add_f32 v[24:25], v[50:51], v[76:77]
	v_pk_add_f32 v[22:23], v[30:31], v[22:23]
	s_waitcnt vmcnt(2)
	v_pk_mul_f32 v[30:31], v[44:45], v[72:73] op_sel:[1,1] op_sel_hi:[0,1]
	v_pk_add_f32 v[28:29], v[26:27], v[52:53]
	v_pk_add_f32 v[26:27], v[24:25], v[60:61]
	v_pk_add_f32 v[24:25], v[48:49], 0 op_sel_hi:[1,0]
	v_pk_fma_f32 v[48:49], v[44:45], v[72:73], v[30:31] neg_lo:[0,0,1] neg_hi:[0,0,1]
	v_pk_fma_f32 v[30:31], v[44:45], v[72:73], v[30:31] op_sel_hi:[1,0,1]
	v_pk_add_f32 v[24:25], v[24:25], v[54:55]
	v_mov_b32_e32 v30, v75
	v_mov_b32_e32 v49, v31
	v_pk_mul_f32 v[30:31], v[46:47], v[30:31] op_sel_hi:[1,0]
	v_pk_add_f32 v[24:25], v[24:25], v[48:49]
	v_pk_fma_f32 v[44:45], v[46:47], v[74:75], v[30:31] op_sel:[0,0,1] op_sel_hi:[1,1,0] neg_lo:[0,0,1] neg_hi:[0,0,1]
	v_pk_fma_f32 v[30:31], v[46:47], v[74:75], v[30:31] op_sel:[0,0,1] op_sel_hi:[1,0,0]
	s_nop 0
	v_mov_b32_e32 v30, v71
	v_mov_b32_e32 v45, v31
	v_pk_mul_f32 v[30:31], v[46:47], v[30:31] op_sel_hi:[1,0]
	v_pk_add_f32 v[24:25], v[24:25], v[44:45]
	v_pk_fma_f32 v[44:45], v[46:47], v[70:71], v[30:31] op_sel:[0,0,1] op_sel_hi:[1,1,0] neg_lo:[0,0,1] neg_hi:[0,0,1]
	v_pk_fma_f32 v[30:31], v[46:47], v[70:71], v[30:31] op_sel:[0,0,1] op_sel_hi:[1,0,0]
	s_nop 0
	v_mov_b32_e32 v45, v31
	v_pk_add_f32 v[22:23], v[22:23], v[44:45]
	s_andn2_saveexec_b64 s[38:39], s[38:39]
	s_cbranch_execz .LBB121_16
.LBB121_42:                             ;   in Loop: Header=BB121_14 Depth=1
	v_mov_b32_e32 v29, 0
	v_mov_b32_e32 v28, 0
	;; [unrolled: 1-line block ×6, first 2 shown]
	s_waitcnt lgkmcnt(0)
	v_mov_b32_e32 v23, 0
	v_mov_b32_e32 v22, 0
	s_and_saveexec_b64 s[40:41], s[8:9]
	s_cbranch_execz .LBB121_48
; %bb.43:                               ;   in Loop: Header=BB121_14 Depth=1
	v_mov_b32_e32 v29, 0
	s_andn2_b64 vcc, exec, s[30:31]
	v_mov_b32_e32 v28, v29
	v_mov_b32_e32 v27, v29
	;; [unrolled: 1-line block ×7, first 2 shown]
	s_cbranch_vccnz .LBB121_48
; %bb.44:                               ;   in Loop: Header=BB121_14 Depth=1
	v_mov_b32_e32 v9, 0
	v_mov_b32_e32 v22, v8
	s_mov_b32 s29, s35
.LBB121_45:                             ;   Parent Loop BB121_14 Depth=1
                                        ; =>  This Inner Loop Header: Depth=2
	v_ashrrev_i32_e32 v23, 31, v22
	v_lshl_add_u64 v[24:25], v[22:23], 3, s[24:25]
	global_load_dwordx2 v[24:25], v[24:25], off
	s_add_i32 s29, s29, -1
	v_add_u32_e32 v22, s33, v22
	s_cmp_eq_u32 s29, 0
	s_waitcnt vmcnt(0)
	scratch_store_dwordx2 v9, v[24:25], off
	v_add_u32_e32 v9, 8, v9
	s_cbranch_scc0 .LBB121_45
; %bb.46:                               ;   in Loop: Header=BB121_14 Depth=1
	s_ashr_i32 s37, s36, 31
	v_mov_b32_e32 v22, 0
	v_lshl_add_u64 v[30:31], s[36:37], 3, v[18:19]
	v_mov_b32_e32 v9, 0
	s_mov_b32 s42, s53
	s_mov_b32 s44, s52
	;; [unrolled: 1-line block ×4, first 2 shown]
	v_mov_b32_e32 v23, v22
	v_mov_b32_e32 v24, v22
	;; [unrolled: 1-line block ×7, first 2 shown]
.LBB121_47:                             ;   Parent Loop BB121_14 Depth=1
                                        ; =>  This Inner Loop Header: Depth=2
	global_load_dwordx2 v[44:45], v[30:31], off
	s_ashr_i32 s47, s46, 31
	s_ashr_i32 s45, s44, 31
	;; [unrolled: 1-line block ×3, first 2 shown]
	scratch_load_dwordx2 v[46:47], v9, off
	v_lshl_add_u64 v[48:49], s[46:47], 3, v[2:3]
	v_lshl_add_u64 v[50:51], s[44:45], 3, v[2:3]
	;; [unrolled: 1-line block ×3, first 2 shown]
	global_load_dwordx2 v[48:49], v[48:49], off
	s_nop 0
	global_load_dwordx2 v[50:51], v[50:51], off
	s_nop 0
	global_load_dwordx2 v[52:53], v[52:53], off
	s_add_i32 s29, s29, -1
	s_add_i32 s46, s46, 1
	s_add_i32 s44, s44, 1
	;; [unrolled: 1-line block ×3, first 2 shown]
	v_lshl_add_u64 v[30:31], v[30:31], 0, 8
	v_add_u32_e32 v9, 8, v9
	s_cmp_lg_u32 s29, 0
	s_waitcnt vmcnt(3)
	v_pk_mul_f32 v[54:55], v[46:47], v[44:45] op_sel:[0,1]
	s_nop 0
	v_pk_fma_f32 v[56:57], v[46:47], v[44:45], v[54:55] op_sel:[0,0,1] op_sel_hi:[1,1,0] neg_lo:[0,0,1] neg_hi:[0,0,1]
	v_pk_fma_f32 v[44:45], v[46:47], v[44:45], v[54:55] op_sel:[0,0,1] op_sel_hi:[1,0,0]
	s_waitcnt vmcnt(1)
	v_pk_mul_f32 v[54:55], v[46:47], v[50:51] op_sel:[0,1]
	v_mov_b32_e32 v57, v45
	v_pk_mul_f32 v[44:45], v[46:47], v[48:49] op_sel:[0,1]
	s_waitcnt vmcnt(0)
	v_pk_mul_f32 v[58:59], v[46:47], v[52:53] op_sel:[0,1]
	v_pk_add_f32 v[28:29], v[28:29], v[56:57]
	v_pk_fma_f32 v[56:57], v[46:47], v[48:49], v[44:45] op_sel:[0,0,1] op_sel_hi:[1,1,0] neg_lo:[0,0,1] neg_hi:[0,0,1]
	v_pk_fma_f32 v[44:45], v[46:47], v[48:49], v[44:45] op_sel:[0,0,1] op_sel_hi:[1,0,0]
	v_pk_fma_f32 v[48:49], v[46:47], v[50:51], v[54:55] op_sel:[0,0,1] op_sel_hi:[1,1,0] neg_lo:[0,0,1] neg_hi:[0,0,1]
	v_pk_fma_f32 v[50:51], v[46:47], v[50:51], v[54:55] op_sel:[0,0,1] op_sel_hi:[1,0,0]
	;; [unrolled: 2-line block ×3, first 2 shown]
	v_mov_b32_e32 v57, v45
	v_mov_b32_e32 v49, v51
	;; [unrolled: 1-line block ×3, first 2 shown]
	v_pk_add_f32 v[26:27], v[26:27], v[56:57]
	v_pk_add_f32 v[24:25], v[24:25], v[48:49]
	;; [unrolled: 1-line block ×3, first 2 shown]
	s_cbranch_scc1 .LBB121_47
.LBB121_48:                             ;   in Loop: Header=BB121_14 Depth=1
	s_or_b64 exec, exec, s[40:41]
	s_or_b64 exec, exec, s[38:39]
	s_and_saveexec_b64 s[38:39], s[0:1]
	s_cbranch_execnz .LBB121_17
	s_branch .LBB121_18
.LBB121_49:                             ;   in Loop: Header=BB121_14 Depth=1
	ds_read_b64 v[28:29], v41
	s_or_b64 exec, exec, s[38:39]
	s_and_saveexec_b64 s[38:39], s[0:1]
	s_cbranch_execz .LBB121_22
.LBB121_50:                             ;   in Loop: Header=BB121_14 Depth=1
	s_waitcnt lgkmcnt(0)
	ds_bpermute_b32 v30, v39, v28
	ds_bpermute_b32 v31, v39, v29
	s_waitcnt lgkmcnt(0)
	v_pk_add_f32 v[28:29], v[28:29], v[30:31]
	ds_bpermute_b32 v30, v40, v28
	ds_bpermute_b32 v31, v40, v29
	s_waitcnt lgkmcnt(0)
	v_pk_add_f32 v[28:29], v[28:29], v[30:31]
	s_or_b64 exec, exec, s[38:39]
	s_and_saveexec_b64 s[38:39], s[0:1]
	s_cbranch_execnz .LBB121_23
	s_branch .LBB121_24
.LBB121_51:                             ;   in Loop: Header=BB121_14 Depth=1
	ds_read_b64 v[26:27], v41
	s_or_b64 exec, exec, s[38:39]
	s_and_saveexec_b64 s[38:39], s[0:1]
	s_cbranch_execz .LBB121_28
.LBB121_52:                             ;   in Loop: Header=BB121_14 Depth=1
	s_waitcnt lgkmcnt(0)
	ds_bpermute_b32 v30, v39, v26
	ds_bpermute_b32 v31, v39, v27
	s_waitcnt lgkmcnt(0)
	v_pk_add_f32 v[26:27], v[26:27], v[30:31]
	ds_bpermute_b32 v30, v40, v26
	ds_bpermute_b32 v31, v40, v27
	s_waitcnt lgkmcnt(0)
	v_pk_add_f32 v[26:27], v[26:27], v[30:31]
	s_or_b64 exec, exec, s[38:39]
	s_and_saveexec_b64 s[38:39], s[0:1]
	s_cbranch_execnz .LBB121_29
	s_branch .LBB121_30
.LBB121_53:                             ;   in Loop: Header=BB121_14 Depth=1
	ds_read_b64 v[24:25], v41
	s_or_b64 exec, exec, s[38:39]
	s_and_saveexec_b64 s[38:39], s[0:1]
	s_cbranch_execz .LBB121_34
.LBB121_54:                             ;   in Loop: Header=BB121_14 Depth=1
	s_waitcnt lgkmcnt(0)
	ds_bpermute_b32 v30, v39, v24
	ds_bpermute_b32 v31, v39, v25
	s_waitcnt lgkmcnt(0)
	v_pk_add_f32 v[24:25], v[24:25], v[30:31]
	ds_bpermute_b32 v30, v40, v24
	ds_bpermute_b32 v31, v40, v25
	s_waitcnt lgkmcnt(0)
	v_pk_add_f32 v[24:25], v[24:25], v[30:31]
	s_or_b64 exec, exec, s[38:39]
	s_and_saveexec_b64 s[38:39], s[0:1]
	s_cbranch_execnz .LBB121_35
	s_branch .LBB121_36
.LBB121_55:                             ;   in Loop: Header=BB121_14 Depth=1
	ds_read_b64 v[22:23], v41
	s_or_b64 exec, exec, s[38:39]
	s_and_saveexec_b64 s[38:39], s[0:1]
	s_cbranch_execz .LBB121_40
.LBB121_56:                             ;   in Loop: Header=BB121_14 Depth=1
	s_waitcnt lgkmcnt(0)
	ds_bpermute_b32 v30, v39, v22
	ds_bpermute_b32 v31, v39, v23
	s_waitcnt lgkmcnt(0)
	v_pk_add_f32 v[22:23], v[22:23], v[30:31]
	ds_bpermute_b32 v30, v40, v22
	ds_bpermute_b32 v31, v40, v23
	s_waitcnt lgkmcnt(0)
	v_pk_add_f32 v[22:23], v[22:23], v[30:31]
	s_or_b64 exec, exec, s[38:39]
	s_and_saveexec_b64 s[38:39], s[12:13]
	s_cbranch_execz .LBB121_13
.LBB121_57:                             ;   in Loop: Header=BB121_14 Depth=1
	s_mul_i32 s29, s48, s14
	v_pk_mul_f32 v[30:31], v[28:29], s[18:19]
	v_mov_b32_e32 v44, v29
	s_add_i32 s40, s29, s2
	s_mov_b32 s41, s28
	v_mov_b32_e32 v30, v31
	v_pk_mul_f32 v[44:45], v[44:45], s[18:19]
	s_lshl_b64 s[42:43], s[40:41], 3
	v_pk_fma_f32 v[30:31], v[28:29], s[18:19], v[30:31] neg_lo:[0,0,1] neg_hi:[0,0,1]
	v_pk_fma_f32 v[28:29], v[28:29], s[34:35], v[44:45]
	s_add_u32 s42, s49, s42
	s_addc_u32 s43, s50, s43
	v_mov_b32_e32 v31, v28
	global_store_dwordx2 v20, v[30:31], s[42:43]
	v_pk_mul_f32 v[28:29], v[26:27], s[18:19]
	v_mov_b32_e32 v30, v27
	s_add_i32 s40, s40, s14
	v_mov_b32_e32 v28, v29
	v_pk_mul_f32 v[30:31], v[30:31], s[18:19]
	s_lshl_b64 s[42:43], s[40:41], 3
	v_pk_fma_f32 v[28:29], v[26:27], s[18:19], v[28:29] neg_lo:[0,0,1] neg_hi:[0,0,1]
	v_pk_fma_f32 v[26:27], v[26:27], s[34:35], v[30:31]
	s_add_u32 s42, s49, s42
	s_addc_u32 s43, s50, s43
	v_mov_b32_e32 v29, v26
	s_add_i32 s40, s40, s14
	global_store_dwordx2 v20, v[28:29], s[42:43]
	v_pk_mul_f32 v[26:27], v[24:25], s[18:19]
	v_mov_b32_e32 v28, v25
	s_lshl_b64 s[42:43], s[40:41], 3
	v_mov_b32_e32 v26, v27
	v_pk_mul_f32 v[28:29], v[28:29], s[18:19]
	s_add_u32 s42, s49, s42
	v_pk_fma_f32 v[26:27], v[24:25], s[18:19], v[26:27] neg_lo:[0,0,1] neg_hi:[0,0,1]
	v_pk_fma_f32 v[24:25], v[24:25], s[34:35], v[28:29]
	s_addc_u32 s43, s50, s43
	s_add_i32 s40, s40, s14
	v_mov_b32_e32 v27, v24
	s_waitcnt lgkmcnt(0)
	v_pk_mul_f32 v[24:25], v[22:23], s[18:19] op_sel:[1,0]
	s_lshl_b64 s[40:41], s[40:41], 3
	global_store_dwordx2 v20, v[26:27], s[42:43]
	s_add_u32 s40, s49, s40
	v_pk_fma_f32 v[26:27], v[22:23], s[18:19], v[24:25] op_sel:[0,0,1] op_sel_hi:[1,1,0] neg_lo:[0,0,1] neg_hi:[0,0,1]
	v_pk_fma_f32 v[22:23], v[22:23], s[18:19], v[24:25] op_sel:[0,0,1] op_sel_hi:[0,1,0]
	s_addc_u32 s41, s50, s41
	v_mov_b32_e32 v27, v23
	global_store_dwordx2 v20, v[26:27], s[40:41]
	s_branch .LBB121_13
.LBB121_58:
	s_mov_b32 s48, 0
.LBB121_59:
	s_cmp_ge_i32 s48, s17
	s_cbranch_scc1 .LBB121_81
; %bb.60:
	v_mbcnt_hi_u32_b32 v8, -1, v32
	v_and_b32_e32 v9, 63, v8
	v_cmp_gt_u32_e64 s[4:5], 32, v9
	s_mov_b32 s12, 0
	s_cmp_gt_i32 s35, 0
	v_cndmask_b32_e64 v10, 0, 1, s[4:5]
	v_lshlrev_b32_e32 v10, 5, v10
	v_cmp_gt_u32_e64 s[4:5], 48, v9
	v_add_lshl_u32 v21, v10, v8, 2
	s_mov_b32 s3, s12
	v_cndmask_b32_e64 v10, 0, 1, s[4:5]
	v_lshlrev_b32_e32 v10, 4, v10
	v_cmp_gt_u32_e64 s[4:5], 56, v9
	s_waitcnt lgkmcnt(0)
	v_add_lshl_u32 v22, v10, v8, 2
	s_cselect_b64 s[30:31], -1, 0
	v_cndmask_b32_e64 v10, 0, 1, s[4:5]
	v_lshlrev_b32_e32 v10, 3, v10
	v_cmp_gt_u32_e64 s[4:5], 60, v9
	v_add_lshl_u32 v23, v10, v8, 2
	s_lshl_b64 s[2:3], s[2:3], 3
	v_cndmask_b32_e64 v10, 0, 1, s[4:5]
	v_lshlrev_b32_e32 v10, 2, v10
	v_cmp_gt_u32_e64 s[4:5], 62, v9
	v_add_lshl_u32 v24, v10, v8, 2
	v_cmp_ge_i32_e32 vcc, s16, v33
	v_cndmask_b32_e64 v10, 0, 1, s[4:5]
	v_cmp_ge_i32_e64 s[10:11], s16, v34
	v_lshlrev_b32_e32 v10, 1, v10
	s_add_u32 s16, s49, s2
	v_add_lshl_u32 v25, v10, v8, 2
	s_addc_u32 s28, s50, s3
	v_add_u32_e32 v10, s33, v4
	s_and_b64 s[2:3], s[30:31], s[10:11]
	v_cmp_ne_u32_e64 s[4:5], 63, v9
	v_add_u32_e32 v12, s33, v10
	s_add_u32 s10, s26, s22
	v_addc_co_u32_e64 v8, s[4:5], 0, v8, s[4:5]
	v_ashrrev_i32_e32 v11, 31, v10
	v_ashrrev_i32_e32 v13, 31, v12
	s_addc_u32 s11, s27, s23
	v_lshlrev_b32_e32 v26, 2, v8
	v_lshl_add_u64 v[8:9], v[10:11], 3, s[24:25]
	v_lshl_add_u64 v[10:11], v[12:13], 3, s[24:25]
	v_add_u32_e32 v12, s33, v12
	s_add_u32 s10, s20, s10
	v_and_b32_e32 v27, 24, v5
	v_ashrrev_i32_e32 v5, 31, v4
	v_ashrrev_i32_e32 v13, 31, v12
	s_addc_u32 s11, s21, s11
	v_cmp_gt_u32_e64 s[0:1], 64, v0
	v_lshlrev_b32_e32 v20, 3, v1
	v_cmp_eq_u32_e64 s[4:5], 0, v1
	v_cmp_gt_u32_e64 s[6:7], 4, v0
	v_cmp_eq_u32_e64 s[8:9], 0, v0
	v_lshl_add_u64 v[0:1], v[4:5], 3, s[24:25]
	v_lshl_add_u64 v[12:13], v[12:13], 3, s[24:25]
	;; [unrolled: 1-line block ×3, first 2 shown]
	s_mul_i32 s10, s48, s15
	v_mov_b32_e32 v14, 0
	s_branch .LBB121_62
.LBB121_61:                             ;   in Loop: Header=BB121_62 Depth=1
	s_or_b64 exec, exec, s[20:21]
	s_add_i32 s48, s48, 1
	s_add_i32 s10, s10, s15
	s_cmp_lt_i32 s48, s17
	s_cbranch_scc0 .LBB121_81
.LBB121_62:                             ; =>This Loop Header: Depth=1
                                        ;     Child Loop BB121_74 Depth 2
                                        ;     Child Loop BB121_76 Depth 2
                                        ; implicit-def: $vgpr17
	s_and_saveexec_b64 s[20:21], vcc
	s_xor_b64 s[20:21], exec, s[20:21]
	s_cbranch_execnz .LBB121_71
; %bb.63:                               ;   in Loop: Header=BB121_62 Depth=1
	s_andn2_saveexec_b64 s[20:21], s[20:21]
	s_cbranch_execnz .LBB121_72
.LBB121_64:                             ;   in Loop: Header=BB121_62 Depth=1
	s_or_b64 exec, exec, s[20:21]
	s_and_saveexec_b64 s[20:21], s[0:1]
	s_cbranch_execz .LBB121_66
.LBB121_65:                             ;   in Loop: Header=BB121_62 Depth=1
	v_mov_b32_e32 v15, v14
	ds_write_b64 v20, v[14:15]
.LBB121_66:                             ;   in Loop: Header=BB121_62 Depth=1
	s_or_b64 exec, exec, s[20:21]
	s_waitcnt lgkmcnt(0)
	ds_bpermute_b32 v18, v21, v16
	ds_bpermute_b32 v19, v21, v17
	s_waitcnt lgkmcnt(0)
	s_barrier
	v_pk_add_f32 v[16:17], v[16:17], v[18:19]
	ds_bpermute_b32 v18, v22, v16
	ds_bpermute_b32 v19, v22, v17
	s_waitcnt lgkmcnt(0)
	v_pk_add_f32 v[16:17], v[16:17], v[18:19]
	ds_bpermute_b32 v18, v23, v16
	ds_bpermute_b32 v19, v23, v17
	s_waitcnt lgkmcnt(0)
	;; [unrolled: 4-line block ×4, first 2 shown]
	v_pk_add_f32 v[16:17], v[16:17], v[18:19]
	ds_bpermute_b32 v18, v26, v16
	ds_bpermute_b32 v19, v26, v17
	s_and_saveexec_b64 s[20:21], s[4:5]
	s_cbranch_execz .LBB121_68
; %bb.67:                               ;   in Loop: Header=BB121_62 Depth=1
	s_waitcnt lgkmcnt(0)
	v_pk_add_f32 v[16:17], v[16:17], v[18:19]
	ds_write_b64 v27, v[16:17]
.LBB121_68:                             ;   in Loop: Header=BB121_62 Depth=1
	s_or_b64 exec, exec, s[20:21]
	s_mov_b32 s13, s12
	v_mov_b64_e32 v[16:17], s[12:13]
	s_waitcnt lgkmcnt(0)
	s_barrier
	s_and_saveexec_b64 s[20:21], s[6:7]
	s_cbranch_execnz .LBB121_78
; %bb.69:                               ;   in Loop: Header=BB121_62 Depth=1
	s_or_b64 exec, exec, s[20:21]
	s_and_saveexec_b64 s[20:21], s[0:1]
	s_cbranch_execnz .LBB121_79
.LBB121_70:                             ;   in Loop: Header=BB121_62 Depth=1
	s_or_b64 exec, exec, s[20:21]
	s_and_saveexec_b64 s[20:21], s[8:9]
	s_cbranch_execz .LBB121_61
	s_branch .LBB121_80
.LBB121_71:                             ;   in Loop: Header=BB121_62 Depth=1
	s_mul_i32 s22, s48, s15
	s_ashr_i32 s23, s22, 31
	v_lshl_add_u64 v[40:41], s[22:23], 3, v[2:3]
	s_waitcnt lgkmcnt(0)
	global_load_dwordx2 v[16:17], v[0:1], off
	global_load_dwordx2 v[18:19], v[8:9], off
	;; [unrolled: 1-line block ×4, first 2 shown]
	global_load_dwordx4 v[32:35], v[40:41], off
	global_load_dwordx4 v[36:39], v[40:41], off offset:16
	s_waitcnt vmcnt(4)
	scratch_store_dwordx4 off, v[16:19], off
	s_waitcnt vmcnt(3)
	scratch_store_dwordx4 off, v[28:31], off offset:16
	s_waitcnt vmcnt(3)
	v_mul_f32_e32 v5, v17, v33
	v_mul_f32_e32 v41, v16, v33
	;; [unrolled: 1-line block ×4, first 2 shown]
	s_waitcnt vmcnt(2)
	v_pk_mul_f32 v[42:43], v[28:29], v[36:37] op_sel:[1,0]
	v_fma_f32 v40, v16, v32, -v5
	v_fmac_f32_e32 v41, v17, v32
	v_pk_mul_f32 v[44:45], v[30:31], v[38:39] op_sel:[1,0]
	v_fma_f32 v32, v18, v34, -v15
	v_fmac_f32_e32 v33, v19, v34
	v_pk_fma_f32 v[16:17], v[28:29], v[36:37], v[42:43] op_sel:[0,0,1] op_sel_hi:[1,1,0] neg_lo:[0,0,1] neg_hi:[0,0,1]
	v_pk_fma_f32 v[18:19], v[28:29], v[36:37], v[42:43] op_sel:[0,0,1] op_sel_hi:[0,1,0]
	v_pk_add_f32 v[34:35], v[40:41], 0 op_sel_hi:[1,0]
	v_pk_fma_f32 v[28:29], v[30:31], v[38:39], v[44:45] op_sel:[0,0,1] op_sel_hi:[1,1,0] neg_lo:[0,0,1] neg_hi:[0,0,1]
	v_pk_fma_f32 v[30:31], v[30:31], v[38:39], v[44:45] op_sel:[0,0,1] op_sel_hi:[0,1,0]
	v_mov_b32_e32 v17, v19
	v_pk_add_f32 v[18:19], v[34:35], v[32:33]
	v_mov_b32_e32 v29, v31
	v_pk_add_f32 v[16:17], v[18:19], v[16:17]
	s_nop 0
	v_pk_add_f32 v[16:17], v[16:17], v[28:29]
	s_andn2_saveexec_b64 s[20:21], s[20:21]
	s_cbranch_execz .LBB121_64
.LBB121_72:                             ;   in Loop: Header=BB121_62 Depth=1
	s_waitcnt lgkmcnt(0)
	v_mov_b32_e32 v17, 0
	v_mov_b32_e32 v16, v17
	s_and_saveexec_b64 s[22:23], s[2:3]
	s_cbranch_execz .LBB121_77
; %bb.73:                               ;   in Loop: Header=BB121_62 Depth=1
	v_mov_b32_e32 v5, 0
	v_mov_b32_e32 v16, v4
	s_mov_b32 s11, s35
.LBB121_74:                             ;   Parent Loop BB121_62 Depth=1
                                        ; =>  This Inner Loop Header: Depth=2
	v_ashrrev_i32_e32 v17, 31, v16
	v_lshl_add_u64 v[18:19], v[16:17], 3, s[24:25]
	global_load_dwordx2 v[18:19], v[18:19], off
	s_add_i32 s11, s11, -1
	v_add_u32_e32 v16, s33, v16
	s_cmp_eq_u32 s11, 0
	s_waitcnt vmcnt(0)
	scratch_store_dwordx2 v5, v[18:19], off
	v_add_u32_e32 v5, 8, v5
	s_cbranch_scc0 .LBB121_74
; %bb.75:                               ;   in Loop: Header=BB121_62 Depth=1
	s_ashr_i32 s11, s10, 31
	v_mov_b32_e32 v16, 0
	v_lshl_add_u64 v[18:19], s[10:11], 3, v[6:7]
	v_mov_b32_e32 v5, 0
	s_mov_b32 s11, s35
	v_mov_b32_e32 v17, v16
.LBB121_76:                             ;   Parent Loop BB121_62 Depth=1
                                        ; =>  This Inner Loop Header: Depth=2
	global_load_dwordx2 v[28:29], v[18:19], off
	scratch_load_dwordx2 v[30:31], v5, off
	s_add_i32 s11, s11, -1
	v_add_u32_e32 v5, 8, v5
	v_lshl_add_u64 v[18:19], v[18:19], 0, 8
	s_cmp_lg_u32 s11, 0
	s_waitcnt vmcnt(0)
	v_pk_mul_f32 v[32:33], v[30:31], v[28:29] op_sel:[0,1]
	s_nop 0
	v_pk_fma_f32 v[34:35], v[30:31], v[28:29], v[32:33] op_sel:[0,0,1] op_sel_hi:[1,1,0] neg_lo:[0,0,1] neg_hi:[0,0,1]
	v_pk_fma_f32 v[28:29], v[30:31], v[28:29], v[32:33] op_sel:[0,0,1] op_sel_hi:[1,0,0]
	s_nop 0
	v_mov_b32_e32 v35, v29
	v_pk_add_f32 v[16:17], v[16:17], v[34:35]
	s_cbranch_scc1 .LBB121_76
.LBB121_77:                             ;   in Loop: Header=BB121_62 Depth=1
	s_or_b64 exec, exec, s[22:23]
	s_or_b64 exec, exec, s[20:21]
	s_and_saveexec_b64 s[20:21], s[0:1]
	s_cbranch_execnz .LBB121_65
	s_branch .LBB121_66
.LBB121_78:                             ;   in Loop: Header=BB121_62 Depth=1
	ds_read_b64 v[16:17], v20
	s_or_b64 exec, exec, s[20:21]
	s_and_saveexec_b64 s[20:21], s[0:1]
	s_cbranch_execz .LBB121_70
.LBB121_79:                             ;   in Loop: Header=BB121_62 Depth=1
	s_waitcnt lgkmcnt(0)
	ds_bpermute_b32 v18, v25, v16
	ds_bpermute_b32 v19, v25, v17
	s_waitcnt lgkmcnt(0)
	v_pk_add_f32 v[16:17], v[16:17], v[18:19]
	ds_bpermute_b32 v18, v26, v16
	ds_bpermute_b32 v19, v26, v17
	s_waitcnt lgkmcnt(0)
	v_pk_add_f32 v[16:17], v[16:17], v[18:19]
	s_or_b64 exec, exec, s[20:21]
	s_and_saveexec_b64 s[20:21], s[8:9]
	s_cbranch_execz .LBB121_61
.LBB121_80:                             ;   in Loop: Header=BB121_62 Depth=1
	s_mul_hi_u32 s23, s48, s14
	s_mul_i32 s22, s48, s14
	s_waitcnt lgkmcnt(0)
	v_pk_mul_f32 v[18:19], v[16:17], s[18:19] op_sel:[1,0]
	s_lshl_b64 s[22:23], s[22:23], 3
	s_add_u32 s22, s16, s22
	v_pk_fma_f32 v[28:29], v[16:17], s[18:19], v[18:19] op_sel:[0,0,1] op_sel_hi:[1,1,0] neg_lo:[0,0,1] neg_hi:[0,0,1]
	v_pk_fma_f32 v[16:17], v[16:17], s[18:19], v[18:19] op_sel:[0,0,1] op_sel_hi:[0,1,0]
	s_addc_u32 s23, s28, s23
	v_mov_b32_e32 v29, v17
	global_store_dwordx2 v14, v[28:29], s[22:23]
	s_branch .LBB121_61
.LBB121_81:
	s_endpgm
	.section	.rodata,"a",@progbits
	.p2align	6, 0x0
	.amdhsa_kernel _ZL23rocblas_gemvt_sn_kernelILb0ELi256ELi4Ei19rocblas_complex_numIfES1_S1_EviiT4_lPKT3_lilS5_lilPT5_i
		.amdhsa_group_segment_fixed_size 512
		.amdhsa_private_segment_fixed_size 48
		.amdhsa_kernarg_size 360
		.amdhsa_user_sgpr_count 2
		.amdhsa_user_sgpr_dispatch_ptr 0
		.amdhsa_user_sgpr_queue_ptr 0
		.amdhsa_user_sgpr_kernarg_segment_ptr 1
		.amdhsa_user_sgpr_dispatch_id 0
		.amdhsa_user_sgpr_kernarg_preload_length 0
		.amdhsa_user_sgpr_kernarg_preload_offset 0
		.amdhsa_user_sgpr_private_segment_size 0
		.amdhsa_uses_dynamic_stack 0
		.amdhsa_enable_private_segment 1
		.amdhsa_system_sgpr_workgroup_id_x 1
		.amdhsa_system_sgpr_workgroup_id_y 0
		.amdhsa_system_sgpr_workgroup_id_z 1
		.amdhsa_system_sgpr_workgroup_info 0
		.amdhsa_system_vgpr_workitem_id 0
		.amdhsa_next_free_vgpr 84
		.amdhsa_next_free_sgpr 55
		.amdhsa_accum_offset 84
		.amdhsa_reserve_vcc 1
		.amdhsa_float_round_mode_32 0
		.amdhsa_float_round_mode_16_64 0
		.amdhsa_float_denorm_mode_32 3
		.amdhsa_float_denorm_mode_16_64 3
		.amdhsa_dx10_clamp 1
		.amdhsa_ieee_mode 1
		.amdhsa_fp16_overflow 0
		.amdhsa_tg_split 0
		.amdhsa_exception_fp_ieee_invalid_op 0
		.amdhsa_exception_fp_denorm_src 0
		.amdhsa_exception_fp_ieee_div_zero 0
		.amdhsa_exception_fp_ieee_overflow 0
		.amdhsa_exception_fp_ieee_underflow 0
		.amdhsa_exception_fp_ieee_inexact 0
		.amdhsa_exception_int_div_zero 0
	.end_amdhsa_kernel
	.section	.text._ZL23rocblas_gemvt_sn_kernelILb0ELi256ELi4Ei19rocblas_complex_numIfES1_S1_EviiT4_lPKT3_lilS5_lilPT5_i,"axG",@progbits,_ZL23rocblas_gemvt_sn_kernelILb0ELi256ELi4Ei19rocblas_complex_numIfES1_S1_EviiT4_lPKT3_lilS5_lilPT5_i,comdat
.Lfunc_end121:
	.size	_ZL23rocblas_gemvt_sn_kernelILb0ELi256ELi4Ei19rocblas_complex_numIfES1_S1_EviiT4_lPKT3_lilS5_lilPT5_i, .Lfunc_end121-_ZL23rocblas_gemvt_sn_kernelILb0ELi256ELi4Ei19rocblas_complex_numIfES1_S1_EviiT4_lPKT3_lilS5_lilPT5_i
                                        ; -- End function
	.section	.AMDGPU.csdata,"",@progbits
; Kernel info:
; codeLenInByte = 5348
; NumSgprs: 61
; NumVgprs: 84
; NumAgprs: 0
; TotalNumVgprs: 84
; ScratchSize: 48
; MemoryBound: 0
; FloatMode: 240
; IeeeMode: 1
; LDSByteSize: 512 bytes/workgroup (compile time only)
; SGPRBlocks: 7
; VGPRBlocks: 10
; NumSGPRsForWavesPerEU: 61
; NumVGPRsForWavesPerEU: 84
; AccumOffset: 84
; Occupancy: 5
; WaveLimiterHint : 1
; COMPUTE_PGM_RSRC2:SCRATCH_EN: 1
; COMPUTE_PGM_RSRC2:USER_SGPR: 2
; COMPUTE_PGM_RSRC2:TRAP_HANDLER: 0
; COMPUTE_PGM_RSRC2:TGID_X_EN: 1
; COMPUTE_PGM_RSRC2:TGID_Y_EN: 0
; COMPUTE_PGM_RSRC2:TGID_Z_EN: 1
; COMPUTE_PGM_RSRC2:TIDIG_COMP_CNT: 0
; COMPUTE_PGM_RSRC3_GFX90A:ACCUM_OFFSET: 20
; COMPUTE_PGM_RSRC3_GFX90A:TG_SPLIT: 0
	.section	.text._ZL23rocblas_gemvt_sn_kernelILb0ELi256ELi4El19rocblas_complex_numIfES1_S1_EviiT4_lPKT3_lilS5_lilPT5_i,"axG",@progbits,_ZL23rocblas_gemvt_sn_kernelILb0ELi256ELi4El19rocblas_complex_numIfES1_S1_EviiT4_lPKT3_lilS5_lilPT5_i,comdat
	.globl	_ZL23rocblas_gemvt_sn_kernelILb0ELi256ELi4El19rocblas_complex_numIfES1_S1_EviiT4_lPKT3_lilS5_lilPT5_i ; -- Begin function _ZL23rocblas_gemvt_sn_kernelILb0ELi256ELi4El19rocblas_complex_numIfES1_S1_EviiT4_lPKT3_lilS5_lilPT5_i
	.p2align	8
	.type	_ZL23rocblas_gemvt_sn_kernelILb0ELi256ELi4El19rocblas_complex_numIfES1_S1_EviiT4_lPKT3_lilS5_lilPT5_i,@function
_ZL23rocblas_gemvt_sn_kernelILb0ELi256ELi4El19rocblas_complex_numIfES1_S1_EviiT4_lPKT3_lilS5_lilPT5_i: ; @_ZL23rocblas_gemvt_sn_kernelILb0ELi256ELi4El19rocblas_complex_numIfES1_S1_EviiT4_lPKT3_lilS5_lilPT5_i
; %bb.0:
	s_load_dwordx4 s[16:19], s[0:1], 0x0
	s_load_dwordx4 s[8:11], s[0:1], 0x50
	s_load_dword s24, s[0:1], 0x68
	s_mov_b32 s4, s3
	s_mov_b32 s25, 0
	s_waitcnt lgkmcnt(0)
	s_ashr_i32 s5, s17, 31
	s_mul_hi_u32 s3, s17, s3
	s_mul_i32 s6, s5, s4
	s_add_i32 s13, s3, s6
	s_mul_i32 s12, s17, s4
	s_mul_i32 s3, s13, s24
	s_mul_hi_u32 s6, s12, s24
	s_add_i32 s7, s6, s3
	s_mul_i32 s6, s12, s24
	s_lshl_b64 s[6:7], s[6:7], 3
	s_add_u32 s45, s10, s6
	s_addc_u32 s60, s11, s7
	s_or_b32 s3, s18, s19
	s_bitset0_b32 s3, 31
	s_cmp_lg_u32 s3, 0
	s_mov_b64 s[6:7], -1
	v_cmp_eq_u32_e32 vcc, 0, v0
	s_cbranch_scc1 .LBB122_10
; %bb.1:
	s_cmp_gt_i32 s17, 0
	s_cselect_b64 s[6:7], -1, 0
	s_and_b64 s[14:15], vcc, s[6:7]
	s_and_saveexec_b64 s[6:7], s[14:15]
	s_cbranch_execz .LBB122_9
; %bb.2:
	s_cmp_gt_u32 s17, 3
	s_cselect_b64 s[14:15], -1, 0
	s_cmp_eq_u32 s24, 1
	s_cselect_b64 s[26:27], -1, 0
	s_mov_b32 s3, 0
	s_and_b64 s[14:15], s[14:15], s[26:27]
	s_mov_b32 s20, 1
	s_mov_b64 s[22:23], -1
	s_andn2_b64 vcc, exec, s[14:15]
	s_mov_b32 s14, s3
	s_cbranch_vccnz .LBB122_6
; %bb.3:
	s_lshl_b64 s[22:23], s[2:3], 3
	s_add_u32 s15, s45, s22
	s_addc_u32 s26, s60, s23
	s_mov_b32 s23, 0
	s_and_b32 s14, s17, 0x7ffffffc
	s_mov_b32 s22, s23
	v_mov_b32_e32 v1, 0
	v_mov_b64_e32 v[2:3], s[22:23]
	s_mov_b32 s27, s14
.LBB122_4:                              ; =>This Inner Loop Header: Depth=1
	s_add_i32 s28, s20, 2
	s_add_i32 s30, s22, 2
	s_lshl_b64 s[34:35], s[22:23], 3
	s_mov_b32 s21, s23
	s_add_u32 s34, s15, s34
	s_addc_u32 s35, s26, s35
	s_lshl_b64 s[36:37], s[20:21], 3
	s_mov_b32 s31, s23
	s_add_u32 s36, s15, s36
	s_addc_u32 s37, s26, s37
	;; [unrolled: 4-line block ×3, first 2 shown]
	s_lshl_b64 s[28:29], s[28:29], 3
	s_add_u32 s28, s15, s28
	s_addc_u32 s29, s26, s29
	s_add_i32 s22, s22, 4
	s_add_i32 s20, s20, 4
	s_add_i32 s27, s27, -4
	s_cmp_lg_u32 s27, 0
	global_store_dwordx2 v1, v[2:3], s[34:35]
	global_store_dwordx2 v1, v[2:3], s[36:37]
	;; [unrolled: 1-line block ×4, first 2 shown]
	s_cbranch_scc1 .LBB122_4
; %bb.5:
	s_cmp_lg_u32 s14, s17
	s_cselect_b64 s[22:23], -1, 0
.LBB122_6:
	s_and_b64 vcc, exec, s[22:23]
	s_cbranch_vccz .LBB122_9
; %bb.7:
	s_mov_b32 s15, 0
	s_sub_i32 s20, s17, s14
	s_lshl_b64 s[12:13], s[12:13], 3
	s_lshl_b64 s[14:15], s[14:15], 3
	s_add_u32 s12, s12, s14
	s_addc_u32 s13, s13, s15
	s_mul_i32 s13, s13, s24
	s_mul_hi_u32 s14, s12, s24
	s_add_i32 s14, s14, s13
	s_mul_i32 s15, s12, s24
	s_lshl_b64 s[12:13], s[2:3], 3
	s_add_u32 s3, s15, s12
	s_addc_u32 s12, s14, s13
	s_add_u32 s10, s10, s3
	v_mov_b32_e32 v2, 0
	s_addc_u32 s11, s11, s12
	s_lshl_b64 s[12:13], s[24:25], 3
	v_mov_b32_e32 v3, v2
.LBB122_8:                              ; =>This Inner Loop Header: Depth=1
	s_add_i32 s20, s20, -1
	global_store_dwordx2 v2, v[2:3], s[10:11]
	s_add_u32 s10, s10, s12
	s_addc_u32 s11, s11, s13
	s_cmp_eq_u32 s20, 0
	s_cbranch_scc0 .LBB122_8
.LBB122_9:
	s_or_b64 exec, exec, s[6:7]
	s_mov_b64 s[6:7], 0
.LBB122_10:
	s_andn2_b64 vcc, exec, s[6:7]
	s_cbranch_vccnz .LBB122_81
; %bb.11:
	s_load_dword s26, s[0:1], 0x28
	s_load_dword s28, s[0:1], 0x48
	s_load_dwordx4 s[20:23], s[0:1], 0x18
	s_load_dwordx4 s[12:15], s[0:1], 0x30
	s_load_dwordx2 s[6:7], s[0:1], 0x40
	s_mul_i32 s0, s4, s9
	s_mul_hi_u32 s1, s4, s8
	s_add_i32 s1, s1, s0
	s_mul_i32 s0, s4, s8
	s_waitcnt lgkmcnt(0)
	s_ashr_i32 s27, s26, 31
	s_ashr_i32 s29, s28, 31
	s_lshl_b64 s[30:31], s[0:1], 3
	s_add_u32 s0, s14, s30
	s_addc_u32 s1, s15, s31
	s_lshl_b64 s[36:37], s[6:7], 3
	s_add_u32 s38, s0, s36
	s_addc_u32 s39, s1, s37
	s_mul_i32 s0, s4, s13
	s_mul_hi_u32 s1, s4, s12
	s_add_i32 s1, s1, s0
	s_mul_i32 s0, s4, s12
	s_lshl_b64 s[34:35], s[0:1], 3
	s_add_u32 s0, s20, s34
	s_addc_u32 s1, s21, s35
	s_lshl_b64 s[22:23], s[22:23], 3
	s_add_u32 s0, s0, s22
	s_addc_u32 s1, s1, s23
	s_lshl_b32 s3, s2, 10
	v_lshl_or_b32 v4, v0, 2, s3
	v_ashrrev_i32_e32 v5, 31, v4
	v_lshl_add_u64 v[2:3], v[4:5], 3, s[0:1]
	s_lshr_b32 s0, s5, 30
	s_add_i32 s0, s17, s0
	s_and_b32 s61, s0, -4
	s_ashr_i32 s0, s16, 31
	s_lshr_b32 s0, s0, 30
	s_add_i32 s0, s16, s0
	s_and_b32 s0, s0, -4
	s_sub_i32 s25, s16, s0
	s_cmp_lt_i32 s61, 1
	v_add_u32_e32 v35, 4, v4
	v_add_u32_e32 v36, s25, v4
	v_and_b32_e32 v1, 63, v0
	v_cmp_gt_u32_e64 s[0:1], 64, v0
	v_mbcnt_lo_u32_b32 v34, -1, 0
	v_cmp_gt_u32_e64 s[4:5], 4, v0
	v_lshrrev_b32_e32 v33, 3, v0
	v_or_b32_e32 v32, 1, v4
	v_or_b32_e32 v31, 2, v4
	v_or_b32_e32 v30, 3, v4
	s_cbranch_scc1 .LBB122_58
; %bb.12:
	v_mbcnt_hi_u32_b32 v6, -1, v34
	v_and_b32_e32 v7, 63, v6
	v_cmp_gt_u32_e32 vcc, 32, v7
	s_mov_b32 s40, 0
	s_cmp_gt_i32 s25, 0
	v_cndmask_b32_e64 v8, 0, 1, vcc
	v_lshlrev_b32_e32 v8, 5, v8
	v_cmp_gt_u32_e32 vcc, 48, v7
	v_add_lshl_u32 v37, v8, v6, 2
	s_mov_b32 s3, s40
	v_cndmask_b32_e64 v8, 0, 1, vcc
	v_lshlrev_b32_e32 v8, 4, v8
	v_cmp_gt_u32_e32 vcc, 56, v7
	v_add_lshl_u32 v38, v8, v6, 2
	s_cselect_b64 s[42:43], -1, 0
	v_cndmask_b32_e64 v8, 0, 1, vcc
	v_lshlrev_b32_e32 v8, 3, v8
	v_cmp_gt_u32_e32 vcc, 60, v7
	v_add_lshl_u32 v39, v8, v6, 2
	s_lshl_b64 s[46:47], s[2:3], 3
	v_cndmask_b32_e64 v8, 0, 1, vcc
	v_lshlrev_b32_e32 v8, 2, v8
	v_cmp_gt_u32_e32 vcc, 62, v7
	v_add_lshl_u32 v40, v8, v6, 2
	s_add_u32 s3, s45, s46
	v_cndmask_b32_e64 v8, 0, 1, vcc
	v_lshlrev_b32_e32 v8, 1, v8
	v_cmp_ne_u32_e32 vcc, 63, v7
	s_addc_u32 s62, s60, s47
	v_add_lshl_u32 v41, v8, v6, 2
	v_addc_co_u32_e32 v6, vcc, 0, v6, vcc
	s_add_u32 s33, s14, s36
	v_lshlrev_b32_e32 v42, 2, v6
	v_mad_i64_i32 v[6:7], s[46:47], s28, v4, 0
	v_mad_i64_i32 v[8:9], s[46:47], s28, v32, 0
	;; [unrolled: 1-line block ×4, first 2 shown]
	s_addc_u32 s41, s15, s37
	s_add_u32 s46, s33, s30
	v_lshlrev_b64 v[14:15], 3, v[6:7]
	s_addc_u32 s47, s41, s31
	v_cmp_ge_i32_e64 s[6:7], s16, v35
	v_cmp_ge_i32_e64 s[8:9], s16, v36
	v_cmp_eq_u32_e64 s[10:11], 0, v1
	v_lshlrev_b32_e32 v43, 3, v1
	v_and_b32_e32 v44, 24, v33
	v_cmp_eq_u32_e64 s[12:13], 0, v0
	v_lshl_add_u64 v[6:7], s[38:39], 0, v[14:15]
	v_lshl_add_u64 v[8:9], v[8:9], 3, s[38:39]
	;; [unrolled: 1-line block ×4, first 2 shown]
	s_mov_b32 s44, s19
	v_lshl_add_u64 v[14:15], s[46:47], 0, v[14:15]
	s_lshl_b64 s[46:47], s[28:29], 3
	s_lshl_b64 s[48:49], s[26:27], 5
	;; [unrolled: 1-line block ×4, first 2 shown]
	s_mul_hi_i32 s55, s26, 24
	s_mul_i32 s54, s26, 24
	v_mov_b32_e32 v16, 0
	v_mov_b64_e32 v[18:19], v[2:3]
	s_mov_b32 s33, 0
	s_branch .LBB122_14
.LBB122_13:                             ;   in Loop: Header=BB122_14 Depth=1
	s_or_b64 exec, exec, s[56:57]
	s_add_i32 s33, s33, 4
	s_cmp_ge_i32 s33, s61
	v_lshl_add_u64 v[18:19], v[18:19], 0, s[48:49]
	s_cbranch_scc1 .LBB122_59
.LBB122_14:                             ; =>This Loop Header: Depth=1
                                        ;     Child Loop BB122_45 Depth 2
                                        ;     Child Loop BB122_47 Depth 2
                                        ; implicit-def: $vgpr27
                                        ; implicit-def: $vgpr25
                                        ; implicit-def: $vgpr23
                                        ; implicit-def: $vgpr21
	s_and_saveexec_b64 s[56:57], s[6:7]
	s_xor_b64 s[56:57], exec, s[56:57]
	s_cbranch_execnz .LBB122_41
; %bb.15:                               ;   in Loop: Header=BB122_14 Depth=1
	s_andn2_saveexec_b64 s[56:57], s[56:57]
	s_cbranch_execnz .LBB122_42
.LBB122_16:                             ;   in Loop: Header=BB122_14 Depth=1
	s_or_b64 exec, exec, s[56:57]
	s_and_saveexec_b64 s[56:57], s[0:1]
	s_cbranch_execz .LBB122_18
.LBB122_17:                             ;   in Loop: Header=BB122_14 Depth=1
	v_mov_b32_e32 v17, v16
	ds_write_b64 v43, v[16:17]
.LBB122_18:                             ;   in Loop: Header=BB122_14 Depth=1
	s_or_b64 exec, exec, s[56:57]
	ds_bpermute_b32 v28, v37, v26
	ds_bpermute_b32 v29, v37, v27
	s_waitcnt lgkmcnt(0)
	s_barrier
	v_pk_add_f32 v[26:27], v[26:27], v[28:29]
	ds_bpermute_b32 v28, v38, v26
	ds_bpermute_b32 v29, v38, v27
	s_waitcnt lgkmcnt(0)
	v_pk_add_f32 v[26:27], v[26:27], v[28:29]
	ds_bpermute_b32 v28, v39, v26
	ds_bpermute_b32 v29, v39, v27
	s_waitcnt lgkmcnt(0)
	;; [unrolled: 4-line block ×4, first 2 shown]
	v_pk_add_f32 v[26:27], v[26:27], v[28:29]
	ds_bpermute_b32 v28, v42, v26
	ds_bpermute_b32 v29, v42, v27
	s_and_saveexec_b64 s[56:57], s[10:11]
	s_cbranch_execz .LBB122_20
; %bb.19:                               ;   in Loop: Header=BB122_14 Depth=1
	s_waitcnt lgkmcnt(0)
	v_pk_add_f32 v[26:27], v[26:27], v[28:29]
	ds_write_b64 v44, v[26:27]
.LBB122_20:                             ;   in Loop: Header=BB122_14 Depth=1
	s_or_b64 exec, exec, s[56:57]
	s_mov_b32 s41, s40
	v_mov_b64_e32 v[26:27], s[40:41]
	s_waitcnt lgkmcnt(0)
	s_barrier
	s_and_saveexec_b64 s[56:57], s[4:5]
	s_cbranch_execnz .LBB122_49
; %bb.21:                               ;   in Loop: Header=BB122_14 Depth=1
	s_or_b64 exec, exec, s[56:57]
	s_and_saveexec_b64 s[56:57], s[0:1]
	s_cbranch_execnz .LBB122_50
.LBB122_22:                             ;   in Loop: Header=BB122_14 Depth=1
	s_or_b64 exec, exec, s[56:57]
	s_and_saveexec_b64 s[56:57], s[0:1]
	s_cbranch_execz .LBB122_24
.LBB122_23:                             ;   in Loop: Header=BB122_14 Depth=1
	v_mov_b32_e32 v17, v16
	ds_write_b64 v43, v[16:17]
.LBB122_24:                             ;   in Loop: Header=BB122_14 Depth=1
	s_or_b64 exec, exec, s[56:57]
	ds_bpermute_b32 v28, v37, v24
	ds_bpermute_b32 v29, v37, v25
	s_waitcnt lgkmcnt(0)
	s_barrier
	v_pk_add_f32 v[24:25], v[24:25], v[28:29]
	ds_bpermute_b32 v28, v38, v24
	ds_bpermute_b32 v29, v38, v25
	s_waitcnt lgkmcnt(0)
	v_pk_add_f32 v[24:25], v[24:25], v[28:29]
	ds_bpermute_b32 v28, v39, v24
	ds_bpermute_b32 v29, v39, v25
	s_waitcnt lgkmcnt(0)
	;; [unrolled: 4-line block ×4, first 2 shown]
	v_pk_add_f32 v[24:25], v[24:25], v[28:29]
	ds_bpermute_b32 v28, v42, v24
	ds_bpermute_b32 v29, v42, v25
	s_and_saveexec_b64 s[56:57], s[10:11]
	s_cbranch_execz .LBB122_26
; %bb.25:                               ;   in Loop: Header=BB122_14 Depth=1
	s_waitcnt lgkmcnt(0)
	v_pk_add_f32 v[24:25], v[24:25], v[28:29]
	ds_write_b64 v44, v[24:25]
.LBB122_26:                             ;   in Loop: Header=BB122_14 Depth=1
	s_or_b64 exec, exec, s[56:57]
	s_mov_b32 s41, s40
	v_mov_b64_e32 v[24:25], s[40:41]
	s_waitcnt lgkmcnt(0)
	s_barrier
	s_and_saveexec_b64 s[56:57], s[4:5]
	s_cbranch_execnz .LBB122_51
; %bb.27:                               ;   in Loop: Header=BB122_14 Depth=1
	s_or_b64 exec, exec, s[56:57]
	s_and_saveexec_b64 s[56:57], s[0:1]
	s_cbranch_execnz .LBB122_52
.LBB122_28:                             ;   in Loop: Header=BB122_14 Depth=1
	s_or_b64 exec, exec, s[56:57]
	s_and_saveexec_b64 s[56:57], s[0:1]
	s_cbranch_execz .LBB122_30
.LBB122_29:                             ;   in Loop: Header=BB122_14 Depth=1
	v_mov_b32_e32 v17, v16
	ds_write_b64 v43, v[16:17]
.LBB122_30:                             ;   in Loop: Header=BB122_14 Depth=1
	s_or_b64 exec, exec, s[56:57]
	ds_bpermute_b32 v28, v37, v22
	ds_bpermute_b32 v29, v37, v23
	s_waitcnt lgkmcnt(0)
	s_barrier
	v_pk_add_f32 v[22:23], v[22:23], v[28:29]
	ds_bpermute_b32 v28, v38, v22
	ds_bpermute_b32 v29, v38, v23
	s_waitcnt lgkmcnt(0)
	v_pk_add_f32 v[22:23], v[22:23], v[28:29]
	ds_bpermute_b32 v28, v39, v22
	ds_bpermute_b32 v29, v39, v23
	s_waitcnt lgkmcnt(0)
	;; [unrolled: 4-line block ×4, first 2 shown]
	v_pk_add_f32 v[22:23], v[22:23], v[28:29]
	ds_bpermute_b32 v28, v42, v22
	ds_bpermute_b32 v29, v42, v23
	s_and_saveexec_b64 s[56:57], s[10:11]
	s_cbranch_execz .LBB122_32
; %bb.31:                               ;   in Loop: Header=BB122_14 Depth=1
	s_waitcnt lgkmcnt(0)
	v_pk_add_f32 v[22:23], v[22:23], v[28:29]
	ds_write_b64 v44, v[22:23]
.LBB122_32:                             ;   in Loop: Header=BB122_14 Depth=1
	s_or_b64 exec, exec, s[56:57]
	s_mov_b32 s41, s40
	v_mov_b64_e32 v[22:23], s[40:41]
	s_waitcnt lgkmcnt(0)
	s_barrier
	s_and_saveexec_b64 s[56:57], s[4:5]
	s_cbranch_execnz .LBB122_53
; %bb.33:                               ;   in Loop: Header=BB122_14 Depth=1
	s_or_b64 exec, exec, s[56:57]
	s_and_saveexec_b64 s[56:57], s[0:1]
	s_cbranch_execnz .LBB122_54
.LBB122_34:                             ;   in Loop: Header=BB122_14 Depth=1
	s_or_b64 exec, exec, s[56:57]
	s_and_saveexec_b64 s[56:57], s[0:1]
	s_cbranch_execz .LBB122_36
.LBB122_35:                             ;   in Loop: Header=BB122_14 Depth=1
	v_mov_b32_e32 v17, v16
	ds_write_b64 v43, v[16:17]
.LBB122_36:                             ;   in Loop: Header=BB122_14 Depth=1
	s_or_b64 exec, exec, s[56:57]
	ds_bpermute_b32 v28, v37, v20
	ds_bpermute_b32 v29, v37, v21
	s_waitcnt lgkmcnt(0)
	s_barrier
	v_pk_add_f32 v[20:21], v[20:21], v[28:29]
	ds_bpermute_b32 v28, v38, v20
	ds_bpermute_b32 v29, v38, v21
	s_waitcnt lgkmcnt(0)
	v_pk_add_f32 v[20:21], v[20:21], v[28:29]
	ds_bpermute_b32 v28, v39, v20
	ds_bpermute_b32 v29, v39, v21
	s_waitcnt lgkmcnt(0)
	;; [unrolled: 4-line block ×4, first 2 shown]
	v_pk_add_f32 v[20:21], v[20:21], v[28:29]
	ds_bpermute_b32 v28, v42, v20
	ds_bpermute_b32 v29, v42, v21
	s_and_saveexec_b64 s[56:57], s[10:11]
	s_cbranch_execz .LBB122_38
; %bb.37:                               ;   in Loop: Header=BB122_14 Depth=1
	s_waitcnt lgkmcnt(0)
	v_pk_add_f32 v[20:21], v[20:21], v[28:29]
	ds_write_b64 v44, v[20:21]
.LBB122_38:                             ;   in Loop: Header=BB122_14 Depth=1
	s_or_b64 exec, exec, s[56:57]
	s_mov_b32 s41, s40
	v_mov_b64_e32 v[20:21], s[40:41]
	s_waitcnt lgkmcnt(0)
	s_barrier
	s_and_saveexec_b64 s[56:57], s[4:5]
	s_cbranch_execnz .LBB122_55
; %bb.39:                               ;   in Loop: Header=BB122_14 Depth=1
	s_or_b64 exec, exec, s[56:57]
	s_and_saveexec_b64 s[56:57], s[0:1]
	s_cbranch_execnz .LBB122_56
.LBB122_40:                             ;   in Loop: Header=BB122_14 Depth=1
	s_or_b64 exec, exec, s[56:57]
	s_and_saveexec_b64 s[56:57], s[12:13]
	s_cbranch_execz .LBB122_13
	s_branch .LBB122_57
.LBB122_41:                             ;   in Loop: Header=BB122_14 Depth=1
	s_mul_i32 s41, s33, s27
	s_mul_hi_u32 s58, s33, s26
	s_add_i32 s59, s58, s41
	s_mul_i32 s58, s33, s26
	s_or_b32 s41, s33, 1
	v_lshl_add_u64 v[28:29], s[58:59], 3, v[2:3]
	s_mul_i32 s58, s41, s27
	s_mul_hi_u32 s59, s41, s26
	s_add_i32 s59, s59, s58
	s_mul_i32 s58, s41, s26
	s_or_b32 s41, s33, 2
	s_waitcnt lgkmcnt(0)
	global_load_dwordx2 v[20:21], v[6:7], off
	global_load_dwordx2 v[22:23], v[8:9], off
	;; [unrolled: 1-line block ×4, first 2 shown]
	global_load_dwordx4 v[24:27], v[28:29], off
	global_load_dwordx4 v[50:53], v[28:29], off offset:16
	v_lshl_add_u64 v[28:29], s[58:59], 3, v[2:3]
	s_mul_i32 s58, s41, s27
	s_mul_hi_u32 s59, s41, s26
	s_add_i32 s59, s59, s58
	s_mul_i32 s58, s41, s26
	v_lshl_add_u64 v[74:75], s[58:59], 3, v[2:3]
	s_or_b32 s41, s33, 3
	global_load_dwordx4 v[54:57], v[28:29], off
	global_load_dwordx4 v[58:61], v[74:75], off
	s_mul_i32 s58, s41, s27
	s_mul_hi_u32 s59, s41, s26
	s_add_i32 s59, s59, s58
	s_mul_i32 s58, s41, s26
	v_lshl_add_u64 v[66:67], s[58:59], 3, v[2:3]
	global_load_dwordx4 v[62:65], v[66:67], off
	s_nop 0
	global_load_dwordx4 v[66:69], v[66:67], off offset:16
	s_nop 0
	global_load_dwordx4 v[70:73], v[28:29], off offset:16
	;; [unrolled: 2-line block ×3, first 2 shown]
	s_waitcnt vmcnt(10)
	scratch_store_dwordx4 off, v[20:23], off
	s_waitcnt vmcnt(9)
	scratch_store_dwordx4 off, v[46:49], off offset:16
	s_waitcnt vmcnt(9)
	v_mul_f32_e32 v17, v21, v25
	v_mul_f32_e32 v29, v20, v25
	;; [unrolled: 1-line block ×4, first 2 shown]
	s_waitcnt vmcnt(8)
	v_pk_mul_f32 v[78:79], v[46:47], v[50:51] op_sel:[1,1] op_sel_hi:[0,1]
	v_mov_b32_e32 v80, v53
	v_fma_f32 v28, v20, v24, -v17
	v_fmac_f32_e32 v29, v21, v24
	s_waitcnt vmcnt(7)
	v_mul_f32_e32 v17, v21, v55
	v_fma_f32 v24, v22, v26, -v45
	v_fmac_f32_e32 v25, v23, v26
	v_mul_f32_e32 v81, v20, v55
	s_waitcnt vmcnt(6)
	v_mul_f32_e32 v26, v21, v59
	v_mul_f32_e32 v45, v23, v57
	;; [unrolled: 1-line block ×3, first 2 shown]
	s_waitcnt vmcnt(5)
	v_mul_f32_e32 v86, v21, v63
	v_mul_f32_e32 v27, v20, v63
	;; [unrolled: 1-line block ×7, first 2 shown]
	s_waitcnt vmcnt(4)
	v_pk_mul_f32 v[82:83], v[46:47], v[66:67] op_sel:[1,1] op_sel_hi:[0,1]
	v_pk_fma_f32 v[84:85], v[46:47], v[50:51], v[78:79] neg_lo:[0,0,1] neg_hi:[0,0,1]
	v_pk_fma_f32 v[50:51], v[46:47], v[50:51], v[78:79] op_sel_hi:[1,0,1]
	v_pk_mul_f32 v[78:79], v[48:49], v[80:81] op_sel_hi:[1,0]
	v_fma_f32 v80, v20, v54, -v17
	v_fmac_f32_e32 v81, v21, v54
	v_fma_f32 v54, v22, v56, -v45
	v_fmac_f32_e32 v55, v23, v56
	v_fma_f32 v56, v20, v58, -v26
	v_fma_f32 v26, v20, v62, -v86
	v_fmac_f32_e32 v27, v21, v62
	v_fmac_f32_e32 v57, v21, v58
	v_fma_f32 v58, v22, v60, -v87
	v_fmac_f32_e32 v59, v23, v60
	v_fma_f32 v60, v22, v64, -v63
	v_fmac_f32_e32 v61, v23, v64
	v_pk_fma_f32 v[20:21], v[46:47], v[66:67], v[82:83] neg_lo:[0,0,1] neg_hi:[0,0,1]
	v_pk_fma_f32 v[22:23], v[46:47], v[66:67], v[82:83] op_sel_hi:[1,0,1]
	v_pk_add_f32 v[28:29], v[28:29], 0 op_sel_hi:[1,0]
	v_pk_add_f32 v[26:27], v[26:27], 0 op_sel_hi:[1,0]
	v_mov_b32_e32 v21, v23
	v_pk_add_f32 v[22:23], v[28:29], v[24:25]
	v_pk_add_f32 v[24:25], v[26:27], v[60:61]
	v_mov_b32_e32 v85, v51
	v_pk_fma_f32 v[50:51], v[48:49], v[52:53], v[78:79] op_sel:[0,0,1] op_sel_hi:[1,1,0] neg_lo:[0,0,1] neg_hi:[0,0,1]
	v_pk_fma_f32 v[52:53], v[48:49], v[52:53], v[78:79] op_sel:[0,0,1] op_sel_hi:[1,0,0]
	v_pk_add_f32 v[20:21], v[24:25], v[20:21]
	s_waitcnt vmcnt(3)
	v_pk_mul_f32 v[24:25], v[46:47], v[70:71] op_sel:[1,1] op_sel_hi:[0,1]
	v_mov_b32_e32 v51, v53
	v_pk_add_f32 v[22:23], v[22:23], v[84:85]
	v_pk_fma_f32 v[28:29], v[46:47], v[70:71], v[24:25] neg_lo:[0,0,1] neg_hi:[0,0,1]
	v_pk_fma_f32 v[24:25], v[46:47], v[70:71], v[24:25] op_sel_hi:[1,0,1]
	v_pk_add_f32 v[26:27], v[22:23], v[50:51]
	v_pk_add_f32 v[22:23], v[80:81], 0 op_sel_hi:[1,0]
	v_mov_b32_e32 v24, v73
	v_pk_add_f32 v[22:23], v[22:23], v[54:55]
	v_mov_b32_e32 v29, v25
	v_pk_mul_f32 v[24:25], v[48:49], v[24:25] op_sel_hi:[1,0]
	v_pk_add_f32 v[22:23], v[22:23], v[28:29]
	v_pk_fma_f32 v[28:29], v[48:49], v[72:73], v[24:25] op_sel:[0,0,1] op_sel_hi:[1,1,0] neg_lo:[0,0,1] neg_hi:[0,0,1]
	v_pk_fma_f32 v[24:25], v[48:49], v[72:73], v[24:25] op_sel:[0,0,1] op_sel_hi:[1,0,0]
	s_nop 0
	v_mov_b32_e32 v29, v25
	v_pk_add_f32 v[24:25], v[22:23], v[28:29]
	s_waitcnt vmcnt(2)
	v_pk_mul_f32 v[28:29], v[46:47], v[74:75] op_sel:[1,1] op_sel_hi:[0,1]
	v_pk_fma_f32 v[50:51], v[46:47], v[74:75], v[28:29] neg_lo:[0,0,1] neg_hi:[0,0,1]
	v_pk_fma_f32 v[28:29], v[46:47], v[74:75], v[28:29] op_sel_hi:[1,0,1]
	v_pk_add_f32 v[22:23], v[56:57], 0 op_sel_hi:[1,0]
	v_mov_b32_e32 v28, v77
	v_mov_b32_e32 v51, v29
	v_pk_mul_f32 v[28:29], v[48:49], v[28:29] op_sel_hi:[1,0]
	v_pk_add_f32 v[22:23], v[22:23], v[58:59]
	v_pk_fma_f32 v[46:47], v[48:49], v[76:77], v[28:29] op_sel:[0,0,1] op_sel_hi:[1,1,0] neg_lo:[0,0,1] neg_hi:[0,0,1]
	v_pk_fma_f32 v[28:29], v[48:49], v[76:77], v[28:29] op_sel:[0,0,1] op_sel_hi:[1,0,0]
	v_pk_add_f32 v[22:23], v[22:23], v[50:51]
	v_mov_b32_e32 v28, v69
	v_mov_b32_e32 v47, v29
	v_pk_mul_f32 v[28:29], v[48:49], v[28:29] op_sel_hi:[1,0]
	v_pk_add_f32 v[22:23], v[22:23], v[46:47]
	v_pk_fma_f32 v[46:47], v[48:49], v[68:69], v[28:29] op_sel:[0,0,1] op_sel_hi:[1,1,0] neg_lo:[0,0,1] neg_hi:[0,0,1]
	v_pk_fma_f32 v[28:29], v[48:49], v[68:69], v[28:29] op_sel:[0,0,1] op_sel_hi:[1,0,0]
	s_nop 0
	v_mov_b32_e32 v47, v29
	v_pk_add_f32 v[20:21], v[20:21], v[46:47]
	s_andn2_saveexec_b64 s[56:57], s[56:57]
	s_cbranch_execz .LBB122_16
.LBB122_42:                             ;   in Loop: Header=BB122_14 Depth=1
	v_mov_b32_e32 v27, 0
	v_mov_b32_e32 v26, 0
	;; [unrolled: 1-line block ×6, first 2 shown]
	s_waitcnt lgkmcnt(0)
	v_mov_b32_e32 v21, 0
	v_mov_b32_e32 v20, 0
	s_and_saveexec_b64 s[58:59], s[8:9]
	s_cbranch_execz .LBB122_48
; %bb.43:                               ;   in Loop: Header=BB122_14 Depth=1
	v_mov_b32_e32 v27, 0
	s_andn2_b64 vcc, exec, s[42:43]
	v_mov_b32_e32 v26, v27
	v_mov_b32_e32 v25, v27
	;; [unrolled: 1-line block ×7, first 2 shown]
	s_cbranch_vccnz .LBB122_48
; %bb.44:                               ;   in Loop: Header=BB122_14 Depth=1
	v_mov_b32_e32 v17, 0
	v_mov_b64_e32 v[20:21], v[14:15]
	s_mov_b32 s41, s25
.LBB122_45:                             ;   Parent Loop BB122_14 Depth=1
                                        ; =>  This Inner Loop Header: Depth=2
	global_load_dwordx2 v[22:23], v[20:21], off
	s_add_i32 s41, s41, -1
	v_lshl_add_u64 v[20:21], v[20:21], 0, s[46:47]
	s_cmp_eq_u32 s41, 0
	s_waitcnt vmcnt(0)
	scratch_store_dwordx2 v17, v[22:23], off
	v_add_u32_e32 v17, 8, v17
	s_cbranch_scc0 .LBB122_45
; %bb.46:                               ;   in Loop: Header=BB122_14 Depth=1
	v_mov_b32_e32 v20, 0
	v_mov_b32_e32 v17, 0
	v_mov_b64_e32 v[28:29], v[18:19]
	s_mov_b32 s41, s25
	v_mov_b32_e32 v21, v20
	v_mov_b32_e32 v22, v20
	;; [unrolled: 1-line block ×7, first 2 shown]
.LBB122_47:                             ;   Parent Loop BB122_14 Depth=1
                                        ; =>  This Inner Loop Header: Depth=2
	global_load_dwordx2 v[46:47], v[28:29], off
	v_lshl_add_u64 v[48:49], v[28:29], 0, s[50:51]
	scratch_load_dwordx2 v[50:51], v17, off
	v_lshl_add_u64 v[52:53], v[28:29], 0, s[52:53]
	v_lshl_add_u64 v[54:55], v[28:29], 0, s[54:55]
	global_load_dwordx2 v[48:49], v[48:49], off
	s_nop 0
	global_load_dwordx2 v[52:53], v[52:53], off
	s_nop 0
	global_load_dwordx2 v[54:55], v[54:55], off
	s_add_i32 s41, s41, -1
	v_add_u32_e32 v17, 8, v17
	v_lshl_add_u64 v[28:29], v[28:29], 0, 8
	s_cmp_lg_u32 s41, 0
	s_waitcnt vmcnt(3)
	v_pk_mul_f32 v[56:57], v[50:51], v[46:47] op_sel:[0,1]
	s_nop 0
	v_pk_fma_f32 v[58:59], v[50:51], v[46:47], v[56:57] op_sel:[0,0,1] op_sel_hi:[1,1,0] neg_lo:[0,0,1] neg_hi:[0,0,1]
	v_pk_fma_f32 v[46:47], v[50:51], v[46:47], v[56:57] op_sel:[0,0,1] op_sel_hi:[1,0,0]
	s_waitcnt vmcnt(2)
	v_pk_mul_f32 v[56:57], v[50:51], v[48:49] op_sel:[0,1]
	s_waitcnt vmcnt(1)
	v_pk_mul_f32 v[60:61], v[50:51], v[52:53] op_sel:[0,1]
	;; [unrolled: 2-line block ×3, first 2 shown]
	v_mov_b32_e32 v59, v47
	v_pk_fma_f32 v[46:47], v[50:51], v[48:49], v[56:57] op_sel:[0,0,1] op_sel_hi:[1,1,0] neg_lo:[0,0,1] neg_hi:[0,0,1]
	v_pk_fma_f32 v[48:49], v[50:51], v[48:49], v[56:57] op_sel:[0,0,1] op_sel_hi:[1,0,0]
	v_pk_fma_f32 v[56:57], v[50:51], v[52:53], v[60:61] op_sel:[0,0,1] op_sel_hi:[1,1,0] neg_lo:[0,0,1] neg_hi:[0,0,1]
	v_pk_fma_f32 v[52:53], v[50:51], v[52:53], v[60:61] op_sel:[0,0,1] op_sel_hi:[1,0,0]
	;; [unrolled: 2-line block ×3, first 2 shown]
	v_mov_b32_e32 v47, v49
	v_mov_b32_e32 v57, v53
	;; [unrolled: 1-line block ×3, first 2 shown]
	v_pk_add_f32 v[26:27], v[26:27], v[58:59]
	v_pk_add_f32 v[24:25], v[24:25], v[46:47]
	;; [unrolled: 1-line block ×4, first 2 shown]
	s_cbranch_scc1 .LBB122_47
.LBB122_48:                             ;   in Loop: Header=BB122_14 Depth=1
	s_or_b64 exec, exec, s[58:59]
	s_or_b64 exec, exec, s[56:57]
	s_and_saveexec_b64 s[56:57], s[0:1]
	s_cbranch_execnz .LBB122_17
	s_branch .LBB122_18
.LBB122_49:                             ;   in Loop: Header=BB122_14 Depth=1
	ds_read_b64 v[26:27], v43
	s_or_b64 exec, exec, s[56:57]
	s_and_saveexec_b64 s[56:57], s[0:1]
	s_cbranch_execz .LBB122_22
.LBB122_50:                             ;   in Loop: Header=BB122_14 Depth=1
	s_waitcnt lgkmcnt(0)
	ds_bpermute_b32 v28, v41, v26
	ds_bpermute_b32 v29, v41, v27
	s_waitcnt lgkmcnt(0)
	v_pk_add_f32 v[26:27], v[26:27], v[28:29]
	ds_bpermute_b32 v28, v42, v26
	ds_bpermute_b32 v29, v42, v27
	s_waitcnt lgkmcnt(0)
	v_pk_add_f32 v[26:27], v[26:27], v[28:29]
	s_or_b64 exec, exec, s[56:57]
	s_and_saveexec_b64 s[56:57], s[0:1]
	s_cbranch_execnz .LBB122_23
	s_branch .LBB122_24
.LBB122_51:                             ;   in Loop: Header=BB122_14 Depth=1
	ds_read_b64 v[24:25], v43
	s_or_b64 exec, exec, s[56:57]
	s_and_saveexec_b64 s[56:57], s[0:1]
	s_cbranch_execz .LBB122_28
.LBB122_52:                             ;   in Loop: Header=BB122_14 Depth=1
	s_waitcnt lgkmcnt(0)
	ds_bpermute_b32 v28, v41, v24
	ds_bpermute_b32 v29, v41, v25
	s_waitcnt lgkmcnt(0)
	v_pk_add_f32 v[24:25], v[24:25], v[28:29]
	ds_bpermute_b32 v28, v42, v24
	ds_bpermute_b32 v29, v42, v25
	s_waitcnt lgkmcnt(0)
	v_pk_add_f32 v[24:25], v[24:25], v[28:29]
	s_or_b64 exec, exec, s[56:57]
	s_and_saveexec_b64 s[56:57], s[0:1]
	s_cbranch_execnz .LBB122_29
	s_branch .LBB122_30
.LBB122_53:                             ;   in Loop: Header=BB122_14 Depth=1
	ds_read_b64 v[22:23], v43
	s_or_b64 exec, exec, s[56:57]
	s_and_saveexec_b64 s[56:57], s[0:1]
	s_cbranch_execz .LBB122_34
.LBB122_54:                             ;   in Loop: Header=BB122_14 Depth=1
	s_waitcnt lgkmcnt(0)
	ds_bpermute_b32 v28, v41, v22
	ds_bpermute_b32 v29, v41, v23
	s_waitcnt lgkmcnt(0)
	v_pk_add_f32 v[22:23], v[22:23], v[28:29]
	ds_bpermute_b32 v28, v42, v22
	ds_bpermute_b32 v29, v42, v23
	s_waitcnt lgkmcnt(0)
	v_pk_add_f32 v[22:23], v[22:23], v[28:29]
	s_or_b64 exec, exec, s[56:57]
	s_and_saveexec_b64 s[56:57], s[0:1]
	s_cbranch_execnz .LBB122_35
	s_branch .LBB122_36
.LBB122_55:                             ;   in Loop: Header=BB122_14 Depth=1
	ds_read_b64 v[20:21], v43
	s_or_b64 exec, exec, s[56:57]
	s_and_saveexec_b64 s[56:57], s[0:1]
	s_cbranch_execz .LBB122_40
.LBB122_56:                             ;   in Loop: Header=BB122_14 Depth=1
	s_waitcnt lgkmcnt(0)
	ds_bpermute_b32 v28, v41, v20
	ds_bpermute_b32 v29, v41, v21
	s_waitcnt lgkmcnt(0)
	v_pk_add_f32 v[20:21], v[20:21], v[28:29]
	ds_bpermute_b32 v28, v42, v20
	ds_bpermute_b32 v29, v42, v21
	s_waitcnt lgkmcnt(0)
	v_pk_add_f32 v[20:21], v[20:21], v[28:29]
	s_or_b64 exec, exec, s[56:57]
	s_and_saveexec_b64 s[56:57], s[12:13]
	s_cbranch_execz .LBB122_13
.LBB122_57:                             ;   in Loop: Header=BB122_14 Depth=1
	v_pk_mul_f32 v[28:29], v[26:27], s[18:19]
	v_mov_b32_e32 v46, v27
	s_mul_hi_u32 s59, s33, s24
	s_mul_i32 s58, s33, s24
	v_mov_b32_e32 v28, v29
	v_pk_mul_f32 v[46:47], v[46:47], s[18:19]
	s_lshl_b64 s[58:59], s[58:59], 3
	v_pk_fma_f32 v[28:29], v[26:27], s[18:19], v[28:29] neg_lo:[0,0,1] neg_hi:[0,0,1]
	v_pk_fma_f32 v[26:27], v[26:27], s[44:45], v[46:47]
	s_add_u32 s58, s3, s58
	s_addc_u32 s59, s62, s59
	v_mov_b32_e32 v29, v26
	s_or_b32 s41, s33, 1
	global_store_dwordx2 v16, v[28:29], s[58:59]
	v_pk_mul_f32 v[26:27], v[24:25], s[18:19]
	v_mov_b32_e32 v28, v25
	s_mul_hi_u32 s59, s41, s24
	s_mul_i32 s58, s41, s24
	v_mov_b32_e32 v26, v27
	v_pk_mul_f32 v[28:29], v[28:29], s[18:19]
	s_lshl_b64 s[58:59], s[58:59], 3
	v_pk_fma_f32 v[26:27], v[24:25], s[18:19], v[26:27] neg_lo:[0,0,1] neg_hi:[0,0,1]
	v_pk_fma_f32 v[24:25], v[24:25], s[44:45], v[28:29]
	s_add_u32 s58, s3, s58
	s_addc_u32 s59, s62, s59
	v_mov_b32_e32 v27, v24
	s_or_b32 s41, s33, 2
	global_store_dwordx2 v16, v[26:27], s[58:59]
	;; [unrolled: 14-line block ×3, first 2 shown]
	s_mul_hi_u32 s59, s41, s24
	s_mul_i32 s58, s41, s24
	s_waitcnt lgkmcnt(0)
	v_pk_mul_f32 v[22:23], v[20:21], s[18:19] op_sel:[1,0]
	s_lshl_b64 s[58:59], s[58:59], 3
	s_add_u32 s58, s3, s58
	v_pk_fma_f32 v[24:25], v[20:21], s[18:19], v[22:23] op_sel:[0,0,1] op_sel_hi:[1,1,0] neg_lo:[0,0,1] neg_hi:[0,0,1]
	v_pk_fma_f32 v[20:21], v[20:21], s[18:19], v[22:23] op_sel:[0,0,1] op_sel_hi:[0,1,0]
	s_addc_u32 s59, s62, s59
	v_mov_b32_e32 v25, v21
	global_store_dwordx2 v16, v[24:25], s[58:59]
	s_branch .LBB122_13
.LBB122_58:
	s_mov_b32 s33, 0
.LBB122_59:
	s_cmp_ge_i32 s33, s17
	s_cbranch_scc1 .LBB122_81
; %bb.60:
	v_mbcnt_hi_u32_b32 v6, -1, v34
	v_and_b32_e32 v7, 63, v6
	v_cmp_gt_u32_e64 s[4:5], 32, v7
	s_mov_b32 s12, 0
	s_cmp_gt_i32 s25, 0
	v_cndmask_b32_e64 v8, 0, 1, s[4:5]
	v_lshlrev_b32_e32 v8, 5, v8
	v_cmp_gt_u32_e64 s[4:5], 48, v7
	s_waitcnt lgkmcnt(0)
	v_add_lshl_u32 v21, v8, v6, 2
	s_mov_b32 s3, s12
	v_cndmask_b32_e64 v8, 0, 1, s[4:5]
	v_lshlrev_b32_e32 v8, 4, v8
	v_cmp_gt_u32_e64 s[4:5], 56, v7
	v_add_lshl_u32 v22, v8, v6, 2
	s_cselect_b64 s[42:43], -1, 0
	v_cndmask_b32_e64 v8, 0, 1, s[4:5]
	v_lshlrev_b32_e32 v8, 3, v8
	v_cmp_gt_u32_e64 s[4:5], 60, v7
	v_add_lshl_u32 v23, v8, v6, 2
	s_lshl_b64 s[2:3], s[2:3], 3
	v_cndmask_b32_e64 v8, 0, 1, s[4:5]
	v_lshlrev_b32_e32 v8, 2, v8
	v_cmp_gt_u32_e64 s[4:5], 62, v7
	v_add_lshl_u32 v24, v8, v6, 2
	v_cmp_ge_i32_e32 vcc, s16, v35
	v_cndmask_b32_e64 v8, 0, 1, s[4:5]
	v_lshlrev_b32_e32 v8, 1, v8
	v_cmp_ne_u32_e64 s[4:5], 63, v7
	v_cmp_ge_i32_e64 s[10:11], s16, v36
	v_add_lshl_u32 v25, v8, v6, 2
	v_addc_co_u32_e64 v6, s[4:5], 0, v6, s[4:5]
	s_add_u32 s16, s45, s2
	v_cmp_gt_u32_e64 s[0:1], 64, v0
	v_lshlrev_b32_e32 v20, 3, v1
	v_lshlrev_b32_e32 v26, 2, v6
	v_cmp_eq_u32_e64 s[4:5], 0, v1
	v_cmp_gt_u32_e64 s[6:7], 4, v0
	v_cmp_eq_u32_e64 s[8:9], 0, v0
	s_addc_u32 s40, s60, s3
	v_mad_i64_i32 v[0:1], s[2:3], s28, v4, 0
	v_mad_i64_i32 v[6:7], s[2:3], s28, v32, 0
	;; [unrolled: 1-line block ×4, first 2 shown]
	s_and_b64 s[2:3], s[42:43], s[10:11]
	s_add_u32 s10, s14, s36
	s_addc_u32 s11, s15, s37
	s_add_u32 s10, s10, s30
	s_mul_i32 s13, s27, s33
	s_mul_hi_u32 s14, s26, s33
	v_lshlrev_b64 v[12:13], 3, v[0:1]
	s_addc_u32 s11, s11, s31
	s_add_i32 s15, s14, s13
	s_mul_i32 s14, s26, s33
	v_lshl_add_u64 v[0:1], s[38:39], 0, v[12:13]
	v_lshl_add_u64 v[12:13], s[10:11], 0, v[12:13]
	s_lshl_b64 s[10:11], s[28:29], 3
	s_lshl_b64 s[14:15], s[14:15], 3
	s_add_u32 s13, s34, s14
	s_addc_u32 s14, s35, s15
	s_add_u32 s13, s13, s22
	s_addc_u32 s15, s14, s23
	;; [unrolled: 2-line block ×3, first 2 shown]
	v_and_b32_e32 v27, 24, v33
	v_lshl_add_u64 v[6:7], v[6:7], 3, s[38:39]
	v_lshl_add_u64 v[8:9], v[8:9], 3, s[38:39]
	;; [unrolled: 1-line block ×4, first 2 shown]
	s_lshl_b64 s[14:15], s[26:27], 3
	v_mov_b32_e32 v14, 0
	s_branch .LBB122_62
.LBB122_61:                             ;   in Loop: Header=BB122_62 Depth=1
	s_or_b64 exec, exec, s[20:21]
	s_add_i32 s33, s33, 1
	s_cmp_lt_i32 s33, s17
	v_lshl_add_u64 v[4:5], v[4:5], 0, s[14:15]
	s_cbranch_scc0 .LBB122_81
.LBB122_62:                             ; =>This Loop Header: Depth=1
                                        ;     Child Loop BB122_74 Depth 2
                                        ;     Child Loop BB122_76 Depth 2
                                        ; implicit-def: $vgpr17
	s_and_saveexec_b64 s[20:21], vcc
	s_xor_b64 s[20:21], exec, s[20:21]
	s_cbranch_execnz .LBB122_71
; %bb.63:                               ;   in Loop: Header=BB122_62 Depth=1
	s_andn2_saveexec_b64 s[20:21], s[20:21]
	s_cbranch_execnz .LBB122_72
.LBB122_64:                             ;   in Loop: Header=BB122_62 Depth=1
	s_or_b64 exec, exec, s[20:21]
	s_and_saveexec_b64 s[20:21], s[0:1]
	s_cbranch_execz .LBB122_66
.LBB122_65:                             ;   in Loop: Header=BB122_62 Depth=1
	v_mov_b32_e32 v15, v14
	ds_write_b64 v20, v[14:15]
.LBB122_66:                             ;   in Loop: Header=BB122_62 Depth=1
	s_or_b64 exec, exec, s[20:21]
	s_waitcnt lgkmcnt(0)
	ds_bpermute_b32 v18, v21, v16
	ds_bpermute_b32 v19, v21, v17
	s_waitcnt lgkmcnt(0)
	s_barrier
	v_pk_add_f32 v[16:17], v[16:17], v[18:19]
	ds_bpermute_b32 v18, v22, v16
	ds_bpermute_b32 v19, v22, v17
	s_waitcnt lgkmcnt(0)
	v_pk_add_f32 v[16:17], v[16:17], v[18:19]
	ds_bpermute_b32 v18, v23, v16
	ds_bpermute_b32 v19, v23, v17
	s_waitcnt lgkmcnt(0)
	;; [unrolled: 4-line block ×4, first 2 shown]
	v_pk_add_f32 v[16:17], v[16:17], v[18:19]
	ds_bpermute_b32 v18, v26, v16
	ds_bpermute_b32 v19, v26, v17
	s_and_saveexec_b64 s[20:21], s[4:5]
	s_cbranch_execz .LBB122_68
; %bb.67:                               ;   in Loop: Header=BB122_62 Depth=1
	s_waitcnt lgkmcnt(0)
	v_pk_add_f32 v[16:17], v[16:17], v[18:19]
	ds_write_b64 v27, v[16:17]
.LBB122_68:                             ;   in Loop: Header=BB122_62 Depth=1
	s_or_b64 exec, exec, s[20:21]
	s_mov_b32 s13, s12
	v_mov_b64_e32 v[16:17], s[12:13]
	s_waitcnt lgkmcnt(0)
	s_barrier
	s_and_saveexec_b64 s[20:21], s[6:7]
	s_cbranch_execnz .LBB122_78
; %bb.69:                               ;   in Loop: Header=BB122_62 Depth=1
	s_or_b64 exec, exec, s[20:21]
	s_and_saveexec_b64 s[20:21], s[0:1]
	s_cbranch_execnz .LBB122_79
.LBB122_70:                             ;   in Loop: Header=BB122_62 Depth=1
	s_or_b64 exec, exec, s[20:21]
	s_and_saveexec_b64 s[20:21], s[8:9]
	s_cbranch_execz .LBB122_61
	s_branch .LBB122_80
.LBB122_71:                             ;   in Loop: Header=BB122_62 Depth=1
	s_mul_i32 s13, s33, s27
	s_mul_hi_u32 s22, s33, s26
	s_add_i32 s23, s22, s13
	s_mul_i32 s22, s33, s26
	v_lshl_add_u64 v[40:41], s[22:23], 3, v[2:3]
	s_waitcnt lgkmcnt(0)
	global_load_dwordx2 v[16:17], v[0:1], off
	global_load_dwordx2 v[18:19], v[6:7], off
	;; [unrolled: 1-line block ×4, first 2 shown]
	global_load_dwordx4 v[32:35], v[40:41], off
	global_load_dwordx4 v[36:39], v[40:41], off offset:16
	s_waitcnt vmcnt(4)
	scratch_store_dwordx4 off, v[16:19], off
	s_waitcnt vmcnt(3)
	scratch_store_dwordx4 off, v[28:31], off offset:16
	s_waitcnt vmcnt(3)
	v_mul_f32_e32 v15, v17, v33
	v_mul_f32_e32 v41, v16, v33
	;; [unrolled: 1-line block ×4, first 2 shown]
	s_waitcnt vmcnt(2)
	v_pk_mul_f32 v[42:43], v[28:29], v[36:37] op_sel:[1,0]
	v_fma_f32 v40, v16, v32, -v15
	v_fmac_f32_e32 v41, v17, v32
	v_pk_mul_f32 v[44:45], v[30:31], v[38:39] op_sel:[1,0]
	v_fma_f32 v32, v18, v34, -v46
	v_fmac_f32_e32 v33, v19, v34
	v_pk_fma_f32 v[16:17], v[28:29], v[36:37], v[42:43] op_sel:[0,0,1] op_sel_hi:[1,1,0] neg_lo:[0,0,1] neg_hi:[0,0,1]
	v_pk_fma_f32 v[18:19], v[28:29], v[36:37], v[42:43] op_sel:[0,0,1] op_sel_hi:[0,1,0]
	v_pk_add_f32 v[34:35], v[40:41], 0 op_sel_hi:[1,0]
	v_pk_fma_f32 v[28:29], v[30:31], v[38:39], v[44:45] op_sel:[0,0,1] op_sel_hi:[1,1,0] neg_lo:[0,0,1] neg_hi:[0,0,1]
	v_pk_fma_f32 v[30:31], v[30:31], v[38:39], v[44:45] op_sel:[0,0,1] op_sel_hi:[0,1,0]
	v_mov_b32_e32 v17, v19
	v_pk_add_f32 v[18:19], v[34:35], v[32:33]
	v_mov_b32_e32 v29, v31
	v_pk_add_f32 v[16:17], v[18:19], v[16:17]
	s_nop 0
	v_pk_add_f32 v[16:17], v[16:17], v[28:29]
	s_andn2_saveexec_b64 s[20:21], s[20:21]
	s_cbranch_execz .LBB122_64
.LBB122_72:                             ;   in Loop: Header=BB122_62 Depth=1
	s_waitcnt lgkmcnt(0)
	v_mov_b32_e32 v17, 0
	v_mov_b32_e32 v16, v17
	s_and_saveexec_b64 s[22:23], s[2:3]
	s_cbranch_execz .LBB122_77
; %bb.73:                               ;   in Loop: Header=BB122_62 Depth=1
	v_mov_b32_e32 v15, 0
	v_mov_b64_e32 v[16:17], v[12:13]
	s_mov_b32 s13, s25
.LBB122_74:                             ;   Parent Loop BB122_62 Depth=1
                                        ; =>  This Inner Loop Header: Depth=2
	global_load_dwordx2 v[18:19], v[16:17], off
	s_add_i32 s13, s13, -1
	v_lshl_add_u64 v[16:17], v[16:17], 0, s[10:11]
	s_cmp_eq_u32 s13, 0
	s_waitcnt vmcnt(0)
	scratch_store_dwordx2 v15, v[18:19], off
	v_add_u32_e32 v15, 8, v15
	s_cbranch_scc0 .LBB122_74
; %bb.75:                               ;   in Loop: Header=BB122_62 Depth=1
	v_mov_b32_e32 v16, 0
	v_mov_b32_e32 v15, 0
	v_mov_b64_e32 v[18:19], v[4:5]
	s_mov_b32 s13, s25
	v_mov_b32_e32 v17, v16
.LBB122_76:                             ;   Parent Loop BB122_62 Depth=1
                                        ; =>  This Inner Loop Header: Depth=2
	global_load_dwordx2 v[28:29], v[18:19], off
	scratch_load_dwordx2 v[30:31], v15, off
	s_add_i32 s13, s13, -1
	v_add_u32_e32 v15, 8, v15
	v_lshl_add_u64 v[18:19], v[18:19], 0, 8
	s_cmp_lg_u32 s13, 0
	s_waitcnt vmcnt(0)
	v_pk_mul_f32 v[32:33], v[30:31], v[28:29] op_sel:[0,1]
	s_nop 0
	v_pk_fma_f32 v[34:35], v[30:31], v[28:29], v[32:33] op_sel:[0,0,1] op_sel_hi:[1,1,0] neg_lo:[0,0,1] neg_hi:[0,0,1]
	v_pk_fma_f32 v[28:29], v[30:31], v[28:29], v[32:33] op_sel:[0,0,1] op_sel_hi:[1,0,0]
	s_nop 0
	v_mov_b32_e32 v35, v29
	v_pk_add_f32 v[16:17], v[16:17], v[34:35]
	s_cbranch_scc1 .LBB122_76
.LBB122_77:                             ;   in Loop: Header=BB122_62 Depth=1
	s_or_b64 exec, exec, s[22:23]
	s_or_b64 exec, exec, s[20:21]
	s_and_saveexec_b64 s[20:21], s[0:1]
	s_cbranch_execnz .LBB122_65
	s_branch .LBB122_66
.LBB122_78:                             ;   in Loop: Header=BB122_62 Depth=1
	ds_read_b64 v[16:17], v20
	s_or_b64 exec, exec, s[20:21]
	s_and_saveexec_b64 s[20:21], s[0:1]
	s_cbranch_execz .LBB122_70
.LBB122_79:                             ;   in Loop: Header=BB122_62 Depth=1
	s_waitcnt lgkmcnt(0)
	ds_bpermute_b32 v18, v25, v16
	ds_bpermute_b32 v19, v25, v17
	s_waitcnt lgkmcnt(0)
	v_pk_add_f32 v[16:17], v[16:17], v[18:19]
	ds_bpermute_b32 v18, v26, v16
	ds_bpermute_b32 v19, v26, v17
	s_waitcnt lgkmcnt(0)
	v_pk_add_f32 v[16:17], v[16:17], v[18:19]
	s_or_b64 exec, exec, s[20:21]
	s_and_saveexec_b64 s[20:21], s[8:9]
	s_cbranch_execz .LBB122_61
.LBB122_80:                             ;   in Loop: Header=BB122_62 Depth=1
	s_mul_hi_u32 s23, s33, s24
	s_mul_i32 s22, s33, s24
	s_waitcnt lgkmcnt(0)
	v_pk_mul_f32 v[18:19], v[16:17], s[18:19] op_sel:[1,0]
	s_lshl_b64 s[22:23], s[22:23], 3
	s_add_u32 s22, s16, s22
	v_pk_fma_f32 v[28:29], v[16:17], s[18:19], v[18:19] op_sel:[0,0,1] op_sel_hi:[1,1,0] neg_lo:[0,0,1] neg_hi:[0,0,1]
	v_pk_fma_f32 v[16:17], v[16:17], s[18:19], v[18:19] op_sel:[0,0,1] op_sel_hi:[0,1,0]
	s_addc_u32 s23, s40, s23
	v_mov_b32_e32 v29, v17
	global_store_dwordx2 v14, v[28:29], s[22:23]
	s_branch .LBB122_61
.LBB122_81:
	s_endpgm
	.section	.rodata,"a",@progbits
	.p2align	6, 0x0
	.amdhsa_kernel _ZL23rocblas_gemvt_sn_kernelILb0ELi256ELi4El19rocblas_complex_numIfES1_S1_EviiT4_lPKT3_lilS5_lilPT5_i
		.amdhsa_group_segment_fixed_size 512
		.amdhsa_private_segment_fixed_size 48
		.amdhsa_kernarg_size 360
		.amdhsa_user_sgpr_count 2
		.amdhsa_user_sgpr_dispatch_ptr 0
		.amdhsa_user_sgpr_queue_ptr 0
		.amdhsa_user_sgpr_kernarg_segment_ptr 1
		.amdhsa_user_sgpr_dispatch_id 0
		.amdhsa_user_sgpr_kernarg_preload_length 0
		.amdhsa_user_sgpr_kernarg_preload_offset 0
		.amdhsa_user_sgpr_private_segment_size 0
		.amdhsa_uses_dynamic_stack 0
		.amdhsa_enable_private_segment 1
		.amdhsa_system_sgpr_workgroup_id_x 1
		.amdhsa_system_sgpr_workgroup_id_y 0
		.amdhsa_system_sgpr_workgroup_id_z 1
		.amdhsa_system_sgpr_workgroup_info 0
		.amdhsa_system_vgpr_workitem_id 0
		.amdhsa_next_free_vgpr 88
		.amdhsa_next_free_sgpr 63
		.amdhsa_accum_offset 88
		.amdhsa_reserve_vcc 1
		.amdhsa_float_round_mode_32 0
		.amdhsa_float_round_mode_16_64 0
		.amdhsa_float_denorm_mode_32 3
		.amdhsa_float_denorm_mode_16_64 3
		.amdhsa_dx10_clamp 1
		.amdhsa_ieee_mode 1
		.amdhsa_fp16_overflow 0
		.amdhsa_tg_split 0
		.amdhsa_exception_fp_ieee_invalid_op 0
		.amdhsa_exception_fp_denorm_src 0
		.amdhsa_exception_fp_ieee_div_zero 0
		.amdhsa_exception_fp_ieee_overflow 0
		.amdhsa_exception_fp_ieee_underflow 0
		.amdhsa_exception_fp_ieee_inexact 0
		.amdhsa_exception_int_div_zero 0
	.end_amdhsa_kernel
	.section	.text._ZL23rocblas_gemvt_sn_kernelILb0ELi256ELi4El19rocblas_complex_numIfES1_S1_EviiT4_lPKT3_lilS5_lilPT5_i,"axG",@progbits,_ZL23rocblas_gemvt_sn_kernelILb0ELi256ELi4El19rocblas_complex_numIfES1_S1_EviiT4_lPKT3_lilS5_lilPT5_i,comdat
.Lfunc_end122:
	.size	_ZL23rocblas_gemvt_sn_kernelILb0ELi256ELi4El19rocblas_complex_numIfES1_S1_EviiT4_lPKT3_lilS5_lilPT5_i, .Lfunc_end122-_ZL23rocblas_gemvt_sn_kernelILb0ELi256ELi4El19rocblas_complex_numIfES1_S1_EviiT4_lPKT3_lilS5_lilPT5_i
                                        ; -- End function
	.section	.AMDGPU.csdata,"",@progbits
; Kernel info:
; codeLenInByte = 5472
; NumSgprs: 69
; NumVgprs: 88
; NumAgprs: 0
; TotalNumVgprs: 88
; ScratchSize: 48
; MemoryBound: 0
; FloatMode: 240
; IeeeMode: 1
; LDSByteSize: 512 bytes/workgroup (compile time only)
; SGPRBlocks: 8
; VGPRBlocks: 10
; NumSGPRsForWavesPerEU: 69
; NumVGPRsForWavesPerEU: 88
; AccumOffset: 88
; Occupancy: 5
; WaveLimiterHint : 1
; COMPUTE_PGM_RSRC2:SCRATCH_EN: 1
; COMPUTE_PGM_RSRC2:USER_SGPR: 2
; COMPUTE_PGM_RSRC2:TRAP_HANDLER: 0
; COMPUTE_PGM_RSRC2:TGID_X_EN: 1
; COMPUTE_PGM_RSRC2:TGID_Y_EN: 0
; COMPUTE_PGM_RSRC2:TGID_Z_EN: 1
; COMPUTE_PGM_RSRC2:TIDIG_COMP_CNT: 0
; COMPUTE_PGM_RSRC3_GFX90A:ACCUM_OFFSET: 21
; COMPUTE_PGM_RSRC3_GFX90A:TG_SPLIT: 0
	.section	.text._ZL23rocblas_gemvt_sn_reduceILi256ELi8E19rocblas_complex_numIfES1_S1_EviT2_lPT3_lilPT1_i,"axG",@progbits,_ZL23rocblas_gemvt_sn_reduceILi256ELi8E19rocblas_complex_numIfES1_S1_EviT2_lPT3_lilPT1_i,comdat
	.globl	_ZL23rocblas_gemvt_sn_reduceILi256ELi8E19rocblas_complex_numIfES1_S1_EviT2_lPT3_lilPT1_i ; -- Begin function _ZL23rocblas_gemvt_sn_reduceILi256ELi8E19rocblas_complex_numIfES1_S1_EviT2_lPT3_lilPT1_i
	.p2align	8
	.type	_ZL23rocblas_gemvt_sn_reduceILi256ELi8E19rocblas_complex_numIfES1_S1_EviT2_lPT3_lilPT1_i,@function
_ZL23rocblas_gemvt_sn_reduceILi256ELi8E19rocblas_complex_numIfES1_S1_EviT2_lPT3_lilPT1_i: ; @_ZL23rocblas_gemvt_sn_reduceILi256ELi8E19rocblas_complex_numIfES1_S1_EviT2_lPT3_lilPT1_i
; %bb.0:
	s_load_dwordx4 s[8:11], s[0:1], 0x0
	s_load_dword s2, s[0:1], 0x4c
	s_load_dwordx2 s[6:7], s[0:1], 0x38
	s_mov_b32 s17, 0
	v_lshlrev_b32_e32 v1, 3, v0
	s_waitcnt lgkmcnt(0)
	s_ashr_i32 s5, s8, 31
	s_add_u32 s18, s0, 0x48
	s_mul_i32 s2, s2, s4
	s_addc_u32 s19, s1, 0
	s_add_i32 s2, s2, s3
	s_mul_i32 s11, s2, s5
	s_mul_hi_u32 s12, s2, s8
	s_add_i32 s13, s12, s11
	s_mul_i32 s12, s2, s8
	s_lshr_b32 s2, s5, 29
	s_add_i32 s2, s8, s2
	s_and_b32 s2, s2, -8
	s_mov_b32 s16, s17
	v_cmp_gt_i32_e32 vcc, s2, v1
	v_mov_b64_e32 v[2:3], s[16:17]
	s_and_saveexec_b64 s[14:15], vcc
	s_cbranch_execz .LBB123_4
; %bb.1:
	s_load_dword s5, s[18:19], 0xc
	s_lshl_b64 s[18:19], s[12:13], 3
	v_lshlrev_b32_e32 v2, 6, v0
	v_mov_b32_e32 v3, 0
	s_waitcnt lgkmcnt(0)
	s_and_b32 s11, s5, 0xffff
	s_lshl_b32 s5, s11, 3
	s_add_u32 s18, s6, s18
	s_addc_u32 s19, s7, s19
	v_lshl_add_u64 v[4:5], s[18:19], 0, v[2:3]
	s_lshl_b32 s16, s11, 6
	v_lshl_add_u64 v[4:5], v[4:5], 0, 56
	s_mov_b64 s[18:19], 0
	v_mov_b32_e32 v2, v3
.LBB123_2:                              ; =>This Inner Loop Header: Depth=1
	global_load_dwordx4 v[6:9], v[4:5], off offset:-56
	global_load_dwordx4 v[10:13], v[4:5], off offset:-40
	;; [unrolled: 1-line block ×4, first 2 shown]
	v_add_u32_e32 v1, s5, v1
	v_cmp_le_i32_e32 vcc, s2, v1
	v_lshl_add_u64 v[4:5], v[4:5], 0, s[16:17]
	s_or_b64 s[18:19], vcc, s[18:19]
	s_waitcnt vmcnt(3)
	v_pk_add_f32 v[2:3], v[2:3], v[6:7]
	s_nop 0
	v_pk_add_f32 v[2:3], v[2:3], v[8:9]
	s_waitcnt vmcnt(2)
	v_pk_add_f32 v[2:3], v[2:3], v[10:11]
	s_nop 0
	v_pk_add_f32 v[2:3], v[2:3], v[12:13]
	;; [unrolled: 4-line block ×4, first 2 shown]
	s_andn2_b64 exec, exec, s[18:19]
	s_cbranch_execnz .LBB123_2
; %bb.3:
	s_or_b64 exec, exec, s[18:19]
.LBB123_4:
	s_or_b64 exec, exec, s[14:15]
	s_sub_i32 s2, s8, s2
	v_cmp_gt_u32_e32 vcc, s2, v0
	s_and_saveexec_b64 s[14:15], vcc
	s_cbranch_execz .LBB123_6
; %bb.5:
	s_lshl_b64 s[12:13], s[12:13], 3
	s_add_u32 s6, s6, s12
	s_addc_u32 s7, s7, s13
	v_xad_u32 v4, v0, -1, s8
	v_mov_b32_e32 v5, 0
	v_lshl_add_u64 v[4:5], v[4:5], 3, s[6:7]
	global_load_dwordx2 v[4:5], v[4:5], off
	s_waitcnt vmcnt(0)
	v_pk_add_f32 v[2:3], v[2:3], v[4:5]
.LBB123_6:
	s_or_b64 exec, exec, s[14:15]
	v_and_b32_e32 v6, 63, v0
	v_cmp_gt_u32_e32 vcc, 64, v0
	v_lshlrev_b32_e32 v1, 3, v6
	s_and_saveexec_b64 s[6:7], vcc
	s_cbranch_execz .LBB123_8
; %bb.7:
	v_mov_b32_e32 v4, 0
	v_mov_b32_e32 v5, v4
	ds_write_b64 v1, v[4:5]
.LBB123_8:
	s_or_b64 exec, exec, s[6:7]
	v_mbcnt_lo_u32_b32 v4, -1, 0
	v_mbcnt_hi_u32_b32 v8, -1, v4
	v_and_b32_e32 v9, 63, v8
	v_cmp_gt_u32_e64 s[6:7], 32, v9
	s_waitcnt lgkmcnt(0)
	s_barrier
	v_cndmask_b32_e64 v4, 0, 1, s[6:7]
	v_lshlrev_b32_e32 v4, 5, v4
	v_add_lshl_u32 v5, v4, v8, 2
	ds_bpermute_b32 v4, v5, v2
	ds_bpermute_b32 v5, v5, v3
	v_cmp_gt_u32_e64 s[6:7], 48, v9
	s_waitcnt lgkmcnt(0)
	v_pk_add_f32 v[2:3], v[2:3], v[4:5]
	v_cndmask_b32_e64 v7, 0, 1, s[6:7]
	v_lshlrev_b32_e32 v7, 4, v7
	v_add_lshl_u32 v7, v7, v8, 2
	ds_bpermute_b32 v4, v7, v2
	ds_bpermute_b32 v5, v7, v3
	v_cmp_gt_u32_e64 s[6:7], 56, v9
	s_waitcnt lgkmcnt(0)
	v_pk_add_f32 v[2:3], v[2:3], v[4:5]
	;; [unrolled: 8-line block ×4, first 2 shown]
	v_cndmask_b32_e64 v7, 0, 1, s[6:7]
	v_lshlrev_b32_e32 v7, 1, v7
	v_add_lshl_u32 v7, v7, v8, 2
	ds_bpermute_b32 v4, v7, v2
	ds_bpermute_b32 v5, v7, v3
	v_cmp_ne_u32_e64 s[6:7], 63, v9
	s_waitcnt lgkmcnt(0)
	v_pk_add_f32 v[2:3], v[2:3], v[4:5]
	v_addc_co_u32_e64 v4, s[6:7], 0, v8, s[6:7]
	v_lshlrev_b32_e32 v8, 2, v4
	ds_bpermute_b32 v4, v8, v2
	ds_bpermute_b32 v5, v8, v3
	v_cmp_eq_u32_e64 s[6:7], 0, v6
	s_and_saveexec_b64 s[12:13], s[6:7]
	s_cbranch_execz .LBB123_10
; %bb.9:
	v_lshrrev_b32_e32 v6, 3, v0
	v_and_b32_e32 v6, 24, v6
	s_waitcnt lgkmcnt(0)
	v_pk_add_f32 v[2:3], v[2:3], v[4:5]
	ds_write_b64 v6, v[2:3]
.LBB123_10:
	s_or_b64 exec, exec, s[12:13]
	v_cmp_gt_u32_e64 s[6:7], 4, v0
	v_mov_b32_e32 v2, 0
	v_mov_b32_e32 v3, 0
	s_waitcnt lgkmcnt(0)
	s_barrier
	s_and_saveexec_b64 s[12:13], s[6:7]
	s_cbranch_execnz .LBB123_14
; %bb.11:
	s_or_b64 exec, exec, s[12:13]
	s_and_saveexec_b64 s[6:7], vcc
	s_cbranch_execnz .LBB123_15
.LBB123_12:
	s_or_b64 exec, exec, s[6:7]
	v_cmp_eq_u32_e32 vcc, 0, v0
	s_and_saveexec_b64 s[6:7], vcc
	s_cbranch_execnz .LBB123_16
.LBB123_13:
	s_endpgm
.LBB123_14:
	ds_read_b64 v[2:3], v1
	s_or_b64 exec, exec, s[12:13]
	s_and_saveexec_b64 s[6:7], vcc
	s_cbranch_execz .LBB123_12
.LBB123_15:
	s_waitcnt lgkmcnt(0)
	ds_bpermute_b32 v4, v7, v2
	ds_bpermute_b32 v5, v7, v3
	s_waitcnt lgkmcnt(0)
	v_pk_add_f32 v[2:3], v[2:3], v[4:5]
	ds_bpermute_b32 v4, v8, v2
	ds_bpermute_b32 v5, v8, v3
	s_waitcnt lgkmcnt(0)
	v_pk_add_f32 v[2:3], v[2:3], v[4:5]
	s_or_b64 exec, exec, s[6:7]
	v_cmp_eq_u32_e32 vcc, 0, v0
	s_and_saveexec_b64 s[6:7], vcc
	s_cbranch_execz .LBB123_13
.LBB123_16:
	s_load_dword s5, s[0:1], 0x28
	s_load_dwordx2 s[6:7], s[0:1], 0x30
	s_load_dwordx4 s[12:15], s[0:1], 0x18
	s_waitcnt lgkmcnt(0)
	s_ashr_i32 s8, s5, 31
	s_mul_i32 s0, s4, s7
	s_mul_hi_u32 s1, s4, s6
	s_add_i32 s1, s1, s0
	s_mul_i32 s0, s4, s6
	s_lshl_b64 s[0:1], s[0:1], 3
	s_add_u32 s2, s12, s0
	s_addc_u32 s4, s13, s1
	s_lshl_b64 s[0:1], s[14:15], 3
	s_add_u32 s2, s2, s0
	v_cmp_neq_f32_e64 s[6:7], s9, 0
	v_cmp_neq_f32_e64 s[12:13], s10, 0
	s_addc_u32 s4, s4, s1
	s_mul_hi_u32 s0, s5, s3
	s_mul_i32 s8, s8, s3
	s_or_b64 s[6:7], s[6:7], s[12:13]
	s_add_i32 s1, s0, s8
	s_andn2_b64 vcc, exec, s[6:7]
	s_mul_i32 s0, s5, s3
	s_cbranch_vccnz .LBB123_18
; %bb.17:
	s_lshl_b64 s[6:7], s[0:1], 3
	s_add_u32 s6, s2, s6
	s_addc_u32 s7, s4, s7
	s_load_dwordx2 s[6:7], s[6:7], 0x0
	s_mov_b32 s8, s9
	s_mov_b32 s9, s10
	s_waitcnt lgkmcnt(0)
	v_mov_b64_e32 v[0:1], s[6:7]
	v_pk_mul_f32 v[4:5], s[8:9], v[0:1] op_sel:[0,1]
	s_nop 0
	v_pk_fma_f32 v[6:7], s[8:9], v[0:1], v[4:5] op_sel:[0,0,1] op_sel_hi:[1,1,0] neg_lo:[0,0,1] neg_hi:[0,0,1]
	v_pk_fma_f32 v[0:1], s[8:9], v[0:1], v[4:5] op_sel:[0,0,1] op_sel_hi:[1,0,0]
	s_nop 0
	v_mov_b32_e32 v7, v1
	v_pk_add_f32 v[2:3], v[6:7], v[2:3]
.LBB123_18:
	s_lshl_b64 s[0:1], s[0:1], 3
	s_add_u32 s0, s2, s0
	s_addc_u32 s1, s4, s1
	v_mov_b32_e32 v0, 0
	global_store_dwordx2 v0, v[2:3], s[0:1]
	s_endpgm
	.section	.rodata,"a",@progbits
	.p2align	6, 0x0
	.amdhsa_kernel _ZL23rocblas_gemvt_sn_reduceILi256ELi8E19rocblas_complex_numIfES1_S1_EviT2_lPT3_lilPT1_i
		.amdhsa_group_segment_fixed_size 512
		.amdhsa_private_segment_fixed_size 0
		.amdhsa_kernarg_size 328
		.amdhsa_user_sgpr_count 2
		.amdhsa_user_sgpr_dispatch_ptr 0
		.amdhsa_user_sgpr_queue_ptr 0
		.amdhsa_user_sgpr_kernarg_segment_ptr 1
		.amdhsa_user_sgpr_dispatch_id 0
		.amdhsa_user_sgpr_kernarg_preload_length 0
		.amdhsa_user_sgpr_kernarg_preload_offset 0
		.amdhsa_user_sgpr_private_segment_size 0
		.amdhsa_uses_dynamic_stack 0
		.amdhsa_enable_private_segment 0
		.amdhsa_system_sgpr_workgroup_id_x 1
		.amdhsa_system_sgpr_workgroup_id_y 1
		.amdhsa_system_sgpr_workgroup_id_z 1
		.amdhsa_system_sgpr_workgroup_info 0
		.amdhsa_system_vgpr_workitem_id 0
		.amdhsa_next_free_vgpr 22
		.amdhsa_next_free_sgpr 20
		.amdhsa_accum_offset 24
		.amdhsa_reserve_vcc 1
		.amdhsa_float_round_mode_32 0
		.amdhsa_float_round_mode_16_64 0
		.amdhsa_float_denorm_mode_32 3
		.amdhsa_float_denorm_mode_16_64 3
		.amdhsa_dx10_clamp 1
		.amdhsa_ieee_mode 1
		.amdhsa_fp16_overflow 0
		.amdhsa_tg_split 0
		.amdhsa_exception_fp_ieee_invalid_op 0
		.amdhsa_exception_fp_denorm_src 0
		.amdhsa_exception_fp_ieee_div_zero 0
		.amdhsa_exception_fp_ieee_overflow 0
		.amdhsa_exception_fp_ieee_underflow 0
		.amdhsa_exception_fp_ieee_inexact 0
		.amdhsa_exception_int_div_zero 0
	.end_amdhsa_kernel
	.section	.text._ZL23rocblas_gemvt_sn_reduceILi256ELi8E19rocblas_complex_numIfES1_S1_EviT2_lPT3_lilPT1_i,"axG",@progbits,_ZL23rocblas_gemvt_sn_reduceILi256ELi8E19rocblas_complex_numIfES1_S1_EviT2_lPT3_lilPT1_i,comdat
.Lfunc_end123:
	.size	_ZL23rocblas_gemvt_sn_reduceILi256ELi8E19rocblas_complex_numIfES1_S1_EviT2_lPT3_lilPT1_i, .Lfunc_end123-_ZL23rocblas_gemvt_sn_reduceILi256ELi8E19rocblas_complex_numIfES1_S1_EviT2_lPT3_lilPT1_i
                                        ; -- End function
	.section	.AMDGPU.csdata,"",@progbits
; Kernel info:
; codeLenInByte = 1232
; NumSgprs: 26
; NumVgprs: 22
; NumAgprs: 0
; TotalNumVgprs: 22
; ScratchSize: 0
; MemoryBound: 0
; FloatMode: 240
; IeeeMode: 1
; LDSByteSize: 512 bytes/workgroup (compile time only)
; SGPRBlocks: 3
; VGPRBlocks: 2
; NumSGPRsForWavesPerEU: 26
; NumVGPRsForWavesPerEU: 22
; AccumOffset: 24
; Occupancy: 8
; WaveLimiterHint : 0
; COMPUTE_PGM_RSRC2:SCRATCH_EN: 0
; COMPUTE_PGM_RSRC2:USER_SGPR: 2
; COMPUTE_PGM_RSRC2:TRAP_HANDLER: 0
; COMPUTE_PGM_RSRC2:TGID_X_EN: 1
; COMPUTE_PGM_RSRC2:TGID_Y_EN: 1
; COMPUTE_PGM_RSRC2:TGID_Z_EN: 1
; COMPUTE_PGM_RSRC2:TIDIG_COMP_CNT: 0
; COMPUTE_PGM_RSRC3_GFX90A:ACCUM_OFFSET: 5
; COMPUTE_PGM_RSRC3_GFX90A:TG_SPLIT: 0
	.section	.text._ZL32rocblas_gemvt_warp_reduce_kernelILb0ELi256Ei19rocblas_complex_numIfEPKS1_S1_EviiT3_lPKT2_lT1_lS7_lS8_lS4_lPT4_lS8_li,"axG",@progbits,_ZL32rocblas_gemvt_warp_reduce_kernelILb0ELi256Ei19rocblas_complex_numIfEPKS1_S1_EviiT3_lPKT2_lT1_lS7_lS8_lS4_lPT4_lS8_li,comdat
	.globl	_ZL32rocblas_gemvt_warp_reduce_kernelILb0ELi256Ei19rocblas_complex_numIfEPKS1_S1_EviiT3_lPKT2_lT1_lS7_lS8_lS4_lPT4_lS8_li ; -- Begin function _ZL32rocblas_gemvt_warp_reduce_kernelILb0ELi256Ei19rocblas_complex_numIfEPKS1_S1_EviiT3_lPKT2_lT1_lS7_lS8_lS4_lPT4_lS8_li
	.p2align	8
	.type	_ZL32rocblas_gemvt_warp_reduce_kernelILb0ELi256Ei19rocblas_complex_numIfEPKS1_S1_EviiT3_lPKT2_lT1_lS7_lS8_lS4_lPT4_lS8_li,@function
_ZL32rocblas_gemvt_warp_reduce_kernelILb0ELi256Ei19rocblas_complex_numIfEPKS1_S1_EviiT3_lPKT2_lT1_lS7_lS8_lS4_lPT4_lS8_li: ; @_ZL32rocblas_gemvt_warp_reduce_kernelILb0ELi256Ei19rocblas_complex_numIfEPKS1_S1_EviiT3_lPKT2_lT1_lS7_lS8_lS4_lPT4_lS8_li
; %bb.0:
	s_load_dwordx8 s[4:11], s[0:1], 0x8
	s_load_dwordx8 s[12:19], s[0:1], 0x50
	s_waitcnt lgkmcnt(0)
	s_mul_i32 s7, s3, s7
	s_mul_hi_u32 s20, s3, s6
	s_add_i32 s7, s20, s7
	s_mul_i32 s6, s3, s6
	s_lshl_b64 s[6:7], s[6:7], 3
	s_add_u32 s4, s4, s6
	s_addc_u32 s5, s5, s7
	s_mul_i32 s6, s3, s17
	s_mul_hi_u32 s7, s3, s16
	s_add_i32 s7, s7, s6
	s_mul_i32 s6, s3, s16
	s_lshl_b64 s[16:17], s[6:7], 3
	s_load_dwordx2 s[6:7], s[4:5], 0x0
	s_add_u32 s4, s14, s16
	s_addc_u32 s5, s15, s17
	s_load_dwordx2 s[4:5], s[4:5], 0x0
	s_waitcnt lgkmcnt(0)
	v_cmp_eq_f32_e64 s[14:15], s6, 0
	v_cmp_eq_f32_e64 s[16:17], s7, 0
	s_and_b64 s[14:15], s[14:15], s[16:17]
	v_cmp_eq_f32_e64 s[16:17], s4, 1.0
	v_cmp_eq_f32_e64 s[20:21], s5, 0
	s_and_b64 s[16:17], s[16:17], s[20:21]
	s_and_b64 s[14:15], s[14:15], s[16:17]
	s_and_b64 vcc, exec, s[14:15]
	s_cbranch_vccnz .LBB124_21
; %bb.1:
	s_load_dwordx2 s[14:15], s[0:1], 0x80
	s_load_dwordx2 s[16:17], s[0:1], 0x70
	s_load_dword s20, s[0:1], 0x78
	v_cmp_eq_u32_e32 vcc, 0, v0
	s_waitcnt lgkmcnt(0)
	s_mul_i32 s15, s3, s15
	s_mul_hi_u32 s21, s3, s14
	s_mul_i32 s14, s3, s14
	s_add_i32 s15, s21, s15
	s_lshl_b64 s[14:15], s[14:15], 3
	s_add_u32 s18, s18, s14
	s_addc_u32 s19, s19, s15
	s_lshl_b64 s[14:15], s[16:17], 3
	s_add_u32 s18, s18, s14
	s_addc_u32 s19, s19, s15
	s_or_b32 s14, s6, s7
	s_bitset0_b32 s14, 31
	s_cmp_lg_u32 s14, 0
	s_mov_b64 s[14:15], -1
	s_cbranch_scc1 .LBB124_7
; %bb.2:
	s_and_saveexec_b64 s[14:15], vcc
	s_cbranch_execz .LBB124_6
; %bb.3:
	v_cmp_neq_f32_e64 s[22:23], s4, 0
	v_cmp_neq_f32_e64 s[24:25], s5, 0
	s_mul_i32 s16, s2, s20
	s_or_b64 s[22:23], s[22:23], s[24:25]
	s_ashr_i32 s17, s16, 31
	v_mov_b32_e32 v1, 0
	s_andn2_b64 vcc, exec, s[22:23]
	v_mov_b32_e32 v2, 0
	v_mov_b32_e32 v3, 0
	s_cbranch_vccnz .LBB124_5
; %bb.4:
	s_lshl_b64 s[22:23], s[16:17], 3
	s_add_u32 s22, s18, s22
	s_addc_u32 s23, s19, s23
	s_load_dwordx2 s[22:23], s[22:23], 0x0
	s_waitcnt lgkmcnt(0)
	v_mov_b64_e32 v[4:5], s[22:23]
	v_pk_mul_f32 v[6:7], s[4:5], v[4:5] op_sel:[0,1]
	s_nop 0
	v_pk_fma_f32 v[2:3], s[4:5], v[4:5], v[6:7] op_sel:[0,0,1] op_sel_hi:[1,1,0] neg_lo:[0,0,1] neg_hi:[0,0,1]
	v_pk_fma_f32 v[4:5], s[4:5], v[4:5], v[6:7] op_sel:[0,0,1] op_sel_hi:[1,0,0]
	s_nop 0
	v_mov_b32_e32 v3, v5
.LBB124_5:
	s_lshl_b64 s[16:17], s[16:17], 3
	s_add_u32 s16, s18, s16
	s_addc_u32 s17, s19, s17
	global_store_dwordx2 v1, v[2:3], s[16:17]
.LBB124_6:
	s_or_b64 exec, exec, s[14:15]
	s_mov_b64 s[14:15], 0
.LBB124_7:
	s_andn2_b64 vcc, exec, s[14:15]
	s_cbranch_vccnz .LBB124_21
; %bb.8:
	s_load_dword s16, s[0:1], 0x0
	s_load_dword s21, s[0:1], 0x28
	s_load_dwordx4 s[24:27], s[0:1], 0x30
	s_load_dwordx2 s[14:15], s[0:1], 0x40
	s_mul_i32 s13, s3, s13
	s_mul_hi_u32 s17, s3, s12
	s_add_i32 s13, s17, s13
	s_mul_i32 s12, s3, s12
	s_lshl_b64 s[12:13], s[12:13], 3
	s_waitcnt lgkmcnt(0)
	s_add_u32 s17, s26, s12
	s_addc_u32 s22, s27, s13
	s_lshl_b64 s[12:13], s[14:15], 3
	s_add_u32 s12, s17, s12
	s_load_dword s17, s[0:1], 0x48
	s_mul_i32 s0, s3, s25
	s_mul_hi_u32 s1, s3, s24
	s_addc_u32 s13, s22, s13
	s_add_i32 s1, s1, s0
	s_mul_i32 s0, s3, s24
	s_lshl_b64 s[0:1], s[0:1], 3
	s_add_u32 s3, s8, s0
	s_addc_u32 s8, s9, s1
	s_lshl_b64 s[0:1], s[10:11], 3
	s_add_u32 s3, s3, s0
	s_mul_i32 s0, s2, s21
	s_addc_u32 s9, s8, s1
	s_ashr_i32 s1, s0, 31
	v_cmp_gt_i32_e32 vcc, s16, v0
	s_lshl_b64 s[0:1], s[0:1], 3
	v_mov_b32_e32 v6, 0
	v_cndmask_b32_e32 v1, 0, v0, vcc
	s_add_u32 s0, s0, s3
	v_lshlrev_b32_e32 v2, 3, v1
	v_mov_b32_e32 v3, v6
	s_addc_u32 s1, s1, s9
	v_lshl_add_u64 v[2:3], s[0:1], 0, v[2:3]
	s_ashr_i32 s0, s16, 31
	s_lshr_b32 s0, s0, 24
	s_mov_b32 s8, 0
	s_add_i32 s0, s16, s0
	s_and_b32 s0, s0, 0xffffff00
	s_mov_b32 s9, s8
	v_cmp_gt_i32_e32 vcc, s0, v0
	v_mov_b64_e32 v[4:5], s[8:9]
	s_and_saveexec_b64 s[8:9], vcc
	s_cbranch_execz .LBB124_12
; %bb.9:
	s_waitcnt lgkmcnt(0)
	v_mul_lo_u32 v4, v0, s17
	s_lshl_b32 s1, s17, 8
	s_mov_b64 s[10:11], 0
	s_mov_b64 s[14:15], 0x800
	v_mov_b64_e32 v[8:9], v[2:3]
	v_mov_b32_e32 v1, v0
	v_mov_b32_e32 v7, v6
.LBB124_10:                             ; =>This Inner Loop Header: Depth=1
	v_ashrrev_i32_e32 v5, 31, v4
	v_lshl_add_u64 v[12:13], v[4:5], 3, s[12:13]
	global_load_dwordx2 v[10:11], v[8:9], off
	v_add_u32_e32 v1, 0x100, v1
	global_load_dwordx2 v[12:13], v[12:13], off
	v_cmp_le_i32_e32 vcc, s0, v1
	v_lshl_add_u64 v[8:9], v[8:9], 0, s[14:15]
	v_add_u32_e32 v4, s1, v4
	s_or_b64 s[10:11], vcc, s[10:11]
	s_waitcnt vmcnt(0)
	v_mul_f32_e32 v5, v13, v11
	v_mul_f32_e32 v15, v12, v11
	v_fma_f32 v14, v12, v10, -v5
	v_fmac_f32_e32 v15, v13, v10
	v_pk_add_f32 v[6:7], v[6:7], v[14:15]
	s_andn2_b64 exec, exec, s[10:11]
	s_cbranch_execnz .LBB124_10
; %bb.11:
	s_or_b64 exec, exec, s[10:11]
	v_mov_b64_e32 v[4:5], v[6:7]
.LBB124_12:
	s_or_b64 exec, exec, s[8:9]
	v_add_u32_e32 v1, s0, v0
	v_cmp_gt_i32_e32 vcc, s16, v1
	s_and_saveexec_b64 s[8:9], vcc
	s_cbranch_execz .LBB124_14
; %bb.13:
	s_waitcnt lgkmcnt(0)
	v_mul_lo_u32 v6, v1, s17
	s_ashr_i32 s1, s0, 31
	v_ashrrev_i32_e32 v7, 31, v6
	v_lshl_add_u64 v[2:3], s[0:1], 3, v[2:3]
	v_lshl_add_u64 v[6:7], v[6:7], 3, s[12:13]
	global_load_dwordx2 v[2:3], v[2:3], off
	s_nop 0
	global_load_dwordx2 v[6:7], v[6:7], off
	s_waitcnt vmcnt(0)
	v_pk_mul_f32 v[8:9], v[6:7], v[2:3] op_sel:[0,1]
	s_nop 0
	v_pk_fma_f32 v[10:11], v[6:7], v[2:3], v[8:9] op_sel:[0,0,1] op_sel_hi:[1,1,0] neg_lo:[0,0,1] neg_hi:[0,0,1]
	v_pk_fma_f32 v[2:3], v[6:7], v[2:3], v[8:9] op_sel:[0,0,1] op_sel_hi:[1,0,0]
	s_nop 0
	v_mov_b32_e32 v11, v3
	v_pk_add_f32 v[4:5], v[4:5], v[10:11]
.LBB124_14:
	s_or_b64 exec, exec, s[8:9]
	v_and_b32_e32 v6, 63, v0
	v_cmp_gt_u32_e32 vcc, 64, v0
	v_lshlrev_b32_e32 v1, 3, v6
	s_and_saveexec_b64 s[0:1], vcc
	s_cbranch_execz .LBB124_16
; %bb.15:
	v_mov_b32_e32 v2, 0
	v_mov_b32_e32 v3, v2
	ds_write_b64 v1, v[2:3]
.LBB124_16:
	s_or_b64 exec, exec, s[0:1]
	v_mbcnt_lo_u32_b32 v2, -1, 0
	v_mbcnt_hi_u32_b32 v8, -1, v2
	v_and_b32_e32 v9, 63, v8
	v_cmp_gt_u32_e64 s[0:1], 32, v9
	s_mov_b32 s8, 0
	s_waitcnt lgkmcnt(0)
	v_cndmask_b32_e64 v2, 0, 1, s[0:1]
	v_lshlrev_b32_e32 v2, 5, v2
	v_add_lshl_u32 v3, v2, v8, 2
	ds_bpermute_b32 v2, v3, v4
	ds_bpermute_b32 v3, v3, v5
	v_cmp_gt_u32_e64 s[0:1], 48, v9
	s_barrier
	s_waitcnt lgkmcnt(0)
	v_cndmask_b32_e64 v7, 0, 1, s[0:1]
	v_lshlrev_b32_e32 v7, 4, v7
	v_add_lshl_u32 v7, v7, v8, 2
	v_pk_add_f32 v[2:3], v[4:5], v[2:3]
	ds_bpermute_b32 v4, v7, v2
	ds_bpermute_b32 v5, v7, v3
	v_cmp_gt_u32_e64 s[0:1], 56, v9
	s_waitcnt lgkmcnt(0)
	v_pk_add_f32 v[2:3], v[2:3], v[4:5]
	v_cndmask_b32_e64 v7, 0, 1, s[0:1]
	v_lshlrev_b32_e32 v7, 3, v7
	v_add_lshl_u32 v7, v7, v8, 2
	ds_bpermute_b32 v4, v7, v2
	ds_bpermute_b32 v5, v7, v3
	v_cmp_gt_u32_e64 s[0:1], 60, v9
	s_waitcnt lgkmcnt(0)
	v_pk_add_f32 v[2:3], v[2:3], v[4:5]
	v_cndmask_b32_e64 v7, 0, 1, s[0:1]
	v_lshlrev_b32_e32 v7, 2, v7
	v_add_lshl_u32 v7, v7, v8, 2
	;; [unrolled: 8-line block ×3, first 2 shown]
	ds_bpermute_b32 v4, v7, v2
	ds_bpermute_b32 v5, v7, v3
	v_cmp_ne_u32_e64 s[0:1], 63, v9
	s_waitcnt lgkmcnt(0)
	v_pk_add_f32 v[2:3], v[2:3], v[4:5]
	v_addc_co_u32_e64 v4, s[0:1], 0, v8, s[0:1]
	v_lshlrev_b32_e32 v8, 2, v4
	ds_bpermute_b32 v4, v8, v2
	ds_bpermute_b32 v5, v8, v3
	v_cmp_eq_u32_e64 s[0:1], 0, v6
	s_and_saveexec_b64 s[10:11], s[0:1]
	s_cbranch_execz .LBB124_18
; %bb.17:
	v_lshrrev_b32_e32 v6, 3, v0
	v_and_b32_e32 v6, 24, v6
	s_waitcnt lgkmcnt(0)
	v_pk_add_f32 v[2:3], v[2:3], v[4:5]
	ds_write_b64 v6, v[2:3]
.LBB124_18:
	s_or_b64 exec, exec, s[10:11]
	s_mov_b32 s9, s8
	v_cmp_gt_u32_e64 s[0:1], 4, v0
	v_mov_b64_e32 v[2:3], s[8:9]
	s_waitcnt lgkmcnt(0)
	s_barrier
	s_and_saveexec_b64 s[8:9], s[0:1]
	s_cbranch_execnz .LBB124_22
; %bb.19:
	s_or_b64 exec, exec, s[8:9]
	s_and_saveexec_b64 s[0:1], vcc
	s_cbranch_execnz .LBB124_23
.LBB124_20:
	s_or_b64 exec, exec, s[0:1]
	v_cmp_eq_u32_e32 vcc, 0, v0
	s_and_saveexec_b64 s[0:1], vcc
	s_cbranch_execnz .LBB124_24
.LBB124_21:
	s_endpgm
.LBB124_22:
	ds_read_b64 v[2:3], v1
	s_or_b64 exec, exec, s[8:9]
	s_and_saveexec_b64 s[0:1], vcc
	s_cbranch_execz .LBB124_20
.LBB124_23:
	s_waitcnt lgkmcnt(0)
	ds_bpermute_b32 v4, v7, v2
	ds_bpermute_b32 v5, v7, v3
	s_waitcnt lgkmcnt(0)
	v_pk_add_f32 v[2:3], v[2:3], v[4:5]
	ds_bpermute_b32 v4, v8, v2
	ds_bpermute_b32 v5, v8, v3
	s_waitcnt lgkmcnt(0)
	v_pk_add_f32 v[2:3], v[2:3], v[4:5]
	s_or_b64 exec, exec, s[0:1]
	v_cmp_eq_u32_e32 vcc, 0, v0
	s_and_saveexec_b64 s[0:1], vcc
	s_cbranch_execz .LBB124_21
.LBB124_24:
	v_cmp_neq_f32_e64 s[8:9], s4, 0
	v_cmp_neq_f32_e64 s[10:11], s5, 0
	s_waitcnt lgkmcnt(0)
	v_pk_mul_f32 v[4:5], v[2:3], s[6:7] op_sel:[1,0]
	s_mul_i32 s0, s2, s20
	s_or_b64 s[2:3], s[8:9], s[10:11]
	v_pk_fma_f32 v[0:1], v[2:3], s[6:7], v[4:5] op_sel:[0,0,1] op_sel_hi:[0,1,0] neg_lo:[0,0,1] neg_hi:[0,0,1]
	v_pk_fma_f32 v[2:3], v[2:3], s[6:7], v[4:5] op_sel:[0,0,1] op_sel_hi:[0,1,0]
	s_andn2_b64 vcc, exec, s[2:3]
	s_ashr_i32 s1, s0, 31
	s_cbranch_vccnz .LBB124_26
; %bb.25:
	s_lshl_b64 s[2:3], s[0:1], 3
	s_add_u32 s2, s18, s2
	s_addc_u32 s3, s19, s3
	v_mov_b32_e32 v1, 0
	global_load_dwordx2 v[4:5], v1, s[2:3]
	v_mov_b32_e32 v1, v3
	s_waitcnt vmcnt(0)
	v_pk_mul_f32 v[2:3], s[4:5], v[4:5] op_sel:[0,1]
	s_nop 0
	v_pk_fma_f32 v[6:7], s[4:5], v[4:5], v[2:3] op_sel:[0,0,1] op_sel_hi:[1,1,0] neg_lo:[0,0,1] neg_hi:[0,0,1]
	v_pk_fma_f32 v[2:3], s[4:5], v[4:5], v[2:3] op_sel:[0,0,1] op_sel_hi:[1,0,0]
	s_nop 0
	v_mov_b32_e32 v7, v3
	v_pk_add_f32 v[0:1], v[0:1], v[6:7]
	s_nop 0
	v_mov_b32_e32 v3, v1
.LBB124_26:
	s_lshl_b64 s[0:1], s[0:1], 3
	s_add_u32 s0, s18, s0
	s_addc_u32 s1, s19, s1
	v_mov_b32_e32 v2, 0
	v_mov_b32_e32 v1, v3
	global_store_dwordx2 v2, v[0:1], s[0:1]
	s_endpgm
	.section	.rodata,"a",@progbits
	.p2align	6, 0x0
	.amdhsa_kernel _ZL32rocblas_gemvt_warp_reduce_kernelILb0ELi256Ei19rocblas_complex_numIfEPKS1_S1_EviiT3_lPKT2_lT1_lS7_lS8_lS4_lPT4_lS8_li
		.amdhsa_group_segment_fixed_size 512
		.amdhsa_private_segment_fixed_size 0
		.amdhsa_kernarg_size 140
		.amdhsa_user_sgpr_count 2
		.amdhsa_user_sgpr_dispatch_ptr 0
		.amdhsa_user_sgpr_queue_ptr 0
		.amdhsa_user_sgpr_kernarg_segment_ptr 1
		.amdhsa_user_sgpr_dispatch_id 0
		.amdhsa_user_sgpr_kernarg_preload_length 0
		.amdhsa_user_sgpr_kernarg_preload_offset 0
		.amdhsa_user_sgpr_private_segment_size 0
		.amdhsa_uses_dynamic_stack 0
		.amdhsa_enable_private_segment 0
		.amdhsa_system_sgpr_workgroup_id_x 1
		.amdhsa_system_sgpr_workgroup_id_y 0
		.amdhsa_system_sgpr_workgroup_id_z 1
		.amdhsa_system_sgpr_workgroup_info 0
		.amdhsa_system_vgpr_workitem_id 0
		.amdhsa_next_free_vgpr 16
		.amdhsa_next_free_sgpr 28
		.amdhsa_accum_offset 16
		.amdhsa_reserve_vcc 1
		.amdhsa_float_round_mode_32 0
		.amdhsa_float_round_mode_16_64 0
		.amdhsa_float_denorm_mode_32 3
		.amdhsa_float_denorm_mode_16_64 3
		.amdhsa_dx10_clamp 1
		.amdhsa_ieee_mode 1
		.amdhsa_fp16_overflow 0
		.amdhsa_tg_split 0
		.amdhsa_exception_fp_ieee_invalid_op 0
		.amdhsa_exception_fp_denorm_src 0
		.amdhsa_exception_fp_ieee_div_zero 0
		.amdhsa_exception_fp_ieee_overflow 0
		.amdhsa_exception_fp_ieee_underflow 0
		.amdhsa_exception_fp_ieee_inexact 0
		.amdhsa_exception_int_div_zero 0
	.end_amdhsa_kernel
	.section	.text._ZL32rocblas_gemvt_warp_reduce_kernelILb0ELi256Ei19rocblas_complex_numIfEPKS1_S1_EviiT3_lPKT2_lT1_lS7_lS8_lS4_lPT4_lS8_li,"axG",@progbits,_ZL32rocblas_gemvt_warp_reduce_kernelILb0ELi256Ei19rocblas_complex_numIfEPKS1_S1_EviiT3_lPKT2_lT1_lS7_lS8_lS4_lPT4_lS8_li,comdat
.Lfunc_end124:
	.size	_ZL32rocblas_gemvt_warp_reduce_kernelILb0ELi256Ei19rocblas_complex_numIfEPKS1_S1_EviiT3_lPKT2_lT1_lS7_lS8_lS4_lPT4_lS8_li, .Lfunc_end124-_ZL32rocblas_gemvt_warp_reduce_kernelILb0ELi256Ei19rocblas_complex_numIfEPKS1_S1_EviiT3_lPKT2_lT1_lS7_lS8_lS4_lPT4_lS8_li
                                        ; -- End function
	.section	.AMDGPU.csdata,"",@progbits
; Kernel info:
; codeLenInByte = 1660
; NumSgprs: 34
; NumVgprs: 16
; NumAgprs: 0
; TotalNumVgprs: 16
; ScratchSize: 0
; MemoryBound: 0
; FloatMode: 240
; IeeeMode: 1
; LDSByteSize: 512 bytes/workgroup (compile time only)
; SGPRBlocks: 4
; VGPRBlocks: 1
; NumSGPRsForWavesPerEU: 34
; NumVGPRsForWavesPerEU: 16
; AccumOffset: 16
; Occupancy: 8
; WaveLimiterHint : 1
; COMPUTE_PGM_RSRC2:SCRATCH_EN: 0
; COMPUTE_PGM_RSRC2:USER_SGPR: 2
; COMPUTE_PGM_RSRC2:TRAP_HANDLER: 0
; COMPUTE_PGM_RSRC2:TGID_X_EN: 1
; COMPUTE_PGM_RSRC2:TGID_Y_EN: 0
; COMPUTE_PGM_RSRC2:TGID_Z_EN: 1
; COMPUTE_PGM_RSRC2:TIDIG_COMP_CNT: 0
; COMPUTE_PGM_RSRC3_GFX90A:ACCUM_OFFSET: 3
; COMPUTE_PGM_RSRC3_GFX90A:TG_SPLIT: 0
	.section	.text._ZL32rocblas_gemvt_warp_reduce_kernelILb0ELi256El19rocblas_complex_numIfEPKS1_S1_EviiT3_lPKT2_lT1_lS7_lS8_lS4_lPT4_lS8_li,"axG",@progbits,_ZL32rocblas_gemvt_warp_reduce_kernelILb0ELi256El19rocblas_complex_numIfEPKS1_S1_EviiT3_lPKT2_lT1_lS7_lS8_lS4_lPT4_lS8_li,comdat
	.globl	_ZL32rocblas_gemvt_warp_reduce_kernelILb0ELi256El19rocblas_complex_numIfEPKS1_S1_EviiT3_lPKT2_lT1_lS7_lS8_lS4_lPT4_lS8_li ; -- Begin function _ZL32rocblas_gemvt_warp_reduce_kernelILb0ELi256El19rocblas_complex_numIfEPKS1_S1_EviiT3_lPKT2_lT1_lS7_lS8_lS4_lPT4_lS8_li
	.p2align	8
	.type	_ZL32rocblas_gemvt_warp_reduce_kernelILb0ELi256El19rocblas_complex_numIfEPKS1_S1_EviiT3_lPKT2_lT1_lS7_lS8_lS4_lPT4_lS8_li,@function
_ZL32rocblas_gemvt_warp_reduce_kernelILb0ELi256El19rocblas_complex_numIfEPKS1_S1_EviiT3_lPKT2_lT1_lS7_lS8_lS4_lPT4_lS8_li: ; @_ZL32rocblas_gemvt_warp_reduce_kernelILb0ELi256El19rocblas_complex_numIfEPKS1_S1_EviiT3_lPKT2_lT1_lS7_lS8_lS4_lPT4_lS8_li
; %bb.0:
	s_load_dwordx16 s[36:51], s[0:1], 0x8
	s_load_dwordx16 s[4:19], s[0:1], 0x48
	s_waitcnt lgkmcnt(0)
	s_mul_i32 s20, s3, s39
	s_mul_hi_u32 s21, s3, s38
	s_add_i32 s21, s21, s20
	s_mul_i32 s20, s3, s38
	s_lshl_b64 s[20:21], s[20:21], 3
	s_add_u32 s20, s36, s20
	s_mul_i32 s11, s3, s11
	s_mul_hi_u32 s22, s3, s10
	s_addc_u32 s21, s37, s21
	s_add_i32 s11, s22, s11
	s_mul_i32 s10, s3, s10
	s_lshl_b64 s[22:23], s[10:11], 3
	s_add_u32 s8, s8, s22
	s_load_dwordx2 s[10:11], s[20:21], 0x0
	s_addc_u32 s9, s9, s23
	s_load_dwordx2 s[8:9], s[8:9], 0x0
	s_waitcnt lgkmcnt(0)
	v_cmp_eq_f32_e64 s[20:21], s10, 0
	v_cmp_eq_f32_e64 s[22:23], s11, 0
	s_and_b64 s[20:21], s[20:21], s[22:23]
	v_cmp_eq_f32_e64 s[22:23], s8, 1.0
	v_cmp_eq_f32_e64 s[24:25], s9, 0
	s_and_b64 s[22:23], s[22:23], s[24:25]
	s_and_b64 s[20:21], s[20:21], s[22:23]
	s_and_b64 vcc, exec, s[20:21]
	s_cbranch_vccnz .LBB125_21
; %bb.1:
	s_mul_i32 s19, s3, s19
	s_mul_hi_u32 s20, s3, s18
	s_add_i32 s19, s20, s19
	s_mul_i32 s18, s3, s18
	s_lshl_b64 s[18:19], s[18:19], 3
	s_add_u32 s18, s12, s18
	s_addc_u32 s19, s13, s19
	s_lshl_b64 s[12:13], s[14:15], 3
	s_add_u32 s22, s18, s12
	s_addc_u32 s23, s19, s13
	s_or_b32 s12, s10, s11
	s_bitset0_b32 s12, 31
	s_cmp_lg_u32 s12, 0
	s_mov_b64 s[12:13], -1
	v_cmp_eq_u32_e32 vcc, 0, v0
	s_cbranch_scc1 .LBB125_7
; %bb.2:
	s_and_saveexec_b64 s[12:13], vcc
	s_cbranch_execz .LBB125_6
; %bb.3:
	v_cmp_neq_f32_e64 s[18:19], s8, 0
	v_cmp_neq_f32_e64 s[20:21], s9, 0
	s_ashr_i32 s14, s2, 31
	s_mul_i32 s15, s2, s17
	s_mul_hi_u32 s24, s2, s16
	s_add_i32 s15, s24, s15
	s_mul_i32 s14, s14, s16
	s_or_b64 s[18:19], s[18:19], s[20:21]
	s_add_i32 s15, s15, s14
	s_mul_i32 s14, s2, s16
	v_mov_b32_e32 v1, 0
	s_andn2_b64 vcc, exec, s[18:19]
	v_mov_b32_e32 v2, 0
	v_mov_b32_e32 v3, 0
	s_cbranch_vccnz .LBB125_5
; %bb.4:
	s_lshl_b64 s[18:19], s[14:15], 3
	s_add_u32 s18, s22, s18
	s_addc_u32 s19, s23, s19
	s_load_dwordx2 s[18:19], s[18:19], 0x0
	s_waitcnt lgkmcnt(0)
	v_mov_b64_e32 v[4:5], s[18:19]
	v_pk_mul_f32 v[6:7], s[8:9], v[4:5] op_sel:[0,1]
	s_nop 0
	v_pk_fma_f32 v[2:3], s[8:9], v[4:5], v[6:7] op_sel:[0,0,1] op_sel_hi:[1,1,0] neg_lo:[0,0,1] neg_hi:[0,0,1]
	v_pk_fma_f32 v[4:5], s[8:9], v[4:5], v[6:7] op_sel:[0,0,1] op_sel_hi:[1,0,0]
	s_nop 0
	v_mov_b32_e32 v3, v5
.LBB125_5:
	s_lshl_b64 s[14:15], s[14:15], 3
	s_add_u32 s14, s22, s14
	s_addc_u32 s15, s23, s15
	global_store_dwordx2 v1, v[2:3], s[14:15]
.LBB125_6:
	s_or_b64 exec, exec, s[12:13]
	s_mov_b64 s[12:13], 0
.LBB125_7:
	s_andn2_b64 vcc, exec, s[12:13]
	s_cbranch_vccnz .LBB125_21
; %bb.8:
	s_mul_i32 s7, s3, s7
	s_mul_hi_u32 s12, s3, s6
	s_add_i32 s7, s12, s7
	s_load_dword s1, s[0:1], 0x0
	s_mul_i32 s0, s3, s47
	s_mul_hi_u32 s12, s3, s46
	s_add_i32 s13, s12, s0
	s_mul_i32 s12, s3, s46
	s_lshl_b64 s[12:13], s[12:13], 3
	s_add_u32 s0, s40, s12
	s_mul_i32 s6, s3, s6
	s_addc_u32 s3, s41, s13
	s_lshl_b64 s[12:13], s[42:43], 3
	s_add_u32 s0, s0, s12
	s_addc_u32 s13, s3, s13
	s_ashr_i32 s3, s2, 31
	s_mul_i32 s14, s2, s45
	s_mul_hi_u32 s15, s2, s44
	s_add_i32 s14, s15, s14
	s_mul_i32 s15, s3, s44
	s_add_i32 s15, s14, s15
	s_mul_i32 s14, s2, s44
	s_lshl_b64 s[14:15], s[14:15], 3
	s_add_u32 s14, s14, s0
	s_addc_u32 s15, s15, s13
	s_waitcnt lgkmcnt(0)
	s_ashr_i32 s0, s1, 31
	v_cmp_gt_i32_e32 vcc, s1, v0
	s_lshr_b32 s0, s0, 24
	s_mov_b32 s12, 0
	v_cndmask_b32_e32 v1, 0, v0, vcc
	v_mov_b32_e32 v4, 0
	s_add_i32 s0, s1, s0
	v_lshlrev_b32_e32 v2, 3, v1
	v_mov_b32_e32 v3, v4
	s_and_b32 s0, s0, 0xffffff00
	s_mov_b32 s13, s12
	v_lshl_add_u64 v[2:3], s[14:15], 0, v[2:3]
	v_cmp_gt_i32_e32 vcc, s0, v0
	v_mov_b64_e32 v[6:7], s[12:13]
	s_and_saveexec_b64 s[12:13], vcc
	s_cbranch_execz .LBB125_12
; %bb.9:
	v_mad_u64_u32 v[6:7], s[18:19], s4, v0, 0
	v_mov_b32_e32 v8, v7
	v_mad_u64_u32 v[8:9], s[18:19], s5, v0, v[8:9]
	s_lshl_b64 s[14:15], s[6:7], 3
	s_lshl_b64 s[18:19], s[50:51], 3
	s_add_u32 s18, s48, s18
	s_addc_u32 s19, s49, s19
	s_add_u32 s14, s18, s14
	v_mov_b32_e32 v7, v8
	s_addc_u32 s15, s19, s15
	v_lshl_add_u64 v[6:7], v[6:7], 3, s[14:15]
	v_lshl_add_u64 v[6:7], v[6:7], 0, 4
	s_lshl_b64 s[18:19], s[4:5], 11
	s_mov_b64 s[14:15], 0
	s_mov_b64 s[20:21], 0x800
	v_mov_b64_e32 v[8:9], v[2:3]
	v_mov_b32_e32 v1, v0
	v_mov_b32_e32 v5, v4
.LBB125_10:                             ; =>This Inner Loop Header: Depth=1
	global_load_dwordx2 v[10:11], v[8:9], off
	global_load_dwordx2 v[12:13], v[6:7], off offset:-4
	v_add_u32_e32 v1, 0x100, v1
	v_cmp_le_i32_e32 vcc, s0, v1
	v_lshl_add_u64 v[8:9], v[8:9], 0, s[20:21]
	v_lshl_add_u64 v[6:7], v[6:7], 0, s[18:19]
	s_or_b64 s[14:15], vcc, s[14:15]
	s_waitcnt vmcnt(0)
	v_mul_f32_e32 v14, v13, v11
	v_mul_f32_e32 v15, v12, v11
	v_fma_f32 v14, v12, v10, -v14
	v_fmac_f32_e32 v15, v13, v10
	v_pk_add_f32 v[4:5], v[4:5], v[14:15]
	s_andn2_b64 exec, exec, s[14:15]
	s_cbranch_execnz .LBB125_10
; %bb.11:
	s_or_b64 exec, exec, s[14:15]
	v_mov_b64_e32 v[6:7], v[4:5]
.LBB125_12:
	s_or_b64 exec, exec, s[12:13]
	v_add_u32_e32 v1, s0, v0
	v_cmp_gt_i32_e32 vcc, s1, v1
	s_and_saveexec_b64 s[12:13], vcc
	s_cbranch_execz .LBB125_14
; %bb.13:
	s_lshl_b64 s[6:7], s[6:7], 3
	s_add_u32 s1, s48, s6
	s_addc_u32 s14, s49, s7
	s_lshl_b64 s[6:7], s[50:51], 3
	s_add_u32 s6, s1, s6
	s_addc_u32 s7, s14, s7
	s_ashr_i32 s1, s0, 31
	v_ashrrev_i32_e32 v4, 31, v1
	v_lshl_add_u64 v[2:3], s[0:1], 3, v[2:3]
	v_mul_lo_u32 v8, v1, s5
	v_mul_lo_u32 v9, v4, s4
	v_mad_u64_u32 v[4:5], s[0:1], v1, s4, 0
	v_add3_u32 v5, v5, v8, v9
	v_lshl_add_u64 v[4:5], v[4:5], 3, s[6:7]
	global_load_dwordx2 v[2:3], v[2:3], off
	s_nop 0
	global_load_dwordx2 v[4:5], v[4:5], off
	s_waitcnt vmcnt(0)
	v_pk_mul_f32 v[8:9], v[4:5], v[2:3] op_sel:[0,1]
	s_nop 0
	v_pk_fma_f32 v[10:11], v[4:5], v[2:3], v[8:9] op_sel:[0,0,1] op_sel_hi:[1,1,0] neg_lo:[0,0,1] neg_hi:[0,0,1]
	v_pk_fma_f32 v[2:3], v[4:5], v[2:3], v[8:9] op_sel:[0,0,1] op_sel_hi:[1,0,0]
	s_nop 0
	v_mov_b32_e32 v11, v3
	v_pk_add_f32 v[6:7], v[6:7], v[10:11]
.LBB125_14:
	s_or_b64 exec, exec, s[12:13]
	v_and_b32_e32 v8, 63, v0
	v_cmp_gt_u32_e32 vcc, 64, v0
	v_lshlrev_b32_e32 v1, 3, v8
	s_and_saveexec_b64 s[0:1], vcc
	s_cbranch_execz .LBB125_16
; %bb.15:
	v_mov_b32_e32 v2, 0
	v_mov_b32_e32 v3, v2
	ds_write_b64 v1, v[2:3]
.LBB125_16:
	s_or_b64 exec, exec, s[0:1]
	v_mbcnt_lo_u32_b32 v2, -1, 0
	v_mbcnt_hi_u32_b32 v9, -1, v2
	v_and_b32_e32 v10, 63, v9
	v_cmp_gt_u32_e64 s[0:1], 32, v10
	s_mov_b32 s4, 0
	s_waitcnt lgkmcnt(0)
	v_cndmask_b32_e64 v2, 0, 1, s[0:1]
	v_lshlrev_b32_e32 v2, 5, v2
	v_add_lshl_u32 v3, v2, v9, 2
	ds_bpermute_b32 v2, v3, v6
	ds_bpermute_b32 v3, v3, v7
	v_cmp_gt_u32_e64 s[0:1], 48, v10
	s_barrier
	s_waitcnt lgkmcnt(0)
	v_cndmask_b32_e64 v4, 0, 1, s[0:1]
	v_lshlrev_b32_e32 v4, 4, v4
	v_add_lshl_u32 v5, v4, v9, 2
	v_pk_add_f32 v[2:3], v[6:7], v[2:3]
	ds_bpermute_b32 v4, v5, v2
	ds_bpermute_b32 v5, v5, v3
	v_cmp_gt_u32_e64 s[0:1], 56, v10
	s_waitcnt lgkmcnt(0)
	v_pk_add_f32 v[2:3], v[2:3], v[4:5]
	v_cndmask_b32_e64 v6, 0, 1, s[0:1]
	v_lshlrev_b32_e32 v6, 3, v6
	v_add_lshl_u32 v6, v6, v9, 2
	ds_bpermute_b32 v4, v6, v2
	ds_bpermute_b32 v5, v6, v3
	v_cmp_gt_u32_e64 s[0:1], 60, v10
	s_waitcnt lgkmcnt(0)
	v_pk_add_f32 v[2:3], v[2:3], v[4:5]
	v_cndmask_b32_e64 v6, 0, 1, s[0:1]
	v_lshlrev_b32_e32 v6, 2, v6
	v_add_lshl_u32 v6, v6, v9, 2
	;; [unrolled: 8-line block ×3, first 2 shown]
	ds_bpermute_b32 v4, v6, v2
	ds_bpermute_b32 v5, v6, v3
	v_cmp_ne_u32_e64 s[0:1], 63, v10
	s_waitcnt lgkmcnt(0)
	v_pk_add_f32 v[2:3], v[2:3], v[4:5]
	v_addc_co_u32_e64 v4, s[0:1], 0, v9, s[0:1]
	v_lshlrev_b32_e32 v7, 2, v4
	ds_bpermute_b32 v4, v7, v2
	ds_bpermute_b32 v5, v7, v3
	v_cmp_eq_u32_e64 s[0:1], 0, v8
	s_and_saveexec_b64 s[6:7], s[0:1]
	s_cbranch_execz .LBB125_18
; %bb.17:
	v_lshrrev_b32_e32 v8, 3, v0
	v_and_b32_e32 v8, 24, v8
	s_waitcnt lgkmcnt(0)
	v_pk_add_f32 v[2:3], v[2:3], v[4:5]
	ds_write_b64 v8, v[2:3]
.LBB125_18:
	s_or_b64 exec, exec, s[6:7]
	s_mov_b32 s5, s4
	v_cmp_gt_u32_e64 s[0:1], 4, v0
	v_mov_b64_e32 v[2:3], s[4:5]
	s_waitcnt lgkmcnt(0)
	s_barrier
	s_and_saveexec_b64 s[4:5], s[0:1]
	s_cbranch_execnz .LBB125_22
; %bb.19:
	s_or_b64 exec, exec, s[4:5]
	s_and_saveexec_b64 s[0:1], vcc
	s_cbranch_execnz .LBB125_23
.LBB125_20:
	s_or_b64 exec, exec, s[0:1]
	v_cmp_eq_u32_e32 vcc, 0, v0
	s_and_saveexec_b64 s[0:1], vcc
	s_cbranch_execnz .LBB125_24
.LBB125_21:
	s_endpgm
.LBB125_22:
	ds_read_b64 v[2:3], v1
	s_or_b64 exec, exec, s[4:5]
	s_and_saveexec_b64 s[0:1], vcc
	s_cbranch_execz .LBB125_20
.LBB125_23:
	s_waitcnt lgkmcnt(0)
	ds_bpermute_b32 v4, v6, v2
	ds_bpermute_b32 v5, v6, v3
	s_waitcnt lgkmcnt(0)
	v_pk_add_f32 v[2:3], v[2:3], v[4:5]
	ds_bpermute_b32 v4, v7, v2
	ds_bpermute_b32 v5, v7, v3
	s_waitcnt lgkmcnt(0)
	v_pk_add_f32 v[2:3], v[2:3], v[4:5]
	s_or_b64 exec, exec, s[0:1]
	v_cmp_eq_u32_e32 vcc, 0, v0
	s_and_saveexec_b64 s[0:1], vcc
	s_cbranch_execz .LBB125_21
.LBB125_24:
	v_cmp_neq_f32_e64 s[4:5], s8, 0
	v_cmp_neq_f32_e64 s[6:7], s9, 0
	s_mul_i32 s0, s2, s17
	s_mul_hi_u32 s1, s2, s16
	s_waitcnt lgkmcnt(0)
	v_pk_mul_f32 v[4:5], v[2:3], s[10:11] op_sel:[1,0]
	s_add_i32 s0, s1, s0
	s_mul_i32 s1, s3, s16
	s_or_b64 s[4:5], s[4:5], s[6:7]
	v_pk_fma_f32 v[0:1], v[2:3], s[10:11], v[4:5] op_sel:[0,0,1] op_sel_hi:[0,1,0] neg_lo:[0,0,1] neg_hi:[0,0,1]
	v_pk_fma_f32 v[2:3], v[2:3], s[10:11], v[4:5] op_sel:[0,0,1] op_sel_hi:[0,1,0]
	s_add_i32 s1, s0, s1
	s_andn2_b64 vcc, exec, s[4:5]
	s_mul_i32 s0, s2, s16
	s_cbranch_vccnz .LBB125_26
; %bb.25:
	s_lshl_b64 s[2:3], s[0:1], 3
	s_add_u32 s2, s22, s2
	s_addc_u32 s3, s23, s3
	v_mov_b32_e32 v1, 0
	global_load_dwordx2 v[4:5], v1, s[2:3]
	v_mov_b32_e32 v1, v3
	s_waitcnt vmcnt(0)
	v_pk_mul_f32 v[2:3], s[8:9], v[4:5] op_sel:[0,1]
	s_nop 0
	v_pk_fma_f32 v[6:7], s[8:9], v[4:5], v[2:3] op_sel:[0,0,1] op_sel_hi:[1,1,0] neg_lo:[0,0,1] neg_hi:[0,0,1]
	v_pk_fma_f32 v[2:3], s[8:9], v[4:5], v[2:3] op_sel:[0,0,1] op_sel_hi:[1,0,0]
	s_nop 0
	v_mov_b32_e32 v7, v3
	v_pk_add_f32 v[0:1], v[0:1], v[6:7]
	s_nop 0
	v_mov_b32_e32 v3, v1
.LBB125_26:
	s_lshl_b64 s[0:1], s[0:1], 3
	s_add_u32 s0, s22, s0
	s_addc_u32 s1, s23, s1
	v_mov_b32_e32 v2, 0
	v_mov_b32_e32 v1, v3
	global_store_dwordx2 v2, v[0:1], s[0:1]
	s_endpgm
	.section	.rodata,"a",@progbits
	.p2align	6, 0x0
	.amdhsa_kernel _ZL32rocblas_gemvt_warp_reduce_kernelILb0ELi256El19rocblas_complex_numIfEPKS1_S1_EviiT3_lPKT2_lT1_lS7_lS8_lS4_lPT4_lS8_li
		.amdhsa_group_segment_fixed_size 512
		.amdhsa_private_segment_fixed_size 0
		.amdhsa_kernarg_size 140
		.amdhsa_user_sgpr_count 2
		.amdhsa_user_sgpr_dispatch_ptr 0
		.amdhsa_user_sgpr_queue_ptr 0
		.amdhsa_user_sgpr_kernarg_segment_ptr 1
		.amdhsa_user_sgpr_dispatch_id 0
		.amdhsa_user_sgpr_kernarg_preload_length 0
		.amdhsa_user_sgpr_kernarg_preload_offset 0
		.amdhsa_user_sgpr_private_segment_size 0
		.amdhsa_uses_dynamic_stack 0
		.amdhsa_enable_private_segment 0
		.amdhsa_system_sgpr_workgroup_id_x 1
		.amdhsa_system_sgpr_workgroup_id_y 0
		.amdhsa_system_sgpr_workgroup_id_z 1
		.amdhsa_system_sgpr_workgroup_info 0
		.amdhsa_system_vgpr_workitem_id 0
		.amdhsa_next_free_vgpr 16
		.amdhsa_next_free_sgpr 52
		.amdhsa_accum_offset 16
		.amdhsa_reserve_vcc 1
		.amdhsa_float_round_mode_32 0
		.amdhsa_float_round_mode_16_64 0
		.amdhsa_float_denorm_mode_32 3
		.amdhsa_float_denorm_mode_16_64 3
		.amdhsa_dx10_clamp 1
		.amdhsa_ieee_mode 1
		.amdhsa_fp16_overflow 0
		.amdhsa_tg_split 0
		.amdhsa_exception_fp_ieee_invalid_op 0
		.amdhsa_exception_fp_denorm_src 0
		.amdhsa_exception_fp_ieee_div_zero 0
		.amdhsa_exception_fp_ieee_overflow 0
		.amdhsa_exception_fp_ieee_underflow 0
		.amdhsa_exception_fp_ieee_inexact 0
		.amdhsa_exception_int_div_zero 0
	.end_amdhsa_kernel
	.section	.text._ZL32rocblas_gemvt_warp_reduce_kernelILb0ELi256El19rocblas_complex_numIfEPKS1_S1_EviiT3_lPKT2_lT1_lS7_lS8_lS4_lPT4_lS8_li,"axG",@progbits,_ZL32rocblas_gemvt_warp_reduce_kernelILb0ELi256El19rocblas_complex_numIfEPKS1_S1_EviiT3_lPKT2_lT1_lS7_lS8_lS4_lPT4_lS8_li,comdat
.Lfunc_end125:
	.size	_ZL32rocblas_gemvt_warp_reduce_kernelILb0ELi256El19rocblas_complex_numIfEPKS1_S1_EviiT3_lPKT2_lT1_lS7_lS8_lS4_lPT4_lS8_li, .Lfunc_end125-_ZL32rocblas_gemvt_warp_reduce_kernelILb0ELi256El19rocblas_complex_numIfEPKS1_S1_EviiT3_lPKT2_lT1_lS7_lS8_lS4_lPT4_lS8_li
                                        ; -- End function
	.section	.AMDGPU.csdata,"",@progbits
; Kernel info:
; codeLenInByte = 1720
; NumSgprs: 58
; NumVgprs: 16
; NumAgprs: 0
; TotalNumVgprs: 16
; ScratchSize: 0
; MemoryBound: 0
; FloatMode: 240
; IeeeMode: 1
; LDSByteSize: 512 bytes/workgroup (compile time only)
; SGPRBlocks: 7
; VGPRBlocks: 1
; NumSGPRsForWavesPerEU: 58
; NumVGPRsForWavesPerEU: 16
; AccumOffset: 16
; Occupancy: 8
; WaveLimiterHint : 0
; COMPUTE_PGM_RSRC2:SCRATCH_EN: 0
; COMPUTE_PGM_RSRC2:USER_SGPR: 2
; COMPUTE_PGM_RSRC2:TRAP_HANDLER: 0
; COMPUTE_PGM_RSRC2:TGID_X_EN: 1
; COMPUTE_PGM_RSRC2:TGID_Y_EN: 0
; COMPUTE_PGM_RSRC2:TGID_Z_EN: 1
; COMPUTE_PGM_RSRC2:TIDIG_COMP_CNT: 0
; COMPUTE_PGM_RSRC3_GFX90A:ACCUM_OFFSET: 3
; COMPUTE_PGM_RSRC3_GFX90A:TG_SPLIT: 0
	.section	.text._ZL32rocblas_gemvt_warp_reduce_kernelILb0ELi256Ei19rocblas_complex_numIfES1_S1_EviiT3_lPKT2_lT1_lS5_lS6_lS2_lPT4_lS6_li,"axG",@progbits,_ZL32rocblas_gemvt_warp_reduce_kernelILb0ELi256Ei19rocblas_complex_numIfES1_S1_EviiT3_lPKT2_lT1_lS5_lS6_lS2_lPT4_lS6_li,comdat
	.globl	_ZL32rocblas_gemvt_warp_reduce_kernelILb0ELi256Ei19rocblas_complex_numIfES1_S1_EviiT3_lPKT2_lT1_lS5_lS6_lS2_lPT4_lS6_li ; -- Begin function _ZL32rocblas_gemvt_warp_reduce_kernelILb0ELi256Ei19rocblas_complex_numIfES1_S1_EviiT3_lPKT2_lT1_lS5_lS6_lS2_lPT4_lS6_li
	.p2align	8
	.type	_ZL32rocblas_gemvt_warp_reduce_kernelILb0ELi256Ei19rocblas_complex_numIfES1_S1_EviiT3_lPKT2_lT1_lS5_lS6_lS2_lPT4_lS6_li,@function
_ZL32rocblas_gemvt_warp_reduce_kernelILb0ELi256Ei19rocblas_complex_numIfES1_S1_EviiT3_lPKT2_lT1_lS5_lS6_lS2_lPT4_lS6_li: ; @_ZL32rocblas_gemvt_warp_reduce_kernelILb0ELi256Ei19rocblas_complex_numIfES1_S1_EviiT3_lPKT2_lT1_lS5_lS6_lS2_lPT4_lS6_li
; %bb.0:
	s_load_dwordx2 s[6:7], s[0:1], 0x8
	s_load_dwordx2 s[4:5], s[0:1], 0x58
	s_waitcnt lgkmcnt(0)
	v_cmp_eq_f32_e64 s[8:9], s6, 0
	v_cmp_eq_f32_e64 s[10:11], s7, 0
	s_and_b64 s[8:9], s[8:9], s[10:11]
	v_cmp_eq_f32_e64 s[10:11], s4, 1.0
	v_cmp_eq_f32_e64 s[12:13], s5, 0
	s_and_b64 s[10:11], s[10:11], s[12:13]
	s_and_b64 s[8:9], s[8:9], s[10:11]
	s_and_b64 vcc, exec, s[8:9]
	s_cbranch_vccnz .LBB126_21
; %bb.1:
	s_load_dwordx2 s[12:13], s[0:1], 0x80
	s_load_dwordx4 s[8:11], s[0:1], 0x68
	s_load_dword s18, s[0:1], 0x78
	v_cmp_eq_u32_e32 vcc, 0, v0
	s_waitcnt lgkmcnt(0)
	s_mul_i32 s13, s3, s13
	s_mul_hi_u32 s14, s3, s12
	s_mul_i32 s12, s3, s12
	s_add_i32 s13, s14, s13
	s_lshl_b64 s[12:13], s[12:13], 3
	s_add_u32 s12, s8, s12
	s_addc_u32 s13, s9, s13
	s_lshl_b64 s[8:9], s[10:11], 3
	s_add_u32 s16, s12, s8
	s_addc_u32 s17, s13, s9
	s_or_b32 s8, s6, s7
	s_bitset0_b32 s8, 31
	s_cmp_lg_u32 s8, 0
	s_mov_b64 s[8:9], -1
	s_cbranch_scc1 .LBB126_7
; %bb.2:
	s_and_saveexec_b64 s[8:9], vcc
	s_cbranch_execz .LBB126_6
; %bb.3:
	v_cmp_neq_f32_e64 s[12:13], s4, 0
	v_cmp_neq_f32_e64 s[14:15], s5, 0
	s_mul_i32 s10, s2, s18
	s_or_b64 s[12:13], s[12:13], s[14:15]
	s_ashr_i32 s11, s10, 31
	v_mov_b32_e32 v1, 0
	s_andn2_b64 vcc, exec, s[12:13]
	v_mov_b32_e32 v2, 0
	v_mov_b32_e32 v3, 0
	s_cbranch_vccnz .LBB126_5
; %bb.4:
	s_lshl_b64 s[12:13], s[10:11], 3
	s_add_u32 s12, s16, s12
	s_addc_u32 s13, s17, s13
	s_load_dwordx2 s[12:13], s[12:13], 0x0
	s_waitcnt lgkmcnt(0)
	v_mov_b64_e32 v[4:5], s[12:13]
	v_pk_mul_f32 v[6:7], s[4:5], v[4:5] op_sel:[0,1]
	s_nop 0
	v_pk_fma_f32 v[2:3], s[4:5], v[4:5], v[6:7] op_sel:[0,0,1] op_sel_hi:[1,1,0] neg_lo:[0,0,1] neg_hi:[0,0,1]
	v_pk_fma_f32 v[4:5], s[4:5], v[4:5], v[6:7] op_sel:[0,0,1] op_sel_hi:[1,0,0]
	s_nop 0
	v_mov_b32_e32 v3, v5
.LBB126_5:
	s_lshl_b64 s[10:11], s[10:11], 3
	s_add_u32 s10, s16, s10
	s_addc_u32 s11, s17, s11
	global_store_dwordx2 v1, v[2:3], s[10:11]
.LBB126_6:
	s_or_b64 exec, exec, s[8:9]
	s_mov_b64 s[8:9], 0
.LBB126_7:
	s_andn2_b64 vcc, exec, s[8:9]
	s_cbranch_vccnz .LBB126_21
; %bb.8:
	s_load_dwordx2 s[10:11], s[0:1], 0x50
	s_load_dword s9, s[0:1], 0x0
	s_load_dwordx4 s[12:15], s[0:1], 0x18
	s_load_dword s8, s[0:1], 0x28
	s_load_dwordx4 s[20:23], s[0:1], 0x30
	s_load_dwordx2 s[24:25], s[0:1], 0x40
	s_load_dword s19, s[0:1], 0x48
	s_waitcnt lgkmcnt(0)
	s_mul_i32 s0, s3, s11
	s_mul_hi_u32 s1, s3, s10
	s_add_i32 s1, s1, s0
	s_mul_i32 s0, s3, s10
	s_lshl_b64 s[0:1], s[0:1], 3
	s_add_u32 s10, s22, s0
	s_addc_u32 s11, s23, s1
	s_lshl_b64 s[0:1], s[24:25], 3
	s_add_u32 s0, s10, s0
	s_addc_u32 s1, s11, s1
	s_mul_i32 s10, s3, s21
	s_mul_hi_u32 s11, s3, s20
	s_add_i32 s11, s11, s10
	s_mul_i32 s10, s3, s20
	s_lshl_b64 s[10:11], s[10:11], 3
	s_add_u32 s3, s12, s10
	s_addc_u32 s12, s13, s11
	s_lshl_b64 s[10:11], s[14:15], 3
	s_add_u32 s3, s3, s10
	s_addc_u32 s11, s12, s11
	s_mul_i32 s12, s2, s8
	s_ashr_i32 s13, s12, 31
	s_lshl_b64 s[12:13], s[12:13], 3
	s_add_u32 s12, s12, s3
	s_addc_u32 s13, s13, s11
	s_ashr_i32 s3, s9, 31
	v_cmp_gt_i32_e32 vcc, s9, v0
	s_lshr_b32 s3, s3, 24
	s_mov_b32 s10, 0
	v_cndmask_b32_e32 v1, 0, v0, vcc
	v_mov_b32_e32 v6, 0
	s_add_i32 s3, s9, s3
	v_lshlrev_b32_e32 v2, 3, v1
	v_mov_b32_e32 v3, v6
	s_and_b32 s8, s3, 0xffffff00
	s_mov_b32 s11, s10
	v_lshl_add_u64 v[2:3], s[12:13], 0, v[2:3]
	v_cmp_gt_i32_e32 vcc, s8, v0
	v_mov_b64_e32 v[4:5], s[10:11]
	s_and_saveexec_b64 s[10:11], vcc
	s_cbranch_execz .LBB126_12
; %bb.9:
	v_mul_lo_u32 v4, v0, s19
	s_lshl_b32 s3, s19, 8
	s_mov_b64 s[12:13], 0
	s_mov_b64 s[14:15], 0x800
	v_mov_b64_e32 v[8:9], v[2:3]
	v_mov_b32_e32 v1, v0
	v_mov_b32_e32 v7, v6
.LBB126_10:                             ; =>This Inner Loop Header: Depth=1
	v_ashrrev_i32_e32 v5, 31, v4
	v_lshl_add_u64 v[12:13], v[4:5], 3, s[0:1]
	global_load_dwordx2 v[10:11], v[8:9], off
	v_add_u32_e32 v1, 0x100, v1
	global_load_dwordx2 v[12:13], v[12:13], off
	v_cmp_le_i32_e32 vcc, s8, v1
	v_lshl_add_u64 v[8:9], v[8:9], 0, s[14:15]
	v_add_u32_e32 v4, s3, v4
	s_or_b64 s[12:13], vcc, s[12:13]
	s_waitcnt vmcnt(0)
	v_mul_f32_e32 v5, v13, v11
	v_mul_f32_e32 v15, v12, v11
	v_fma_f32 v14, v12, v10, -v5
	v_fmac_f32_e32 v15, v13, v10
	v_pk_add_f32 v[6:7], v[6:7], v[14:15]
	s_andn2_b64 exec, exec, s[12:13]
	s_cbranch_execnz .LBB126_10
; %bb.11:
	s_or_b64 exec, exec, s[12:13]
	v_mov_b64_e32 v[4:5], v[6:7]
.LBB126_12:
	s_or_b64 exec, exec, s[10:11]
	v_add_u32_e32 v1, s8, v0
	v_cmp_gt_i32_e32 vcc, s9, v1
	s_and_saveexec_b64 s[10:11], vcc
	s_cbranch_execz .LBB126_14
; %bb.13:
	v_mul_lo_u32 v6, v1, s19
	s_ashr_i32 s9, s8, 31
	v_ashrrev_i32_e32 v7, 31, v6
	v_lshl_add_u64 v[2:3], s[8:9], 3, v[2:3]
	v_lshl_add_u64 v[6:7], v[6:7], 3, s[0:1]
	global_load_dwordx2 v[2:3], v[2:3], off
	s_nop 0
	global_load_dwordx2 v[6:7], v[6:7], off
	s_waitcnt vmcnt(0)
	v_pk_mul_f32 v[8:9], v[6:7], v[2:3] op_sel:[0,1]
	s_nop 0
	v_pk_fma_f32 v[10:11], v[6:7], v[2:3], v[8:9] op_sel:[0,0,1] op_sel_hi:[1,1,0] neg_lo:[0,0,1] neg_hi:[0,0,1]
	v_pk_fma_f32 v[2:3], v[6:7], v[2:3], v[8:9] op_sel:[0,0,1] op_sel_hi:[1,0,0]
	s_nop 0
	v_mov_b32_e32 v11, v3
	v_pk_add_f32 v[4:5], v[4:5], v[10:11]
.LBB126_14:
	s_or_b64 exec, exec, s[10:11]
	v_and_b32_e32 v6, 63, v0
	v_cmp_gt_u32_e32 vcc, 64, v0
	v_lshlrev_b32_e32 v1, 3, v6
	s_and_saveexec_b64 s[0:1], vcc
	s_cbranch_execz .LBB126_16
; %bb.15:
	v_mov_b32_e32 v2, 0
	v_mov_b32_e32 v3, v2
	ds_write_b64 v1, v[2:3]
.LBB126_16:
	s_or_b64 exec, exec, s[0:1]
	v_mbcnt_lo_u32_b32 v2, -1, 0
	v_mbcnt_hi_u32_b32 v8, -1, v2
	v_and_b32_e32 v9, 63, v8
	v_cmp_gt_u32_e64 s[0:1], 32, v9
	s_mov_b32 s8, 0
	s_waitcnt lgkmcnt(0)
	v_cndmask_b32_e64 v2, 0, 1, s[0:1]
	v_lshlrev_b32_e32 v2, 5, v2
	v_add_lshl_u32 v3, v2, v8, 2
	ds_bpermute_b32 v2, v3, v4
	ds_bpermute_b32 v3, v3, v5
	v_cmp_gt_u32_e64 s[0:1], 48, v9
	s_barrier
	s_waitcnt lgkmcnt(0)
	v_cndmask_b32_e64 v7, 0, 1, s[0:1]
	v_lshlrev_b32_e32 v7, 4, v7
	v_add_lshl_u32 v7, v7, v8, 2
	v_pk_add_f32 v[2:3], v[4:5], v[2:3]
	ds_bpermute_b32 v4, v7, v2
	ds_bpermute_b32 v5, v7, v3
	v_cmp_gt_u32_e64 s[0:1], 56, v9
	s_waitcnt lgkmcnt(0)
	v_pk_add_f32 v[2:3], v[2:3], v[4:5]
	v_cndmask_b32_e64 v7, 0, 1, s[0:1]
	v_lshlrev_b32_e32 v7, 3, v7
	v_add_lshl_u32 v7, v7, v8, 2
	ds_bpermute_b32 v4, v7, v2
	ds_bpermute_b32 v5, v7, v3
	v_cmp_gt_u32_e64 s[0:1], 60, v9
	s_waitcnt lgkmcnt(0)
	v_pk_add_f32 v[2:3], v[2:3], v[4:5]
	v_cndmask_b32_e64 v7, 0, 1, s[0:1]
	v_lshlrev_b32_e32 v7, 2, v7
	v_add_lshl_u32 v7, v7, v8, 2
	;; [unrolled: 8-line block ×3, first 2 shown]
	ds_bpermute_b32 v4, v7, v2
	ds_bpermute_b32 v5, v7, v3
	v_cmp_ne_u32_e64 s[0:1], 63, v9
	s_waitcnt lgkmcnt(0)
	v_pk_add_f32 v[2:3], v[2:3], v[4:5]
	v_addc_co_u32_e64 v4, s[0:1], 0, v8, s[0:1]
	v_lshlrev_b32_e32 v8, 2, v4
	ds_bpermute_b32 v4, v8, v2
	ds_bpermute_b32 v5, v8, v3
	v_cmp_eq_u32_e64 s[0:1], 0, v6
	s_and_saveexec_b64 s[10:11], s[0:1]
	s_cbranch_execz .LBB126_18
; %bb.17:
	v_lshrrev_b32_e32 v6, 3, v0
	v_and_b32_e32 v6, 24, v6
	s_waitcnt lgkmcnt(0)
	v_pk_add_f32 v[2:3], v[2:3], v[4:5]
	ds_write_b64 v6, v[2:3]
.LBB126_18:
	s_or_b64 exec, exec, s[10:11]
	s_mov_b32 s9, s8
	v_cmp_gt_u32_e64 s[0:1], 4, v0
	v_mov_b64_e32 v[2:3], s[8:9]
	s_waitcnt lgkmcnt(0)
	s_barrier
	s_and_saveexec_b64 s[8:9], s[0:1]
	s_cbranch_execnz .LBB126_22
; %bb.19:
	s_or_b64 exec, exec, s[8:9]
	s_and_saveexec_b64 s[0:1], vcc
	s_cbranch_execnz .LBB126_23
.LBB126_20:
	s_or_b64 exec, exec, s[0:1]
	v_cmp_eq_u32_e32 vcc, 0, v0
	s_and_saveexec_b64 s[0:1], vcc
	s_cbranch_execnz .LBB126_24
.LBB126_21:
	s_endpgm
.LBB126_22:
	ds_read_b64 v[2:3], v1
	s_or_b64 exec, exec, s[8:9]
	s_and_saveexec_b64 s[0:1], vcc
	s_cbranch_execz .LBB126_20
.LBB126_23:
	s_waitcnt lgkmcnt(0)
	ds_bpermute_b32 v4, v7, v2
	ds_bpermute_b32 v5, v7, v3
	s_waitcnt lgkmcnt(0)
	v_pk_add_f32 v[2:3], v[2:3], v[4:5]
	ds_bpermute_b32 v4, v8, v2
	ds_bpermute_b32 v5, v8, v3
	s_waitcnt lgkmcnt(0)
	v_pk_add_f32 v[2:3], v[2:3], v[4:5]
	s_or_b64 exec, exec, s[0:1]
	v_cmp_eq_u32_e32 vcc, 0, v0
	s_and_saveexec_b64 s[0:1], vcc
	s_cbranch_execz .LBB126_21
.LBB126_24:
	v_cmp_neq_f32_e64 s[8:9], s4, 0
	v_cmp_neq_f32_e64 s[10:11], s5, 0
	s_waitcnt lgkmcnt(0)
	v_pk_mul_f32 v[4:5], v[2:3], s[6:7] op_sel:[1,0]
	s_mul_i32 s0, s2, s18
	s_or_b64 s[2:3], s[8:9], s[10:11]
	v_pk_fma_f32 v[0:1], v[2:3], s[6:7], v[4:5] op_sel:[0,0,1] op_sel_hi:[0,1,0] neg_lo:[0,0,1] neg_hi:[0,0,1]
	v_pk_fma_f32 v[2:3], v[2:3], s[6:7], v[4:5] op_sel:[0,0,1] op_sel_hi:[0,1,0]
	s_andn2_b64 vcc, exec, s[2:3]
	s_ashr_i32 s1, s0, 31
	s_cbranch_vccnz .LBB126_26
; %bb.25:
	s_lshl_b64 s[2:3], s[0:1], 3
	s_add_u32 s2, s16, s2
	s_addc_u32 s3, s17, s3
	v_mov_b32_e32 v1, 0
	global_load_dwordx2 v[4:5], v1, s[2:3]
	v_mov_b32_e32 v1, v3
	s_waitcnt vmcnt(0)
	v_pk_mul_f32 v[2:3], s[4:5], v[4:5] op_sel:[0,1]
	s_nop 0
	v_pk_fma_f32 v[6:7], s[4:5], v[4:5], v[2:3] op_sel:[0,0,1] op_sel_hi:[1,1,0] neg_lo:[0,0,1] neg_hi:[0,0,1]
	v_pk_fma_f32 v[2:3], s[4:5], v[4:5], v[2:3] op_sel:[0,0,1] op_sel_hi:[1,0,0]
	s_nop 0
	v_mov_b32_e32 v7, v3
	v_pk_add_f32 v[0:1], v[0:1], v[6:7]
	s_nop 0
	v_mov_b32_e32 v3, v1
.LBB126_26:
	s_lshl_b64 s[0:1], s[0:1], 3
	s_add_u32 s0, s16, s0
	s_addc_u32 s1, s17, s1
	v_mov_b32_e32 v2, 0
	v_mov_b32_e32 v1, v3
	global_store_dwordx2 v2, v[0:1], s[0:1]
	s_endpgm
	.section	.rodata,"a",@progbits
	.p2align	6, 0x0
	.amdhsa_kernel _ZL32rocblas_gemvt_warp_reduce_kernelILb0ELi256Ei19rocblas_complex_numIfES1_S1_EviiT3_lPKT2_lT1_lS5_lS6_lS2_lPT4_lS6_li
		.amdhsa_group_segment_fixed_size 512
		.amdhsa_private_segment_fixed_size 0
		.amdhsa_kernarg_size 140
		.amdhsa_user_sgpr_count 2
		.amdhsa_user_sgpr_dispatch_ptr 0
		.amdhsa_user_sgpr_queue_ptr 0
		.amdhsa_user_sgpr_kernarg_segment_ptr 1
		.amdhsa_user_sgpr_dispatch_id 0
		.amdhsa_user_sgpr_kernarg_preload_length 0
		.amdhsa_user_sgpr_kernarg_preload_offset 0
		.amdhsa_user_sgpr_private_segment_size 0
		.amdhsa_uses_dynamic_stack 0
		.amdhsa_enable_private_segment 0
		.amdhsa_system_sgpr_workgroup_id_x 1
		.amdhsa_system_sgpr_workgroup_id_y 0
		.amdhsa_system_sgpr_workgroup_id_z 1
		.amdhsa_system_sgpr_workgroup_info 0
		.amdhsa_system_vgpr_workitem_id 0
		.amdhsa_next_free_vgpr 16
		.amdhsa_next_free_sgpr 26
		.amdhsa_accum_offset 16
		.amdhsa_reserve_vcc 1
		.amdhsa_float_round_mode_32 0
		.amdhsa_float_round_mode_16_64 0
		.amdhsa_float_denorm_mode_32 3
		.amdhsa_float_denorm_mode_16_64 3
		.amdhsa_dx10_clamp 1
		.amdhsa_ieee_mode 1
		.amdhsa_fp16_overflow 0
		.amdhsa_tg_split 0
		.amdhsa_exception_fp_ieee_invalid_op 0
		.amdhsa_exception_fp_denorm_src 0
		.amdhsa_exception_fp_ieee_div_zero 0
		.amdhsa_exception_fp_ieee_overflow 0
		.amdhsa_exception_fp_ieee_underflow 0
		.amdhsa_exception_fp_ieee_inexact 0
		.amdhsa_exception_int_div_zero 0
	.end_amdhsa_kernel
	.section	.text._ZL32rocblas_gemvt_warp_reduce_kernelILb0ELi256Ei19rocblas_complex_numIfES1_S1_EviiT3_lPKT2_lT1_lS5_lS6_lS2_lPT4_lS6_li,"axG",@progbits,_ZL32rocblas_gemvt_warp_reduce_kernelILb0ELi256Ei19rocblas_complex_numIfES1_S1_EviiT3_lPKT2_lT1_lS5_lS6_lS2_lPT4_lS6_li,comdat
.Lfunc_end126:
	.size	_ZL32rocblas_gemvt_warp_reduce_kernelILb0ELi256Ei19rocblas_complex_numIfES1_S1_EviiT3_lPKT2_lT1_lS5_lS6_lS2_lPT4_lS6_li, .Lfunc_end126-_ZL32rocblas_gemvt_warp_reduce_kernelILb0ELi256Ei19rocblas_complex_numIfES1_S1_EviiT3_lPKT2_lT1_lS5_lS6_lS2_lPT4_lS6_li
                                        ; -- End function
	.section	.AMDGPU.csdata,"",@progbits
; Kernel info:
; codeLenInByte = 1592
; NumSgprs: 32
; NumVgprs: 16
; NumAgprs: 0
; TotalNumVgprs: 16
; ScratchSize: 0
; MemoryBound: 0
; FloatMode: 240
; IeeeMode: 1
; LDSByteSize: 512 bytes/workgroup (compile time only)
; SGPRBlocks: 3
; VGPRBlocks: 1
; NumSGPRsForWavesPerEU: 32
; NumVGPRsForWavesPerEU: 16
; AccumOffset: 16
; Occupancy: 8
; WaveLimiterHint : 1
; COMPUTE_PGM_RSRC2:SCRATCH_EN: 0
; COMPUTE_PGM_RSRC2:USER_SGPR: 2
; COMPUTE_PGM_RSRC2:TRAP_HANDLER: 0
; COMPUTE_PGM_RSRC2:TGID_X_EN: 1
; COMPUTE_PGM_RSRC2:TGID_Y_EN: 0
; COMPUTE_PGM_RSRC2:TGID_Z_EN: 1
; COMPUTE_PGM_RSRC2:TIDIG_COMP_CNT: 0
; COMPUTE_PGM_RSRC3_GFX90A:ACCUM_OFFSET: 3
; COMPUTE_PGM_RSRC3_GFX90A:TG_SPLIT: 0
	.section	.text._ZL32rocblas_gemvt_warp_reduce_kernelILb0ELi256El19rocblas_complex_numIfES1_S1_EviiT3_lPKT2_lT1_lS5_lS6_lS2_lPT4_lS6_li,"axG",@progbits,_ZL32rocblas_gemvt_warp_reduce_kernelILb0ELi256El19rocblas_complex_numIfES1_S1_EviiT3_lPKT2_lT1_lS5_lS6_lS2_lPT4_lS6_li,comdat
	.globl	_ZL32rocblas_gemvt_warp_reduce_kernelILb0ELi256El19rocblas_complex_numIfES1_S1_EviiT3_lPKT2_lT1_lS5_lS6_lS2_lPT4_lS6_li ; -- Begin function _ZL32rocblas_gemvt_warp_reduce_kernelILb0ELi256El19rocblas_complex_numIfES1_S1_EviiT3_lPKT2_lT1_lS5_lS6_lS2_lPT4_lS6_li
	.p2align	8
	.type	_ZL32rocblas_gemvt_warp_reduce_kernelILb0ELi256El19rocblas_complex_numIfES1_S1_EviiT3_lPKT2_lT1_lS5_lS6_lS2_lPT4_lS6_li,@function
_ZL32rocblas_gemvt_warp_reduce_kernelILb0ELi256El19rocblas_complex_numIfES1_S1_EviiT3_lPKT2_lT1_lS5_lS6_lS2_lPT4_lS6_li: ; @_ZL32rocblas_gemvt_warp_reduce_kernelILb0ELi256El19rocblas_complex_numIfES1_S1_EviiT3_lPKT2_lT1_lS5_lS6_lS2_lPT4_lS6_li
; %bb.0:
	s_load_dwordx2 s[26:27], s[0:1], 0x8
	s_load_dwordx2 s[24:25], s[0:1], 0x58
	s_waitcnt lgkmcnt(0)
	v_cmp_eq_f32_e64 s[4:5], s26, 0
	v_cmp_eq_f32_e64 s[6:7], s27, 0
	s_and_b64 s[4:5], s[4:5], s[6:7]
	v_cmp_eq_f32_e64 s[6:7], s24, 1.0
	v_cmp_eq_f32_e64 s[8:9], s25, 0
	s_and_b64 s[6:7], s[6:7], s[8:9]
	s_and_b64 s[4:5], s[4:5], s[6:7]
	s_and_b64 vcc, exec, s[4:5]
	s_cbranch_vccnz .LBB127_21
; %bb.1:
	s_load_dwordx8 s[16:23], s[0:1], 0x68
	v_cmp_eq_u32_e32 vcc, 0, v0
	s_waitcnt lgkmcnt(0)
	s_mul_i32 s5, s3, s23
	s_mul_hi_u32 s6, s3, s22
	s_mul_i32 s4, s3, s22
	s_add_i32 s5, s6, s5
	s_lshl_b64 s[4:5], s[4:5], 3
	s_add_u32 s6, s16, s4
	s_addc_u32 s7, s17, s5
	s_lshl_b64 s[4:5], s[18:19], 3
	s_add_u32 s22, s6, s4
	s_addc_u32 s23, s7, s5
	s_or_b32 s4, s26, s27
	s_bitset0_b32 s4, 31
	s_cmp_lg_u32 s4, 0
	s_mov_b64 s[4:5], -1
	s_cbranch_scc1 .LBB127_7
; %bb.2:
	s_and_saveexec_b64 s[4:5], vcc
	s_cbranch_execz .LBB127_6
; %bb.3:
	v_cmp_neq_f32_e64 s[8:9], s24, 0
	v_cmp_neq_f32_e64 s[10:11], s25, 0
	s_ashr_i32 s6, s2, 31
	s_mul_i32 s7, s2, s21
	s_mul_hi_u32 s12, s2, s20
	s_add_i32 s7, s12, s7
	s_mul_i32 s6, s6, s20
	s_or_b64 s[8:9], s[8:9], s[10:11]
	s_add_i32 s7, s7, s6
	s_mul_i32 s6, s2, s20
	v_mov_b32_e32 v1, 0
	s_andn2_b64 vcc, exec, s[8:9]
	v_mov_b32_e32 v2, 0
	v_mov_b32_e32 v3, 0
	s_cbranch_vccnz .LBB127_5
; %bb.4:
	s_lshl_b64 s[8:9], s[6:7], 3
	s_add_u32 s8, s22, s8
	s_addc_u32 s9, s23, s9
	s_load_dwordx2 s[8:9], s[8:9], 0x0
	s_waitcnt lgkmcnt(0)
	v_mov_b64_e32 v[4:5], s[8:9]
	v_pk_mul_f32 v[6:7], s[24:25], v[4:5] op_sel:[0,1]
	s_nop 0
	v_pk_fma_f32 v[2:3], s[24:25], v[4:5], v[6:7] op_sel:[0,0,1] op_sel_hi:[1,1,0] neg_lo:[0,0,1] neg_hi:[0,0,1]
	v_pk_fma_f32 v[4:5], s[24:25], v[4:5], v[6:7] op_sel:[0,0,1] op_sel_hi:[1,0,0]
	s_nop 0
	v_mov_b32_e32 v3, v5
.LBB127_5:
	s_lshl_b64 s[6:7], s[6:7], 3
	s_add_u32 s6, s22, s6
	s_addc_u32 s7, s23, s7
	global_store_dwordx2 v1, v[2:3], s[6:7]
.LBB127_6:
	s_or_b64 exec, exec, s[4:5]
	s_mov_b64 s[4:5], 0
.LBB127_7:
	s_andn2_b64 vcc, exec, s[4:5]
	s_cbranch_vccnz .LBB127_21
; %bb.8:
	s_load_dwordx16 s[4:19], s[0:1], 0x18
	s_load_dword s28, s[0:1], 0x0
	v_mov_b32_e32 v4, 0
	v_mov_b32_e32 v3, v4
	s_waitcnt lgkmcnt(0)
	s_mul_i32 s1, s3, s19
	s_mul_hi_u32 s19, s3, s18
	s_mul_i32 s0, s3, s18
	s_mul_i32 s11, s3, s11
	s_mul_hi_u32 s18, s3, s10
	s_add_i32 s11, s18, s11
	s_mul_i32 s10, s3, s10
	s_add_i32 s1, s19, s1
	s_lshl_b64 s[10:11], s[10:11], 3
	s_add_u32 s3, s4, s10
	s_addc_u32 s10, s5, s11
	s_lshl_b64 s[4:5], s[6:7], 3
	s_add_u32 s7, s3, s4
	s_addc_u32 s10, s10, s5
	s_ashr_i32 s3, s2, 31
	s_mul_i32 s4, s2, s9
	s_mul_hi_u32 s5, s2, s8
	s_add_i32 s4, s5, s4
	s_mul_i32 s5, s3, s8
	s_add_i32 s5, s4, s5
	s_mul_i32 s4, s2, s8
	v_cmp_gt_i32_e32 vcc, s28, v0
	s_lshl_b64 s[4:5], s[4:5], 3
	s_add_u32 s4, s4, s7
	v_cndmask_b32_e32 v1, 0, v0, vcc
	v_lshlrev_b32_e32 v2, 3, v1
	s_addc_u32 s5, s5, s10
	v_lshl_add_u64 v[2:3], s[4:5], 0, v[2:3]
	s_ashr_i32 s4, s28, 31
	s_lshr_b32 s4, s4, 24
	s_mov_b32 s6, 0
	s_add_i32 s4, s28, s4
	s_and_b32 s4, s4, 0xffffff00
	s_mov_b32 s7, s6
	v_cmp_gt_i32_e32 vcc, s4, v0
	v_mov_b64_e32 v[6:7], s[6:7]
	s_and_saveexec_b64 s[6:7], vcc
	s_cbranch_execz .LBB127_12
; %bb.9:
	v_mad_u64_u32 v[6:7], s[10:11], s16, v0, 0
	v_mov_b32_e32 v8, v7
	v_mad_u64_u32 v[8:9], s[10:11], s17, v0, v[8:9]
	s_lshl_b64 s[8:9], s[0:1], 3
	s_lshl_b64 s[10:11], s[14:15], 3
	s_add_u32 s5, s12, s10
	s_addc_u32 s10, s13, s11
	s_add_u32 s8, s5, s8
	v_mov_b32_e32 v7, v8
	s_addc_u32 s9, s10, s9
	v_lshl_add_u64 v[6:7], v[6:7], 3, s[8:9]
	v_lshl_add_u64 v[6:7], v[6:7], 0, 4
	s_lshl_b64 s[10:11], s[16:17], 11
	s_mov_b64 s[8:9], 0
	s_mov_b64 s[18:19], 0x800
	v_mov_b64_e32 v[8:9], v[2:3]
	v_mov_b32_e32 v1, v0
	v_mov_b32_e32 v5, v4
.LBB127_10:                             ; =>This Inner Loop Header: Depth=1
	global_load_dwordx2 v[10:11], v[8:9], off
	global_load_dwordx2 v[12:13], v[6:7], off offset:-4
	v_add_u32_e32 v1, 0x100, v1
	v_cmp_le_i32_e32 vcc, s4, v1
	v_lshl_add_u64 v[8:9], v[8:9], 0, s[18:19]
	v_lshl_add_u64 v[6:7], v[6:7], 0, s[10:11]
	s_or_b64 s[8:9], vcc, s[8:9]
	s_waitcnt vmcnt(0)
	v_mul_f32_e32 v14, v13, v11
	v_mul_f32_e32 v15, v12, v11
	v_fma_f32 v14, v12, v10, -v14
	v_fmac_f32_e32 v15, v13, v10
	v_pk_add_f32 v[4:5], v[4:5], v[14:15]
	s_andn2_b64 exec, exec, s[8:9]
	s_cbranch_execnz .LBB127_10
; %bb.11:
	s_or_b64 exec, exec, s[8:9]
	v_mov_b64_e32 v[6:7], v[4:5]
.LBB127_12:
	s_or_b64 exec, exec, s[6:7]
	v_add_u32_e32 v1, s4, v0
	v_cmp_gt_i32_e32 vcc, s28, v1
	s_and_saveexec_b64 s[6:7], vcc
	s_cbranch_execz .LBB127_14
; %bb.13:
	s_lshl_b64 s[0:1], s[0:1], 3
	s_add_u32 s5, s12, s0
	s_addc_u32 s8, s13, s1
	s_lshl_b64 s[0:1], s[14:15], 3
	s_add_u32 s0, s5, s0
	s_addc_u32 s1, s8, s1
	s_ashr_i32 s5, s4, 31
	v_ashrrev_i32_e32 v4, 31, v1
	v_lshl_add_u64 v[2:3], s[4:5], 3, v[2:3]
	v_mul_lo_u32 v8, v1, s17
	v_mul_lo_u32 v9, v4, s16
	v_mad_u64_u32 v[4:5], s[4:5], v1, s16, 0
	v_add3_u32 v5, v5, v8, v9
	v_lshl_add_u64 v[4:5], v[4:5], 3, s[0:1]
	global_load_dwordx2 v[2:3], v[2:3], off
	s_nop 0
	global_load_dwordx2 v[4:5], v[4:5], off
	s_waitcnt vmcnt(0)
	v_pk_mul_f32 v[8:9], v[4:5], v[2:3] op_sel:[0,1]
	s_nop 0
	v_pk_fma_f32 v[10:11], v[4:5], v[2:3], v[8:9] op_sel:[0,0,1] op_sel_hi:[1,1,0] neg_lo:[0,0,1] neg_hi:[0,0,1]
	v_pk_fma_f32 v[2:3], v[4:5], v[2:3], v[8:9] op_sel:[0,0,1] op_sel_hi:[1,0,0]
	s_nop 0
	v_mov_b32_e32 v11, v3
	v_pk_add_f32 v[6:7], v[6:7], v[10:11]
.LBB127_14:
	s_or_b64 exec, exec, s[6:7]
	v_and_b32_e32 v8, 63, v0
	v_cmp_gt_u32_e32 vcc, 64, v0
	v_lshlrev_b32_e32 v1, 3, v8
	s_and_saveexec_b64 s[0:1], vcc
	s_cbranch_execz .LBB127_16
; %bb.15:
	v_mov_b32_e32 v2, 0
	v_mov_b32_e32 v3, v2
	ds_write_b64 v1, v[2:3]
.LBB127_16:
	s_or_b64 exec, exec, s[0:1]
	v_mbcnt_lo_u32_b32 v2, -1, 0
	v_mbcnt_hi_u32_b32 v9, -1, v2
	v_and_b32_e32 v10, 63, v9
	v_cmp_gt_u32_e64 s[0:1], 32, v10
	s_mov_b32 s4, 0
	s_waitcnt lgkmcnt(0)
	v_cndmask_b32_e64 v2, 0, 1, s[0:1]
	v_lshlrev_b32_e32 v2, 5, v2
	v_add_lshl_u32 v3, v2, v9, 2
	ds_bpermute_b32 v2, v3, v6
	ds_bpermute_b32 v3, v3, v7
	v_cmp_gt_u32_e64 s[0:1], 48, v10
	s_barrier
	s_waitcnt lgkmcnt(0)
	v_cndmask_b32_e64 v4, 0, 1, s[0:1]
	v_lshlrev_b32_e32 v4, 4, v4
	v_add_lshl_u32 v5, v4, v9, 2
	v_pk_add_f32 v[2:3], v[6:7], v[2:3]
	ds_bpermute_b32 v4, v5, v2
	ds_bpermute_b32 v5, v5, v3
	v_cmp_gt_u32_e64 s[0:1], 56, v10
	s_waitcnt lgkmcnt(0)
	v_pk_add_f32 v[2:3], v[2:3], v[4:5]
	v_cndmask_b32_e64 v6, 0, 1, s[0:1]
	v_lshlrev_b32_e32 v6, 3, v6
	v_add_lshl_u32 v6, v6, v9, 2
	ds_bpermute_b32 v4, v6, v2
	ds_bpermute_b32 v5, v6, v3
	v_cmp_gt_u32_e64 s[0:1], 60, v10
	s_waitcnt lgkmcnt(0)
	v_pk_add_f32 v[2:3], v[2:3], v[4:5]
	v_cndmask_b32_e64 v6, 0, 1, s[0:1]
	v_lshlrev_b32_e32 v6, 2, v6
	v_add_lshl_u32 v6, v6, v9, 2
	;; [unrolled: 8-line block ×3, first 2 shown]
	ds_bpermute_b32 v4, v6, v2
	ds_bpermute_b32 v5, v6, v3
	v_cmp_ne_u32_e64 s[0:1], 63, v10
	s_waitcnt lgkmcnt(0)
	v_pk_add_f32 v[2:3], v[2:3], v[4:5]
	v_addc_co_u32_e64 v4, s[0:1], 0, v9, s[0:1]
	v_lshlrev_b32_e32 v7, 2, v4
	ds_bpermute_b32 v4, v7, v2
	ds_bpermute_b32 v5, v7, v3
	v_cmp_eq_u32_e64 s[0:1], 0, v8
	s_and_saveexec_b64 s[6:7], s[0:1]
	s_cbranch_execz .LBB127_18
; %bb.17:
	v_lshrrev_b32_e32 v8, 3, v0
	v_and_b32_e32 v8, 24, v8
	s_waitcnt lgkmcnt(0)
	v_pk_add_f32 v[2:3], v[2:3], v[4:5]
	ds_write_b64 v8, v[2:3]
.LBB127_18:
	s_or_b64 exec, exec, s[6:7]
	s_mov_b32 s5, s4
	v_cmp_gt_u32_e64 s[0:1], 4, v0
	v_mov_b64_e32 v[2:3], s[4:5]
	s_waitcnt lgkmcnt(0)
	s_barrier
	s_and_saveexec_b64 s[4:5], s[0:1]
	s_cbranch_execnz .LBB127_22
; %bb.19:
	s_or_b64 exec, exec, s[4:5]
	s_and_saveexec_b64 s[0:1], vcc
	s_cbranch_execnz .LBB127_23
.LBB127_20:
	s_or_b64 exec, exec, s[0:1]
	v_cmp_eq_u32_e32 vcc, 0, v0
	s_and_saveexec_b64 s[0:1], vcc
	s_cbranch_execnz .LBB127_24
.LBB127_21:
	s_endpgm
.LBB127_22:
	ds_read_b64 v[2:3], v1
	s_or_b64 exec, exec, s[4:5]
	s_and_saveexec_b64 s[0:1], vcc
	s_cbranch_execz .LBB127_20
.LBB127_23:
	s_waitcnt lgkmcnt(0)
	ds_bpermute_b32 v4, v6, v2
	ds_bpermute_b32 v5, v6, v3
	s_waitcnt lgkmcnt(0)
	v_pk_add_f32 v[2:3], v[2:3], v[4:5]
	ds_bpermute_b32 v4, v7, v2
	ds_bpermute_b32 v5, v7, v3
	s_waitcnt lgkmcnt(0)
	v_pk_add_f32 v[2:3], v[2:3], v[4:5]
	s_or_b64 exec, exec, s[0:1]
	v_cmp_eq_u32_e32 vcc, 0, v0
	s_and_saveexec_b64 s[0:1], vcc
	s_cbranch_execz .LBB127_21
.LBB127_24:
	v_cmp_neq_f32_e64 s[4:5], s24, 0
	v_cmp_neq_f32_e64 s[6:7], s25, 0
	s_mul_i32 s0, s2, s21
	s_mul_hi_u32 s1, s2, s20
	s_waitcnt lgkmcnt(0)
	v_pk_mul_f32 v[4:5], v[2:3], s[26:27] op_sel:[1,0]
	s_add_i32 s0, s1, s0
	s_mul_i32 s1, s3, s20
	s_or_b64 s[4:5], s[4:5], s[6:7]
	v_pk_fma_f32 v[0:1], v[2:3], s[26:27], v[4:5] op_sel:[0,0,1] op_sel_hi:[0,1,0] neg_lo:[0,0,1] neg_hi:[0,0,1]
	v_pk_fma_f32 v[2:3], v[2:3], s[26:27], v[4:5] op_sel:[0,0,1] op_sel_hi:[0,1,0]
	s_add_i32 s1, s0, s1
	s_andn2_b64 vcc, exec, s[4:5]
	s_mul_i32 s0, s2, s20
	s_cbranch_vccnz .LBB127_26
; %bb.25:
	s_lshl_b64 s[2:3], s[0:1], 3
	s_add_u32 s2, s22, s2
	s_addc_u32 s3, s23, s3
	v_mov_b32_e32 v1, 0
	global_load_dwordx2 v[4:5], v1, s[2:3]
	v_mov_b32_e32 v1, v3
	s_waitcnt vmcnt(0)
	v_pk_mul_f32 v[2:3], s[24:25], v[4:5] op_sel:[0,1]
	s_nop 0
	v_pk_fma_f32 v[6:7], s[24:25], v[4:5], v[2:3] op_sel:[0,0,1] op_sel_hi:[1,1,0] neg_lo:[0,0,1] neg_hi:[0,0,1]
	v_pk_fma_f32 v[2:3], s[24:25], v[4:5], v[2:3] op_sel:[0,0,1] op_sel_hi:[1,0,0]
	s_nop 0
	v_mov_b32_e32 v7, v3
	v_pk_add_f32 v[0:1], v[0:1], v[6:7]
	s_nop 0
	v_mov_b32_e32 v3, v1
.LBB127_26:
	s_lshl_b64 s[0:1], s[0:1], 3
	s_add_u32 s0, s22, s0
	s_addc_u32 s1, s23, s1
	v_mov_b32_e32 v2, 0
	v_mov_b32_e32 v1, v3
	global_store_dwordx2 v2, v[0:1], s[0:1]
	s_endpgm
	.section	.rodata,"a",@progbits
	.p2align	6, 0x0
	.amdhsa_kernel _ZL32rocblas_gemvt_warp_reduce_kernelILb0ELi256El19rocblas_complex_numIfES1_S1_EviiT3_lPKT2_lT1_lS5_lS6_lS2_lPT4_lS6_li
		.amdhsa_group_segment_fixed_size 512
		.amdhsa_private_segment_fixed_size 0
		.amdhsa_kernarg_size 140
		.amdhsa_user_sgpr_count 2
		.amdhsa_user_sgpr_dispatch_ptr 0
		.amdhsa_user_sgpr_queue_ptr 0
		.amdhsa_user_sgpr_kernarg_segment_ptr 1
		.amdhsa_user_sgpr_dispatch_id 0
		.amdhsa_user_sgpr_kernarg_preload_length 0
		.amdhsa_user_sgpr_kernarg_preload_offset 0
		.amdhsa_user_sgpr_private_segment_size 0
		.amdhsa_uses_dynamic_stack 0
		.amdhsa_enable_private_segment 0
		.amdhsa_system_sgpr_workgroup_id_x 1
		.amdhsa_system_sgpr_workgroup_id_y 0
		.amdhsa_system_sgpr_workgroup_id_z 1
		.amdhsa_system_sgpr_workgroup_info 0
		.amdhsa_system_vgpr_workitem_id 0
		.amdhsa_next_free_vgpr 16
		.amdhsa_next_free_sgpr 29
		.amdhsa_accum_offset 16
		.amdhsa_reserve_vcc 1
		.amdhsa_float_round_mode_32 0
		.amdhsa_float_round_mode_16_64 0
		.amdhsa_float_denorm_mode_32 3
		.amdhsa_float_denorm_mode_16_64 3
		.amdhsa_dx10_clamp 1
		.amdhsa_ieee_mode 1
		.amdhsa_fp16_overflow 0
		.amdhsa_tg_split 0
		.amdhsa_exception_fp_ieee_invalid_op 0
		.amdhsa_exception_fp_denorm_src 0
		.amdhsa_exception_fp_ieee_div_zero 0
		.amdhsa_exception_fp_ieee_overflow 0
		.amdhsa_exception_fp_ieee_underflow 0
		.amdhsa_exception_fp_ieee_inexact 0
		.amdhsa_exception_int_div_zero 0
	.end_amdhsa_kernel
	.section	.text._ZL32rocblas_gemvt_warp_reduce_kernelILb0ELi256El19rocblas_complex_numIfES1_S1_EviiT3_lPKT2_lT1_lS5_lS6_lS2_lPT4_lS6_li,"axG",@progbits,_ZL32rocblas_gemvt_warp_reduce_kernelILb0ELi256El19rocblas_complex_numIfES1_S1_EviiT3_lPKT2_lT1_lS5_lS6_lS2_lPT4_lS6_li,comdat
.Lfunc_end127:
	.size	_ZL32rocblas_gemvt_warp_reduce_kernelILb0ELi256El19rocblas_complex_numIfES1_S1_EviiT3_lPKT2_lT1_lS5_lS6_lS2_lPT4_lS6_li, .Lfunc_end127-_ZL32rocblas_gemvt_warp_reduce_kernelILb0ELi256El19rocblas_complex_numIfES1_S1_EviiT3_lPKT2_lT1_lS5_lS6_lS2_lPT4_lS6_li
                                        ; -- End function
	.section	.AMDGPU.csdata,"",@progbits
; Kernel info:
; codeLenInByte = 1664
; NumSgprs: 35
; NumVgprs: 16
; NumAgprs: 0
; TotalNumVgprs: 16
; ScratchSize: 0
; MemoryBound: 0
; FloatMode: 240
; IeeeMode: 1
; LDSByteSize: 512 bytes/workgroup (compile time only)
; SGPRBlocks: 4
; VGPRBlocks: 1
; NumSGPRsForWavesPerEU: 35
; NumVGPRsForWavesPerEU: 16
; AccumOffset: 16
; Occupancy: 8
; WaveLimiterHint : 1
; COMPUTE_PGM_RSRC2:SCRATCH_EN: 0
; COMPUTE_PGM_RSRC2:USER_SGPR: 2
; COMPUTE_PGM_RSRC2:TRAP_HANDLER: 0
; COMPUTE_PGM_RSRC2:TGID_X_EN: 1
; COMPUTE_PGM_RSRC2:TGID_Y_EN: 0
; COMPUTE_PGM_RSRC2:TGID_Z_EN: 1
; COMPUTE_PGM_RSRC2:TIDIG_COMP_CNT: 0
; COMPUTE_PGM_RSRC3_GFX90A:ACCUM_OFFSET: 3
; COMPUTE_PGM_RSRC3_GFX90A:TG_SPLIT: 0
	.section	.text._ZL20rocblas_gemvt_kernelILb0ELi256E19rocblas_complex_numIfEPKS1_S1_EviiT2_lPKT1_lilS7_lilS4_lPT3_lili,"axG",@progbits,_ZL20rocblas_gemvt_kernelILb0ELi256E19rocblas_complex_numIfEPKS1_S1_EviiT2_lPKT1_lilS7_lilS4_lPT3_lili,comdat
	.globl	_ZL20rocblas_gemvt_kernelILb0ELi256E19rocblas_complex_numIfEPKS1_S1_EviiT2_lPKT1_lilS7_lilS4_lPT3_lili ; -- Begin function _ZL20rocblas_gemvt_kernelILb0ELi256E19rocblas_complex_numIfEPKS1_S1_EviiT2_lPKT1_lilS7_lilS4_lPT3_lili
	.p2align	8
	.type	_ZL20rocblas_gemvt_kernelILb0ELi256E19rocblas_complex_numIfEPKS1_S1_EviiT2_lPKT1_lilS7_lilS4_lPT3_lili,@function
_ZL20rocblas_gemvt_kernelILb0ELi256E19rocblas_complex_numIfEPKS1_S1_EviiT2_lPKT1_lilS7_lilS4_lPT3_lili: ; @_ZL20rocblas_gemvt_kernelILb0ELi256E19rocblas_complex_numIfEPKS1_S1_EviiT2_lPKT1_lilS7_lilS4_lPT3_lili
; %bb.0:
	s_load_dwordx8 s[4:11], s[0:1], 0x8
	s_load_dwordx8 s[12:19], s[0:1], 0x50
	s_waitcnt lgkmcnt(0)
	s_mul_i32 s7, s3, s7
	s_mul_hi_u32 s20, s3, s6
	s_add_i32 s7, s20, s7
	s_mul_i32 s6, s3, s6
	s_lshl_b64 s[6:7], s[6:7], 3
	s_add_u32 s4, s4, s6
	s_addc_u32 s5, s5, s7
	s_load_dwordx2 s[20:21], s[4:5], 0x0
	s_mul_i32 s4, s3, s17
	s_mul_hi_u32 s5, s3, s16
	s_add_i32 s5, s5, s4
	s_mul_i32 s4, s3, s16
	s_lshl_b64 s[4:5], s[4:5], 3
	s_add_u32 s4, s14, s4
	s_addc_u32 s5, s15, s5
	s_load_dwordx2 s[14:15], s[4:5], 0x0
	s_waitcnt lgkmcnt(0)
	v_cmp_eq_f32_e64 s[4:5], s20, 0
	v_cmp_eq_f32_e64 s[6:7], s21, 0
	s_and_b64 s[4:5], s[4:5], s[6:7]
	v_cmp_eq_f32_e64 s[6:7], s14, 1.0
	v_cmp_eq_f32_e64 s[16:17], s15, 0
	s_and_b64 s[6:7], s[6:7], s[16:17]
	s_and_b64 s[4:5], s[4:5], s[6:7]
	s_and_b64 vcc, exec, s[4:5]
	s_cbranch_vccnz .LBB128_35
; %bb.1:
	s_load_dwordx2 s[4:5], s[0:1], 0x80
	s_load_dwordx2 s[6:7], s[0:1], 0x70
	s_load_dword s24, s[0:1], 0x78
	v_cmp_eq_u32_e32 vcc, 0, v0
	s_waitcnt lgkmcnt(0)
	s_mul_i32 s5, s3, s5
	s_mul_hi_u32 s16, s3, s4
	s_mul_i32 s4, s3, s4
	s_add_i32 s5, s16, s5
	s_lshl_b64 s[4:5], s[4:5], 3
	s_add_u32 s16, s18, s4
	s_addc_u32 s17, s19, s5
	s_lshl_b64 s[4:5], s[6:7], 3
	s_add_u32 s22, s16, s4
	s_addc_u32 s23, s17, s5
	s_or_b32 s4, s20, s21
	s_bitset0_b32 s4, 31
	s_cmp_lg_u32 s4, 0
	s_mov_b64 s[4:5], -1
	s_cbranch_scc1 .LBB128_7
; %bb.2:
	s_and_saveexec_b64 s[4:5], vcc
	s_cbranch_execz .LBB128_6
; %bb.3:
	v_cmp_neq_f32_e64 s[16:17], s14, 0
	v_cmp_neq_f32_e64 s[18:19], s15, 0
	s_or_b64 s[16:17], s[16:17], s[18:19]
	s_mul_hi_i32 s7, s24, s2
	s_mul_i32 s6, s24, s2
	v_mov_b32_e32 v1, 0
	s_andn2_b64 vcc, exec, s[16:17]
	v_mov_b32_e32 v2, 0
	v_mov_b32_e32 v3, 0
	s_cbranch_vccnz .LBB128_5
; %bb.4:
	s_lshl_b64 s[16:17], s[6:7], 3
	s_add_u32 s16, s22, s16
	s_addc_u32 s17, s23, s17
	s_load_dwordx2 s[16:17], s[16:17], 0x0
	s_waitcnt lgkmcnt(0)
	v_mov_b64_e32 v[4:5], s[16:17]
	v_pk_mul_f32 v[6:7], s[14:15], v[4:5] op_sel:[0,1]
	s_nop 0
	v_pk_fma_f32 v[2:3], s[14:15], v[4:5], v[6:7] op_sel:[0,0,1] op_sel_hi:[1,1,0] neg_lo:[0,0,1] neg_hi:[0,0,1]
	v_pk_fma_f32 v[4:5], s[14:15], v[4:5], v[6:7] op_sel:[0,0,1] op_sel_hi:[1,0,0]
	s_nop 0
	v_mov_b32_e32 v3, v5
.LBB128_5:
	s_lshl_b64 s[6:7], s[6:7], 3
	s_add_u32 s6, s22, s6
	s_addc_u32 s7, s23, s7
	global_store_dwordx2 v1, v[2:3], s[6:7]
.LBB128_6:
	s_or_b64 exec, exec, s[4:5]
	s_mov_b64 s[4:5], 0
.LBB128_7:
	s_andn2_b64 vcc, exec, s[4:5]
	s_cbranch_vccnz .LBB128_35
; %bb.8:
	s_load_dword s25, s[0:1], 0x0
	s_load_dword s18, s[0:1], 0x28
	s_load_dwordx4 s[4:7], s[0:1], 0x30
	s_load_dwordx2 s[16:17], s[0:1], 0x40
	s_mul_i32 s13, s3, s13
	s_load_dword s0, s[0:1], 0x48
	s_mul_hi_u32 s19, s3, s12
	s_waitcnt lgkmcnt(0)
	s_mul_i32 s1, s3, s5
	s_mul_hi_u32 s5, s3, s4
	s_add_i32 s5, s5, s1
	s_mul_i32 s4, s3, s4
	s_add_i32 s13, s19, s13
	s_lshl_b64 s[4:5], s[4:5], 3
	s_add_u32 s1, s8, s4
	s_mul_i32 s12, s3, s12
	s_addc_u32 s3, s9, s5
	s_lshl_b64 s[4:5], s[10:11], 3
	s_add_u32 s1, s1, s4
	s_addc_u32 s3, s3, s5
	s_mul_hi_i32 s5, s18, s2
	s_mul_i32 s4, s18, s2
	s_lshl_b64 s[4:5], s[4:5], 3
	s_add_u32 s4, s4, s1
	v_cmp_gt_i32_e32 vcc, s25, v0
	s_addc_u32 s5, s5, s3
	s_ashr_i32 s1, s25, 31
	v_cndmask_b32_e32 v1, 0, v0, vcc
	v_mov_b32_e32 v4, 0
	s_lshr_b32 s1, s1, 24
	s_mov_b32 s8, 0
	v_lshlrev_b32_e32 v2, 3, v1
	v_mov_b32_e32 v3, v4
	s_add_i32 s1, s25, s1
	v_lshl_add_u64 v[2:3], s[4:5], 0, v[2:3]
	s_and_b32 s4, s1, 0xffffff00
	s_mov_b32 s9, s8
	s_cmpk_lt_i32 s25, 0x100
	v_mov_b64_e32 v[6:7], s[8:9]
	s_cbranch_scc1 .LBB128_12
; %bb.9:
	v_mad_i64_i32 v[6:7], s[18:19], s0, v0, 0
	s_ashr_i32 s1, s0, 31
	s_lshl_b64 s[10:11], s[12:13], 3
	s_lshl_b64 s[18:19], s[16:17], 3
	s_add_u32 s3, s6, s18
	s_addc_u32 s5, s7, s19
	s_add_u32 s10, s3, s10
	s_addc_u32 s11, s5, s11
	v_lshl_add_u64 v[6:7], v[6:7], 3, s[10:11]
	s_lshl_b64 s[10:11], s[0:1], 11
	s_mov_b64 s[18:19], 0x800
	v_mov_b64_e32 v[8:9], v[2:3]
	v_mov_b32_e32 v5, v4
.LBB128_10:                             ; =>This Inner Loop Header: Depth=1
	global_load_dwordx2 v[10:11], v[8:9], off
	global_load_dwordx2 v[12:13], v[6:7], off
	s_addk_i32 s8, 0x100
	v_lshl_add_u64 v[6:7], v[6:7], 0, s[10:11]
	v_lshl_add_u64 v[8:9], v[8:9], 0, s[18:19]
	s_cmp_ge_i32 s8, s4
	s_waitcnt vmcnt(0)
	v_pk_mul_f32 v[14:15], v[12:13], v[10:11] op_sel:[0,1]
	s_nop 0
	v_pk_fma_f32 v[16:17], v[12:13], v[10:11], v[14:15] op_sel:[0,0,1] op_sel_hi:[1,1,0] neg_lo:[0,0,1] neg_hi:[0,0,1]
	v_pk_fma_f32 v[10:11], v[12:13], v[10:11], v[14:15] op_sel:[0,0,1] op_sel_hi:[1,0,0]
	s_nop 0
	v_mov_b32_e32 v17, v11
	v_pk_add_f32 v[4:5], v[4:5], v[16:17]
	s_cbranch_scc0 .LBB128_10
; %bb.11:
	v_mov_b64_e32 v[6:7], v[4:5]
.LBB128_12:
	v_add_u32_e32 v1, s4, v0
	v_cmp_gt_i32_e32 vcc, s25, v1
	s_and_saveexec_b64 s[8:9], vcc
	s_cbranch_execz .LBB128_14
; %bb.13:
	s_lshl_b64 s[10:11], s[12:13], 3
	s_add_u32 s1, s6, s10
	s_addc_u32 s3, s7, s11
	s_lshl_b64 s[6:7], s[16:17], 3
	s_add_u32 s6, s1, s6
	s_addc_u32 s7, s3, s7
	s_ashr_i32 s5, s4, 31
	v_mad_i64_i32 v[4:5], s[0:1], s0, v1, 0
	v_lshl_add_u64 v[2:3], s[4:5], 3, v[2:3]
	v_lshl_add_u64 v[4:5], v[4:5], 3, s[6:7]
	global_load_dwordx2 v[2:3], v[2:3], off
	s_nop 0
	global_load_dwordx2 v[4:5], v[4:5], off
	s_waitcnt vmcnt(0)
	v_pk_mul_f32 v[8:9], v[4:5], v[2:3] op_sel:[0,1]
	s_nop 0
	v_pk_fma_f32 v[10:11], v[4:5], v[2:3], v[8:9] op_sel:[0,0,1] op_sel_hi:[1,1,0] neg_lo:[0,0,1] neg_hi:[0,0,1]
	v_pk_fma_f32 v[2:3], v[4:5], v[2:3], v[8:9] op_sel:[0,0,1] op_sel_hi:[1,0,0]
	s_nop 0
	v_mov_b32_e32 v11, v3
	v_pk_add_f32 v[6:7], v[6:7], v[10:11]
.LBB128_14:
	s_or_b64 exec, exec, s[8:9]
	s_movk_i32 s0, 0x80
	v_lshlrev_b32_e32 v1, 3, v0
	v_cmp_gt_u32_e32 vcc, s0, v0
	ds_write_b64 v1, v[6:7]
	s_waitcnt lgkmcnt(0)
	s_barrier
	s_and_saveexec_b64 s[0:1], vcc
	s_cbranch_execz .LBB128_16
; %bb.15:
	ds_read2st64_b64 v[2:5], v1 offset1:2
	s_waitcnt lgkmcnt(0)
	v_pk_add_f32 v[2:3], v[4:5], v[2:3]
	ds_write_b64 v1, v[2:3]
.LBB128_16:
	s_or_b64 exec, exec, s[0:1]
	v_cmp_gt_u32_e32 vcc, 64, v0
	s_waitcnt lgkmcnt(0)
	s_barrier
	s_and_saveexec_b64 s[0:1], vcc
	s_cbranch_execz .LBB128_18
; %bb.17:
	ds_read2st64_b64 v[2:5], v1 offset1:1
	s_waitcnt lgkmcnt(0)
	v_pk_add_f32 v[2:3], v[4:5], v[2:3]
	ds_write_b64 v1, v[2:3]
.LBB128_18:
	s_or_b64 exec, exec, s[0:1]
	v_cmp_gt_u32_e32 vcc, 32, v0
	s_waitcnt lgkmcnt(0)
	s_barrier
	s_and_saveexec_b64 s[0:1], vcc
	s_cbranch_execz .LBB128_20
; %bb.19:
	ds_read2_b64 v[2:5], v1 offset1:32
	s_waitcnt lgkmcnt(0)
	v_pk_add_f32 v[2:3], v[4:5], v[2:3]
	ds_write_b64 v1, v[2:3]
.LBB128_20:
	s_or_b64 exec, exec, s[0:1]
	v_cmp_gt_u32_e32 vcc, 16, v0
	s_waitcnt lgkmcnt(0)
	s_barrier
	s_and_saveexec_b64 s[0:1], vcc
	s_cbranch_execz .LBB128_22
; %bb.21:
	ds_read2_b64 v[2:5], v1 offset1:16
	s_waitcnt lgkmcnt(0)
	v_pk_add_f32 v[2:3], v[4:5], v[2:3]
	ds_write_b64 v1, v[2:3]
.LBB128_22:
	;; [unrolled: 12-line block ×5, first 2 shown]
	s_or_b64 exec, exec, s[0:1]
	v_cmp_eq_u32_e32 vcc, 0, v0
	s_waitcnt lgkmcnt(0)
	s_barrier
	s_and_saveexec_b64 s[0:1], vcc
	s_cbranch_execz .LBB128_30
; %bb.29:
	v_mov_b32_e32 v4, 0
	ds_read_b128 v[0:3], v4
	s_waitcnt lgkmcnt(0)
	v_pk_add_f32 v[0:1], v[2:3], v[0:1]
	ds_write_b64 v4, v[0:1]
.LBB128_30:
	s_or_b64 exec, exec, s[0:1]
	s_waitcnt lgkmcnt(0)
	s_barrier
	s_and_saveexec_b64 s[0:1], vcc
	s_cbranch_execz .LBB128_35
; %bb.31:
	v_mov_b32_e32 v4, 0
	ds_read_b64 v[2:3], v4
	v_cmp_neq_f32_e64 s[4:5], s14, 0
	v_cmp_neq_f32_e64 s[6:7], s15, 0
	s_mov_b32 s0, s21
	s_or_b64 s[4:5], s[4:5], s[6:7]
	s_waitcnt lgkmcnt(0)
	v_pk_mul_f32 v[0:1], v[2:3], s[20:21]
	v_mov_b32_e32 v6, v3
	v_mov_b32_e32 v0, v1
	v_pk_mul_f32 v[6:7], v[6:7], s[20:21]
	v_pk_fma_f32 v[0:1], v[2:3], s[20:21], v[0:1] neg_lo:[0,0,1] neg_hi:[0,0,1]
	v_pk_fma_f32 v[2:3], v[2:3], s[0:1], v[6:7]
	s_mul_hi_i32 s1, s24, s2
	s_andn2_b64 vcc, exec, s[4:5]
	s_mul_i32 s0, s24, s2
	s_cbranch_vccnz .LBB128_33
; %bb.32:
	s_lshl_b64 s[2:3], s[0:1], 3
	s_add_u32 s2, s22, s2
	s_addc_u32 s3, s23, s3
	global_load_dwordx2 v[6:7], v4, s[2:3]
	s_waitcnt vmcnt(0)
	v_pk_mul_f32 v[8:9], s[14:15], v[6:7]
	v_mul_f32_e32 v1, s15, v6
	v_sub_f32_e32 v3, v8, v9
	v_fmac_f32_e32 v1, s14, v7
	v_add_f32_e32 v0, v0, v3
	v_add_f32_e32 v1, v2, v1
	s_branch .LBB128_34
.LBB128_33:
	v_mov_b32_e32 v1, v2
.LBB128_34:
	s_lshl_b64 s[0:1], s[0:1], 3
	s_add_u32 s0, s22, s0
	s_addc_u32 s1, s23, s1
	global_store_dwordx2 v4, v[0:1], s[0:1]
.LBB128_35:
	s_endpgm
	.section	.rodata,"a",@progbits
	.p2align	6, 0x0
	.amdhsa_kernel _ZL20rocblas_gemvt_kernelILb0ELi256E19rocblas_complex_numIfEPKS1_S1_EviiT2_lPKT1_lilS7_lilS4_lPT3_lili
		.amdhsa_group_segment_fixed_size 2048
		.amdhsa_private_segment_fixed_size 0
		.amdhsa_kernarg_size 140
		.amdhsa_user_sgpr_count 2
		.amdhsa_user_sgpr_dispatch_ptr 0
		.amdhsa_user_sgpr_queue_ptr 0
		.amdhsa_user_sgpr_kernarg_segment_ptr 1
		.amdhsa_user_sgpr_dispatch_id 0
		.amdhsa_user_sgpr_kernarg_preload_length 0
		.amdhsa_user_sgpr_kernarg_preload_offset 0
		.amdhsa_user_sgpr_private_segment_size 0
		.amdhsa_uses_dynamic_stack 0
		.amdhsa_enable_private_segment 0
		.amdhsa_system_sgpr_workgroup_id_x 1
		.amdhsa_system_sgpr_workgroup_id_y 0
		.amdhsa_system_sgpr_workgroup_id_z 1
		.amdhsa_system_sgpr_workgroup_info 0
		.amdhsa_system_vgpr_workitem_id 0
		.amdhsa_next_free_vgpr 18
		.amdhsa_next_free_sgpr 26
		.amdhsa_accum_offset 20
		.amdhsa_reserve_vcc 1
		.amdhsa_float_round_mode_32 0
		.amdhsa_float_round_mode_16_64 0
		.amdhsa_float_denorm_mode_32 3
		.amdhsa_float_denorm_mode_16_64 3
		.amdhsa_dx10_clamp 1
		.amdhsa_ieee_mode 1
		.amdhsa_fp16_overflow 0
		.amdhsa_tg_split 0
		.amdhsa_exception_fp_ieee_invalid_op 0
		.amdhsa_exception_fp_denorm_src 0
		.amdhsa_exception_fp_ieee_div_zero 0
		.amdhsa_exception_fp_ieee_overflow 0
		.amdhsa_exception_fp_ieee_underflow 0
		.amdhsa_exception_fp_ieee_inexact 0
		.amdhsa_exception_int_div_zero 0
	.end_amdhsa_kernel
	.section	.text._ZL20rocblas_gemvt_kernelILb0ELi256E19rocblas_complex_numIfEPKS1_S1_EviiT2_lPKT1_lilS7_lilS4_lPT3_lili,"axG",@progbits,_ZL20rocblas_gemvt_kernelILb0ELi256E19rocblas_complex_numIfEPKS1_S1_EviiT2_lPKT1_lilS7_lilS4_lPT3_lili,comdat
.Lfunc_end128:
	.size	_ZL20rocblas_gemvt_kernelILb0ELi256E19rocblas_complex_numIfEPKS1_S1_EviiT2_lPKT1_lilS7_lilS4_lPT3_lili, .Lfunc_end128-_ZL20rocblas_gemvt_kernelILb0ELi256E19rocblas_complex_numIfEPKS1_S1_EviiT2_lPKT1_lilS7_lilS4_lPT3_lili
                                        ; -- End function
	.section	.AMDGPU.csdata,"",@progbits
; Kernel info:
; codeLenInByte = 1516
; NumSgprs: 32
; NumVgprs: 18
; NumAgprs: 0
; TotalNumVgprs: 18
; ScratchSize: 0
; MemoryBound: 0
; FloatMode: 240
; IeeeMode: 1
; LDSByteSize: 2048 bytes/workgroup (compile time only)
; SGPRBlocks: 3
; VGPRBlocks: 2
; NumSGPRsForWavesPerEU: 32
; NumVGPRsForWavesPerEU: 18
; AccumOffset: 20
; Occupancy: 8
; WaveLimiterHint : 1
; COMPUTE_PGM_RSRC2:SCRATCH_EN: 0
; COMPUTE_PGM_RSRC2:USER_SGPR: 2
; COMPUTE_PGM_RSRC2:TRAP_HANDLER: 0
; COMPUTE_PGM_RSRC2:TGID_X_EN: 1
; COMPUTE_PGM_RSRC2:TGID_Y_EN: 0
; COMPUTE_PGM_RSRC2:TGID_Z_EN: 1
; COMPUTE_PGM_RSRC2:TIDIG_COMP_CNT: 0
; COMPUTE_PGM_RSRC3_GFX90A:ACCUM_OFFSET: 4
; COMPUTE_PGM_RSRC3_GFX90A:TG_SPLIT: 0
	.section	.text._ZL20rocblas_gemvt_kernelILb0ELi256E19rocblas_complex_numIfES1_S1_EviiT2_lPKT1_lilS5_lilS2_lPT3_lili,"axG",@progbits,_ZL20rocblas_gemvt_kernelILb0ELi256E19rocblas_complex_numIfES1_S1_EviiT2_lPKT1_lilS5_lilS2_lPT3_lili,comdat
	.globl	_ZL20rocblas_gemvt_kernelILb0ELi256E19rocblas_complex_numIfES1_S1_EviiT2_lPKT1_lilS5_lilS2_lPT3_lili ; -- Begin function _ZL20rocblas_gemvt_kernelILb0ELi256E19rocblas_complex_numIfES1_S1_EviiT2_lPKT1_lilS5_lilS2_lPT3_lili
	.p2align	8
	.type	_ZL20rocblas_gemvt_kernelILb0ELi256E19rocblas_complex_numIfES1_S1_EviiT2_lPKT1_lilS5_lilS2_lPT3_lili,@function
_ZL20rocblas_gemvt_kernelILb0ELi256E19rocblas_complex_numIfES1_S1_EviiT2_lPKT1_lilS5_lilS2_lPT3_lili: ; @_ZL20rocblas_gemvt_kernelILb0ELi256E19rocblas_complex_numIfES1_S1_EviiT2_lPKT1_lilS5_lilS2_lPT3_lili
; %bb.0:
	s_load_dwordx2 s[10:11], s[0:1], 0x8
	s_load_dwordx2 s[8:9], s[0:1], 0x58
	s_waitcnt lgkmcnt(0)
	v_cmp_eq_f32_e64 s[4:5], s10, 0
	v_cmp_eq_f32_e64 s[6:7], s11, 0
	s_and_b64 s[4:5], s[4:5], s[6:7]
	v_cmp_eq_f32_e64 s[6:7], s8, 1.0
	v_cmp_eq_f32_e64 s[12:13], s9, 0
	s_and_b64 s[6:7], s[6:7], s[12:13]
	s_and_b64 s[4:5], s[4:5], s[6:7]
	s_and_b64 vcc, exec, s[4:5]
	s_cbranch_vccnz .LBB129_35
; %bb.1:
	s_load_dwordx2 s[12:13], s[0:1], 0x80
	s_load_dwordx4 s[4:7], s[0:1], 0x68
	s_load_dword s24, s[0:1], 0x78
	v_cmp_eq_u32_e32 vcc, 0, v0
	s_waitcnt lgkmcnt(0)
	s_mul_i32 s13, s3, s13
	s_mul_hi_u32 s14, s3, s12
	s_mul_i32 s12, s3, s12
	s_add_i32 s13, s14, s13
	s_lshl_b64 s[12:13], s[12:13], 3
	s_add_u32 s12, s4, s12
	s_addc_u32 s13, s5, s13
	s_lshl_b64 s[4:5], s[6:7], 3
	s_add_u32 s22, s12, s4
	s_addc_u32 s23, s13, s5
	s_or_b32 s4, s10, s11
	s_bitset0_b32 s4, 31
	s_cmp_lg_u32 s4, 0
	s_mov_b64 s[4:5], -1
	s_cbranch_scc1 .LBB129_7
; %bb.2:
	s_and_saveexec_b64 s[4:5], vcc
	s_cbranch_execz .LBB129_6
; %bb.3:
	v_cmp_neq_f32_e64 s[12:13], s8, 0
	v_cmp_neq_f32_e64 s[14:15], s9, 0
	s_or_b64 s[12:13], s[12:13], s[14:15]
	s_mul_hi_i32 s7, s24, s2
	s_mul_i32 s6, s24, s2
	v_mov_b32_e32 v1, 0
	s_andn2_b64 vcc, exec, s[12:13]
	v_mov_b32_e32 v2, 0
	v_mov_b32_e32 v3, 0
	s_cbranch_vccnz .LBB129_5
; %bb.4:
	s_lshl_b64 s[12:13], s[6:7], 3
	s_add_u32 s12, s22, s12
	s_addc_u32 s13, s23, s13
	s_load_dwordx2 s[12:13], s[12:13], 0x0
	s_waitcnt lgkmcnt(0)
	v_mov_b64_e32 v[4:5], s[12:13]
	v_pk_mul_f32 v[6:7], s[8:9], v[4:5] op_sel:[0,1]
	s_nop 0
	v_pk_fma_f32 v[2:3], s[8:9], v[4:5], v[6:7] op_sel:[0,0,1] op_sel_hi:[1,1,0] neg_lo:[0,0,1] neg_hi:[0,0,1]
	v_pk_fma_f32 v[4:5], s[8:9], v[4:5], v[6:7] op_sel:[0,0,1] op_sel_hi:[1,0,0]
	s_nop 0
	v_mov_b32_e32 v3, v5
.LBB129_5:
	s_lshl_b64 s[6:7], s[6:7], 3
	s_add_u32 s6, s22, s6
	s_addc_u32 s7, s23, s7
	global_store_dwordx2 v1, v[2:3], s[6:7]
.LBB129_6:
	s_or_b64 exec, exec, s[4:5]
	s_mov_b64 s[4:5], 0
.LBB129_7:
	s_andn2_b64 vcc, exec, s[4:5]
	s_cbranch_vccnz .LBB129_35
; %bb.8:
	s_load_dwordx2 s[20:21], s[0:1], 0x50
	s_load_dword s25, s[0:1], 0x0
	s_load_dwordx4 s[16:19], s[0:1], 0x18
	s_load_dword s15, s[0:1], 0x28
	s_load_dwordx4 s[4:7], s[0:1], 0x30
	s_load_dwordx2 s[12:13], s[0:1], 0x40
	s_load_dword s14, s[0:1], 0x48
	s_waitcnt lgkmcnt(0)
	s_mul_i32 s0, s3, s21
	s_mul_hi_u32 s1, s3, s20
	s_add_i32 s1, s1, s0
	s_mul_i32 s0, s3, s20
	s_mul_i32 s5, s3, s5
	s_mul_hi_u32 s20, s3, s4
	s_add_i32 s5, s20, s5
	s_mul_i32 s4, s3, s4
	s_lshl_b64 s[4:5], s[4:5], 3
	s_add_u32 s3, s16, s4
	s_addc_u32 s16, s17, s5
	s_lshl_b64 s[4:5], s[18:19], 3
	s_add_u32 s3, s3, s4
	s_addc_u32 s17, s16, s5
	s_mul_hi_i32 s5, s15, s2
	s_mul_i32 s4, s15, s2
	s_lshl_b64 s[4:5], s[4:5], 3
	s_add_u32 s4, s4, s3
	v_cmp_gt_i32_e32 vcc, s25, v0
	s_addc_u32 s5, s5, s17
	s_ashr_i32 s3, s25, 31
	v_cndmask_b32_e32 v1, 0, v0, vcc
	v_mov_b32_e32 v4, 0
	s_lshr_b32 s3, s3, 24
	s_mov_b32 s16, 0
	v_lshlrev_b32_e32 v2, 3, v1
	v_mov_b32_e32 v3, v4
	s_add_i32 s3, s25, s3
	v_lshl_add_u64 v[2:3], s[4:5], 0, v[2:3]
	s_and_b32 s4, s3, 0xffffff00
	s_mov_b32 s17, s16
	s_cmpk_lt_i32 s25, 0x100
	v_mov_b64_e32 v[6:7], s[16:17]
	s_cbranch_scc1 .LBB129_12
; %bb.9:
	v_mad_i64_i32 v[6:7], s[20:21], s14, v0, 0
	s_ashr_i32 s15, s14, 31
	s_lshl_b64 s[18:19], s[0:1], 3
	s_lshl_b64 s[20:21], s[12:13], 3
	s_add_u32 s3, s6, s20
	s_addc_u32 s5, s7, s21
	s_add_u32 s18, s3, s18
	s_addc_u32 s19, s5, s19
	v_lshl_add_u64 v[6:7], v[6:7], 3, s[18:19]
	s_lshl_b64 s[18:19], s[14:15], 11
	s_mov_b64 s[20:21], 0x800
	v_mov_b64_e32 v[8:9], v[2:3]
	v_mov_b32_e32 v5, v4
.LBB129_10:                             ; =>This Inner Loop Header: Depth=1
	global_load_dwordx2 v[10:11], v[8:9], off
	global_load_dwordx2 v[12:13], v[6:7], off
	s_addk_i32 s16, 0x100
	v_lshl_add_u64 v[6:7], v[6:7], 0, s[18:19]
	v_lshl_add_u64 v[8:9], v[8:9], 0, s[20:21]
	s_cmp_ge_i32 s16, s4
	s_waitcnt vmcnt(0)
	v_pk_mul_f32 v[14:15], v[12:13], v[10:11] op_sel:[0,1]
	s_nop 0
	v_pk_fma_f32 v[16:17], v[12:13], v[10:11], v[14:15] op_sel:[0,0,1] op_sel_hi:[1,1,0] neg_lo:[0,0,1] neg_hi:[0,0,1]
	v_pk_fma_f32 v[10:11], v[12:13], v[10:11], v[14:15] op_sel:[0,0,1] op_sel_hi:[1,0,0]
	s_nop 0
	v_mov_b32_e32 v17, v11
	v_pk_add_f32 v[4:5], v[4:5], v[16:17]
	s_cbranch_scc0 .LBB129_10
; %bb.11:
	v_mov_b64_e32 v[6:7], v[4:5]
.LBB129_12:
	v_add_u32_e32 v1, s4, v0
	v_cmp_gt_i32_e32 vcc, s25, v1
	s_and_saveexec_b64 s[16:17], vcc
	s_cbranch_execz .LBB129_14
; %bb.13:
	s_lshl_b64 s[0:1], s[0:1], 3
	s_add_u32 s3, s6, s0
	s_addc_u32 s5, s7, s1
	s_lshl_b64 s[0:1], s[12:13], 3
	s_add_u32 s0, s3, s0
	s_addc_u32 s1, s5, s1
	s_ashr_i32 s5, s4, 31
	v_lshl_add_u64 v[2:3], s[4:5], 3, v[2:3]
	v_mad_i64_i32 v[4:5], s[4:5], s14, v1, 0
	v_lshl_add_u64 v[4:5], v[4:5], 3, s[0:1]
	global_load_dwordx2 v[2:3], v[2:3], off
	s_nop 0
	global_load_dwordx2 v[4:5], v[4:5], off
	s_waitcnt vmcnt(0)
	v_pk_mul_f32 v[8:9], v[4:5], v[2:3] op_sel:[0,1]
	s_nop 0
	v_pk_fma_f32 v[10:11], v[4:5], v[2:3], v[8:9] op_sel:[0,0,1] op_sel_hi:[1,1,0] neg_lo:[0,0,1] neg_hi:[0,0,1]
	v_pk_fma_f32 v[2:3], v[4:5], v[2:3], v[8:9] op_sel:[0,0,1] op_sel_hi:[1,0,0]
	s_nop 0
	v_mov_b32_e32 v11, v3
	v_pk_add_f32 v[6:7], v[6:7], v[10:11]
.LBB129_14:
	s_or_b64 exec, exec, s[16:17]
	s_movk_i32 s0, 0x80
	v_lshlrev_b32_e32 v1, 3, v0
	v_cmp_gt_u32_e32 vcc, s0, v0
	ds_write_b64 v1, v[6:7]
	s_waitcnt lgkmcnt(0)
	s_barrier
	s_and_saveexec_b64 s[0:1], vcc
	s_cbranch_execz .LBB129_16
; %bb.15:
	ds_read2st64_b64 v[2:5], v1 offset1:2
	s_waitcnt lgkmcnt(0)
	v_pk_add_f32 v[2:3], v[4:5], v[2:3]
	ds_write_b64 v1, v[2:3]
.LBB129_16:
	s_or_b64 exec, exec, s[0:1]
	v_cmp_gt_u32_e32 vcc, 64, v0
	s_waitcnt lgkmcnt(0)
	s_barrier
	s_and_saveexec_b64 s[0:1], vcc
	s_cbranch_execz .LBB129_18
; %bb.17:
	ds_read2st64_b64 v[2:5], v1 offset1:1
	s_waitcnt lgkmcnt(0)
	v_pk_add_f32 v[2:3], v[4:5], v[2:3]
	ds_write_b64 v1, v[2:3]
.LBB129_18:
	s_or_b64 exec, exec, s[0:1]
	v_cmp_gt_u32_e32 vcc, 32, v0
	s_waitcnt lgkmcnt(0)
	s_barrier
	s_and_saveexec_b64 s[0:1], vcc
	s_cbranch_execz .LBB129_20
; %bb.19:
	ds_read2_b64 v[2:5], v1 offset1:32
	s_waitcnt lgkmcnt(0)
	v_pk_add_f32 v[2:3], v[4:5], v[2:3]
	ds_write_b64 v1, v[2:3]
.LBB129_20:
	s_or_b64 exec, exec, s[0:1]
	v_cmp_gt_u32_e32 vcc, 16, v0
	s_waitcnt lgkmcnt(0)
	s_barrier
	s_and_saveexec_b64 s[0:1], vcc
	s_cbranch_execz .LBB129_22
; %bb.21:
	ds_read2_b64 v[2:5], v1 offset1:16
	s_waitcnt lgkmcnt(0)
	v_pk_add_f32 v[2:3], v[4:5], v[2:3]
	ds_write_b64 v1, v[2:3]
.LBB129_22:
	;; [unrolled: 12-line block ×5, first 2 shown]
	s_or_b64 exec, exec, s[0:1]
	v_cmp_eq_u32_e32 vcc, 0, v0
	s_waitcnt lgkmcnt(0)
	s_barrier
	s_and_saveexec_b64 s[0:1], vcc
	s_cbranch_execz .LBB129_30
; %bb.29:
	v_mov_b32_e32 v4, 0
	ds_read_b128 v[0:3], v4
	s_waitcnt lgkmcnt(0)
	v_pk_add_f32 v[0:1], v[2:3], v[0:1]
	ds_write_b64 v4, v[0:1]
.LBB129_30:
	s_or_b64 exec, exec, s[0:1]
	s_waitcnt lgkmcnt(0)
	s_barrier
	s_and_saveexec_b64 s[0:1], vcc
	s_cbranch_execz .LBB129_35
; %bb.31:
	v_mov_b32_e32 v4, 0
	ds_read_b64 v[2:3], v4
	v_cmp_neq_f32_e64 s[4:5], s8, 0
	v_cmp_neq_f32_e64 s[6:7], s9, 0
	s_mov_b32 s0, s11
	s_or_b64 s[4:5], s[4:5], s[6:7]
	s_waitcnt lgkmcnt(0)
	v_pk_mul_f32 v[0:1], v[2:3], s[10:11]
	v_mov_b32_e32 v6, v3
	v_mov_b32_e32 v0, v1
	v_pk_mul_f32 v[6:7], v[6:7], s[10:11]
	v_pk_fma_f32 v[0:1], v[2:3], s[10:11], v[0:1] neg_lo:[0,0,1] neg_hi:[0,0,1]
	v_pk_fma_f32 v[2:3], v[2:3], s[0:1], v[6:7]
	s_mul_hi_i32 s1, s24, s2
	s_andn2_b64 vcc, exec, s[4:5]
	s_mul_i32 s0, s24, s2
	s_cbranch_vccnz .LBB129_33
; %bb.32:
	s_lshl_b64 s[2:3], s[0:1], 3
	s_add_u32 s2, s22, s2
	s_addc_u32 s3, s23, s3
	global_load_dwordx2 v[6:7], v4, s[2:3]
	s_waitcnt vmcnt(0)
	v_pk_mul_f32 v[8:9], s[8:9], v[6:7]
	v_mul_f32_e32 v1, s9, v6
	v_sub_f32_e32 v3, v8, v9
	v_fmac_f32_e32 v1, s8, v7
	v_add_f32_e32 v0, v0, v3
	v_add_f32_e32 v1, v2, v1
	s_branch .LBB129_34
.LBB129_33:
	v_mov_b32_e32 v1, v2
.LBB129_34:
	s_lshl_b64 s[0:1], s[0:1], 3
	s_add_u32 s0, s22, s0
	s_addc_u32 s1, s23, s1
	global_store_dwordx2 v4, v[0:1], s[0:1]
.LBB129_35:
	s_endpgm
	.section	.rodata,"a",@progbits
	.p2align	6, 0x0
	.amdhsa_kernel _ZL20rocblas_gemvt_kernelILb0ELi256E19rocblas_complex_numIfES1_S1_EviiT2_lPKT1_lilS5_lilS2_lPT3_lili
		.amdhsa_group_segment_fixed_size 2048
		.amdhsa_private_segment_fixed_size 0
		.amdhsa_kernarg_size 140
		.amdhsa_user_sgpr_count 2
		.amdhsa_user_sgpr_dispatch_ptr 0
		.amdhsa_user_sgpr_queue_ptr 0
		.amdhsa_user_sgpr_kernarg_segment_ptr 1
		.amdhsa_user_sgpr_dispatch_id 0
		.amdhsa_user_sgpr_kernarg_preload_length 0
		.amdhsa_user_sgpr_kernarg_preload_offset 0
		.amdhsa_user_sgpr_private_segment_size 0
		.amdhsa_uses_dynamic_stack 0
		.amdhsa_enable_private_segment 0
		.amdhsa_system_sgpr_workgroup_id_x 1
		.amdhsa_system_sgpr_workgroup_id_y 0
		.amdhsa_system_sgpr_workgroup_id_z 1
		.amdhsa_system_sgpr_workgroup_info 0
		.amdhsa_system_vgpr_workitem_id 0
		.amdhsa_next_free_vgpr 18
		.amdhsa_next_free_sgpr 26
		.amdhsa_accum_offset 20
		.amdhsa_reserve_vcc 1
		.amdhsa_float_round_mode_32 0
		.amdhsa_float_round_mode_16_64 0
		.amdhsa_float_denorm_mode_32 3
		.amdhsa_float_denorm_mode_16_64 3
		.amdhsa_dx10_clamp 1
		.amdhsa_ieee_mode 1
		.amdhsa_fp16_overflow 0
		.amdhsa_tg_split 0
		.amdhsa_exception_fp_ieee_invalid_op 0
		.amdhsa_exception_fp_denorm_src 0
		.amdhsa_exception_fp_ieee_div_zero 0
		.amdhsa_exception_fp_ieee_overflow 0
		.amdhsa_exception_fp_ieee_underflow 0
		.amdhsa_exception_fp_ieee_inexact 0
		.amdhsa_exception_int_div_zero 0
	.end_amdhsa_kernel
	.section	.text._ZL20rocblas_gemvt_kernelILb0ELi256E19rocblas_complex_numIfES1_S1_EviiT2_lPKT1_lilS5_lilS2_lPT3_lili,"axG",@progbits,_ZL20rocblas_gemvt_kernelILb0ELi256E19rocblas_complex_numIfES1_S1_EviiT2_lPKT1_lilS5_lilS2_lPT3_lili,comdat
.Lfunc_end129:
	.size	_ZL20rocblas_gemvt_kernelILb0ELi256E19rocblas_complex_numIfES1_S1_EviiT2_lPKT1_lilS5_lilS2_lPT3_lili, .Lfunc_end129-_ZL20rocblas_gemvt_kernelILb0ELi256E19rocblas_complex_numIfES1_S1_EviiT2_lPKT1_lilS5_lilS2_lPT3_lili
                                        ; -- End function
	.section	.AMDGPU.csdata,"",@progbits
; Kernel info:
; codeLenInByte = 1456
; NumSgprs: 32
; NumVgprs: 18
; NumAgprs: 0
; TotalNumVgprs: 18
; ScratchSize: 0
; MemoryBound: 0
; FloatMode: 240
; IeeeMode: 1
; LDSByteSize: 2048 bytes/workgroup (compile time only)
; SGPRBlocks: 3
; VGPRBlocks: 2
; NumSGPRsForWavesPerEU: 32
; NumVGPRsForWavesPerEU: 18
; AccumOffset: 20
; Occupancy: 8
; WaveLimiterHint : 1
; COMPUTE_PGM_RSRC2:SCRATCH_EN: 0
; COMPUTE_PGM_RSRC2:USER_SGPR: 2
; COMPUTE_PGM_RSRC2:TRAP_HANDLER: 0
; COMPUTE_PGM_RSRC2:TGID_X_EN: 1
; COMPUTE_PGM_RSRC2:TGID_Y_EN: 0
; COMPUTE_PGM_RSRC2:TGID_Z_EN: 1
; COMPUTE_PGM_RSRC2:TIDIG_COMP_CNT: 0
; COMPUTE_PGM_RSRC3_GFX90A:ACCUM_OFFSET: 4
; COMPUTE_PGM_RSRC3_GFX90A:TG_SPLIT: 0
	.section	.text._ZL32rocblas_gemvt_warp_reduce_kernelILb0ELi1024Ei19rocblas_complex_numIfEPKS1_S1_EviiT3_lPKT2_lT1_lS7_lS8_lS4_lPT4_lS8_li,"axG",@progbits,_ZL32rocblas_gemvt_warp_reduce_kernelILb0ELi1024Ei19rocblas_complex_numIfEPKS1_S1_EviiT3_lPKT2_lT1_lS7_lS8_lS4_lPT4_lS8_li,comdat
	.globl	_ZL32rocblas_gemvt_warp_reduce_kernelILb0ELi1024Ei19rocblas_complex_numIfEPKS1_S1_EviiT3_lPKT2_lT1_lS7_lS8_lS4_lPT4_lS8_li ; -- Begin function _ZL32rocblas_gemvt_warp_reduce_kernelILb0ELi1024Ei19rocblas_complex_numIfEPKS1_S1_EviiT3_lPKT2_lT1_lS7_lS8_lS4_lPT4_lS8_li
	.p2align	8
	.type	_ZL32rocblas_gemvt_warp_reduce_kernelILb0ELi1024Ei19rocblas_complex_numIfEPKS1_S1_EviiT3_lPKT2_lT1_lS7_lS8_lS4_lPT4_lS8_li,@function
_ZL32rocblas_gemvt_warp_reduce_kernelILb0ELi1024Ei19rocblas_complex_numIfEPKS1_S1_EviiT3_lPKT2_lT1_lS7_lS8_lS4_lPT4_lS8_li: ; @_ZL32rocblas_gemvt_warp_reduce_kernelILb0ELi1024Ei19rocblas_complex_numIfEPKS1_S1_EviiT3_lPKT2_lT1_lS7_lS8_lS4_lPT4_lS8_li
; %bb.0:
	s_load_dwordx8 s[4:11], s[0:1], 0x8
	s_load_dwordx8 s[12:19], s[0:1], 0x50
	s_waitcnt lgkmcnt(0)
	s_mul_i32 s7, s3, s7
	s_mul_hi_u32 s20, s3, s6
	s_add_i32 s7, s20, s7
	s_mul_i32 s6, s3, s6
	s_lshl_b64 s[6:7], s[6:7], 3
	s_add_u32 s4, s4, s6
	s_addc_u32 s5, s5, s7
	s_mul_i32 s6, s3, s17
	s_mul_hi_u32 s7, s3, s16
	s_add_i32 s7, s7, s6
	s_mul_i32 s6, s3, s16
	s_lshl_b64 s[16:17], s[6:7], 3
	s_load_dwordx2 s[6:7], s[4:5], 0x0
	s_add_u32 s4, s14, s16
	s_addc_u32 s5, s15, s17
	s_load_dwordx2 s[4:5], s[4:5], 0x0
	s_waitcnt lgkmcnt(0)
	v_cmp_eq_f32_e64 s[14:15], s6, 0
	v_cmp_eq_f32_e64 s[16:17], s7, 0
	s_and_b64 s[14:15], s[14:15], s[16:17]
	v_cmp_eq_f32_e64 s[16:17], s4, 1.0
	v_cmp_eq_f32_e64 s[20:21], s5, 0
	s_and_b64 s[16:17], s[16:17], s[20:21]
	s_and_b64 s[14:15], s[14:15], s[16:17]
	s_and_b64 vcc, exec, s[14:15]
	s_cbranch_vccnz .LBB130_21
; %bb.1:
	s_load_dwordx2 s[14:15], s[0:1], 0x80
	s_load_dwordx2 s[16:17], s[0:1], 0x70
	s_load_dword s20, s[0:1], 0x78
	v_cmp_eq_u32_e32 vcc, 0, v0
	s_waitcnt lgkmcnt(0)
	s_mul_i32 s15, s3, s15
	s_mul_hi_u32 s21, s3, s14
	s_mul_i32 s14, s3, s14
	s_add_i32 s15, s21, s15
	s_lshl_b64 s[14:15], s[14:15], 3
	s_add_u32 s18, s18, s14
	s_addc_u32 s19, s19, s15
	s_lshl_b64 s[14:15], s[16:17], 3
	s_add_u32 s18, s18, s14
	s_addc_u32 s19, s19, s15
	s_or_b32 s14, s6, s7
	s_bitset0_b32 s14, 31
	s_cmp_lg_u32 s14, 0
	s_mov_b64 s[14:15], -1
	s_cbranch_scc1 .LBB130_7
; %bb.2:
	s_and_saveexec_b64 s[14:15], vcc
	s_cbranch_execz .LBB130_6
; %bb.3:
	v_cmp_neq_f32_e64 s[22:23], s4, 0
	v_cmp_neq_f32_e64 s[24:25], s5, 0
	s_mul_i32 s16, s2, s20
	s_or_b64 s[22:23], s[22:23], s[24:25]
	s_ashr_i32 s17, s16, 31
	v_mov_b32_e32 v1, 0
	s_andn2_b64 vcc, exec, s[22:23]
	v_mov_b32_e32 v2, 0
	v_mov_b32_e32 v3, 0
	s_cbranch_vccnz .LBB130_5
; %bb.4:
	s_lshl_b64 s[22:23], s[16:17], 3
	s_add_u32 s22, s18, s22
	s_addc_u32 s23, s19, s23
	s_load_dwordx2 s[22:23], s[22:23], 0x0
	s_waitcnt lgkmcnt(0)
	v_mov_b64_e32 v[4:5], s[22:23]
	v_pk_mul_f32 v[6:7], s[4:5], v[4:5] op_sel:[0,1]
	s_nop 0
	v_pk_fma_f32 v[2:3], s[4:5], v[4:5], v[6:7] op_sel:[0,0,1] op_sel_hi:[1,1,0] neg_lo:[0,0,1] neg_hi:[0,0,1]
	v_pk_fma_f32 v[4:5], s[4:5], v[4:5], v[6:7] op_sel:[0,0,1] op_sel_hi:[1,0,0]
	s_nop 0
	v_mov_b32_e32 v3, v5
.LBB130_5:
	s_lshl_b64 s[16:17], s[16:17], 3
	s_add_u32 s16, s18, s16
	s_addc_u32 s17, s19, s17
	global_store_dwordx2 v1, v[2:3], s[16:17]
.LBB130_6:
	s_or_b64 exec, exec, s[14:15]
	s_mov_b64 s[14:15], 0
.LBB130_7:
	s_andn2_b64 vcc, exec, s[14:15]
	s_cbranch_vccnz .LBB130_21
; %bb.8:
	s_load_dword s16, s[0:1], 0x0
	s_load_dword s21, s[0:1], 0x28
	s_load_dwordx4 s[24:27], s[0:1], 0x30
	s_load_dwordx2 s[14:15], s[0:1], 0x40
	s_mul_i32 s13, s3, s13
	s_mul_hi_u32 s17, s3, s12
	s_add_i32 s13, s17, s13
	s_mul_i32 s12, s3, s12
	s_lshl_b64 s[12:13], s[12:13], 3
	s_waitcnt lgkmcnt(0)
	s_add_u32 s17, s26, s12
	s_addc_u32 s22, s27, s13
	s_lshl_b64 s[12:13], s[14:15], 3
	s_add_u32 s12, s17, s12
	s_load_dword s17, s[0:1], 0x48
	s_mul_i32 s0, s3, s25
	s_mul_hi_u32 s1, s3, s24
	s_addc_u32 s13, s22, s13
	s_add_i32 s1, s1, s0
	s_mul_i32 s0, s3, s24
	s_lshl_b64 s[0:1], s[0:1], 3
	s_add_u32 s3, s8, s0
	s_addc_u32 s8, s9, s1
	s_lshl_b64 s[0:1], s[10:11], 3
	s_add_u32 s3, s3, s0
	s_mul_i32 s0, s2, s21
	s_addc_u32 s9, s8, s1
	s_ashr_i32 s1, s0, 31
	v_cmp_gt_i32_e32 vcc, s16, v0
	s_lshl_b64 s[0:1], s[0:1], 3
	v_mov_b32_e32 v6, 0
	v_cndmask_b32_e32 v1, 0, v0, vcc
	s_add_u32 s0, s0, s3
	v_lshlrev_b32_e32 v2, 3, v1
	v_mov_b32_e32 v3, v6
	s_addc_u32 s1, s1, s9
	v_lshl_add_u64 v[2:3], s[0:1], 0, v[2:3]
	s_ashr_i32 s0, s16, 31
	s_lshr_b32 s0, s0, 22
	s_mov_b32 s8, 0
	s_add_i32 s0, s16, s0
	s_and_b32 s0, s0, 0xfffffc00
	s_mov_b32 s9, s8
	v_cmp_gt_i32_e32 vcc, s0, v0
	v_mov_b64_e32 v[4:5], s[8:9]
	s_and_saveexec_b64 s[8:9], vcc
	s_cbranch_execz .LBB130_12
; %bb.9:
	s_waitcnt lgkmcnt(0)
	v_mul_lo_u32 v4, v0, s17
	s_lshl_b32 s1, s17, 10
	s_mov_b64 s[10:11], 0
	s_mov_b64 s[14:15], 0x2000
	v_mov_b64_e32 v[8:9], v[2:3]
	v_mov_b32_e32 v1, v0
	v_mov_b32_e32 v7, v6
.LBB130_10:                             ; =>This Inner Loop Header: Depth=1
	v_ashrrev_i32_e32 v5, 31, v4
	v_lshl_add_u64 v[12:13], v[4:5], 3, s[12:13]
	global_load_dwordx2 v[10:11], v[8:9], off
	v_add_u32_e32 v1, 0x400, v1
	global_load_dwordx2 v[12:13], v[12:13], off
	v_cmp_le_i32_e32 vcc, s0, v1
	v_lshl_add_u64 v[8:9], v[8:9], 0, s[14:15]
	v_add_u32_e32 v4, s1, v4
	s_or_b64 s[10:11], vcc, s[10:11]
	s_waitcnt vmcnt(0)
	v_mul_f32_e32 v5, v13, v11
	v_mul_f32_e32 v15, v12, v11
	v_fma_f32 v14, v12, v10, -v5
	v_fmac_f32_e32 v15, v13, v10
	v_pk_add_f32 v[6:7], v[6:7], v[14:15]
	s_andn2_b64 exec, exec, s[10:11]
	s_cbranch_execnz .LBB130_10
; %bb.11:
	s_or_b64 exec, exec, s[10:11]
	v_mov_b64_e32 v[4:5], v[6:7]
.LBB130_12:
	s_or_b64 exec, exec, s[8:9]
	v_or_b32_e32 v1, s0, v0
	v_cmp_gt_i32_e32 vcc, s16, v1
	s_and_saveexec_b64 s[8:9], vcc
	s_cbranch_execz .LBB130_14
; %bb.13:
	s_waitcnt lgkmcnt(0)
	v_mul_lo_u32 v6, v1, s17
	s_ashr_i32 s1, s0, 31
	v_ashrrev_i32_e32 v7, 31, v6
	v_lshl_add_u64 v[2:3], s[0:1], 3, v[2:3]
	v_lshl_add_u64 v[6:7], v[6:7], 3, s[12:13]
	global_load_dwordx2 v[2:3], v[2:3], off
	s_nop 0
	global_load_dwordx2 v[6:7], v[6:7], off
	s_waitcnt vmcnt(0)
	v_pk_mul_f32 v[8:9], v[6:7], v[2:3] op_sel:[0,1]
	s_nop 0
	v_pk_fma_f32 v[10:11], v[6:7], v[2:3], v[8:9] op_sel:[0,0,1] op_sel_hi:[1,1,0] neg_lo:[0,0,1] neg_hi:[0,0,1]
	v_pk_fma_f32 v[2:3], v[6:7], v[2:3], v[8:9] op_sel:[0,0,1] op_sel_hi:[1,0,0]
	s_nop 0
	v_mov_b32_e32 v11, v3
	v_pk_add_f32 v[4:5], v[4:5], v[10:11]
.LBB130_14:
	s_or_b64 exec, exec, s[8:9]
	v_and_b32_e32 v6, 63, v0
	v_cmp_gt_u32_e32 vcc, 64, v0
	v_lshlrev_b32_e32 v1, 3, v6
	s_and_saveexec_b64 s[0:1], vcc
	s_cbranch_execz .LBB130_16
; %bb.15:
	v_mov_b32_e32 v2, 0
	v_mov_b32_e32 v3, v2
	ds_write_b64 v1, v[2:3]
.LBB130_16:
	s_or_b64 exec, exec, s[0:1]
	v_mbcnt_lo_u32_b32 v2, -1, 0
	v_mbcnt_hi_u32_b32 v10, -1, v2
	v_and_b32_e32 v11, 63, v10
	v_cmp_gt_u32_e64 s[0:1], 32, v11
	s_mov_b32 s8, 0
	s_waitcnt lgkmcnt(0)
	v_cndmask_b32_e64 v2, 0, 1, s[0:1]
	v_lshlrev_b32_e32 v2, 5, v2
	v_add_lshl_u32 v3, v2, v10, 2
	ds_bpermute_b32 v2, v3, v4
	ds_bpermute_b32 v3, v3, v5
	v_cmp_gt_u32_e64 s[0:1], 48, v11
	s_barrier
	s_waitcnt lgkmcnt(0)
	v_cndmask_b32_e64 v7, 0, 1, s[0:1]
	v_lshlrev_b32_e32 v7, 4, v7
	v_add_lshl_u32 v7, v7, v10, 2
	v_pk_add_f32 v[2:3], v[4:5], v[2:3]
	ds_bpermute_b32 v4, v7, v2
	ds_bpermute_b32 v5, v7, v3
	v_cmp_gt_u32_e64 s[0:1], 56, v11
	s_waitcnt lgkmcnt(0)
	v_pk_add_f32 v[2:3], v[2:3], v[4:5]
	v_cndmask_b32_e64 v7, 0, 1, s[0:1]
	v_lshlrev_b32_e32 v7, 3, v7
	v_add_lshl_u32 v7, v7, v10, 2
	ds_bpermute_b32 v4, v7, v2
	ds_bpermute_b32 v5, v7, v3
	v_cmp_gt_u32_e64 s[0:1], 60, v11
	s_waitcnt lgkmcnt(0)
	v_pk_add_f32 v[2:3], v[2:3], v[4:5]
	v_cndmask_b32_e64 v8, 0, 1, s[0:1]
	v_lshlrev_b32_e32 v8, 2, v8
	v_add_lshl_u32 v8, v8, v10, 2
	;; [unrolled: 8-line block ×3, first 2 shown]
	ds_bpermute_b32 v4, v9, v2
	ds_bpermute_b32 v5, v9, v3
	v_cmp_ne_u32_e64 s[0:1], 63, v11
	s_waitcnt lgkmcnt(0)
	v_pk_add_f32 v[2:3], v[2:3], v[4:5]
	v_addc_co_u32_e64 v4, s[0:1], 0, v10, s[0:1]
	v_lshlrev_b32_e32 v10, 2, v4
	ds_bpermute_b32 v4, v10, v2
	ds_bpermute_b32 v5, v10, v3
	v_cmp_eq_u32_e64 s[0:1], 0, v6
	s_and_saveexec_b64 s[10:11], s[0:1]
	s_cbranch_execz .LBB130_18
; %bb.17:
	v_lshrrev_b32_e32 v6, 3, v0
	v_and_b32_e32 v6, 0x78, v6
	s_waitcnt lgkmcnt(0)
	v_pk_add_f32 v[2:3], v[2:3], v[4:5]
	ds_write_b64 v6, v[2:3]
.LBB130_18:
	s_or_b64 exec, exec, s[10:11]
	s_mov_b32 s9, s8
	v_cmp_gt_u32_e64 s[0:1], 16, v0
	v_mov_b64_e32 v[2:3], s[8:9]
	s_waitcnt lgkmcnt(0)
	s_barrier
	s_and_saveexec_b64 s[8:9], s[0:1]
	s_cbranch_execnz .LBB130_22
; %bb.19:
	s_or_b64 exec, exec, s[8:9]
	s_and_saveexec_b64 s[0:1], vcc
	s_cbranch_execnz .LBB130_23
.LBB130_20:
	s_or_b64 exec, exec, s[0:1]
	v_cmp_eq_u32_e32 vcc, 0, v0
	s_and_saveexec_b64 s[0:1], vcc
	s_cbranch_execnz .LBB130_24
.LBB130_21:
	s_endpgm
.LBB130_22:
	ds_read_b64 v[2:3], v1
	s_or_b64 exec, exec, s[8:9]
	s_and_saveexec_b64 s[0:1], vcc
	s_cbranch_execz .LBB130_20
.LBB130_23:
	s_waitcnt lgkmcnt(0)
	ds_bpermute_b32 v4, v7, v2
	ds_bpermute_b32 v5, v7, v3
	s_waitcnt lgkmcnt(0)
	v_pk_add_f32 v[2:3], v[2:3], v[4:5]
	ds_bpermute_b32 v4, v8, v2
	ds_bpermute_b32 v5, v8, v3
	s_waitcnt lgkmcnt(0)
	v_pk_add_f32 v[2:3], v[2:3], v[4:5]
	;; [unrolled: 4-line block ×4, first 2 shown]
	s_or_b64 exec, exec, s[0:1]
	v_cmp_eq_u32_e32 vcc, 0, v0
	s_and_saveexec_b64 s[0:1], vcc
	s_cbranch_execz .LBB130_21
.LBB130_24:
	v_cmp_neq_f32_e64 s[8:9], s4, 0
	v_cmp_neq_f32_e64 s[10:11], s5, 0
	s_waitcnt lgkmcnt(0)
	v_pk_mul_f32 v[4:5], v[2:3], s[6:7] op_sel:[1,0]
	s_mul_i32 s0, s2, s20
	s_or_b64 s[2:3], s[8:9], s[10:11]
	v_pk_fma_f32 v[0:1], v[2:3], s[6:7], v[4:5] op_sel:[0,0,1] op_sel_hi:[0,1,0] neg_lo:[0,0,1] neg_hi:[0,0,1]
	v_pk_fma_f32 v[2:3], v[2:3], s[6:7], v[4:5] op_sel:[0,0,1] op_sel_hi:[0,1,0]
	s_andn2_b64 vcc, exec, s[2:3]
	s_ashr_i32 s1, s0, 31
	s_cbranch_vccnz .LBB130_26
; %bb.25:
	s_lshl_b64 s[2:3], s[0:1], 3
	s_add_u32 s2, s18, s2
	s_addc_u32 s3, s19, s3
	v_mov_b32_e32 v1, 0
	global_load_dwordx2 v[4:5], v1, s[2:3]
	v_mov_b32_e32 v1, v3
	s_waitcnt vmcnt(0)
	v_pk_mul_f32 v[2:3], s[4:5], v[4:5] op_sel:[0,1]
	s_nop 0
	v_pk_fma_f32 v[6:7], s[4:5], v[4:5], v[2:3] op_sel:[0,0,1] op_sel_hi:[1,1,0] neg_lo:[0,0,1] neg_hi:[0,0,1]
	v_pk_fma_f32 v[2:3], s[4:5], v[4:5], v[2:3] op_sel:[0,0,1] op_sel_hi:[1,0,0]
	s_nop 0
	v_mov_b32_e32 v7, v3
	v_pk_add_f32 v[0:1], v[0:1], v[6:7]
	s_nop 0
	v_mov_b32_e32 v3, v1
.LBB130_26:
	s_lshl_b64 s[0:1], s[0:1], 3
	s_add_u32 s0, s18, s0
	s_addc_u32 s1, s19, s1
	v_mov_b32_e32 v2, 0
	v_mov_b32_e32 v1, v3
	global_store_dwordx2 v2, v[0:1], s[0:1]
	s_endpgm
	.section	.rodata,"a",@progbits
	.p2align	6, 0x0
	.amdhsa_kernel _ZL32rocblas_gemvt_warp_reduce_kernelILb0ELi1024Ei19rocblas_complex_numIfEPKS1_S1_EviiT3_lPKT2_lT1_lS7_lS8_lS4_lPT4_lS8_li
		.amdhsa_group_segment_fixed_size 512
		.amdhsa_private_segment_fixed_size 0
		.amdhsa_kernarg_size 140
		.amdhsa_user_sgpr_count 2
		.amdhsa_user_sgpr_dispatch_ptr 0
		.amdhsa_user_sgpr_queue_ptr 0
		.amdhsa_user_sgpr_kernarg_segment_ptr 1
		.amdhsa_user_sgpr_dispatch_id 0
		.amdhsa_user_sgpr_kernarg_preload_length 0
		.amdhsa_user_sgpr_kernarg_preload_offset 0
		.amdhsa_user_sgpr_private_segment_size 0
		.amdhsa_uses_dynamic_stack 0
		.amdhsa_enable_private_segment 0
		.amdhsa_system_sgpr_workgroup_id_x 1
		.amdhsa_system_sgpr_workgroup_id_y 0
		.amdhsa_system_sgpr_workgroup_id_z 1
		.amdhsa_system_sgpr_workgroup_info 0
		.amdhsa_system_vgpr_workitem_id 0
		.amdhsa_next_free_vgpr 16
		.amdhsa_next_free_sgpr 28
		.amdhsa_accum_offset 16
		.amdhsa_reserve_vcc 1
		.amdhsa_float_round_mode_32 0
		.amdhsa_float_round_mode_16_64 0
		.amdhsa_float_denorm_mode_32 3
		.amdhsa_float_denorm_mode_16_64 3
		.amdhsa_dx10_clamp 1
		.amdhsa_ieee_mode 1
		.amdhsa_fp16_overflow 0
		.amdhsa_tg_split 0
		.amdhsa_exception_fp_ieee_invalid_op 0
		.amdhsa_exception_fp_denorm_src 0
		.amdhsa_exception_fp_ieee_div_zero 0
		.amdhsa_exception_fp_ieee_overflow 0
		.amdhsa_exception_fp_ieee_underflow 0
		.amdhsa_exception_fp_ieee_inexact 0
		.amdhsa_exception_int_div_zero 0
	.end_amdhsa_kernel
	.section	.text._ZL32rocblas_gemvt_warp_reduce_kernelILb0ELi1024Ei19rocblas_complex_numIfEPKS1_S1_EviiT3_lPKT2_lT1_lS7_lS8_lS4_lPT4_lS8_li,"axG",@progbits,_ZL32rocblas_gemvt_warp_reduce_kernelILb0ELi1024Ei19rocblas_complex_numIfEPKS1_S1_EviiT3_lPKT2_lT1_lS7_lS8_lS4_lPT4_lS8_li,comdat
.Lfunc_end130:
	.size	_ZL32rocblas_gemvt_warp_reduce_kernelILb0ELi1024Ei19rocblas_complex_numIfEPKS1_S1_EviiT3_lPKT2_lT1_lS7_lS8_lS4_lPT4_lS8_li, .Lfunc_end130-_ZL32rocblas_gemvt_warp_reduce_kernelILb0ELi1024Ei19rocblas_complex_numIfEPKS1_S1_EviiT3_lPKT2_lT1_lS7_lS8_lS4_lPT4_lS8_li
                                        ; -- End function
	.section	.AMDGPU.csdata,"",@progbits
; Kernel info:
; codeLenInByte = 1720
; NumSgprs: 34
; NumVgprs: 16
; NumAgprs: 0
; TotalNumVgprs: 16
; ScratchSize: 0
; MemoryBound: 0
; FloatMode: 240
; IeeeMode: 1
; LDSByteSize: 512 bytes/workgroup (compile time only)
; SGPRBlocks: 4
; VGPRBlocks: 1
; NumSGPRsForWavesPerEU: 34
; NumVGPRsForWavesPerEU: 16
; AccumOffset: 16
; Occupancy: 8
; WaveLimiterHint : 1
; COMPUTE_PGM_RSRC2:SCRATCH_EN: 0
; COMPUTE_PGM_RSRC2:USER_SGPR: 2
; COMPUTE_PGM_RSRC2:TRAP_HANDLER: 0
; COMPUTE_PGM_RSRC2:TGID_X_EN: 1
; COMPUTE_PGM_RSRC2:TGID_Y_EN: 0
; COMPUTE_PGM_RSRC2:TGID_Z_EN: 1
; COMPUTE_PGM_RSRC2:TIDIG_COMP_CNT: 0
; COMPUTE_PGM_RSRC3_GFX90A:ACCUM_OFFSET: 3
; COMPUTE_PGM_RSRC3_GFX90A:TG_SPLIT: 0
	.section	.text._ZL32rocblas_gemvt_warp_reduce_kernelILb0ELi1024El19rocblas_complex_numIfEPKS1_S1_EviiT3_lPKT2_lT1_lS7_lS8_lS4_lPT4_lS8_li,"axG",@progbits,_ZL32rocblas_gemvt_warp_reduce_kernelILb0ELi1024El19rocblas_complex_numIfEPKS1_S1_EviiT3_lPKT2_lT1_lS7_lS8_lS4_lPT4_lS8_li,comdat
	.globl	_ZL32rocblas_gemvt_warp_reduce_kernelILb0ELi1024El19rocblas_complex_numIfEPKS1_S1_EviiT3_lPKT2_lT1_lS7_lS8_lS4_lPT4_lS8_li ; -- Begin function _ZL32rocblas_gemvt_warp_reduce_kernelILb0ELi1024El19rocblas_complex_numIfEPKS1_S1_EviiT3_lPKT2_lT1_lS7_lS8_lS4_lPT4_lS8_li
	.p2align	8
	.type	_ZL32rocblas_gemvt_warp_reduce_kernelILb0ELi1024El19rocblas_complex_numIfEPKS1_S1_EviiT3_lPKT2_lT1_lS7_lS8_lS4_lPT4_lS8_li,@function
_ZL32rocblas_gemvt_warp_reduce_kernelILb0ELi1024El19rocblas_complex_numIfEPKS1_S1_EviiT3_lPKT2_lT1_lS7_lS8_lS4_lPT4_lS8_li: ; @_ZL32rocblas_gemvt_warp_reduce_kernelILb0ELi1024El19rocblas_complex_numIfEPKS1_S1_EviiT3_lPKT2_lT1_lS7_lS8_lS4_lPT4_lS8_li
; %bb.0:
	s_load_dwordx16 s[36:51], s[0:1], 0x8
	s_load_dwordx16 s[4:19], s[0:1], 0x48
	s_waitcnt lgkmcnt(0)
	s_mul_i32 s20, s3, s39
	s_mul_hi_u32 s21, s3, s38
	s_add_i32 s21, s21, s20
	s_mul_i32 s20, s3, s38
	s_lshl_b64 s[20:21], s[20:21], 3
	s_add_u32 s20, s36, s20
	s_mul_i32 s11, s3, s11
	s_mul_hi_u32 s22, s3, s10
	s_addc_u32 s21, s37, s21
	s_add_i32 s11, s22, s11
	s_mul_i32 s10, s3, s10
	s_lshl_b64 s[22:23], s[10:11], 3
	s_add_u32 s8, s8, s22
	s_load_dwordx2 s[10:11], s[20:21], 0x0
	s_addc_u32 s9, s9, s23
	s_load_dwordx2 s[8:9], s[8:9], 0x0
	s_waitcnt lgkmcnt(0)
	v_cmp_eq_f32_e64 s[20:21], s10, 0
	v_cmp_eq_f32_e64 s[22:23], s11, 0
	s_and_b64 s[20:21], s[20:21], s[22:23]
	v_cmp_eq_f32_e64 s[22:23], s8, 1.0
	v_cmp_eq_f32_e64 s[24:25], s9, 0
	s_and_b64 s[22:23], s[22:23], s[24:25]
	s_and_b64 s[20:21], s[20:21], s[22:23]
	s_and_b64 vcc, exec, s[20:21]
	s_cbranch_vccnz .LBB131_21
; %bb.1:
	s_mul_i32 s19, s3, s19
	s_mul_hi_u32 s20, s3, s18
	s_add_i32 s19, s20, s19
	s_mul_i32 s18, s3, s18
	s_lshl_b64 s[18:19], s[18:19], 3
	s_add_u32 s18, s12, s18
	s_addc_u32 s19, s13, s19
	s_lshl_b64 s[12:13], s[14:15], 3
	s_add_u32 s22, s18, s12
	s_addc_u32 s23, s19, s13
	s_or_b32 s12, s10, s11
	s_bitset0_b32 s12, 31
	s_cmp_lg_u32 s12, 0
	s_mov_b64 s[12:13], -1
	v_cmp_eq_u32_e32 vcc, 0, v0
	s_cbranch_scc1 .LBB131_7
; %bb.2:
	s_and_saveexec_b64 s[12:13], vcc
	s_cbranch_execz .LBB131_6
; %bb.3:
	v_cmp_neq_f32_e64 s[18:19], s8, 0
	v_cmp_neq_f32_e64 s[20:21], s9, 0
	s_ashr_i32 s14, s2, 31
	s_mul_i32 s15, s2, s17
	s_mul_hi_u32 s24, s2, s16
	s_add_i32 s15, s24, s15
	s_mul_i32 s14, s14, s16
	s_or_b64 s[18:19], s[18:19], s[20:21]
	s_add_i32 s15, s15, s14
	s_mul_i32 s14, s2, s16
	v_mov_b32_e32 v1, 0
	s_andn2_b64 vcc, exec, s[18:19]
	v_mov_b32_e32 v2, 0
	v_mov_b32_e32 v3, 0
	s_cbranch_vccnz .LBB131_5
; %bb.4:
	s_lshl_b64 s[18:19], s[14:15], 3
	s_add_u32 s18, s22, s18
	s_addc_u32 s19, s23, s19
	s_load_dwordx2 s[18:19], s[18:19], 0x0
	s_waitcnt lgkmcnt(0)
	v_mov_b64_e32 v[4:5], s[18:19]
	v_pk_mul_f32 v[6:7], s[8:9], v[4:5] op_sel:[0,1]
	s_nop 0
	v_pk_fma_f32 v[2:3], s[8:9], v[4:5], v[6:7] op_sel:[0,0,1] op_sel_hi:[1,1,0] neg_lo:[0,0,1] neg_hi:[0,0,1]
	v_pk_fma_f32 v[4:5], s[8:9], v[4:5], v[6:7] op_sel:[0,0,1] op_sel_hi:[1,0,0]
	s_nop 0
	v_mov_b32_e32 v3, v5
.LBB131_5:
	s_lshl_b64 s[14:15], s[14:15], 3
	s_add_u32 s14, s22, s14
	s_addc_u32 s15, s23, s15
	global_store_dwordx2 v1, v[2:3], s[14:15]
.LBB131_6:
	s_or_b64 exec, exec, s[12:13]
	s_mov_b64 s[12:13], 0
.LBB131_7:
	s_andn2_b64 vcc, exec, s[12:13]
	s_cbranch_vccnz .LBB131_21
; %bb.8:
	s_mul_i32 s7, s3, s7
	s_mul_hi_u32 s12, s3, s6
	s_add_i32 s7, s12, s7
	s_load_dword s1, s[0:1], 0x0
	s_mul_i32 s0, s3, s47
	s_mul_hi_u32 s12, s3, s46
	s_add_i32 s13, s12, s0
	s_mul_i32 s12, s3, s46
	s_lshl_b64 s[12:13], s[12:13], 3
	s_add_u32 s0, s40, s12
	s_mul_i32 s6, s3, s6
	s_addc_u32 s3, s41, s13
	s_lshl_b64 s[12:13], s[42:43], 3
	s_add_u32 s0, s0, s12
	s_addc_u32 s13, s3, s13
	s_ashr_i32 s3, s2, 31
	s_mul_i32 s14, s2, s45
	s_mul_hi_u32 s15, s2, s44
	s_add_i32 s14, s15, s14
	s_mul_i32 s15, s3, s44
	s_add_i32 s15, s14, s15
	s_mul_i32 s14, s2, s44
	s_lshl_b64 s[14:15], s[14:15], 3
	s_add_u32 s14, s14, s0
	s_addc_u32 s15, s15, s13
	s_waitcnt lgkmcnt(0)
	s_ashr_i32 s0, s1, 31
	v_cmp_gt_i32_e32 vcc, s1, v0
	s_lshr_b32 s0, s0, 22
	s_mov_b32 s12, 0
	v_cndmask_b32_e32 v1, 0, v0, vcc
	v_mov_b32_e32 v4, 0
	s_add_i32 s0, s1, s0
	v_lshlrev_b32_e32 v2, 3, v1
	v_mov_b32_e32 v3, v4
	s_and_b32 s0, s0, 0xfffffc00
	s_mov_b32 s13, s12
	v_lshl_add_u64 v[2:3], s[14:15], 0, v[2:3]
	v_cmp_gt_i32_e32 vcc, s0, v0
	v_mov_b64_e32 v[6:7], s[12:13]
	s_and_saveexec_b64 s[12:13], vcc
	s_cbranch_execz .LBB131_12
; %bb.9:
	v_mad_u64_u32 v[6:7], s[18:19], s4, v0, 0
	v_mov_b32_e32 v8, v7
	v_mad_u64_u32 v[8:9], s[18:19], s5, v0, v[8:9]
	s_lshl_b64 s[14:15], s[6:7], 3
	s_lshl_b64 s[18:19], s[50:51], 3
	s_add_u32 s18, s48, s18
	s_addc_u32 s19, s49, s19
	s_add_u32 s14, s18, s14
	v_mov_b32_e32 v7, v8
	s_addc_u32 s15, s19, s15
	v_lshl_add_u64 v[6:7], v[6:7], 3, s[14:15]
	v_lshl_add_u64 v[6:7], v[6:7], 0, 4
	s_lshl_b64 s[18:19], s[4:5], 13
	s_mov_b64 s[14:15], 0
	s_mov_b64 s[20:21], 0x2000
	v_mov_b64_e32 v[8:9], v[2:3]
	v_mov_b32_e32 v1, v0
	v_mov_b32_e32 v5, v4
.LBB131_10:                             ; =>This Inner Loop Header: Depth=1
	global_load_dwordx2 v[10:11], v[8:9], off
	global_load_dwordx2 v[12:13], v[6:7], off offset:-4
	v_add_u32_e32 v1, 0x400, v1
	v_cmp_le_i32_e32 vcc, s0, v1
	v_lshl_add_u64 v[8:9], v[8:9], 0, s[20:21]
	v_lshl_add_u64 v[6:7], v[6:7], 0, s[18:19]
	s_or_b64 s[14:15], vcc, s[14:15]
	s_waitcnt vmcnt(0)
	v_mul_f32_e32 v14, v13, v11
	v_mul_f32_e32 v15, v12, v11
	v_fma_f32 v14, v12, v10, -v14
	v_fmac_f32_e32 v15, v13, v10
	v_pk_add_f32 v[4:5], v[4:5], v[14:15]
	s_andn2_b64 exec, exec, s[14:15]
	s_cbranch_execnz .LBB131_10
; %bb.11:
	s_or_b64 exec, exec, s[14:15]
	v_mov_b64_e32 v[6:7], v[4:5]
.LBB131_12:
	s_or_b64 exec, exec, s[12:13]
	v_or_b32_e32 v1, s0, v0
	v_cmp_gt_i32_e32 vcc, s1, v1
	s_and_saveexec_b64 s[12:13], vcc
	s_cbranch_execz .LBB131_14
; %bb.13:
	s_lshl_b64 s[6:7], s[6:7], 3
	s_add_u32 s1, s48, s6
	s_addc_u32 s14, s49, s7
	s_lshl_b64 s[6:7], s[50:51], 3
	s_add_u32 s6, s1, s6
	s_addc_u32 s7, s14, s7
	s_ashr_i32 s1, s0, 31
	v_ashrrev_i32_e32 v4, 31, v1
	v_lshl_add_u64 v[2:3], s[0:1], 3, v[2:3]
	v_mul_lo_u32 v8, v1, s5
	v_mul_lo_u32 v9, v4, s4
	v_mad_u64_u32 v[4:5], s[0:1], v1, s4, 0
	v_add3_u32 v5, v5, v8, v9
	v_lshl_add_u64 v[4:5], v[4:5], 3, s[6:7]
	global_load_dwordx2 v[2:3], v[2:3], off
	s_nop 0
	global_load_dwordx2 v[4:5], v[4:5], off
	s_waitcnt vmcnt(0)
	v_pk_mul_f32 v[8:9], v[4:5], v[2:3] op_sel:[0,1]
	s_nop 0
	v_pk_fma_f32 v[10:11], v[4:5], v[2:3], v[8:9] op_sel:[0,0,1] op_sel_hi:[1,1,0] neg_lo:[0,0,1] neg_hi:[0,0,1]
	v_pk_fma_f32 v[2:3], v[4:5], v[2:3], v[8:9] op_sel:[0,0,1] op_sel_hi:[1,0,0]
	s_nop 0
	v_mov_b32_e32 v11, v3
	v_pk_add_f32 v[6:7], v[6:7], v[10:11]
.LBB131_14:
	s_or_b64 exec, exec, s[12:13]
	v_and_b32_e32 v8, 63, v0
	v_cmp_gt_u32_e32 vcc, 64, v0
	v_lshlrev_b32_e32 v1, 3, v8
	s_and_saveexec_b64 s[0:1], vcc
	s_cbranch_execz .LBB131_16
; %bb.15:
	v_mov_b32_e32 v2, 0
	v_mov_b32_e32 v3, v2
	ds_write_b64 v1, v[2:3]
.LBB131_16:
	s_or_b64 exec, exec, s[0:1]
	v_mbcnt_lo_u32_b32 v2, -1, 0
	v_mbcnt_hi_u32_b32 v10, -1, v2
	v_and_b32_e32 v11, 63, v10
	v_cmp_gt_u32_e64 s[0:1], 32, v11
	s_mov_b32 s4, 0
	s_waitcnt lgkmcnt(0)
	v_cndmask_b32_e64 v2, 0, 1, s[0:1]
	v_lshlrev_b32_e32 v2, 5, v2
	v_add_lshl_u32 v3, v2, v10, 2
	ds_bpermute_b32 v2, v3, v6
	ds_bpermute_b32 v3, v3, v7
	v_cmp_gt_u32_e64 s[0:1], 48, v11
	s_barrier
	s_waitcnt lgkmcnt(0)
	v_cndmask_b32_e64 v4, 0, 1, s[0:1]
	v_lshlrev_b32_e32 v4, 4, v4
	v_add_lshl_u32 v5, v4, v10, 2
	v_pk_add_f32 v[2:3], v[6:7], v[2:3]
	ds_bpermute_b32 v4, v5, v2
	ds_bpermute_b32 v5, v5, v3
	v_cmp_gt_u32_e64 s[0:1], 56, v11
	s_waitcnt lgkmcnt(0)
	v_pk_add_f32 v[2:3], v[2:3], v[4:5]
	v_cndmask_b32_e64 v6, 0, 1, s[0:1]
	v_lshlrev_b32_e32 v6, 3, v6
	v_add_lshl_u32 v6, v6, v10, 2
	ds_bpermute_b32 v4, v6, v2
	ds_bpermute_b32 v5, v6, v3
	v_cmp_gt_u32_e64 s[0:1], 60, v11
	s_waitcnt lgkmcnt(0)
	v_pk_add_f32 v[2:3], v[2:3], v[4:5]
	v_cndmask_b32_e64 v7, 0, 1, s[0:1]
	v_lshlrev_b32_e32 v7, 2, v7
	v_add_lshl_u32 v7, v7, v10, 2
	;; [unrolled: 8-line block ×3, first 2 shown]
	ds_bpermute_b32 v4, v9, v2
	ds_bpermute_b32 v5, v9, v3
	v_cmp_ne_u32_e64 s[0:1], 63, v11
	s_waitcnt lgkmcnt(0)
	v_pk_add_f32 v[2:3], v[2:3], v[4:5]
	v_addc_co_u32_e64 v4, s[0:1], 0, v10, s[0:1]
	v_lshlrev_b32_e32 v10, 2, v4
	ds_bpermute_b32 v4, v10, v2
	ds_bpermute_b32 v5, v10, v3
	v_cmp_eq_u32_e64 s[0:1], 0, v8
	s_and_saveexec_b64 s[6:7], s[0:1]
	s_cbranch_execz .LBB131_18
; %bb.17:
	v_lshrrev_b32_e32 v8, 3, v0
	v_and_b32_e32 v8, 0x78, v8
	s_waitcnt lgkmcnt(0)
	v_pk_add_f32 v[2:3], v[2:3], v[4:5]
	ds_write_b64 v8, v[2:3]
.LBB131_18:
	s_or_b64 exec, exec, s[6:7]
	s_mov_b32 s5, s4
	v_cmp_gt_u32_e64 s[0:1], 16, v0
	v_mov_b64_e32 v[2:3], s[4:5]
	s_waitcnt lgkmcnt(0)
	s_barrier
	s_and_saveexec_b64 s[4:5], s[0:1]
	s_cbranch_execnz .LBB131_22
; %bb.19:
	s_or_b64 exec, exec, s[4:5]
	s_and_saveexec_b64 s[0:1], vcc
	s_cbranch_execnz .LBB131_23
.LBB131_20:
	s_or_b64 exec, exec, s[0:1]
	v_cmp_eq_u32_e32 vcc, 0, v0
	s_and_saveexec_b64 s[0:1], vcc
	s_cbranch_execnz .LBB131_24
.LBB131_21:
	s_endpgm
.LBB131_22:
	ds_read_b64 v[2:3], v1
	s_or_b64 exec, exec, s[4:5]
	s_and_saveexec_b64 s[0:1], vcc
	s_cbranch_execz .LBB131_20
.LBB131_23:
	s_waitcnt lgkmcnt(0)
	ds_bpermute_b32 v4, v6, v2
	ds_bpermute_b32 v5, v6, v3
	s_waitcnt lgkmcnt(0)
	v_pk_add_f32 v[2:3], v[2:3], v[4:5]
	ds_bpermute_b32 v4, v7, v2
	ds_bpermute_b32 v5, v7, v3
	s_waitcnt lgkmcnt(0)
	v_pk_add_f32 v[2:3], v[2:3], v[4:5]
	;; [unrolled: 4-line block ×4, first 2 shown]
	s_or_b64 exec, exec, s[0:1]
	v_cmp_eq_u32_e32 vcc, 0, v0
	s_and_saveexec_b64 s[0:1], vcc
	s_cbranch_execz .LBB131_21
.LBB131_24:
	v_cmp_neq_f32_e64 s[4:5], s8, 0
	v_cmp_neq_f32_e64 s[6:7], s9, 0
	s_mul_i32 s0, s2, s17
	s_mul_hi_u32 s1, s2, s16
	s_waitcnt lgkmcnt(0)
	v_pk_mul_f32 v[4:5], v[2:3], s[10:11] op_sel:[1,0]
	s_add_i32 s0, s1, s0
	s_mul_i32 s1, s3, s16
	s_or_b64 s[4:5], s[4:5], s[6:7]
	v_pk_fma_f32 v[0:1], v[2:3], s[10:11], v[4:5] op_sel:[0,0,1] op_sel_hi:[0,1,0] neg_lo:[0,0,1] neg_hi:[0,0,1]
	v_pk_fma_f32 v[2:3], v[2:3], s[10:11], v[4:5] op_sel:[0,0,1] op_sel_hi:[0,1,0]
	s_add_i32 s1, s0, s1
	s_andn2_b64 vcc, exec, s[4:5]
	s_mul_i32 s0, s2, s16
	s_cbranch_vccnz .LBB131_26
; %bb.25:
	s_lshl_b64 s[2:3], s[0:1], 3
	s_add_u32 s2, s22, s2
	s_addc_u32 s3, s23, s3
	v_mov_b32_e32 v1, 0
	global_load_dwordx2 v[4:5], v1, s[2:3]
	v_mov_b32_e32 v1, v3
	s_waitcnt vmcnt(0)
	v_pk_mul_f32 v[2:3], s[8:9], v[4:5] op_sel:[0,1]
	s_nop 0
	v_pk_fma_f32 v[6:7], s[8:9], v[4:5], v[2:3] op_sel:[0,0,1] op_sel_hi:[1,1,0] neg_lo:[0,0,1] neg_hi:[0,0,1]
	v_pk_fma_f32 v[2:3], s[8:9], v[4:5], v[2:3] op_sel:[0,0,1] op_sel_hi:[1,0,0]
	s_nop 0
	v_mov_b32_e32 v7, v3
	v_pk_add_f32 v[0:1], v[0:1], v[6:7]
	s_nop 0
	v_mov_b32_e32 v3, v1
.LBB131_26:
	s_lshl_b64 s[0:1], s[0:1], 3
	s_add_u32 s0, s22, s0
	s_addc_u32 s1, s23, s1
	v_mov_b32_e32 v2, 0
	v_mov_b32_e32 v1, v3
	global_store_dwordx2 v2, v[0:1], s[0:1]
	s_endpgm
	.section	.rodata,"a",@progbits
	.p2align	6, 0x0
	.amdhsa_kernel _ZL32rocblas_gemvt_warp_reduce_kernelILb0ELi1024El19rocblas_complex_numIfEPKS1_S1_EviiT3_lPKT2_lT1_lS7_lS8_lS4_lPT4_lS8_li
		.amdhsa_group_segment_fixed_size 512
		.amdhsa_private_segment_fixed_size 0
		.amdhsa_kernarg_size 140
		.amdhsa_user_sgpr_count 2
		.amdhsa_user_sgpr_dispatch_ptr 0
		.amdhsa_user_sgpr_queue_ptr 0
		.amdhsa_user_sgpr_kernarg_segment_ptr 1
		.amdhsa_user_sgpr_dispatch_id 0
		.amdhsa_user_sgpr_kernarg_preload_length 0
		.amdhsa_user_sgpr_kernarg_preload_offset 0
		.amdhsa_user_sgpr_private_segment_size 0
		.amdhsa_uses_dynamic_stack 0
		.amdhsa_enable_private_segment 0
		.amdhsa_system_sgpr_workgroup_id_x 1
		.amdhsa_system_sgpr_workgroup_id_y 0
		.amdhsa_system_sgpr_workgroup_id_z 1
		.amdhsa_system_sgpr_workgroup_info 0
		.amdhsa_system_vgpr_workitem_id 0
		.amdhsa_next_free_vgpr 16
		.amdhsa_next_free_sgpr 52
		.amdhsa_accum_offset 16
		.amdhsa_reserve_vcc 1
		.amdhsa_float_round_mode_32 0
		.amdhsa_float_round_mode_16_64 0
		.amdhsa_float_denorm_mode_32 3
		.amdhsa_float_denorm_mode_16_64 3
		.amdhsa_dx10_clamp 1
		.amdhsa_ieee_mode 1
		.amdhsa_fp16_overflow 0
		.amdhsa_tg_split 0
		.amdhsa_exception_fp_ieee_invalid_op 0
		.amdhsa_exception_fp_denorm_src 0
		.amdhsa_exception_fp_ieee_div_zero 0
		.amdhsa_exception_fp_ieee_overflow 0
		.amdhsa_exception_fp_ieee_underflow 0
		.amdhsa_exception_fp_ieee_inexact 0
		.amdhsa_exception_int_div_zero 0
	.end_amdhsa_kernel
	.section	.text._ZL32rocblas_gemvt_warp_reduce_kernelILb0ELi1024El19rocblas_complex_numIfEPKS1_S1_EviiT3_lPKT2_lT1_lS7_lS8_lS4_lPT4_lS8_li,"axG",@progbits,_ZL32rocblas_gemvt_warp_reduce_kernelILb0ELi1024El19rocblas_complex_numIfEPKS1_S1_EviiT3_lPKT2_lT1_lS7_lS8_lS4_lPT4_lS8_li,comdat
.Lfunc_end131:
	.size	_ZL32rocblas_gemvt_warp_reduce_kernelILb0ELi1024El19rocblas_complex_numIfEPKS1_S1_EviiT3_lPKT2_lT1_lS7_lS8_lS4_lPT4_lS8_li, .Lfunc_end131-_ZL32rocblas_gemvt_warp_reduce_kernelILb0ELi1024El19rocblas_complex_numIfEPKS1_S1_EviiT3_lPKT2_lT1_lS7_lS8_lS4_lPT4_lS8_li
                                        ; -- End function
	.section	.AMDGPU.csdata,"",@progbits
; Kernel info:
; codeLenInByte = 1780
; NumSgprs: 58
; NumVgprs: 16
; NumAgprs: 0
; TotalNumVgprs: 16
; ScratchSize: 0
; MemoryBound: 0
; FloatMode: 240
; IeeeMode: 1
; LDSByteSize: 512 bytes/workgroup (compile time only)
; SGPRBlocks: 7
; VGPRBlocks: 1
; NumSGPRsForWavesPerEU: 58
; NumVGPRsForWavesPerEU: 16
; AccumOffset: 16
; Occupancy: 8
; WaveLimiterHint : 0
; COMPUTE_PGM_RSRC2:SCRATCH_EN: 0
; COMPUTE_PGM_RSRC2:USER_SGPR: 2
; COMPUTE_PGM_RSRC2:TRAP_HANDLER: 0
; COMPUTE_PGM_RSRC2:TGID_X_EN: 1
; COMPUTE_PGM_RSRC2:TGID_Y_EN: 0
; COMPUTE_PGM_RSRC2:TGID_Z_EN: 1
; COMPUTE_PGM_RSRC2:TIDIG_COMP_CNT: 0
; COMPUTE_PGM_RSRC3_GFX90A:ACCUM_OFFSET: 3
; COMPUTE_PGM_RSRC3_GFX90A:TG_SPLIT: 0
	.section	.text._ZL32rocblas_gemvt_warp_reduce_kernelILb0ELi1024Ei19rocblas_complex_numIfES1_S1_EviiT3_lPKT2_lT1_lS5_lS6_lS2_lPT4_lS6_li,"axG",@progbits,_ZL32rocblas_gemvt_warp_reduce_kernelILb0ELi1024Ei19rocblas_complex_numIfES1_S1_EviiT3_lPKT2_lT1_lS5_lS6_lS2_lPT4_lS6_li,comdat
	.globl	_ZL32rocblas_gemvt_warp_reduce_kernelILb0ELi1024Ei19rocblas_complex_numIfES1_S1_EviiT3_lPKT2_lT1_lS5_lS6_lS2_lPT4_lS6_li ; -- Begin function _ZL32rocblas_gemvt_warp_reduce_kernelILb0ELi1024Ei19rocblas_complex_numIfES1_S1_EviiT3_lPKT2_lT1_lS5_lS6_lS2_lPT4_lS6_li
	.p2align	8
	.type	_ZL32rocblas_gemvt_warp_reduce_kernelILb0ELi1024Ei19rocblas_complex_numIfES1_S1_EviiT3_lPKT2_lT1_lS5_lS6_lS2_lPT4_lS6_li,@function
_ZL32rocblas_gemvt_warp_reduce_kernelILb0ELi1024Ei19rocblas_complex_numIfES1_S1_EviiT3_lPKT2_lT1_lS5_lS6_lS2_lPT4_lS6_li: ; @_ZL32rocblas_gemvt_warp_reduce_kernelILb0ELi1024Ei19rocblas_complex_numIfES1_S1_EviiT3_lPKT2_lT1_lS5_lS6_lS2_lPT4_lS6_li
; %bb.0:
	s_load_dwordx2 s[6:7], s[0:1], 0x8
	s_load_dwordx2 s[4:5], s[0:1], 0x58
	s_waitcnt lgkmcnt(0)
	v_cmp_eq_f32_e64 s[8:9], s6, 0
	v_cmp_eq_f32_e64 s[10:11], s7, 0
	s_and_b64 s[8:9], s[8:9], s[10:11]
	v_cmp_eq_f32_e64 s[10:11], s4, 1.0
	v_cmp_eq_f32_e64 s[12:13], s5, 0
	s_and_b64 s[10:11], s[10:11], s[12:13]
	s_and_b64 s[8:9], s[8:9], s[10:11]
	s_and_b64 vcc, exec, s[8:9]
	s_cbranch_vccnz .LBB132_21
; %bb.1:
	s_load_dwordx2 s[12:13], s[0:1], 0x80
	s_load_dwordx4 s[8:11], s[0:1], 0x68
	s_load_dword s18, s[0:1], 0x78
	v_cmp_eq_u32_e32 vcc, 0, v0
	s_waitcnt lgkmcnt(0)
	s_mul_i32 s13, s3, s13
	s_mul_hi_u32 s14, s3, s12
	s_mul_i32 s12, s3, s12
	s_add_i32 s13, s14, s13
	s_lshl_b64 s[12:13], s[12:13], 3
	s_add_u32 s12, s8, s12
	s_addc_u32 s13, s9, s13
	s_lshl_b64 s[8:9], s[10:11], 3
	s_add_u32 s16, s12, s8
	s_addc_u32 s17, s13, s9
	s_or_b32 s8, s6, s7
	s_bitset0_b32 s8, 31
	s_cmp_lg_u32 s8, 0
	s_mov_b64 s[8:9], -1
	s_cbranch_scc1 .LBB132_7
; %bb.2:
	s_and_saveexec_b64 s[8:9], vcc
	s_cbranch_execz .LBB132_6
; %bb.3:
	v_cmp_neq_f32_e64 s[12:13], s4, 0
	v_cmp_neq_f32_e64 s[14:15], s5, 0
	s_mul_i32 s10, s2, s18
	s_or_b64 s[12:13], s[12:13], s[14:15]
	s_ashr_i32 s11, s10, 31
	v_mov_b32_e32 v1, 0
	s_andn2_b64 vcc, exec, s[12:13]
	v_mov_b32_e32 v2, 0
	v_mov_b32_e32 v3, 0
	s_cbranch_vccnz .LBB132_5
; %bb.4:
	s_lshl_b64 s[12:13], s[10:11], 3
	s_add_u32 s12, s16, s12
	s_addc_u32 s13, s17, s13
	s_load_dwordx2 s[12:13], s[12:13], 0x0
	s_waitcnt lgkmcnt(0)
	v_mov_b64_e32 v[4:5], s[12:13]
	v_pk_mul_f32 v[6:7], s[4:5], v[4:5] op_sel:[0,1]
	s_nop 0
	v_pk_fma_f32 v[2:3], s[4:5], v[4:5], v[6:7] op_sel:[0,0,1] op_sel_hi:[1,1,0] neg_lo:[0,0,1] neg_hi:[0,0,1]
	v_pk_fma_f32 v[4:5], s[4:5], v[4:5], v[6:7] op_sel:[0,0,1] op_sel_hi:[1,0,0]
	s_nop 0
	v_mov_b32_e32 v3, v5
.LBB132_5:
	s_lshl_b64 s[10:11], s[10:11], 3
	s_add_u32 s10, s16, s10
	s_addc_u32 s11, s17, s11
	global_store_dwordx2 v1, v[2:3], s[10:11]
.LBB132_6:
	s_or_b64 exec, exec, s[8:9]
	s_mov_b64 s[8:9], 0
.LBB132_7:
	s_andn2_b64 vcc, exec, s[8:9]
	s_cbranch_vccnz .LBB132_21
; %bb.8:
	s_load_dwordx2 s[10:11], s[0:1], 0x50
	s_load_dword s9, s[0:1], 0x0
	s_load_dwordx4 s[12:15], s[0:1], 0x18
	s_load_dword s8, s[0:1], 0x28
	s_load_dwordx4 s[20:23], s[0:1], 0x30
	s_load_dwordx2 s[24:25], s[0:1], 0x40
	s_load_dword s19, s[0:1], 0x48
	s_waitcnt lgkmcnt(0)
	s_mul_i32 s0, s3, s11
	s_mul_hi_u32 s1, s3, s10
	s_add_i32 s1, s1, s0
	s_mul_i32 s0, s3, s10
	s_lshl_b64 s[0:1], s[0:1], 3
	s_add_u32 s10, s22, s0
	s_addc_u32 s11, s23, s1
	s_lshl_b64 s[0:1], s[24:25], 3
	s_add_u32 s0, s10, s0
	s_addc_u32 s1, s11, s1
	s_mul_i32 s10, s3, s21
	s_mul_hi_u32 s11, s3, s20
	s_add_i32 s11, s11, s10
	s_mul_i32 s10, s3, s20
	s_lshl_b64 s[10:11], s[10:11], 3
	s_add_u32 s3, s12, s10
	s_addc_u32 s12, s13, s11
	s_lshl_b64 s[10:11], s[14:15], 3
	s_add_u32 s3, s3, s10
	s_addc_u32 s11, s12, s11
	s_mul_i32 s12, s2, s8
	s_ashr_i32 s13, s12, 31
	s_lshl_b64 s[12:13], s[12:13], 3
	s_add_u32 s12, s12, s3
	s_addc_u32 s13, s13, s11
	s_ashr_i32 s3, s9, 31
	v_cmp_gt_i32_e32 vcc, s9, v0
	s_lshr_b32 s3, s3, 22
	s_mov_b32 s10, 0
	v_cndmask_b32_e32 v1, 0, v0, vcc
	v_mov_b32_e32 v6, 0
	s_add_i32 s3, s9, s3
	v_lshlrev_b32_e32 v2, 3, v1
	v_mov_b32_e32 v3, v6
	s_and_b32 s8, s3, 0xfffffc00
	s_mov_b32 s11, s10
	v_lshl_add_u64 v[2:3], s[12:13], 0, v[2:3]
	v_cmp_gt_i32_e32 vcc, s8, v0
	v_mov_b64_e32 v[4:5], s[10:11]
	s_and_saveexec_b64 s[10:11], vcc
	s_cbranch_execz .LBB132_12
; %bb.9:
	v_mul_lo_u32 v4, v0, s19
	s_lshl_b32 s3, s19, 10
	s_mov_b64 s[12:13], 0
	s_mov_b64 s[14:15], 0x2000
	v_mov_b64_e32 v[8:9], v[2:3]
	v_mov_b32_e32 v1, v0
	v_mov_b32_e32 v7, v6
.LBB132_10:                             ; =>This Inner Loop Header: Depth=1
	v_ashrrev_i32_e32 v5, 31, v4
	v_lshl_add_u64 v[12:13], v[4:5], 3, s[0:1]
	global_load_dwordx2 v[10:11], v[8:9], off
	v_add_u32_e32 v1, 0x400, v1
	global_load_dwordx2 v[12:13], v[12:13], off
	v_cmp_le_i32_e32 vcc, s8, v1
	v_lshl_add_u64 v[8:9], v[8:9], 0, s[14:15]
	v_add_u32_e32 v4, s3, v4
	s_or_b64 s[12:13], vcc, s[12:13]
	s_waitcnt vmcnt(0)
	v_mul_f32_e32 v5, v13, v11
	v_mul_f32_e32 v15, v12, v11
	v_fma_f32 v14, v12, v10, -v5
	v_fmac_f32_e32 v15, v13, v10
	v_pk_add_f32 v[6:7], v[6:7], v[14:15]
	s_andn2_b64 exec, exec, s[12:13]
	s_cbranch_execnz .LBB132_10
; %bb.11:
	s_or_b64 exec, exec, s[12:13]
	v_mov_b64_e32 v[4:5], v[6:7]
.LBB132_12:
	s_or_b64 exec, exec, s[10:11]
	v_or_b32_e32 v1, s8, v0
	v_cmp_gt_i32_e32 vcc, s9, v1
	s_and_saveexec_b64 s[10:11], vcc
	s_cbranch_execz .LBB132_14
; %bb.13:
	v_mul_lo_u32 v6, v1, s19
	s_ashr_i32 s9, s8, 31
	v_ashrrev_i32_e32 v7, 31, v6
	v_lshl_add_u64 v[2:3], s[8:9], 3, v[2:3]
	v_lshl_add_u64 v[6:7], v[6:7], 3, s[0:1]
	global_load_dwordx2 v[2:3], v[2:3], off
	s_nop 0
	global_load_dwordx2 v[6:7], v[6:7], off
	s_waitcnt vmcnt(0)
	v_pk_mul_f32 v[8:9], v[6:7], v[2:3] op_sel:[0,1]
	s_nop 0
	v_pk_fma_f32 v[10:11], v[6:7], v[2:3], v[8:9] op_sel:[0,0,1] op_sel_hi:[1,1,0] neg_lo:[0,0,1] neg_hi:[0,0,1]
	v_pk_fma_f32 v[2:3], v[6:7], v[2:3], v[8:9] op_sel:[0,0,1] op_sel_hi:[1,0,0]
	s_nop 0
	v_mov_b32_e32 v11, v3
	v_pk_add_f32 v[4:5], v[4:5], v[10:11]
.LBB132_14:
	s_or_b64 exec, exec, s[10:11]
	v_and_b32_e32 v6, 63, v0
	v_cmp_gt_u32_e32 vcc, 64, v0
	v_lshlrev_b32_e32 v1, 3, v6
	s_and_saveexec_b64 s[0:1], vcc
	s_cbranch_execz .LBB132_16
; %bb.15:
	v_mov_b32_e32 v2, 0
	v_mov_b32_e32 v3, v2
	ds_write_b64 v1, v[2:3]
.LBB132_16:
	s_or_b64 exec, exec, s[0:1]
	v_mbcnt_lo_u32_b32 v2, -1, 0
	v_mbcnt_hi_u32_b32 v10, -1, v2
	v_and_b32_e32 v11, 63, v10
	v_cmp_gt_u32_e64 s[0:1], 32, v11
	s_mov_b32 s8, 0
	s_waitcnt lgkmcnt(0)
	v_cndmask_b32_e64 v2, 0, 1, s[0:1]
	v_lshlrev_b32_e32 v2, 5, v2
	v_add_lshl_u32 v3, v2, v10, 2
	ds_bpermute_b32 v2, v3, v4
	ds_bpermute_b32 v3, v3, v5
	v_cmp_gt_u32_e64 s[0:1], 48, v11
	s_barrier
	s_waitcnt lgkmcnt(0)
	v_cndmask_b32_e64 v7, 0, 1, s[0:1]
	v_lshlrev_b32_e32 v7, 4, v7
	v_add_lshl_u32 v7, v7, v10, 2
	v_pk_add_f32 v[2:3], v[4:5], v[2:3]
	ds_bpermute_b32 v4, v7, v2
	ds_bpermute_b32 v5, v7, v3
	v_cmp_gt_u32_e64 s[0:1], 56, v11
	s_waitcnt lgkmcnt(0)
	v_pk_add_f32 v[2:3], v[2:3], v[4:5]
	v_cndmask_b32_e64 v7, 0, 1, s[0:1]
	v_lshlrev_b32_e32 v7, 3, v7
	v_add_lshl_u32 v7, v7, v10, 2
	ds_bpermute_b32 v4, v7, v2
	ds_bpermute_b32 v5, v7, v3
	v_cmp_gt_u32_e64 s[0:1], 60, v11
	s_waitcnt lgkmcnt(0)
	v_pk_add_f32 v[2:3], v[2:3], v[4:5]
	v_cndmask_b32_e64 v8, 0, 1, s[0:1]
	v_lshlrev_b32_e32 v8, 2, v8
	v_add_lshl_u32 v8, v8, v10, 2
	;; [unrolled: 8-line block ×3, first 2 shown]
	ds_bpermute_b32 v4, v9, v2
	ds_bpermute_b32 v5, v9, v3
	v_cmp_ne_u32_e64 s[0:1], 63, v11
	s_waitcnt lgkmcnt(0)
	v_pk_add_f32 v[2:3], v[2:3], v[4:5]
	v_addc_co_u32_e64 v4, s[0:1], 0, v10, s[0:1]
	v_lshlrev_b32_e32 v10, 2, v4
	ds_bpermute_b32 v4, v10, v2
	ds_bpermute_b32 v5, v10, v3
	v_cmp_eq_u32_e64 s[0:1], 0, v6
	s_and_saveexec_b64 s[10:11], s[0:1]
	s_cbranch_execz .LBB132_18
; %bb.17:
	v_lshrrev_b32_e32 v6, 3, v0
	v_and_b32_e32 v6, 0x78, v6
	s_waitcnt lgkmcnt(0)
	v_pk_add_f32 v[2:3], v[2:3], v[4:5]
	ds_write_b64 v6, v[2:3]
.LBB132_18:
	s_or_b64 exec, exec, s[10:11]
	s_mov_b32 s9, s8
	v_cmp_gt_u32_e64 s[0:1], 16, v0
	v_mov_b64_e32 v[2:3], s[8:9]
	s_waitcnt lgkmcnt(0)
	s_barrier
	s_and_saveexec_b64 s[8:9], s[0:1]
	s_cbranch_execnz .LBB132_22
; %bb.19:
	s_or_b64 exec, exec, s[8:9]
	s_and_saveexec_b64 s[0:1], vcc
	s_cbranch_execnz .LBB132_23
.LBB132_20:
	s_or_b64 exec, exec, s[0:1]
	v_cmp_eq_u32_e32 vcc, 0, v0
	s_and_saveexec_b64 s[0:1], vcc
	s_cbranch_execnz .LBB132_24
.LBB132_21:
	s_endpgm
.LBB132_22:
	ds_read_b64 v[2:3], v1
	s_or_b64 exec, exec, s[8:9]
	s_and_saveexec_b64 s[0:1], vcc
	s_cbranch_execz .LBB132_20
.LBB132_23:
	s_waitcnt lgkmcnt(0)
	ds_bpermute_b32 v4, v7, v2
	ds_bpermute_b32 v5, v7, v3
	s_waitcnt lgkmcnt(0)
	v_pk_add_f32 v[2:3], v[2:3], v[4:5]
	ds_bpermute_b32 v4, v8, v2
	ds_bpermute_b32 v5, v8, v3
	s_waitcnt lgkmcnt(0)
	v_pk_add_f32 v[2:3], v[2:3], v[4:5]
	;; [unrolled: 4-line block ×4, first 2 shown]
	s_or_b64 exec, exec, s[0:1]
	v_cmp_eq_u32_e32 vcc, 0, v0
	s_and_saveexec_b64 s[0:1], vcc
	s_cbranch_execz .LBB132_21
.LBB132_24:
	v_cmp_neq_f32_e64 s[8:9], s4, 0
	v_cmp_neq_f32_e64 s[10:11], s5, 0
	s_waitcnt lgkmcnt(0)
	v_pk_mul_f32 v[4:5], v[2:3], s[6:7] op_sel:[1,0]
	s_mul_i32 s0, s2, s18
	s_or_b64 s[2:3], s[8:9], s[10:11]
	v_pk_fma_f32 v[0:1], v[2:3], s[6:7], v[4:5] op_sel:[0,0,1] op_sel_hi:[0,1,0] neg_lo:[0,0,1] neg_hi:[0,0,1]
	v_pk_fma_f32 v[2:3], v[2:3], s[6:7], v[4:5] op_sel:[0,0,1] op_sel_hi:[0,1,0]
	s_andn2_b64 vcc, exec, s[2:3]
	s_ashr_i32 s1, s0, 31
	s_cbranch_vccnz .LBB132_26
; %bb.25:
	s_lshl_b64 s[2:3], s[0:1], 3
	s_add_u32 s2, s16, s2
	s_addc_u32 s3, s17, s3
	v_mov_b32_e32 v1, 0
	global_load_dwordx2 v[4:5], v1, s[2:3]
	v_mov_b32_e32 v1, v3
	s_waitcnt vmcnt(0)
	v_pk_mul_f32 v[2:3], s[4:5], v[4:5] op_sel:[0,1]
	s_nop 0
	v_pk_fma_f32 v[6:7], s[4:5], v[4:5], v[2:3] op_sel:[0,0,1] op_sel_hi:[1,1,0] neg_lo:[0,0,1] neg_hi:[0,0,1]
	v_pk_fma_f32 v[2:3], s[4:5], v[4:5], v[2:3] op_sel:[0,0,1] op_sel_hi:[1,0,0]
	s_nop 0
	v_mov_b32_e32 v7, v3
	v_pk_add_f32 v[0:1], v[0:1], v[6:7]
	s_nop 0
	v_mov_b32_e32 v3, v1
.LBB132_26:
	s_lshl_b64 s[0:1], s[0:1], 3
	s_add_u32 s0, s16, s0
	s_addc_u32 s1, s17, s1
	v_mov_b32_e32 v2, 0
	v_mov_b32_e32 v1, v3
	global_store_dwordx2 v2, v[0:1], s[0:1]
	s_endpgm
	.section	.rodata,"a",@progbits
	.p2align	6, 0x0
	.amdhsa_kernel _ZL32rocblas_gemvt_warp_reduce_kernelILb0ELi1024Ei19rocblas_complex_numIfES1_S1_EviiT3_lPKT2_lT1_lS5_lS6_lS2_lPT4_lS6_li
		.amdhsa_group_segment_fixed_size 512
		.amdhsa_private_segment_fixed_size 0
		.amdhsa_kernarg_size 140
		.amdhsa_user_sgpr_count 2
		.amdhsa_user_sgpr_dispatch_ptr 0
		.amdhsa_user_sgpr_queue_ptr 0
		.amdhsa_user_sgpr_kernarg_segment_ptr 1
		.amdhsa_user_sgpr_dispatch_id 0
		.amdhsa_user_sgpr_kernarg_preload_length 0
		.amdhsa_user_sgpr_kernarg_preload_offset 0
		.amdhsa_user_sgpr_private_segment_size 0
		.amdhsa_uses_dynamic_stack 0
		.amdhsa_enable_private_segment 0
		.amdhsa_system_sgpr_workgroup_id_x 1
		.amdhsa_system_sgpr_workgroup_id_y 0
		.amdhsa_system_sgpr_workgroup_id_z 1
		.amdhsa_system_sgpr_workgroup_info 0
		.amdhsa_system_vgpr_workitem_id 0
		.amdhsa_next_free_vgpr 16
		.amdhsa_next_free_sgpr 26
		.amdhsa_accum_offset 16
		.amdhsa_reserve_vcc 1
		.amdhsa_float_round_mode_32 0
		.amdhsa_float_round_mode_16_64 0
		.amdhsa_float_denorm_mode_32 3
		.amdhsa_float_denorm_mode_16_64 3
		.amdhsa_dx10_clamp 1
		.amdhsa_ieee_mode 1
		.amdhsa_fp16_overflow 0
		.amdhsa_tg_split 0
		.amdhsa_exception_fp_ieee_invalid_op 0
		.amdhsa_exception_fp_denorm_src 0
		.amdhsa_exception_fp_ieee_div_zero 0
		.amdhsa_exception_fp_ieee_overflow 0
		.amdhsa_exception_fp_ieee_underflow 0
		.amdhsa_exception_fp_ieee_inexact 0
		.amdhsa_exception_int_div_zero 0
	.end_amdhsa_kernel
	.section	.text._ZL32rocblas_gemvt_warp_reduce_kernelILb0ELi1024Ei19rocblas_complex_numIfES1_S1_EviiT3_lPKT2_lT1_lS5_lS6_lS2_lPT4_lS6_li,"axG",@progbits,_ZL32rocblas_gemvt_warp_reduce_kernelILb0ELi1024Ei19rocblas_complex_numIfES1_S1_EviiT3_lPKT2_lT1_lS5_lS6_lS2_lPT4_lS6_li,comdat
.Lfunc_end132:
	.size	_ZL32rocblas_gemvt_warp_reduce_kernelILb0ELi1024Ei19rocblas_complex_numIfES1_S1_EviiT3_lPKT2_lT1_lS5_lS6_lS2_lPT4_lS6_li, .Lfunc_end132-_ZL32rocblas_gemvt_warp_reduce_kernelILb0ELi1024Ei19rocblas_complex_numIfES1_S1_EviiT3_lPKT2_lT1_lS5_lS6_lS2_lPT4_lS6_li
                                        ; -- End function
	.section	.AMDGPU.csdata,"",@progbits
; Kernel info:
; codeLenInByte = 1652
; NumSgprs: 32
; NumVgprs: 16
; NumAgprs: 0
; TotalNumVgprs: 16
; ScratchSize: 0
; MemoryBound: 0
; FloatMode: 240
; IeeeMode: 1
; LDSByteSize: 512 bytes/workgroup (compile time only)
; SGPRBlocks: 3
; VGPRBlocks: 1
; NumSGPRsForWavesPerEU: 32
; NumVGPRsForWavesPerEU: 16
; AccumOffset: 16
; Occupancy: 8
; WaveLimiterHint : 1
; COMPUTE_PGM_RSRC2:SCRATCH_EN: 0
; COMPUTE_PGM_RSRC2:USER_SGPR: 2
; COMPUTE_PGM_RSRC2:TRAP_HANDLER: 0
; COMPUTE_PGM_RSRC2:TGID_X_EN: 1
; COMPUTE_PGM_RSRC2:TGID_Y_EN: 0
; COMPUTE_PGM_RSRC2:TGID_Z_EN: 1
; COMPUTE_PGM_RSRC2:TIDIG_COMP_CNT: 0
; COMPUTE_PGM_RSRC3_GFX90A:ACCUM_OFFSET: 3
; COMPUTE_PGM_RSRC3_GFX90A:TG_SPLIT: 0
	.section	.text._ZL32rocblas_gemvt_warp_reduce_kernelILb0ELi1024El19rocblas_complex_numIfES1_S1_EviiT3_lPKT2_lT1_lS5_lS6_lS2_lPT4_lS6_li,"axG",@progbits,_ZL32rocblas_gemvt_warp_reduce_kernelILb0ELi1024El19rocblas_complex_numIfES1_S1_EviiT3_lPKT2_lT1_lS5_lS6_lS2_lPT4_lS6_li,comdat
	.globl	_ZL32rocblas_gemvt_warp_reduce_kernelILb0ELi1024El19rocblas_complex_numIfES1_S1_EviiT3_lPKT2_lT1_lS5_lS6_lS2_lPT4_lS6_li ; -- Begin function _ZL32rocblas_gemvt_warp_reduce_kernelILb0ELi1024El19rocblas_complex_numIfES1_S1_EviiT3_lPKT2_lT1_lS5_lS6_lS2_lPT4_lS6_li
	.p2align	8
	.type	_ZL32rocblas_gemvt_warp_reduce_kernelILb0ELi1024El19rocblas_complex_numIfES1_S1_EviiT3_lPKT2_lT1_lS5_lS6_lS2_lPT4_lS6_li,@function
_ZL32rocblas_gemvt_warp_reduce_kernelILb0ELi1024El19rocblas_complex_numIfES1_S1_EviiT3_lPKT2_lT1_lS5_lS6_lS2_lPT4_lS6_li: ; @_ZL32rocblas_gemvt_warp_reduce_kernelILb0ELi1024El19rocblas_complex_numIfES1_S1_EviiT3_lPKT2_lT1_lS5_lS6_lS2_lPT4_lS6_li
; %bb.0:
	s_load_dwordx2 s[26:27], s[0:1], 0x8
	s_load_dwordx2 s[24:25], s[0:1], 0x58
	s_waitcnt lgkmcnt(0)
	v_cmp_eq_f32_e64 s[4:5], s26, 0
	v_cmp_eq_f32_e64 s[6:7], s27, 0
	s_and_b64 s[4:5], s[4:5], s[6:7]
	v_cmp_eq_f32_e64 s[6:7], s24, 1.0
	v_cmp_eq_f32_e64 s[8:9], s25, 0
	s_and_b64 s[6:7], s[6:7], s[8:9]
	s_and_b64 s[4:5], s[4:5], s[6:7]
	s_and_b64 vcc, exec, s[4:5]
	s_cbranch_vccnz .LBB133_21
; %bb.1:
	s_load_dwordx8 s[16:23], s[0:1], 0x68
	v_cmp_eq_u32_e32 vcc, 0, v0
	s_waitcnt lgkmcnt(0)
	s_mul_i32 s5, s3, s23
	s_mul_hi_u32 s6, s3, s22
	s_mul_i32 s4, s3, s22
	s_add_i32 s5, s6, s5
	s_lshl_b64 s[4:5], s[4:5], 3
	s_add_u32 s6, s16, s4
	s_addc_u32 s7, s17, s5
	s_lshl_b64 s[4:5], s[18:19], 3
	s_add_u32 s22, s6, s4
	s_addc_u32 s23, s7, s5
	s_or_b32 s4, s26, s27
	s_bitset0_b32 s4, 31
	s_cmp_lg_u32 s4, 0
	s_mov_b64 s[4:5], -1
	s_cbranch_scc1 .LBB133_7
; %bb.2:
	s_and_saveexec_b64 s[4:5], vcc
	s_cbranch_execz .LBB133_6
; %bb.3:
	v_cmp_neq_f32_e64 s[8:9], s24, 0
	v_cmp_neq_f32_e64 s[10:11], s25, 0
	s_ashr_i32 s6, s2, 31
	s_mul_i32 s7, s2, s21
	s_mul_hi_u32 s12, s2, s20
	s_add_i32 s7, s12, s7
	s_mul_i32 s6, s6, s20
	s_or_b64 s[8:9], s[8:9], s[10:11]
	s_add_i32 s7, s7, s6
	s_mul_i32 s6, s2, s20
	v_mov_b32_e32 v1, 0
	s_andn2_b64 vcc, exec, s[8:9]
	v_mov_b32_e32 v2, 0
	v_mov_b32_e32 v3, 0
	s_cbranch_vccnz .LBB133_5
; %bb.4:
	s_lshl_b64 s[8:9], s[6:7], 3
	s_add_u32 s8, s22, s8
	s_addc_u32 s9, s23, s9
	s_load_dwordx2 s[8:9], s[8:9], 0x0
	s_waitcnt lgkmcnt(0)
	v_mov_b64_e32 v[4:5], s[8:9]
	v_pk_mul_f32 v[6:7], s[24:25], v[4:5] op_sel:[0,1]
	s_nop 0
	v_pk_fma_f32 v[2:3], s[24:25], v[4:5], v[6:7] op_sel:[0,0,1] op_sel_hi:[1,1,0] neg_lo:[0,0,1] neg_hi:[0,0,1]
	v_pk_fma_f32 v[4:5], s[24:25], v[4:5], v[6:7] op_sel:[0,0,1] op_sel_hi:[1,0,0]
	s_nop 0
	v_mov_b32_e32 v3, v5
.LBB133_5:
	s_lshl_b64 s[6:7], s[6:7], 3
	s_add_u32 s6, s22, s6
	s_addc_u32 s7, s23, s7
	global_store_dwordx2 v1, v[2:3], s[6:7]
.LBB133_6:
	s_or_b64 exec, exec, s[4:5]
	s_mov_b64 s[4:5], 0
.LBB133_7:
	s_andn2_b64 vcc, exec, s[4:5]
	s_cbranch_vccnz .LBB133_21
; %bb.8:
	s_load_dwordx16 s[4:19], s[0:1], 0x18
	s_load_dword s28, s[0:1], 0x0
	v_mov_b32_e32 v4, 0
	v_mov_b32_e32 v3, v4
	s_waitcnt lgkmcnt(0)
	s_mul_i32 s1, s3, s19
	s_mul_hi_u32 s19, s3, s18
	s_mul_i32 s0, s3, s18
	s_mul_i32 s11, s3, s11
	s_mul_hi_u32 s18, s3, s10
	s_add_i32 s11, s18, s11
	s_mul_i32 s10, s3, s10
	s_add_i32 s1, s19, s1
	s_lshl_b64 s[10:11], s[10:11], 3
	s_add_u32 s3, s4, s10
	s_addc_u32 s10, s5, s11
	s_lshl_b64 s[4:5], s[6:7], 3
	s_add_u32 s7, s3, s4
	s_addc_u32 s10, s10, s5
	s_ashr_i32 s3, s2, 31
	s_mul_i32 s4, s2, s9
	s_mul_hi_u32 s5, s2, s8
	s_add_i32 s4, s5, s4
	s_mul_i32 s5, s3, s8
	s_add_i32 s5, s4, s5
	s_mul_i32 s4, s2, s8
	v_cmp_gt_i32_e32 vcc, s28, v0
	s_lshl_b64 s[4:5], s[4:5], 3
	s_add_u32 s4, s4, s7
	v_cndmask_b32_e32 v1, 0, v0, vcc
	v_lshlrev_b32_e32 v2, 3, v1
	s_addc_u32 s5, s5, s10
	v_lshl_add_u64 v[2:3], s[4:5], 0, v[2:3]
	s_ashr_i32 s4, s28, 31
	s_lshr_b32 s4, s4, 22
	s_mov_b32 s6, 0
	s_add_i32 s4, s28, s4
	s_and_b32 s4, s4, 0xfffffc00
	s_mov_b32 s7, s6
	v_cmp_gt_i32_e32 vcc, s4, v0
	v_mov_b64_e32 v[6:7], s[6:7]
	s_and_saveexec_b64 s[6:7], vcc
	s_cbranch_execz .LBB133_12
; %bb.9:
	v_mad_u64_u32 v[6:7], s[10:11], s16, v0, 0
	v_mov_b32_e32 v8, v7
	v_mad_u64_u32 v[8:9], s[10:11], s17, v0, v[8:9]
	s_lshl_b64 s[8:9], s[0:1], 3
	s_lshl_b64 s[10:11], s[14:15], 3
	s_add_u32 s5, s12, s10
	s_addc_u32 s10, s13, s11
	s_add_u32 s8, s5, s8
	v_mov_b32_e32 v7, v8
	s_addc_u32 s9, s10, s9
	v_lshl_add_u64 v[6:7], v[6:7], 3, s[8:9]
	v_lshl_add_u64 v[6:7], v[6:7], 0, 4
	s_lshl_b64 s[10:11], s[16:17], 13
	s_mov_b64 s[8:9], 0
	s_mov_b64 s[18:19], 0x2000
	v_mov_b64_e32 v[8:9], v[2:3]
	v_mov_b32_e32 v1, v0
	v_mov_b32_e32 v5, v4
.LBB133_10:                             ; =>This Inner Loop Header: Depth=1
	global_load_dwordx2 v[10:11], v[8:9], off
	global_load_dwordx2 v[12:13], v[6:7], off offset:-4
	v_add_u32_e32 v1, 0x400, v1
	v_cmp_le_i32_e32 vcc, s4, v1
	v_lshl_add_u64 v[8:9], v[8:9], 0, s[18:19]
	v_lshl_add_u64 v[6:7], v[6:7], 0, s[10:11]
	s_or_b64 s[8:9], vcc, s[8:9]
	s_waitcnt vmcnt(0)
	v_mul_f32_e32 v14, v13, v11
	v_mul_f32_e32 v15, v12, v11
	v_fma_f32 v14, v12, v10, -v14
	v_fmac_f32_e32 v15, v13, v10
	v_pk_add_f32 v[4:5], v[4:5], v[14:15]
	s_andn2_b64 exec, exec, s[8:9]
	s_cbranch_execnz .LBB133_10
; %bb.11:
	s_or_b64 exec, exec, s[8:9]
	v_mov_b64_e32 v[6:7], v[4:5]
.LBB133_12:
	s_or_b64 exec, exec, s[6:7]
	v_or_b32_e32 v1, s4, v0
	v_cmp_gt_i32_e32 vcc, s28, v1
	s_and_saveexec_b64 s[6:7], vcc
	s_cbranch_execz .LBB133_14
; %bb.13:
	s_lshl_b64 s[0:1], s[0:1], 3
	s_add_u32 s5, s12, s0
	s_addc_u32 s8, s13, s1
	s_lshl_b64 s[0:1], s[14:15], 3
	s_add_u32 s0, s5, s0
	s_addc_u32 s1, s8, s1
	s_ashr_i32 s5, s4, 31
	v_ashrrev_i32_e32 v4, 31, v1
	v_lshl_add_u64 v[2:3], s[4:5], 3, v[2:3]
	v_mul_lo_u32 v8, v1, s17
	v_mul_lo_u32 v9, v4, s16
	v_mad_u64_u32 v[4:5], s[4:5], v1, s16, 0
	v_add3_u32 v5, v5, v8, v9
	v_lshl_add_u64 v[4:5], v[4:5], 3, s[0:1]
	global_load_dwordx2 v[2:3], v[2:3], off
	s_nop 0
	global_load_dwordx2 v[4:5], v[4:5], off
	s_waitcnt vmcnt(0)
	v_pk_mul_f32 v[8:9], v[4:5], v[2:3] op_sel:[0,1]
	s_nop 0
	v_pk_fma_f32 v[10:11], v[4:5], v[2:3], v[8:9] op_sel:[0,0,1] op_sel_hi:[1,1,0] neg_lo:[0,0,1] neg_hi:[0,0,1]
	v_pk_fma_f32 v[2:3], v[4:5], v[2:3], v[8:9] op_sel:[0,0,1] op_sel_hi:[1,0,0]
	s_nop 0
	v_mov_b32_e32 v11, v3
	v_pk_add_f32 v[6:7], v[6:7], v[10:11]
.LBB133_14:
	s_or_b64 exec, exec, s[6:7]
	v_and_b32_e32 v8, 63, v0
	v_cmp_gt_u32_e32 vcc, 64, v0
	v_lshlrev_b32_e32 v1, 3, v8
	s_and_saveexec_b64 s[0:1], vcc
	s_cbranch_execz .LBB133_16
; %bb.15:
	v_mov_b32_e32 v2, 0
	v_mov_b32_e32 v3, v2
	ds_write_b64 v1, v[2:3]
.LBB133_16:
	s_or_b64 exec, exec, s[0:1]
	v_mbcnt_lo_u32_b32 v2, -1, 0
	v_mbcnt_hi_u32_b32 v10, -1, v2
	v_and_b32_e32 v11, 63, v10
	v_cmp_gt_u32_e64 s[0:1], 32, v11
	s_mov_b32 s4, 0
	s_waitcnt lgkmcnt(0)
	v_cndmask_b32_e64 v2, 0, 1, s[0:1]
	v_lshlrev_b32_e32 v2, 5, v2
	v_add_lshl_u32 v3, v2, v10, 2
	ds_bpermute_b32 v2, v3, v6
	ds_bpermute_b32 v3, v3, v7
	v_cmp_gt_u32_e64 s[0:1], 48, v11
	s_barrier
	s_waitcnt lgkmcnt(0)
	v_cndmask_b32_e64 v4, 0, 1, s[0:1]
	v_lshlrev_b32_e32 v4, 4, v4
	v_add_lshl_u32 v5, v4, v10, 2
	v_pk_add_f32 v[2:3], v[6:7], v[2:3]
	ds_bpermute_b32 v4, v5, v2
	ds_bpermute_b32 v5, v5, v3
	v_cmp_gt_u32_e64 s[0:1], 56, v11
	s_waitcnt lgkmcnt(0)
	v_pk_add_f32 v[2:3], v[2:3], v[4:5]
	v_cndmask_b32_e64 v6, 0, 1, s[0:1]
	v_lshlrev_b32_e32 v6, 3, v6
	v_add_lshl_u32 v6, v6, v10, 2
	ds_bpermute_b32 v4, v6, v2
	ds_bpermute_b32 v5, v6, v3
	v_cmp_gt_u32_e64 s[0:1], 60, v11
	s_waitcnt lgkmcnt(0)
	v_pk_add_f32 v[2:3], v[2:3], v[4:5]
	v_cndmask_b32_e64 v7, 0, 1, s[0:1]
	v_lshlrev_b32_e32 v7, 2, v7
	v_add_lshl_u32 v7, v7, v10, 2
	;; [unrolled: 8-line block ×3, first 2 shown]
	ds_bpermute_b32 v4, v9, v2
	ds_bpermute_b32 v5, v9, v3
	v_cmp_ne_u32_e64 s[0:1], 63, v11
	s_waitcnt lgkmcnt(0)
	v_pk_add_f32 v[2:3], v[2:3], v[4:5]
	v_addc_co_u32_e64 v4, s[0:1], 0, v10, s[0:1]
	v_lshlrev_b32_e32 v10, 2, v4
	ds_bpermute_b32 v4, v10, v2
	ds_bpermute_b32 v5, v10, v3
	v_cmp_eq_u32_e64 s[0:1], 0, v8
	s_and_saveexec_b64 s[6:7], s[0:1]
	s_cbranch_execz .LBB133_18
; %bb.17:
	v_lshrrev_b32_e32 v8, 3, v0
	v_and_b32_e32 v8, 0x78, v8
	s_waitcnt lgkmcnt(0)
	v_pk_add_f32 v[2:3], v[2:3], v[4:5]
	ds_write_b64 v8, v[2:3]
.LBB133_18:
	s_or_b64 exec, exec, s[6:7]
	s_mov_b32 s5, s4
	v_cmp_gt_u32_e64 s[0:1], 16, v0
	v_mov_b64_e32 v[2:3], s[4:5]
	s_waitcnt lgkmcnt(0)
	s_barrier
	s_and_saveexec_b64 s[4:5], s[0:1]
	s_cbranch_execnz .LBB133_22
; %bb.19:
	s_or_b64 exec, exec, s[4:5]
	s_and_saveexec_b64 s[0:1], vcc
	s_cbranch_execnz .LBB133_23
.LBB133_20:
	s_or_b64 exec, exec, s[0:1]
	v_cmp_eq_u32_e32 vcc, 0, v0
	s_and_saveexec_b64 s[0:1], vcc
	s_cbranch_execnz .LBB133_24
.LBB133_21:
	s_endpgm
.LBB133_22:
	ds_read_b64 v[2:3], v1
	s_or_b64 exec, exec, s[4:5]
	s_and_saveexec_b64 s[0:1], vcc
	s_cbranch_execz .LBB133_20
.LBB133_23:
	s_waitcnt lgkmcnt(0)
	ds_bpermute_b32 v4, v6, v2
	ds_bpermute_b32 v5, v6, v3
	s_waitcnt lgkmcnt(0)
	v_pk_add_f32 v[2:3], v[2:3], v[4:5]
	ds_bpermute_b32 v4, v7, v2
	ds_bpermute_b32 v5, v7, v3
	s_waitcnt lgkmcnt(0)
	v_pk_add_f32 v[2:3], v[2:3], v[4:5]
	;; [unrolled: 4-line block ×4, first 2 shown]
	s_or_b64 exec, exec, s[0:1]
	v_cmp_eq_u32_e32 vcc, 0, v0
	s_and_saveexec_b64 s[0:1], vcc
	s_cbranch_execz .LBB133_21
.LBB133_24:
	v_cmp_neq_f32_e64 s[4:5], s24, 0
	v_cmp_neq_f32_e64 s[6:7], s25, 0
	s_mul_i32 s0, s2, s21
	s_mul_hi_u32 s1, s2, s20
	s_waitcnt lgkmcnt(0)
	v_pk_mul_f32 v[4:5], v[2:3], s[26:27] op_sel:[1,0]
	s_add_i32 s0, s1, s0
	s_mul_i32 s1, s3, s20
	s_or_b64 s[4:5], s[4:5], s[6:7]
	v_pk_fma_f32 v[0:1], v[2:3], s[26:27], v[4:5] op_sel:[0,0,1] op_sel_hi:[0,1,0] neg_lo:[0,0,1] neg_hi:[0,0,1]
	v_pk_fma_f32 v[2:3], v[2:3], s[26:27], v[4:5] op_sel:[0,0,1] op_sel_hi:[0,1,0]
	s_add_i32 s1, s0, s1
	s_andn2_b64 vcc, exec, s[4:5]
	s_mul_i32 s0, s2, s20
	s_cbranch_vccnz .LBB133_26
; %bb.25:
	s_lshl_b64 s[2:3], s[0:1], 3
	s_add_u32 s2, s22, s2
	s_addc_u32 s3, s23, s3
	v_mov_b32_e32 v1, 0
	global_load_dwordx2 v[4:5], v1, s[2:3]
	v_mov_b32_e32 v1, v3
	s_waitcnt vmcnt(0)
	v_pk_mul_f32 v[2:3], s[24:25], v[4:5] op_sel:[0,1]
	s_nop 0
	v_pk_fma_f32 v[6:7], s[24:25], v[4:5], v[2:3] op_sel:[0,0,1] op_sel_hi:[1,1,0] neg_lo:[0,0,1] neg_hi:[0,0,1]
	v_pk_fma_f32 v[2:3], s[24:25], v[4:5], v[2:3] op_sel:[0,0,1] op_sel_hi:[1,0,0]
	s_nop 0
	v_mov_b32_e32 v7, v3
	v_pk_add_f32 v[0:1], v[0:1], v[6:7]
	s_nop 0
	v_mov_b32_e32 v3, v1
.LBB133_26:
	s_lshl_b64 s[0:1], s[0:1], 3
	s_add_u32 s0, s22, s0
	s_addc_u32 s1, s23, s1
	v_mov_b32_e32 v2, 0
	v_mov_b32_e32 v1, v3
	global_store_dwordx2 v2, v[0:1], s[0:1]
	s_endpgm
	.section	.rodata,"a",@progbits
	.p2align	6, 0x0
	.amdhsa_kernel _ZL32rocblas_gemvt_warp_reduce_kernelILb0ELi1024El19rocblas_complex_numIfES1_S1_EviiT3_lPKT2_lT1_lS5_lS6_lS2_lPT4_lS6_li
		.amdhsa_group_segment_fixed_size 512
		.amdhsa_private_segment_fixed_size 0
		.amdhsa_kernarg_size 140
		.amdhsa_user_sgpr_count 2
		.amdhsa_user_sgpr_dispatch_ptr 0
		.amdhsa_user_sgpr_queue_ptr 0
		.amdhsa_user_sgpr_kernarg_segment_ptr 1
		.amdhsa_user_sgpr_dispatch_id 0
		.amdhsa_user_sgpr_kernarg_preload_length 0
		.amdhsa_user_sgpr_kernarg_preload_offset 0
		.amdhsa_user_sgpr_private_segment_size 0
		.amdhsa_uses_dynamic_stack 0
		.amdhsa_enable_private_segment 0
		.amdhsa_system_sgpr_workgroup_id_x 1
		.amdhsa_system_sgpr_workgroup_id_y 0
		.amdhsa_system_sgpr_workgroup_id_z 1
		.amdhsa_system_sgpr_workgroup_info 0
		.amdhsa_system_vgpr_workitem_id 0
		.amdhsa_next_free_vgpr 16
		.amdhsa_next_free_sgpr 29
		.amdhsa_accum_offset 16
		.amdhsa_reserve_vcc 1
		.amdhsa_float_round_mode_32 0
		.amdhsa_float_round_mode_16_64 0
		.amdhsa_float_denorm_mode_32 3
		.amdhsa_float_denorm_mode_16_64 3
		.amdhsa_dx10_clamp 1
		.amdhsa_ieee_mode 1
		.amdhsa_fp16_overflow 0
		.amdhsa_tg_split 0
		.amdhsa_exception_fp_ieee_invalid_op 0
		.amdhsa_exception_fp_denorm_src 0
		.amdhsa_exception_fp_ieee_div_zero 0
		.amdhsa_exception_fp_ieee_overflow 0
		.amdhsa_exception_fp_ieee_underflow 0
		.amdhsa_exception_fp_ieee_inexact 0
		.amdhsa_exception_int_div_zero 0
	.end_amdhsa_kernel
	.section	.text._ZL32rocblas_gemvt_warp_reduce_kernelILb0ELi1024El19rocblas_complex_numIfES1_S1_EviiT3_lPKT2_lT1_lS5_lS6_lS2_lPT4_lS6_li,"axG",@progbits,_ZL32rocblas_gemvt_warp_reduce_kernelILb0ELi1024El19rocblas_complex_numIfES1_S1_EviiT3_lPKT2_lT1_lS5_lS6_lS2_lPT4_lS6_li,comdat
.Lfunc_end133:
	.size	_ZL32rocblas_gemvt_warp_reduce_kernelILb0ELi1024El19rocblas_complex_numIfES1_S1_EviiT3_lPKT2_lT1_lS5_lS6_lS2_lPT4_lS6_li, .Lfunc_end133-_ZL32rocblas_gemvt_warp_reduce_kernelILb0ELi1024El19rocblas_complex_numIfES1_S1_EviiT3_lPKT2_lT1_lS5_lS6_lS2_lPT4_lS6_li
                                        ; -- End function
	.section	.AMDGPU.csdata,"",@progbits
; Kernel info:
; codeLenInByte = 1724
; NumSgprs: 35
; NumVgprs: 16
; NumAgprs: 0
; TotalNumVgprs: 16
; ScratchSize: 0
; MemoryBound: 0
; FloatMode: 240
; IeeeMode: 1
; LDSByteSize: 512 bytes/workgroup (compile time only)
; SGPRBlocks: 4
; VGPRBlocks: 1
; NumSGPRsForWavesPerEU: 35
; NumVGPRsForWavesPerEU: 16
; AccumOffset: 16
; Occupancy: 8
; WaveLimiterHint : 1
; COMPUTE_PGM_RSRC2:SCRATCH_EN: 0
; COMPUTE_PGM_RSRC2:USER_SGPR: 2
; COMPUTE_PGM_RSRC2:TRAP_HANDLER: 0
; COMPUTE_PGM_RSRC2:TGID_X_EN: 1
; COMPUTE_PGM_RSRC2:TGID_Y_EN: 0
; COMPUTE_PGM_RSRC2:TGID_Z_EN: 1
; COMPUTE_PGM_RSRC2:TIDIG_COMP_CNT: 0
; COMPUTE_PGM_RSRC3_GFX90A:ACCUM_OFFSET: 3
; COMPUTE_PGM_RSRC3_GFX90A:TG_SPLIT: 0
	.section	.text._ZL22rocblas_gemvtsm_kernelILb1ELi256E19rocblas_complex_numIfEPKS1_S1_EviiT2_lPKT1_lilS7_lilS4_lPT3_lil,"axG",@progbits,_ZL22rocblas_gemvtsm_kernelILb1ELi256E19rocblas_complex_numIfEPKS1_S1_EviiT2_lPKT1_lilS7_lilS4_lPT3_lil,comdat
	.globl	_ZL22rocblas_gemvtsm_kernelILb1ELi256E19rocblas_complex_numIfEPKS1_S1_EviiT2_lPKT1_lilS7_lilS4_lPT3_lil ; -- Begin function _ZL22rocblas_gemvtsm_kernelILb1ELi256E19rocblas_complex_numIfEPKS1_S1_EviiT2_lPKT1_lilS7_lilS4_lPT3_lil
	.p2align	8
	.type	_ZL22rocblas_gemvtsm_kernelILb1ELi256E19rocblas_complex_numIfEPKS1_S1_EviiT2_lPKT1_lilS7_lilS4_lPT3_lil,@function
_ZL22rocblas_gemvtsm_kernelILb1ELi256E19rocblas_complex_numIfEPKS1_S1_EviiT2_lPKT1_lilS7_lilS4_lPT3_lil: ; @_ZL22rocblas_gemvtsm_kernelILb1ELi256E19rocblas_complex_numIfEPKS1_S1_EviiT2_lPKT1_lilS7_lilS4_lPT3_lil
; %bb.0:
	s_load_dwordx8 s[4:11], s[0:1], 0x8
	s_load_dwordx8 s[12:19], s[0:1], 0x50
	s_waitcnt lgkmcnt(0)
	s_mul_i32 s3, s2, s7
	s_mul_hi_u32 s7, s2, s6
	s_add_i32 s7, s7, s3
	s_mul_i32 s6, s2, s6
	s_lshl_b64 s[6:7], s[6:7], 3
	s_add_u32 s4, s4, s6
	s_addc_u32 s5, s5, s7
	s_load_dwordx2 s[22:23], s[4:5], 0x0
	s_mul_i32 s3, s2, s17
	s_mul_hi_u32 s4, s2, s16
	s_add_i32 s5, s4, s3
	s_mul_i32 s4, s2, s16
	s_lshl_b64 s[4:5], s[4:5], 3
	s_add_u32 s4, s14, s4
	s_addc_u32 s5, s15, s5
	s_load_dwordx2 s[14:15], s[4:5], 0x0
	s_waitcnt lgkmcnt(0)
	v_cmp_eq_f32_e64 s[4:5], s22, 0
	v_cmp_eq_f32_e64 s[6:7], s23, 0
	s_and_b64 s[4:5], s[4:5], s[6:7]
	v_cmp_eq_f32_e64 s[6:7], s14, 1.0
	v_cmp_eq_f32_e64 s[16:17], s15, 0
	s_and_b64 s[6:7], s[6:7], s[16:17]
	s_and_b64 s[4:5], s[4:5], s[6:7]
	s_and_b64 vcc, exec, s[4:5]
	s_cbranch_vccnz .LBB134_34
; %bb.1:
	s_load_dwordx2 s[4:5], s[0:1], 0x80
	s_load_dword s16, s[0:1], 0x78
	s_load_dwordx2 s[24:25], s[0:1], 0x70
	s_load_dwordx2 s[20:21], s[0:1], 0x0
	s_waitcnt lgkmcnt(0)
	s_mul_i32 s3, s2, s5
	s_mul_hi_u32 s5, s2, s4
	s_add_i32 s27, s5, s3
	s_or_b32 s3, s22, s23
	s_bitset0_b32 s3, 31
	s_mul_i32 s26, s2, s4
	s_cmp_lg_u32 s3, 0
	s_mov_b64 s[4:5], -1
	s_cbranch_scc1 .LBB134_16
; %bb.2:
	v_cmp_neq_f32_e64 s[4:5], s14, 0
	v_cmp_neq_f32_e64 s[6:7], s15, 0
	s_or_b64 s[28:29], s[4:5], s[6:7]
	s_cmp_gt_i32 s21, 0
	s_mov_b64 s[6:7], -1
	s_cselect_b64 s[4:5], -1, 0
	s_and_b64 vcc, exec, s[28:29]
	s_cbranch_vccnz .LBB134_9
; %bb.3:
	s_andn2_b64 vcc, exec, s[4:5]
	s_cbranch_vccnz .LBB134_8
; %bb.4:
	v_mad_i64_i32 v[2:3], s[28:29], s16, v0, 0
	s_ashr_i32 s17, s16, 31
	s_lshl_b64 s[6:7], s[26:27], 3
	s_lshl_b64 s[28:29], s[24:25], 3
	s_add_u32 s3, s18, s28
	s_addc_u32 s28, s19, s29
	s_add_u32 s6, s3, s6
	s_addc_u32 s7, s28, s7
	v_lshl_add_u64 v[2:3], v[2:3], 3, s[6:7]
	s_lshl_b64 s[6:7], s[16:17], 11
	s_mov_b32 s3, 0
	v_mov_b32_e32 v4, 0
	s_branch .LBB134_6
.LBB134_5:                              ;   in Loop: Header=BB134_6 Depth=1
	s_or_b64 exec, exec, s[28:29]
	s_addk_i32 s3, 0x100
	s_cmp_ge_i32 s3, s21
	v_lshl_add_u64 v[2:3], v[2:3], 0, s[6:7]
	s_cbranch_scc1 .LBB134_8
.LBB134_6:                              ; =>This Inner Loop Header: Depth=1
	v_add_u32_e32 v1, s3, v0
	v_cmp_gt_i32_e32 vcc, s21, v1
	s_and_saveexec_b64 s[28:29], vcc
	s_cbranch_execz .LBB134_5
; %bb.7:                                ;   in Loop: Header=BB134_6 Depth=1
	v_mov_b32_e32 v5, v4
	global_store_dwordx2 v[2:3], v[4:5], off
	s_branch .LBB134_5
.LBB134_8:
	s_mov_b64 s[6:7], 0
.LBB134_9:
	s_andn2_b64 vcc, exec, s[6:7]
	s_cbranch_vccnz .LBB134_15
; %bb.10:
	s_andn2_b64 vcc, exec, s[4:5]
	s_cbranch_vccnz .LBB134_15
; %bb.11:
	v_mad_i64_i32 v[2:3], s[6:7], s16, v0, 0
	s_ashr_i32 s17, s16, 31
	s_lshl_b64 s[4:5], s[26:27], 3
	s_lshl_b64 s[6:7], s[24:25], 3
	s_add_u32 s3, s18, s6
	s_addc_u32 s6, s19, s7
	s_add_u32 s4, s3, s4
	s_addc_u32 s5, s6, s5
	v_lshl_add_u64 v[2:3], v[2:3], 3, s[4:5]
	v_lshl_add_u64 v[2:3], v[2:3], 0, 4
	s_lshl_b64 s[4:5], s[16:17], 11
	s_mov_b32 s3, 0
	s_branch .LBB134_13
.LBB134_12:                             ;   in Loop: Header=BB134_13 Depth=1
	s_or_b64 exec, exec, s[6:7]
	s_addk_i32 s3, 0x100
	s_cmp_ge_i32 s3, s21
	v_lshl_add_u64 v[2:3], v[2:3], 0, s[4:5]
	s_cbranch_scc1 .LBB134_15
.LBB134_13:                             ; =>This Inner Loop Header: Depth=1
	v_add_u32_e32 v1, s3, v0
	v_cmp_gt_i32_e32 vcc, s21, v1
	s_and_saveexec_b64 s[6:7], vcc
	s_cbranch_execz .LBB134_12
; %bb.14:                               ;   in Loop: Header=BB134_13 Depth=1
	global_load_dwordx2 v[4:5], v[2:3], off offset:-4
	s_waitcnt vmcnt(0)
	v_mul_f32_e32 v1, s15, v5
	v_mul_f32_e32 v7, s14, v5
	v_fma_f32 v6, s14, v4, -v1
	v_fmac_f32_e32 v7, s15, v4
	global_store_dwordx2 v[2:3], v[6:7], off offset:-4
	s_branch .LBB134_12
.LBB134_15:
	s_mov_b64 s[4:5], 0
.LBB134_16:
	s_andn2_b64 vcc, exec, s[4:5]
	s_cbranch_vccnz .LBB134_34
; %bb.17:
	s_load_dwordx4 s[4:7], s[0:1], 0x30
	s_load_dwordx2 s[30:31], s[0:1], 0x40
	v_cmp_gt_i32_e32 vcc, s20, v0
	s_and_saveexec_b64 s[28:29], vcc
	s_cbranch_execz .LBB134_19
; %bb.18:
	s_mul_i32 s3, s2, s13
	s_mul_hi_u32 s13, s2, s12
	s_add_i32 s13, s13, s3
	s_mul_i32 s12, s2, s12
	s_lshl_b64 s[12:13], s[12:13], 3
	s_waitcnt lgkmcnt(0)
	s_add_u32 s3, s6, s12
	s_addc_u32 s12, s7, s13
	s_load_dword s13, s[0:1], 0x48
	s_lshl_b64 s[6:7], s[30:31], 3
	s_add_u32 s6, s3, s6
	s_addc_u32 s7, s12, s7
	s_waitcnt lgkmcnt(0)
	v_mad_i64_i32 v[2:3], s[12:13], s13, v0, 0
	v_lshl_add_u64 v[2:3], v[2:3], 3, s[6:7]
	global_load_dwordx2 v[2:3], v[2:3], off
	s_waitcnt vmcnt(0)
	v_mul_f32_e32 v1, s23, v3
	v_mul_f32_e32 v5, s22, v3
	v_fma_f32 v4, v2, s22, -v1
	v_fmac_f32_e32 v5, s23, v2
	v_lshlrev_b32_e32 v1, 3, v0
	ds_write_b64 v1, v[4:5]
.LBB134_19:
	s_or_b64 exec, exec, s[28:29]
	s_cmp_lt_i32 s21, 1
	s_waitcnt lgkmcnt(0)
	s_barrier
	s_cbranch_scc1 .LBB134_34
; %bb.20:
	s_load_dword s0, s[0:1], 0x28
	s_lshl_b64 s[6:7], s[26:27], 3
	s_add_u32 s3, s18, s6
	s_addc_u32 s1, s19, s7
	s_lshl_b64 s[6:7], s[24:25], 3
	s_add_u32 s6, s3, s6
	v_cmp_neq_f32_e64 s[18:19], s14, 0
	v_cmp_neq_f32_e64 s[22:23], s15, 0
	s_addc_u32 s7, s1, s7
	s_waitcnt lgkmcnt(0)
	s_ashr_i32 s1, s0, 31
	s_ashr_i32 s17, s16, 31
	s_or_b64 s[24:25], s[18:19], s[22:23]
	s_cmp_gt_i32 s20, 0
	s_cselect_b64 s[26:27], -1, 0
	s_and_b32 s23, s20, 7
	s_cmp_gt_u32 s20, 7
	s_cselect_b64 s[28:29], -1, 0
	s_and_b32 s20, s20, 0x7ffffff8
	s_cmp_lg_u32 s23, 0
	s_mul_i32 s3, s5, s2
	s_mul_hi_u32 s5, s4, s2
	s_cselect_b64 s[18:19], -1, 0
	s_add_i32 s3, s5, s3
	s_mul_i32 s2, s4, s2
	v_mad_i64_i32 v[2:3], s[4:5], s0, v0, 0
	s_lshl_b64 s[2:3], s[2:3], 3
	s_lshl_b64 s[4:5], s[10:11], 3
	s_add_u32 s4, s8, s4
	s_addc_u32 s5, s9, s5
	s_add_u32 s2, s4, s2
	s_addc_u32 s3, s5, s3
	v_lshl_add_u64 v[2:3], v[2:3], 3, s[2:3]
	v_cndmask_b32_e64 v1, 0, 1, s[24:25]
	v_cndmask_b32_e64 v6, 0, 1, s[26:27]
	;; [unrolled: 1-line block ×3, first 2 shown]
	s_mov_b32 s13, 0
	s_mov_b32 s22, s15
	v_lshl_add_u64 v[4:5], v[2:3], 0, 60
	s_lshl_b64 s[8:9], s[0:1], 11
	v_cmp_ne_u32_e64 s[0:1], 1, v1
	v_cmp_ne_u32_e64 s[2:3], 1, v6
	v_cmp_ne_u32_e64 s[4:5], 1, v7
	s_mov_b32 s24, 0
	s_branch .LBB134_23
.LBB134_21:                             ;   in Loop: Header=BB134_23 Depth=1
	global_store_dwordx2 v[6:7], v[8:9], off
.LBB134_22:                             ;   in Loop: Header=BB134_23 Depth=1
	s_or_b64 exec, exec, s[10:11]
	s_addk_i32 s24, 0x100
	v_lshl_add_u64 v[4:5], v[4:5], 0, s[8:9]
	s_cmp_ge_i32 s24, s21
	v_lshl_add_u64 v[2:3], v[2:3], 0, s[8:9]
	s_cbranch_scc1 .LBB134_34
.LBB134_23:                             ; =>This Loop Header: Depth=1
                                        ;     Child Loop BB134_29 Depth 2
                                        ;     Child Loop BB134_33 Depth 2
	v_add_u32_e32 v1, s24, v0
	v_cmp_gt_i32_e32 vcc, s21, v1
	s_and_saveexec_b64 s[10:11], vcc
	s_cbranch_execz .LBB134_22
; %bb.24:                               ;   in Loop: Header=BB134_23 Depth=1
	v_mad_u64_u32 v[6:7], s[26:27], v1, s16, 0
	v_mov_b32_e32 v8, v7
	v_mad_u64_u32 v[8:9], s[26:27], v1, s17, v[8:9]
	v_mov_b32_e32 v7, v8
	s_and_b64 vcc, exec, s[0:1]
	v_mov_b32_e32 v8, 0
	v_lshl_add_u64 v[6:7], v[6:7], 3, s[6:7]
	v_mov_b32_e32 v9, 0
	s_cbranch_vccnz .LBB134_26
; %bb.25:                               ;   in Loop: Header=BB134_23 Depth=1
	global_load_dwordx2 v[10:11], v[6:7], off
	s_waitcnt vmcnt(0)
	v_pk_mul_f32 v[12:13], s[14:15], v[10:11]
	v_mul_f32_e32 v9, s22, v10
	v_sub_f32_e32 v8, v12, v13
	v_fmac_f32_e32 v9, s14, v11
.LBB134_26:                             ;   in Loop: Header=BB134_23 Depth=1
	s_and_b64 vcc, exec, s[2:3]
	s_cbranch_vccnz .LBB134_21
; %bb.27:                               ;   in Loop: Header=BB134_23 Depth=1
	s_mov_b32 s12, 0
	s_and_b64 vcc, exec, s[4:5]
	s_cbranch_vccnz .LBB134_31
; %bb.28:                               ;   in Loop: Header=BB134_23 Depth=1
	s_mov_b32 s25, 0
	v_mov_b64_e32 v[10:11], v[4:5]
.LBB134_29:                             ;   Parent Loop BB134_23 Depth=1
                                        ; =>  This Inner Loop Header: Depth=2
	global_load_dwordx4 v[12:15], v[10:11], off offset:-60
	global_load_dwordx4 v[16:19], v[10:11], off offset:-44
	;; [unrolled: 1-line block ×4, first 2 shown]
	v_mov_b32_e32 v1, s12
	ds_read_b128 v[28:31], v1
	ds_read_b128 v[32:35], v1 offset:16
	ds_read_b128 v[36:39], v1 offset:32
	;; [unrolled: 1-line block ×3, first 2 shown]
	s_add_i32 s25, s25, 8
	s_add_i32 s12, s12, 64
	v_lshl_add_u64 v[10:11], v[10:11], 0, 64
	s_cmp_eq_u32 s20, s25
	s_waitcnt vmcnt(3) lgkmcnt(3)
	v_mul_f32_e32 v1, v13, v29
	v_mul_f32_e32 v13, v13, v28
	;; [unrolled: 1-line block ×4, first 2 shown]
	v_fmac_f32_e32 v1, v12, v28
	v_fma_f32 v12, v12, v29, -v13
	s_waitcnt vmcnt(2) lgkmcnt(2)
	v_mul_f32_e32 v45, v17, v33
	v_mul_f32_e32 v17, v17, v32
	v_fmac_f32_e32 v44, v14, v30
	v_fma_f32 v13, v14, v31, -v15
	v_add_f32_e32 v1, v8, v1
	v_add_f32_e32 v8, v9, v12
	v_mul_f32_e32 v46, v19, v35
	v_mul_f32_e32 v19, v19, v34
	v_fmac_f32_e32 v45, v16, v32
	v_fma_f32 v14, v16, v33, -v17
	v_add_f32_e32 v1, v1, v44
	v_add_f32_e32 v8, v8, v13
	s_waitcnt vmcnt(1) lgkmcnt(1)
	v_mul_f32_e32 v47, v21, v37
	v_mul_f32_e32 v21, v21, v36
	v_fmac_f32_e32 v46, v18, v34
	v_fma_f32 v15, v18, v35, -v19
	v_add_f32_e32 v1, v1, v45
	v_add_f32_e32 v8, v8, v14
	v_mul_f32_e32 v48, v23, v39
	v_mul_f32_e32 v23, v23, v38
	v_fmac_f32_e32 v47, v20, v36
	v_fma_f32 v16, v20, v37, -v21
	v_add_f32_e32 v1, v1, v46
	v_add_f32_e32 v8, v8, v15
	;; [unrolled: 13-line block ×3, first 2 shown]
	v_fmac_f32_e32 v50, v26, v42
	v_fma_f32 v19, v26, v43, -v27
	v_add_f32_e32 v1, v1, v49
	v_add_f32_e32 v9, v8, v18
	;; [unrolled: 1-line block ×4, first 2 shown]
	s_cbranch_scc0 .LBB134_29
; %bb.30:                               ;   in Loop: Header=BB134_23 Depth=1
	s_mov_b32 s12, s20
.LBB134_31:                             ;   in Loop: Header=BB134_23 Depth=1
	s_andn2_b64 vcc, exec, s[18:19]
	s_cbranch_vccnz .LBB134_21
; %bb.32:                               ;   in Loop: Header=BB134_23 Depth=1
	s_lshl_b32 s25, s12, 3
	v_lshl_add_u64 v[10:11], s[12:13], 3, v[2:3]
	s_mov_b32 s12, s23
.LBB134_33:                             ;   Parent Loop BB134_23 Depth=1
                                        ; =>  This Inner Loop Header: Depth=2
	global_load_dwordx2 v[12:13], v[10:11], off
	v_mov_b32_e32 v1, s25
	ds_read_b64 v[14:15], v1
	s_add_i32 s25, s25, 8
	s_add_i32 s12, s12, -1
	v_lshl_add_u64 v[10:11], v[10:11], 0, 8
	s_cmp_lg_u32 s12, 0
	s_waitcnt vmcnt(0) lgkmcnt(0)
	v_mul_f32_e32 v1, v13, v15
	v_mul_f32_e32 v13, v13, v14
	v_fmac_f32_e32 v1, v12, v14
	v_fma_f32 v12, v12, v15, -v13
	v_add_f32_e32 v8, v8, v1
	v_add_f32_e32 v9, v9, v12
	s_cbranch_scc1 .LBB134_33
	s_branch .LBB134_21
.LBB134_34:
	s_endpgm
	.section	.rodata,"a",@progbits
	.p2align	6, 0x0
	.amdhsa_kernel _ZL22rocblas_gemvtsm_kernelILb1ELi256E19rocblas_complex_numIfEPKS1_S1_EviiT2_lPKT1_lilS7_lilS4_lPT3_lil
		.amdhsa_group_segment_fixed_size 512
		.amdhsa_private_segment_fixed_size 0
		.amdhsa_kernarg_size 136
		.amdhsa_user_sgpr_count 2
		.amdhsa_user_sgpr_dispatch_ptr 0
		.amdhsa_user_sgpr_queue_ptr 0
		.amdhsa_user_sgpr_kernarg_segment_ptr 1
		.amdhsa_user_sgpr_dispatch_id 0
		.amdhsa_user_sgpr_kernarg_preload_length 0
		.amdhsa_user_sgpr_kernarg_preload_offset 0
		.amdhsa_user_sgpr_private_segment_size 0
		.amdhsa_uses_dynamic_stack 0
		.amdhsa_enable_private_segment 0
		.amdhsa_system_sgpr_workgroup_id_x 1
		.amdhsa_system_sgpr_workgroup_id_y 0
		.amdhsa_system_sgpr_workgroup_id_z 0
		.amdhsa_system_sgpr_workgroup_info 0
		.amdhsa_system_vgpr_workitem_id 0
		.amdhsa_next_free_vgpr 51
		.amdhsa_next_free_sgpr 32
		.amdhsa_accum_offset 52
		.amdhsa_reserve_vcc 1
		.amdhsa_float_round_mode_32 0
		.amdhsa_float_round_mode_16_64 0
		.amdhsa_float_denorm_mode_32 3
		.amdhsa_float_denorm_mode_16_64 3
		.amdhsa_dx10_clamp 1
		.amdhsa_ieee_mode 1
		.amdhsa_fp16_overflow 0
		.amdhsa_tg_split 0
		.amdhsa_exception_fp_ieee_invalid_op 0
		.amdhsa_exception_fp_denorm_src 0
		.amdhsa_exception_fp_ieee_div_zero 0
		.amdhsa_exception_fp_ieee_overflow 0
		.amdhsa_exception_fp_ieee_underflow 0
		.amdhsa_exception_fp_ieee_inexact 0
		.amdhsa_exception_int_div_zero 0
	.end_amdhsa_kernel
	.section	.text._ZL22rocblas_gemvtsm_kernelILb1ELi256E19rocblas_complex_numIfEPKS1_S1_EviiT2_lPKT1_lilS7_lilS4_lPT3_lil,"axG",@progbits,_ZL22rocblas_gemvtsm_kernelILb1ELi256E19rocblas_complex_numIfEPKS1_S1_EviiT2_lPKT1_lilS7_lilS4_lPT3_lil,comdat
.Lfunc_end134:
	.size	_ZL22rocblas_gemvtsm_kernelILb1ELi256E19rocblas_complex_numIfEPKS1_S1_EviiT2_lPKT1_lilS7_lilS4_lPT3_lil, .Lfunc_end134-_ZL22rocblas_gemvtsm_kernelILb1ELi256E19rocblas_complex_numIfEPKS1_S1_EviiT2_lPKT1_lilS7_lilS4_lPT3_lil
                                        ; -- End function
	.section	.AMDGPU.csdata,"",@progbits
; Kernel info:
; codeLenInByte = 1568
; NumSgprs: 38
; NumVgprs: 51
; NumAgprs: 0
; TotalNumVgprs: 51
; ScratchSize: 0
; MemoryBound: 0
; FloatMode: 240
; IeeeMode: 1
; LDSByteSize: 512 bytes/workgroup (compile time only)
; SGPRBlocks: 4
; VGPRBlocks: 6
; NumSGPRsForWavesPerEU: 38
; NumVGPRsForWavesPerEU: 51
; AccumOffset: 52
; Occupancy: 8
; WaveLimiterHint : 1
; COMPUTE_PGM_RSRC2:SCRATCH_EN: 0
; COMPUTE_PGM_RSRC2:USER_SGPR: 2
; COMPUTE_PGM_RSRC2:TRAP_HANDLER: 0
; COMPUTE_PGM_RSRC2:TGID_X_EN: 1
; COMPUTE_PGM_RSRC2:TGID_Y_EN: 0
; COMPUTE_PGM_RSRC2:TGID_Z_EN: 0
; COMPUTE_PGM_RSRC2:TIDIG_COMP_CNT: 0
; COMPUTE_PGM_RSRC3_GFX90A:ACCUM_OFFSET: 12
; COMPUTE_PGM_RSRC3_GFX90A:TG_SPLIT: 0
	.section	.text._ZL22rocblas_gemvtsm_kernelILb1ELi256E19rocblas_complex_numIfES1_S1_EviiT2_lPKT1_lilS5_lilS2_lPT3_lil,"axG",@progbits,_ZL22rocblas_gemvtsm_kernelILb1ELi256E19rocblas_complex_numIfES1_S1_EviiT2_lPKT1_lilS5_lilS2_lPT3_lil,comdat
	.globl	_ZL22rocblas_gemvtsm_kernelILb1ELi256E19rocblas_complex_numIfES1_S1_EviiT2_lPKT1_lilS5_lilS2_lPT3_lil ; -- Begin function _ZL22rocblas_gemvtsm_kernelILb1ELi256E19rocblas_complex_numIfES1_S1_EviiT2_lPKT1_lilS5_lilS2_lPT3_lil
	.p2align	8
	.type	_ZL22rocblas_gemvtsm_kernelILb1ELi256E19rocblas_complex_numIfES1_S1_EviiT2_lPKT1_lilS5_lilS2_lPT3_lil,@function
_ZL22rocblas_gemvtsm_kernelILb1ELi256E19rocblas_complex_numIfES1_S1_EviiT2_lPKT1_lilS5_lilS2_lPT3_lil: ; @_ZL22rocblas_gemvtsm_kernelILb1ELi256E19rocblas_complex_numIfES1_S1_EviiT2_lPKT1_lilS5_lilS2_lPT3_lil
; %bb.0:
	s_load_dwordx4 s[8:11], s[0:1], 0x0
	s_load_dwordx2 s[16:17], s[0:1], 0x58
	s_waitcnt lgkmcnt(0)
	v_cmp_eq_f32_e64 s[4:5], s10, 0
	v_cmp_eq_f32_e64 s[6:7], s11, 0
	s_and_b64 s[4:5], s[4:5], s[6:7]
	v_cmp_eq_f32_e64 s[6:7], s16, 1.0
	v_cmp_eq_f32_e64 s[12:13], s17, 0
	s_and_b64 s[6:7], s[6:7], s[12:13]
	s_and_b64 s[4:5], s[4:5], s[6:7]
	s_and_b64 vcc, exec, s[4:5]
	s_cbranch_vccnz .LBB135_34
; %bb.1:
	s_load_dwordx2 s[12:13], s[0:1], 0x80
	s_load_dwordx4 s[4:7], s[0:1], 0x68
	s_load_dword s18, s[0:1], 0x78
	s_waitcnt lgkmcnt(0)
	s_mul_i32 s3, s2, s13
	s_mul_hi_u32 s13, s2, s12
	s_add_i32 s21, s13, s3
	s_or_b32 s3, s10, s11
	s_bitset0_b32 s3, 31
	s_mul_i32 s20, s2, s12
	s_cmp_lg_u32 s3, 0
	s_mov_b64 s[12:13], -1
	s_cbranch_scc1 .LBB135_16
; %bb.2:
	v_cmp_neq_f32_e64 s[12:13], s16, 0
	v_cmp_neq_f32_e64 s[14:15], s17, 0
	s_or_b64 s[22:23], s[12:13], s[14:15]
	s_cmp_gt_i32 s9, 0
	s_mov_b64 s[14:15], -1
	s_cselect_b64 s[12:13], -1, 0
	s_and_b64 vcc, exec, s[22:23]
	s_cbranch_vccnz .LBB135_9
; %bb.3:
	s_andn2_b64 vcc, exec, s[12:13]
	s_cbranch_vccnz .LBB135_8
; %bb.4:
	v_mad_i64_i32 v[2:3], s[22:23], s18, v0, 0
	s_ashr_i32 s19, s18, 31
	s_lshl_b64 s[14:15], s[20:21], 3
	s_lshl_b64 s[22:23], s[6:7], 3
	s_add_u32 s3, s4, s22
	s_addc_u32 s22, s5, s23
	s_add_u32 s14, s3, s14
	s_addc_u32 s15, s22, s15
	v_lshl_add_u64 v[2:3], v[2:3], 3, s[14:15]
	s_lshl_b64 s[14:15], s[18:19], 11
	s_mov_b32 s3, 0
	v_mov_b32_e32 v4, 0
	s_branch .LBB135_6
.LBB135_5:                              ;   in Loop: Header=BB135_6 Depth=1
	s_or_b64 exec, exec, s[22:23]
	s_addk_i32 s3, 0x100
	s_cmp_ge_i32 s3, s9
	v_lshl_add_u64 v[2:3], v[2:3], 0, s[14:15]
	s_cbranch_scc1 .LBB135_8
.LBB135_6:                              ; =>This Inner Loop Header: Depth=1
	v_add_u32_e32 v1, s3, v0
	v_cmp_gt_i32_e32 vcc, s9, v1
	s_and_saveexec_b64 s[22:23], vcc
	s_cbranch_execz .LBB135_5
; %bb.7:                                ;   in Loop: Header=BB135_6 Depth=1
	v_mov_b32_e32 v5, v4
	global_store_dwordx2 v[2:3], v[4:5], off
	s_branch .LBB135_5
.LBB135_8:
	s_mov_b64 s[14:15], 0
.LBB135_9:
	s_andn2_b64 vcc, exec, s[14:15]
	s_cbranch_vccnz .LBB135_15
; %bb.10:
	s_andn2_b64 vcc, exec, s[12:13]
	s_cbranch_vccnz .LBB135_15
; %bb.11:
	v_mad_i64_i32 v[2:3], s[14:15], s18, v0, 0
	s_ashr_i32 s19, s18, 31
	s_lshl_b64 s[12:13], s[20:21], 3
	s_lshl_b64 s[14:15], s[6:7], 3
	s_add_u32 s3, s4, s14
	s_addc_u32 s14, s5, s15
	s_add_u32 s12, s3, s12
	s_addc_u32 s13, s14, s13
	v_lshl_add_u64 v[2:3], v[2:3], 3, s[12:13]
	v_lshl_add_u64 v[2:3], v[2:3], 0, 4
	s_lshl_b64 s[12:13], s[18:19], 11
	s_mov_b32 s3, 0
	s_branch .LBB135_13
.LBB135_12:                             ;   in Loop: Header=BB135_13 Depth=1
	s_or_b64 exec, exec, s[14:15]
	s_addk_i32 s3, 0x100
	s_cmp_ge_i32 s3, s9
	v_lshl_add_u64 v[2:3], v[2:3], 0, s[12:13]
	s_cbranch_scc1 .LBB135_15
.LBB135_13:                             ; =>This Inner Loop Header: Depth=1
	v_add_u32_e32 v1, s3, v0
	v_cmp_gt_i32_e32 vcc, s9, v1
	s_and_saveexec_b64 s[14:15], vcc
	s_cbranch_execz .LBB135_12
; %bb.14:                               ;   in Loop: Header=BB135_13 Depth=1
	global_load_dwordx2 v[4:5], v[2:3], off offset:-4
	s_waitcnt vmcnt(0)
	v_mul_f32_e32 v1, s17, v5
	v_mul_f32_e32 v7, s16, v5
	v_fma_f32 v6, s16, v4, -v1
	v_fmac_f32_e32 v7, s17, v4
	global_store_dwordx2 v[2:3], v[6:7], off offset:-4
	s_branch .LBB135_12
.LBB135_15:
	s_mov_b64 s[12:13], 0
.LBB135_16:
	s_andn2_b64 vcc, exec, s[12:13]
	s_cbranch_vccnz .LBB135_34
; %bb.17:
	s_load_dwordx4 s[12:15], s[0:1], 0x30
	s_load_dwordx2 s[24:25], s[0:1], 0x40
	v_cmp_gt_i32_e32 vcc, s8, v0
	s_and_saveexec_b64 s[22:23], vcc
	s_cbranch_execz .LBB135_19
; %bb.18:
	s_load_dwordx2 s[26:27], s[0:1], 0x50
	s_load_dword s3, s[0:1], 0x48
	s_waitcnt lgkmcnt(0)
	s_mul_i32 s19, s2, s27
	s_mul_hi_u32 s27, s2, s26
	s_mul_i32 s26, s2, s26
	s_add_i32 s27, s27, s19
	s_lshl_b64 s[26:27], s[26:27], 3
	s_add_u32 s19, s14, s26
	s_addc_u32 s26, s15, s27
	s_lshl_b64 s[14:15], s[24:25], 3
	s_add_u32 s14, s19, s14
	s_addc_u32 s15, s26, s15
	v_mad_i64_i32 v[2:3], s[24:25], s3, v0, 0
	v_lshl_add_u64 v[2:3], v[2:3], 3, s[14:15]
	global_load_dwordx2 v[2:3], v[2:3], off
	s_waitcnt vmcnt(0)
	v_mul_f32_e32 v1, s11, v3
	v_mul_f32_e32 v5, s10, v3
	v_fma_f32 v4, v2, s10, -v1
	v_fmac_f32_e32 v5, s11, v2
	v_lshlrev_b32_e32 v1, 3, v0
	ds_write_b64 v1, v[4:5]
.LBB135_19:
	s_or_b64 exec, exec, s[22:23]
	s_cmp_lt_i32 s9, 1
	s_waitcnt lgkmcnt(0)
	s_barrier
	s_cbranch_scc1 .LBB135_34
; %bb.20:
	s_lshl_b64 s[10:11], s[20:21], 3
	s_add_u32 s3, s4, s10
	s_load_dwordx4 s[24:27], s[0:1], 0x18
	s_load_dword s4, s[0:1], 0x28
	s_addc_u32 s5, s5, s11
	s_lshl_b64 s[0:1], s[6:7], 3
	s_add_u32 s6, s3, s0
	s_addc_u32 s7, s5, s1
	v_cmp_neq_f32_e64 s[0:1], s16, 0
	v_cmp_neq_f32_e64 s[14:15], s17, 0
	s_waitcnt lgkmcnt(0)
	s_ashr_i32 s5, s4, 31
	s_ashr_i32 s19, s18, 31
	s_or_b64 s[0:1], s[0:1], s[14:15]
	s_cmp_gt_i32 s8, 0
	s_cselect_b64 s[20:21], -1, 0
	s_and_b32 s23, s8, 7
	s_cmp_gt_u32 s8, 7
	s_cselect_b64 s[28:29], -1, 0
	s_and_b32 s8, s8, 0x7ffffff8
	s_cmp_lg_u32 s23, 0
	s_mul_i32 s3, s13, s2
	s_mul_hi_u32 s10, s12, s2
	s_cselect_b64 s[14:15], -1, 0
	s_add_i32 s3, s10, s3
	s_mul_i32 s2, s12, s2
	v_mad_i64_i32 v[2:3], s[12:13], s4, v0, 0
	s_lshl_b64 s[2:3], s[2:3], 3
	s_lshl_b64 s[12:13], s[26:27], 3
	s_add_u32 s10, s24, s12
	s_addc_u32 s12, s25, s13
	s_add_u32 s2, s10, s2
	s_addc_u32 s3, s12, s3
	v_lshl_add_u64 v[2:3], v[2:3], 3, s[2:3]
	v_cndmask_b32_e64 v1, 0, 1, s[0:1]
	v_cndmask_b32_e64 v6, 0, 1, s[20:21]
	;; [unrolled: 1-line block ×3, first 2 shown]
	s_mov_b32 s11, 0
	s_mov_b32 s22, s17
	v_lshl_add_u64 v[4:5], v[2:3], 0, 60
	s_lshl_b64 s[12:13], s[4:5], 11
	v_cmp_ne_u32_e64 s[0:1], 1, v7
	v_cmp_ne_u32_e64 s[2:3], 1, v1
	;; [unrolled: 1-line block ×3, first 2 shown]
	s_mov_b32 s24, 0
	s_branch .LBB135_23
.LBB135_21:                             ;   in Loop: Header=BB135_23 Depth=1
	global_store_dwordx2 v[6:7], v[8:9], off
.LBB135_22:                             ;   in Loop: Header=BB135_23 Depth=1
	s_or_b64 exec, exec, s[20:21]
	s_addk_i32 s24, 0x100
	v_lshl_add_u64 v[4:5], v[4:5], 0, s[12:13]
	s_cmp_ge_i32 s24, s9
	v_lshl_add_u64 v[2:3], v[2:3], 0, s[12:13]
	s_cbranch_scc1 .LBB135_34
.LBB135_23:                             ; =>This Loop Header: Depth=1
                                        ;     Child Loop BB135_29 Depth 2
                                        ;     Child Loop BB135_33 Depth 2
	v_add_u32_e32 v1, s24, v0
	v_cmp_gt_i32_e32 vcc, s9, v1
	s_and_saveexec_b64 s[20:21], vcc
	s_cbranch_execz .LBB135_22
; %bb.24:                               ;   in Loop: Header=BB135_23 Depth=1
	v_mad_u64_u32 v[6:7], s[26:27], v1, s18, 0
	v_mov_b32_e32 v8, v7
	v_mad_u64_u32 v[8:9], s[26:27], v1, s19, v[8:9]
	v_mov_b32_e32 v7, v8
	s_and_b64 vcc, exec, s[2:3]
	v_mov_b32_e32 v8, 0
	v_lshl_add_u64 v[6:7], v[6:7], 3, s[6:7]
	v_mov_b32_e32 v9, 0
	s_cbranch_vccnz .LBB135_26
; %bb.25:                               ;   in Loop: Header=BB135_23 Depth=1
	global_load_dwordx2 v[10:11], v[6:7], off
	s_waitcnt vmcnt(0)
	v_pk_mul_f32 v[12:13], s[16:17], v[10:11]
	v_mul_f32_e32 v9, s22, v10
	v_sub_f32_e32 v8, v12, v13
	v_fmac_f32_e32 v9, s16, v11
.LBB135_26:                             ;   in Loop: Header=BB135_23 Depth=1
	s_and_b64 vcc, exec, s[4:5]
	s_cbranch_vccnz .LBB135_21
; %bb.27:                               ;   in Loop: Header=BB135_23 Depth=1
	s_mov_b32 s10, 0
	s_and_b64 vcc, exec, s[0:1]
	s_cbranch_vccnz .LBB135_31
; %bb.28:                               ;   in Loop: Header=BB135_23 Depth=1
	s_mov_b32 s25, 0
	v_mov_b64_e32 v[10:11], v[4:5]
.LBB135_29:                             ;   Parent Loop BB135_23 Depth=1
                                        ; =>  This Inner Loop Header: Depth=2
	global_load_dwordx4 v[12:15], v[10:11], off offset:-60
	global_load_dwordx4 v[16:19], v[10:11], off offset:-44
	;; [unrolled: 1-line block ×4, first 2 shown]
	v_mov_b32_e32 v1, s10
	ds_read_b128 v[28:31], v1
	ds_read_b128 v[32:35], v1 offset:16
	ds_read_b128 v[36:39], v1 offset:32
	;; [unrolled: 1-line block ×3, first 2 shown]
	s_add_i32 s25, s25, 8
	s_add_i32 s10, s10, 64
	v_lshl_add_u64 v[10:11], v[10:11], 0, 64
	s_cmp_eq_u32 s8, s25
	s_waitcnt vmcnt(3) lgkmcnt(3)
	v_mul_f32_e32 v1, v13, v29
	v_mul_f32_e32 v13, v13, v28
	;; [unrolled: 1-line block ×4, first 2 shown]
	v_fmac_f32_e32 v1, v12, v28
	v_fma_f32 v12, v12, v29, -v13
	s_waitcnt vmcnt(2) lgkmcnt(2)
	v_mul_f32_e32 v45, v17, v33
	v_mul_f32_e32 v17, v17, v32
	v_fmac_f32_e32 v44, v14, v30
	v_fma_f32 v13, v14, v31, -v15
	v_add_f32_e32 v1, v8, v1
	v_add_f32_e32 v8, v9, v12
	v_mul_f32_e32 v46, v19, v35
	v_mul_f32_e32 v19, v19, v34
	v_fmac_f32_e32 v45, v16, v32
	v_fma_f32 v14, v16, v33, -v17
	v_add_f32_e32 v1, v1, v44
	v_add_f32_e32 v8, v8, v13
	s_waitcnt vmcnt(1) lgkmcnt(1)
	v_mul_f32_e32 v47, v21, v37
	v_mul_f32_e32 v21, v21, v36
	v_fmac_f32_e32 v46, v18, v34
	v_fma_f32 v15, v18, v35, -v19
	v_add_f32_e32 v1, v1, v45
	v_add_f32_e32 v8, v8, v14
	v_mul_f32_e32 v48, v23, v39
	v_mul_f32_e32 v23, v23, v38
	v_fmac_f32_e32 v47, v20, v36
	v_fma_f32 v16, v20, v37, -v21
	v_add_f32_e32 v1, v1, v46
	v_add_f32_e32 v8, v8, v15
	;; [unrolled: 13-line block ×3, first 2 shown]
	v_fmac_f32_e32 v50, v26, v42
	v_fma_f32 v19, v26, v43, -v27
	v_add_f32_e32 v1, v1, v49
	v_add_f32_e32 v9, v8, v18
	;; [unrolled: 1-line block ×4, first 2 shown]
	s_cbranch_scc0 .LBB135_29
; %bb.30:                               ;   in Loop: Header=BB135_23 Depth=1
	s_mov_b32 s10, s8
.LBB135_31:                             ;   in Loop: Header=BB135_23 Depth=1
	s_andn2_b64 vcc, exec, s[14:15]
	s_cbranch_vccnz .LBB135_21
; %bb.32:                               ;   in Loop: Header=BB135_23 Depth=1
	s_lshl_b32 s25, s10, 3
	v_lshl_add_u64 v[10:11], s[10:11], 3, v[2:3]
	s_mov_b32 s10, s23
.LBB135_33:                             ;   Parent Loop BB135_23 Depth=1
                                        ; =>  This Inner Loop Header: Depth=2
	global_load_dwordx2 v[12:13], v[10:11], off
	v_mov_b32_e32 v1, s25
	ds_read_b64 v[14:15], v1
	s_add_i32 s25, s25, 8
	s_add_i32 s10, s10, -1
	v_lshl_add_u64 v[10:11], v[10:11], 0, 8
	s_cmp_lg_u32 s10, 0
	s_waitcnt vmcnt(0) lgkmcnt(0)
	v_mul_f32_e32 v1, v13, v15
	v_mul_f32_e32 v13, v13, v14
	v_fmac_f32_e32 v1, v12, v14
	v_fma_f32 v12, v12, v15, -v13
	v_add_f32_e32 v8, v8, v1
	v_add_f32_e32 v9, v9, v12
	s_cbranch_scc1 .LBB135_33
	s_branch .LBB135_21
.LBB135_34:
	s_endpgm
	.section	.rodata,"a",@progbits
	.p2align	6, 0x0
	.amdhsa_kernel _ZL22rocblas_gemvtsm_kernelILb1ELi256E19rocblas_complex_numIfES1_S1_EviiT2_lPKT1_lilS5_lilS2_lPT3_lil
		.amdhsa_group_segment_fixed_size 512
		.amdhsa_private_segment_fixed_size 0
		.amdhsa_kernarg_size 136
		.amdhsa_user_sgpr_count 2
		.amdhsa_user_sgpr_dispatch_ptr 0
		.amdhsa_user_sgpr_queue_ptr 0
		.amdhsa_user_sgpr_kernarg_segment_ptr 1
		.amdhsa_user_sgpr_dispatch_id 0
		.amdhsa_user_sgpr_kernarg_preload_length 0
		.amdhsa_user_sgpr_kernarg_preload_offset 0
		.amdhsa_user_sgpr_private_segment_size 0
		.amdhsa_uses_dynamic_stack 0
		.amdhsa_enable_private_segment 0
		.amdhsa_system_sgpr_workgroup_id_x 1
		.amdhsa_system_sgpr_workgroup_id_y 0
		.amdhsa_system_sgpr_workgroup_id_z 0
		.amdhsa_system_sgpr_workgroup_info 0
		.amdhsa_system_vgpr_workitem_id 0
		.amdhsa_next_free_vgpr 51
		.amdhsa_next_free_sgpr 30
		.amdhsa_accum_offset 52
		.amdhsa_reserve_vcc 1
		.amdhsa_float_round_mode_32 0
		.amdhsa_float_round_mode_16_64 0
		.amdhsa_float_denorm_mode_32 3
		.amdhsa_float_denorm_mode_16_64 3
		.amdhsa_dx10_clamp 1
		.amdhsa_ieee_mode 1
		.amdhsa_fp16_overflow 0
		.amdhsa_tg_split 0
		.amdhsa_exception_fp_ieee_invalid_op 0
		.amdhsa_exception_fp_denorm_src 0
		.amdhsa_exception_fp_ieee_div_zero 0
		.amdhsa_exception_fp_ieee_overflow 0
		.amdhsa_exception_fp_ieee_underflow 0
		.amdhsa_exception_fp_ieee_inexact 0
		.amdhsa_exception_int_div_zero 0
	.end_amdhsa_kernel
	.section	.text._ZL22rocblas_gemvtsm_kernelILb1ELi256E19rocblas_complex_numIfES1_S1_EviiT2_lPKT1_lilS5_lilS2_lPT3_lil,"axG",@progbits,_ZL22rocblas_gemvtsm_kernelILb1ELi256E19rocblas_complex_numIfES1_S1_EviiT2_lPKT1_lilS5_lilS2_lPT3_lil,comdat
.Lfunc_end135:
	.size	_ZL22rocblas_gemvtsm_kernelILb1ELi256E19rocblas_complex_numIfES1_S1_EviiT2_lPKT1_lilS5_lilS2_lPT3_lil, .Lfunc_end135-_ZL22rocblas_gemvtsm_kernelILb1ELi256E19rocblas_complex_numIfES1_S1_EviiT2_lPKT1_lilS5_lilS2_lPT3_lil
                                        ; -- End function
	.section	.AMDGPU.csdata,"",@progbits
; Kernel info:
; codeLenInByte = 1496
; NumSgprs: 36
; NumVgprs: 51
; NumAgprs: 0
; TotalNumVgprs: 51
; ScratchSize: 0
; MemoryBound: 0
; FloatMode: 240
; IeeeMode: 1
; LDSByteSize: 512 bytes/workgroup (compile time only)
; SGPRBlocks: 4
; VGPRBlocks: 6
; NumSGPRsForWavesPerEU: 36
; NumVGPRsForWavesPerEU: 51
; AccumOffset: 52
; Occupancy: 8
; WaveLimiterHint : 1
; COMPUTE_PGM_RSRC2:SCRATCH_EN: 0
; COMPUTE_PGM_RSRC2:USER_SGPR: 2
; COMPUTE_PGM_RSRC2:TRAP_HANDLER: 0
; COMPUTE_PGM_RSRC2:TGID_X_EN: 1
; COMPUTE_PGM_RSRC2:TGID_Y_EN: 0
; COMPUTE_PGM_RSRC2:TGID_Z_EN: 0
; COMPUTE_PGM_RSRC2:TIDIG_COMP_CNT: 0
; COMPUTE_PGM_RSRC3_GFX90A:ACCUM_OFFSET: 12
; COMPUTE_PGM_RSRC3_GFX90A:TG_SPLIT: 0
	.section	.text._ZL23rocblas_gemvt_sn_kernelILb1ELi256ELi4Ei19rocblas_complex_numIfEPKS1_S1_EviiT4_lPKT3_lilS7_lilPT5_i,"axG",@progbits,_ZL23rocblas_gemvt_sn_kernelILb1ELi256ELi4Ei19rocblas_complex_numIfEPKS1_S1_EviiT4_lPKT3_lilS7_lilPT5_i,comdat
	.globl	_ZL23rocblas_gemvt_sn_kernelILb1ELi256ELi4Ei19rocblas_complex_numIfEPKS1_S1_EviiT4_lPKT3_lilS7_lilPT5_i ; -- Begin function _ZL23rocblas_gemvt_sn_kernelILb1ELi256ELi4Ei19rocblas_complex_numIfEPKS1_S1_EviiT4_lPKT3_lilS7_lilPT5_i
	.p2align	8
	.type	_ZL23rocblas_gemvt_sn_kernelILb1ELi256ELi4Ei19rocblas_complex_numIfEPKS1_S1_EviiT4_lPKT3_lilS7_lilPT5_i,@function
_ZL23rocblas_gemvt_sn_kernelILb1ELi256ELi4Ei19rocblas_complex_numIfEPKS1_S1_EviiT4_lPKT3_lilS7_lilPT5_i: ; @_ZL23rocblas_gemvt_sn_kernelILb1ELi256ELi4Ei19rocblas_complex_numIfEPKS1_S1_EviiT4_lPKT3_lilS7_lilPT5_i
; %bb.0:
	s_load_dwordx8 s[12:19], s[0:1], 0x8
	s_load_dwordx2 s[20:21], s[0:1], 0x0
	s_mov_b32 s4, s3
	s_mov_b32 s23, 0
	v_cmp_eq_u32_e32 vcc, 0, v0
	s_waitcnt lgkmcnt(0)
	s_mul_i32 s3, s3, s15
	s_mul_hi_u32 s5, s4, s14
	s_add_i32 s7, s5, s3
	s_mul_i32 s6, s4, s14
	s_lshl_b64 s[6:7], s[6:7], 3
	s_add_u32 s6, s12, s6
	s_addc_u32 s7, s13, s7
	s_load_dwordx2 s[14:15], s[6:7], 0x0
	s_load_dwordx4 s[8:11], s[0:1], 0x50
	s_load_dword s22, s[0:1], 0x68
	s_ashr_i32 s5, s21, 31
	s_mul_hi_u32 s3, s21, s4
	s_mul_i32 s6, s5, s4
	s_add_i32 s13, s3, s6
	s_mul_i32 s12, s21, s4
	s_waitcnt lgkmcnt(0)
	s_mul_i32 s3, s13, s22
	s_mul_hi_u32 s6, s12, s22
	s_add_i32 s7, s6, s3
	s_mul_i32 s6, s12, s22
	s_lshl_b64 s[6:7], s[6:7], 3
	s_add_u32 s49, s10, s6
	s_addc_u32 s50, s11, s7
	s_or_b32 s3, s14, s15
	s_bitset0_b32 s3, 31
	s_cmp_lg_u32 s3, 0
	s_mov_b64 s[6:7], -1
	s_cbranch_scc1 .LBB136_10
; %bb.1:
	s_cmp_gt_i32 s21, 0
	s_cselect_b64 s[6:7], -1, 0
	s_and_b64 s[24:25], vcc, s[6:7]
	s_and_saveexec_b64 s[6:7], s[24:25]
	s_cbranch_execz .LBB136_9
; %bb.2:
	s_cmp_gt_u32 s21, 3
	s_cselect_b64 s[24:25], -1, 0
	s_cmp_eq_u32 s22, 1
	s_cselect_b64 s[30:31], -1, 0
	s_mov_b32 s3, 0
	s_and_b64 s[24:25], s[24:25], s[30:31]
	s_mov_b32 s26, 1
	s_mov_b64 s[28:29], -1
	s_andn2_b64 vcc, exec, s[24:25]
	s_mov_b32 s24, s3
	s_cbranch_vccnz .LBB136_6
; %bb.3:
	s_lshl_b64 s[28:29], s[2:3], 3
	s_add_u32 s25, s49, s28
	s_addc_u32 s30, s50, s29
	s_mov_b32 s29, 0
	s_and_b32 s24, s21, 0x7ffffffc
	s_mov_b32 s28, s29
	v_mov_b32_e32 v1, 0
	v_mov_b64_e32 v[2:3], s[28:29]
	s_mov_b32 s31, s24
.LBB136_4:                              ; =>This Inner Loop Header: Depth=1
	s_add_i32 s34, s26, 2
	s_add_i32 s36, s28, 2
	s_lshl_b64 s[38:39], s[28:29], 3
	s_mov_b32 s27, s29
	s_add_u32 s38, s25, s38
	s_addc_u32 s39, s30, s39
	s_lshl_b64 s[40:41], s[26:27], 3
	s_mov_b32 s37, s29
	s_add_u32 s40, s25, s40
	s_addc_u32 s41, s30, s41
	;; [unrolled: 4-line block ×3, first 2 shown]
	s_lshl_b64 s[34:35], s[34:35], 3
	s_add_u32 s34, s25, s34
	s_addc_u32 s35, s30, s35
	s_add_i32 s28, s28, 4
	s_add_i32 s26, s26, 4
	s_add_i32 s31, s31, -4
	s_cmp_lg_u32 s31, 0
	global_store_dwordx2 v1, v[2:3], s[38:39]
	global_store_dwordx2 v1, v[2:3], s[40:41]
	global_store_dwordx2 v1, v[2:3], s[36:37]
	global_store_dwordx2 v1, v[2:3], s[34:35]
	s_cbranch_scc1 .LBB136_4
; %bb.5:
	s_cmp_lg_u32 s24, s21
	s_cselect_b64 s[28:29], -1, 0
.LBB136_6:
	s_and_b64 vcc, exec, s[28:29]
	s_cbranch_vccz .LBB136_9
; %bb.7:
	s_mov_b32 s25, 0
	s_sub_i32 s26, s21, s24
	s_lshl_b64 s[12:13], s[12:13], 3
	s_lshl_b64 s[24:25], s[24:25], 3
	s_add_u32 s12, s12, s24
	s_addc_u32 s13, s13, s25
	s_mul_i32 s13, s13, s22
	s_mul_hi_u32 s24, s12, s22
	s_add_i32 s24, s24, s13
	s_mul_i32 s25, s12, s22
	s_lshl_b64 s[12:13], s[2:3], 3
	s_add_u32 s3, s25, s12
	s_addc_u32 s12, s24, s13
	s_add_u32 s10, s10, s3
	v_mov_b32_e32 v2, 0
	s_addc_u32 s11, s11, s12
	s_lshl_b64 s[12:13], s[22:23], 3
	v_mov_b32_e32 v3, v2
.LBB136_8:                              ; =>This Inner Loop Header: Depth=1
	s_add_i32 s26, s26, -1
	global_store_dwordx2 v2, v[2:3], s[10:11]
	s_add_u32 s10, s10, s12
	s_addc_u32 s11, s11, s13
	s_cmp_eq_u32 s26, 0
	s_cbranch_scc0 .LBB136_8
.LBB136_9:
	s_or_b64 exec, exec, s[6:7]
	s_mov_b64 s[6:7], 0
.LBB136_10:
	s_andn2_b64 vcc, exec, s[6:7]
	s_cbranch_vccnz .LBB136_81
; %bb.11:
	s_load_dword s23, s[0:1], 0x28
	s_load_dwordx4 s[28:31], s[0:1], 0x30
	s_load_dwordx2 s[6:7], s[0:1], 0x40
	s_load_dword s33, s[0:1], 0x48
	s_mul_i32 s0, s4, s9
	s_mul_hi_u32 s1, s4, s8
	s_add_i32 s1, s1, s0
	s_mul_i32 s0, s4, s8
	s_lshl_b64 s[0:1], s[0:1], 3
	s_waitcnt lgkmcnt(0)
	s_add_u32 s3, s30, s0
	s_addc_u32 s8, s31, s1
	s_lshl_b64 s[0:1], s[6:7], 3
	s_add_u32 s24, s3, s0
	s_addc_u32 s25, s8, s1
	s_mul_i32 s0, s4, s29
	s_mul_hi_u32 s1, s4, s28
	s_add_i32 s1, s1, s0
	s_mul_i32 s0, s4, s28
	s_lshl_b64 s[26:27], s[0:1], 3
	s_add_u32 s0, s16, s26
	s_addc_u32 s1, s17, s27
	s_lshl_b64 s[18:19], s[18:19], 3
	s_add_u32 s0, s0, s18
	s_addc_u32 s1, s1, s19
	s_lshl_b32 s3, s2, 10
	v_lshl_or_b32 v6, v0, 2, s3
	v_ashrrev_i32_e32 v7, 31, v6
	v_lshl_add_u64 v[2:3], v[6:7], 3, s[0:1]
	s_lshr_b32 s0, s5, 30
	s_add_i32 s0, s21, s0
	s_and_b32 s3, s0, -4
	s_ashr_i32 s0, s20, 31
	s_lshr_b32 s0, s0, 30
	s_add_i32 s0, s20, s0
	s_and_b32 s0, s0, -4
	s_sub_i32 s35, s20, s0
	s_cmp_lt_i32 s3, 1
	v_add_u32_e32 v33, 4, v6
	v_add_u32_e32 v34, s35, v6
	v_and_b32_e32 v1, 63, v0
	v_cmp_gt_u32_e64 s[0:1], 64, v0
	v_mbcnt_lo_u32_b32 v32, -1, 0
	v_cmp_gt_u32_e64 s[4:5], 4, v0
	v_lshrrev_b32_e32 v5, 3, v0
	v_mul_lo_u32 v4, v6, s33
	s_cbranch_scc1 .LBB136_58
; %bb.12:
	v_mbcnt_hi_u32_b32 v8, -1, v32
	v_and_b32_e32 v9, 63, v8
	v_cmp_gt_u32_e32 vcc, 32, v9
	s_cmp_gt_i32 s35, 0
	s_cselect_b64 s[30:31], -1, 0
	v_cndmask_b32_e64 v10, 0, 1, vcc
	v_lshlrev_b32_e32 v10, 5, v10
	v_cmp_gt_u32_e32 vcc, 48, v9
	v_add_lshl_u32 v35, v10, v8, 2
	s_lshl_b32 s51, s23, 2
	v_cndmask_b32_e64 v10, 0, 1, vcc
	v_lshlrev_b32_e32 v10, 4, v10
	v_cmp_gt_u32_e32 vcc, 56, v9
	v_add_lshl_u32 v36, v10, v8, 2
	s_lshl_b32 s52, s23, 1
	v_cndmask_b32_e64 v10, 0, 1, vcc
	v_lshlrev_b32_e32 v10, 3, v10
	v_cmp_gt_u32_e32 vcc, 60, v9
	v_add_lshl_u32 v37, v10, v8, 2
	s_add_u32 s29, s26, s18
	v_cndmask_b32_e64 v10, 0, 1, vcc
	v_lshlrev_b32_e32 v10, 2, v10
	v_cmp_gt_u32_e32 vcc, 62, v9
	v_add_lshl_u32 v38, v10, v8, 2
	s_addc_u32 s37, s27, s19
	v_cndmask_b32_e64 v10, 0, 1, vcc
	v_lshlrev_b32_e32 v10, 1, v10
	v_cmp_ne_u32_e32 vcc, 63, v9
	v_add_lshl_u32 v39, v10, v8, 2
	s_add_u32 s36, s16, s29
	v_addc_co_u32_e32 v8, vcc, 0, v8, vcc
	v_lshlrev_b32_e32 v40, 2, v8
	v_mul_lo_u32 v8, v6, s33
	v_add_u32_e32 v14, s33, v8
	v_add_u32_e32 v16, s33, v14
	v_ashrrev_i32_e32 v15, 31, v14
	v_ashrrev_i32_e32 v17, 31, v16
	v_lshl_add_u64 v[12:13], v[14:15], 3, s[24:25]
	v_lshl_add_u64 v[14:15], v[16:17], 3, s[24:25]
	v_add_u32_e32 v16, s33, v16
	s_addc_u32 s37, s17, s37
	v_ashrrev_i32_e32 v9, 31, v8
	v_ashrrev_i32_e32 v17, 31, v16
	v_lshl_add_u64 v[18:19], v[6:7], 3, s[36:37]
	v_cmp_ge_i32_e64 s[6:7], s20, v33
	v_cmp_ge_i32_e64 s[8:9], s20, v34
	s_mov_b32 s28, 0
	v_cmp_eq_u32_e64 s[10:11], 0, v1
	v_lshlrev_b32_e32 v41, 3, v1
	v_and_b32_e32 v42, 24, v5
	v_cmp_eq_u32_e64 s[12:13], 0, v0
	v_lshl_add_u64 v[10:11], v[8:9], 3, s[24:25]
	v_lshl_add_u64 v[16:17], v[16:17], 3, s[24:25]
	s_mov_b32 s34, s15
	s_mul_i32 s53, s23, 3
	v_lshl_add_u64 v[18:19], v[18:19], 0, 4
	v_mov_b32_e32 v20, 0
	s_mov_b32 s36, 0
	s_mov_b32 s54, s23
	;; [unrolled: 1-line block ×3, first 2 shown]
	s_branch .LBB136_14
.LBB136_13:                             ;   in Loop: Header=BB136_14 Depth=1
	s_or_b64 exec, exec, s[38:39]
	s_add_i32 s48, s48, 4
	s_add_i32 s54, s54, s51
	;; [unrolled: 1-line block ×5, first 2 shown]
	s_cmp_ge_i32 s48, s3
	s_cbranch_scc1 .LBB136_59
.LBB136_14:                             ; =>This Loop Header: Depth=1
                                        ;     Child Loop BB136_45 Depth 2
                                        ;     Child Loop BB136_47 Depth 2
                                        ; implicit-def: $vgpr29
                                        ; implicit-def: $vgpr27
                                        ; implicit-def: $vgpr25
                                        ; implicit-def: $vgpr23
	s_and_saveexec_b64 s[38:39], s[6:7]
	s_xor_b64 s[38:39], exec, s[38:39]
	s_cbranch_execnz .LBB136_41
; %bb.15:                               ;   in Loop: Header=BB136_14 Depth=1
	s_andn2_saveexec_b64 s[38:39], s[38:39]
	s_cbranch_execnz .LBB136_42
.LBB136_16:                             ;   in Loop: Header=BB136_14 Depth=1
	s_or_b64 exec, exec, s[38:39]
	s_and_saveexec_b64 s[38:39], s[0:1]
	s_cbranch_execz .LBB136_18
.LBB136_17:                             ;   in Loop: Header=BB136_14 Depth=1
	v_mov_b32_e32 v21, v20
	ds_write_b64 v41, v[20:21]
.LBB136_18:                             ;   in Loop: Header=BB136_14 Depth=1
	s_or_b64 exec, exec, s[38:39]
	ds_bpermute_b32 v30, v35, v28
	ds_bpermute_b32 v31, v35, v29
	s_waitcnt lgkmcnt(0)
	s_barrier
	v_pk_add_f32 v[28:29], v[28:29], v[30:31]
	ds_bpermute_b32 v30, v36, v28
	ds_bpermute_b32 v31, v36, v29
	s_waitcnt lgkmcnt(0)
	v_pk_add_f32 v[28:29], v[28:29], v[30:31]
	ds_bpermute_b32 v30, v37, v28
	ds_bpermute_b32 v31, v37, v29
	s_waitcnt lgkmcnt(0)
	;; [unrolled: 4-line block ×4, first 2 shown]
	v_pk_add_f32 v[28:29], v[28:29], v[30:31]
	ds_bpermute_b32 v30, v40, v28
	ds_bpermute_b32 v31, v40, v29
	s_and_saveexec_b64 s[38:39], s[10:11]
	s_cbranch_execz .LBB136_20
; %bb.19:                               ;   in Loop: Header=BB136_14 Depth=1
	s_waitcnt lgkmcnt(0)
	v_pk_add_f32 v[28:29], v[28:29], v[30:31]
	ds_write_b64 v42, v[28:29]
.LBB136_20:                             ;   in Loop: Header=BB136_14 Depth=1
	s_or_b64 exec, exec, s[38:39]
	s_mov_b32 s29, s28
	v_mov_b64_e32 v[28:29], s[28:29]
	s_waitcnt lgkmcnt(0)
	s_barrier
	s_and_saveexec_b64 s[38:39], s[4:5]
	s_cbranch_execnz .LBB136_49
; %bb.21:                               ;   in Loop: Header=BB136_14 Depth=1
	s_or_b64 exec, exec, s[38:39]
	s_and_saveexec_b64 s[38:39], s[0:1]
	s_cbranch_execnz .LBB136_50
.LBB136_22:                             ;   in Loop: Header=BB136_14 Depth=1
	s_or_b64 exec, exec, s[38:39]
	s_and_saveexec_b64 s[38:39], s[0:1]
	s_cbranch_execz .LBB136_24
.LBB136_23:                             ;   in Loop: Header=BB136_14 Depth=1
	v_mov_b32_e32 v21, v20
	ds_write_b64 v41, v[20:21]
.LBB136_24:                             ;   in Loop: Header=BB136_14 Depth=1
	s_or_b64 exec, exec, s[38:39]
	ds_bpermute_b32 v30, v35, v26
	ds_bpermute_b32 v31, v35, v27
	s_waitcnt lgkmcnt(0)
	s_barrier
	v_pk_add_f32 v[26:27], v[26:27], v[30:31]
	ds_bpermute_b32 v30, v36, v26
	ds_bpermute_b32 v31, v36, v27
	s_waitcnt lgkmcnt(0)
	v_pk_add_f32 v[26:27], v[26:27], v[30:31]
	ds_bpermute_b32 v30, v37, v26
	ds_bpermute_b32 v31, v37, v27
	s_waitcnt lgkmcnt(0)
	v_pk_add_f32 v[26:27], v[26:27], v[30:31]
	ds_bpermute_b32 v30, v38, v26
	ds_bpermute_b32 v31, v38, v27
	s_waitcnt lgkmcnt(0)
	v_pk_add_f32 v[26:27], v[26:27], v[30:31]
	ds_bpermute_b32 v30, v39, v26
	ds_bpermute_b32 v31, v39, v27
	s_waitcnt lgkmcnt(0)
	v_pk_add_f32 v[26:27], v[26:27], v[30:31]
	ds_bpermute_b32 v30, v40, v26
	ds_bpermute_b32 v31, v40, v27
	s_and_saveexec_b64 s[38:39], s[10:11]
	s_cbranch_execz .LBB136_26
; %bb.25:                               ;   in Loop: Header=BB136_14 Depth=1
	s_waitcnt lgkmcnt(0)
	v_pk_add_f32 v[26:27], v[26:27], v[30:31]
	ds_write_b64 v42, v[26:27]
.LBB136_26:                             ;   in Loop: Header=BB136_14 Depth=1
	s_or_b64 exec, exec, s[38:39]
	s_mov_b32 s29, s28
	v_mov_b64_e32 v[26:27], s[28:29]
	s_waitcnt lgkmcnt(0)
	s_barrier
	s_and_saveexec_b64 s[38:39], s[4:5]
	s_cbranch_execnz .LBB136_51
; %bb.27:                               ;   in Loop: Header=BB136_14 Depth=1
	s_or_b64 exec, exec, s[38:39]
	s_and_saveexec_b64 s[38:39], s[0:1]
	s_cbranch_execnz .LBB136_52
.LBB136_28:                             ;   in Loop: Header=BB136_14 Depth=1
	s_or_b64 exec, exec, s[38:39]
	s_and_saveexec_b64 s[38:39], s[0:1]
	s_cbranch_execz .LBB136_30
.LBB136_29:                             ;   in Loop: Header=BB136_14 Depth=1
	v_mov_b32_e32 v21, v20
	ds_write_b64 v41, v[20:21]
.LBB136_30:                             ;   in Loop: Header=BB136_14 Depth=1
	s_or_b64 exec, exec, s[38:39]
	ds_bpermute_b32 v30, v35, v24
	ds_bpermute_b32 v31, v35, v25
	s_waitcnt lgkmcnt(0)
	s_barrier
	v_pk_add_f32 v[24:25], v[24:25], v[30:31]
	ds_bpermute_b32 v30, v36, v24
	ds_bpermute_b32 v31, v36, v25
	s_waitcnt lgkmcnt(0)
	v_pk_add_f32 v[24:25], v[24:25], v[30:31]
	ds_bpermute_b32 v30, v37, v24
	ds_bpermute_b32 v31, v37, v25
	s_waitcnt lgkmcnt(0)
	;; [unrolled: 4-line block ×4, first 2 shown]
	v_pk_add_f32 v[24:25], v[24:25], v[30:31]
	ds_bpermute_b32 v30, v40, v24
	ds_bpermute_b32 v31, v40, v25
	s_and_saveexec_b64 s[38:39], s[10:11]
	s_cbranch_execz .LBB136_32
; %bb.31:                               ;   in Loop: Header=BB136_14 Depth=1
	s_waitcnt lgkmcnt(0)
	v_pk_add_f32 v[24:25], v[24:25], v[30:31]
	ds_write_b64 v42, v[24:25]
.LBB136_32:                             ;   in Loop: Header=BB136_14 Depth=1
	s_or_b64 exec, exec, s[38:39]
	s_mov_b32 s29, s28
	v_mov_b64_e32 v[24:25], s[28:29]
	s_waitcnt lgkmcnt(0)
	s_barrier
	s_and_saveexec_b64 s[38:39], s[4:5]
	s_cbranch_execnz .LBB136_53
; %bb.33:                               ;   in Loop: Header=BB136_14 Depth=1
	s_or_b64 exec, exec, s[38:39]
	s_and_saveexec_b64 s[38:39], s[0:1]
	s_cbranch_execnz .LBB136_54
.LBB136_34:                             ;   in Loop: Header=BB136_14 Depth=1
	s_or_b64 exec, exec, s[38:39]
	s_and_saveexec_b64 s[38:39], s[0:1]
	s_cbranch_execz .LBB136_36
.LBB136_35:                             ;   in Loop: Header=BB136_14 Depth=1
	v_mov_b32_e32 v21, v20
	ds_write_b64 v41, v[20:21]
.LBB136_36:                             ;   in Loop: Header=BB136_14 Depth=1
	s_or_b64 exec, exec, s[38:39]
	ds_bpermute_b32 v30, v35, v22
	ds_bpermute_b32 v31, v35, v23
	s_waitcnt lgkmcnt(0)
	s_barrier
	v_pk_add_f32 v[22:23], v[22:23], v[30:31]
	ds_bpermute_b32 v30, v36, v22
	ds_bpermute_b32 v31, v36, v23
	s_waitcnt lgkmcnt(0)
	v_pk_add_f32 v[22:23], v[22:23], v[30:31]
	ds_bpermute_b32 v30, v37, v22
	ds_bpermute_b32 v31, v37, v23
	s_waitcnt lgkmcnt(0)
	;; [unrolled: 4-line block ×4, first 2 shown]
	v_pk_add_f32 v[22:23], v[22:23], v[30:31]
	ds_bpermute_b32 v30, v40, v22
	ds_bpermute_b32 v31, v40, v23
	s_and_saveexec_b64 s[38:39], s[10:11]
	s_cbranch_execz .LBB136_38
; %bb.37:                               ;   in Loop: Header=BB136_14 Depth=1
	s_waitcnt lgkmcnt(0)
	v_pk_add_f32 v[22:23], v[22:23], v[30:31]
	ds_write_b64 v42, v[22:23]
.LBB136_38:                             ;   in Loop: Header=BB136_14 Depth=1
	s_or_b64 exec, exec, s[38:39]
	s_mov_b32 s29, s28
	v_mov_b64_e32 v[22:23], s[28:29]
	s_waitcnt lgkmcnt(0)
	s_barrier
	s_and_saveexec_b64 s[38:39], s[4:5]
	s_cbranch_execnz .LBB136_55
; %bb.39:                               ;   in Loop: Header=BB136_14 Depth=1
	s_or_b64 exec, exec, s[38:39]
	s_and_saveexec_b64 s[38:39], s[0:1]
	s_cbranch_execnz .LBB136_56
.LBB136_40:                             ;   in Loop: Header=BB136_14 Depth=1
	s_or_b64 exec, exec, s[38:39]
	s_and_saveexec_b64 s[38:39], s[12:13]
	s_cbranch_execz .LBB136_13
	s_branch .LBB136_57
.LBB136_41:                             ;   in Loop: Header=BB136_14 Depth=1
	s_mul_i32 s40, s48, s23
	s_ashr_i32 s41, s40, 31
	v_lshl_add_u64 v[30:31], s[40:41], 3, v[2:3]
	s_add_i32 s40, s40, s23
	s_ashr_i32 s41, s40, 31
	s_waitcnt lgkmcnt(0)
	global_load_dwordx2 v[22:23], v[10:11], off
	global_load_dwordx2 v[24:25], v[12:13], off
	;; [unrolled: 1-line block ×4, first 2 shown]
	global_load_dwordx4 v[26:29], v[30:31], off
	global_load_dwordx4 v[48:51], v[30:31], off offset:16
	v_lshl_add_u64 v[30:31], s[40:41], 3, v[2:3]
	s_add_i32 s40, s40, s23
	s_ashr_i32 s41, s40, 31
	global_load_dwordx4 v[52:55], v[30:31], off
	global_load_dwordx4 v[56:59], v[30:31], off offset:16
	v_lshl_add_u64 v[30:31], s[40:41], 3, v[2:3]
	global_load_dwordx4 v[60:63], v[30:31], off
	s_add_i32 s40, s40, s23
	s_ashr_i32 s41, s40, 31
	v_lshl_add_u64 v[76:77], s[40:41], 3, v[2:3]
	global_load_dwordx4 v[64:67], v[76:77], off
	global_load_dwordx4 v[68:71], v[76:77], off offset:16
	global_load_dwordx4 v[72:75], v[30:31], off offset:16
	s_waitcnt vmcnt(10)
	scratch_store_dwordx4 off, v[22:25], off
	s_waitcnt vmcnt(9)
	scratch_store_dwordx4 off, v[44:47], off offset:16
	s_waitcnt vmcnt(9)
	v_mul_f32_e32 v30, v27, v23
	v_mul_f32_e32 v9, v27, v22
	s_waitcnt vmcnt(8)
	v_pk_mul_f32 v[78:79], v[44:45], v[48:49] op_sel:[0,1]
	v_mov_b32_e32 v80, v51
	v_mul_f32_e32 v76, v29, v25
	v_mul_f32_e32 v21, v29, v24
	v_fmac_f32_e32 v30, v26, v22
	v_fma_f32 v31, v26, v23, -v9
	s_waitcnt vmcnt(7)
	v_mul_f32_e32 v26, v53, v23
	v_mul_f32_e32 v9, v53, v22
	v_pk_fma_f32 v[82:83], v[44:45], v[48:49], v[78:79] op_sel:[0,0,1] op_sel_hi:[1,1,0]
	v_pk_fma_f32 v[48:49], v[44:45], v[48:49], v[78:79] op_sel:[0,0,1] op_sel_hi:[1,0,0] neg_lo:[0,0,1] neg_hi:[0,0,1]
	v_pk_mul_f32 v[78:79], v[46:47], v[80:81] op_sel_hi:[1,0]
	v_fma_f32 v77, v28, v25, -v21
	v_fmac_f32_e32 v76, v28, v24
	v_mul_f32_e32 v28, v55, v25
	v_mul_f32_e32 v21, v55, v24
	s_waitcnt vmcnt(6)
	v_pk_mul_f32 v[80:81], v[44:45], v[56:57] op_sel:[0,1]
	v_mov_b32_e32 v48, v59
	v_fma_f32 v27, v52, v23, -v9
	v_fmac_f32_e32 v26, v52, v22
	v_pk_fma_f32 v[52:53], v[46:47], v[50:51], v[78:79] op_sel:[0,0,1] op_sel_hi:[1,1,0]
	v_pk_fma_f32 v[50:51], v[46:47], v[50:51], v[78:79] op_sel:[0,0,1] op_sel_hi:[1,0,0] neg_lo:[0,0,1] neg_hi:[0,0,1]
	s_waitcnt vmcnt(5)
	v_mul_f32_e32 v9, v61, v22
	v_fma_f32 v29, v54, v25, -v21
	v_fmac_f32_e32 v28, v54, v24
	v_mul_f32_e32 v54, v61, v23
	v_mov_b32_e32 v83, v49
	v_mul_f32_e32 v21, v63, v24
	v_pk_add_f32 v[30:31], v[30:31], 0 op_sel_hi:[1,0]
	v_pk_fma_f32 v[84:85], v[44:45], v[56:57], v[80:81] op_sel:[0,0,1] op_sel_hi:[1,1,0]
	v_pk_fma_f32 v[56:57], v[44:45], v[56:57], v[80:81] op_sel:[0,0,1] op_sel_hi:[1,0,0] neg_lo:[0,0,1] neg_hi:[0,0,1]
	v_pk_mul_f32 v[48:49], v[46:47], v[48:49] op_sel_hi:[1,0]
	v_fma_f32 v55, v60, v23, -v9
	s_waitcnt vmcnt(4)
	v_mul_f32_e32 v50, v65, v23
	v_mul_f32_e32 v9, v65, v22
	;; [unrolled: 1-line block ×3, first 2 shown]
	v_fma_f32 v79, v62, v25, -v21
	v_fmac_f32_e32 v54, v60, v22
	v_pk_fma_f32 v[60:61], v[46:47], v[58:59], v[48:49] op_sel:[0,0,1] op_sel_hi:[1,1,0]
	v_pk_fma_f32 v[48:49], v[46:47], v[58:59], v[48:49] op_sel:[0,0,1] op_sel_hi:[1,0,0] neg_lo:[0,0,1] neg_hi:[0,0,1]
	v_pk_add_f32 v[30:31], v[30:31], v[76:77]
	v_mul_f32_e32 v56, v67, v25
	v_mul_f32_e32 v21, v67, v24
	v_mov_b32_e32 v53, v51
	s_waitcnt vmcnt(3)
	v_pk_mul_f32 v[58:59], v[44:45], v[68:69] op_sel:[0,1]
	v_fmac_f32_e32 v50, v64, v22
	v_fma_f32 v51, v64, v23, -v9
	v_fmac_f32_e32 v78, v62, v24
	v_pk_add_f32 v[26:27], v[26:27], 0 op_sel_hi:[1,0]
	v_mov_b32_e32 v85, v57
	v_fmac_f32_e32 v56, v66, v24
	v_fma_f32 v57, v66, v25, -v21
	v_pk_fma_f32 v[22:23], v[44:45], v[68:69], v[58:59] op_sel:[0,0,1] op_sel_hi:[1,1,0]
	v_pk_fma_f32 v[24:25], v[44:45], v[68:69], v[58:59] op_sel:[0,0,1] op_sel_hi:[1,0,0] neg_lo:[0,0,1] neg_hi:[0,0,1]
	v_pk_add_f32 v[30:31], v[30:31], v[82:83]
	v_mov_b32_e32 v61, v49
	v_pk_add_f32 v[48:49], v[50:51], 0 op_sel_hi:[1,0]
	v_pk_add_f32 v[26:27], v[26:27], v[28:29]
	v_mov_b32_e32 v23, v25
	v_pk_add_f32 v[28:29], v[30:31], v[52:53]
	v_pk_add_f32 v[30:31], v[48:49], v[56:57]
	;; [unrolled: 1-line block ×4, first 2 shown]
	s_waitcnt vmcnt(2)
	v_pk_mul_f32 v[30:31], v[44:45], v[72:73] op_sel:[0,1]
	v_pk_add_f32 v[26:27], v[24:25], v[60:61]
	v_pk_fma_f32 v[48:49], v[44:45], v[72:73], v[30:31] op_sel:[0,0,1] op_sel_hi:[1,1,0]
	v_pk_fma_f32 v[30:31], v[44:45], v[72:73], v[30:31] op_sel:[0,0,1] op_sel_hi:[1,0,0] neg_lo:[0,0,1] neg_hi:[0,0,1]
	v_pk_add_f32 v[24:25], v[54:55], 0 op_sel_hi:[1,0]
	v_mov_b32_e32 v30, v75
	v_mov_b32_e32 v49, v31
	v_pk_mul_f32 v[30:31], v[46:47], v[30:31] op_sel_hi:[1,0]
	v_pk_add_f32 v[24:25], v[24:25], v[78:79]
	v_pk_fma_f32 v[44:45], v[46:47], v[74:75], v[30:31] op_sel:[0,0,1] op_sel_hi:[1,1,0]
	v_pk_fma_f32 v[30:31], v[46:47], v[74:75], v[30:31] op_sel:[0,0,1] op_sel_hi:[1,0,0] neg_lo:[0,0,1] neg_hi:[0,0,1]
	v_pk_add_f32 v[24:25], v[24:25], v[48:49]
	v_mov_b32_e32 v30, v71
	v_mov_b32_e32 v45, v31
	v_pk_mul_f32 v[30:31], v[46:47], v[30:31] op_sel_hi:[1,0]
	v_pk_add_f32 v[24:25], v[24:25], v[44:45]
	v_pk_fma_f32 v[44:45], v[46:47], v[70:71], v[30:31] op_sel:[0,0,1] op_sel_hi:[1,1,0]
	v_pk_fma_f32 v[30:31], v[46:47], v[70:71], v[30:31] op_sel:[0,0,1] op_sel_hi:[1,0,0] neg_lo:[0,0,1] neg_hi:[0,0,1]
	s_nop 0
	v_mov_b32_e32 v45, v31
	v_pk_add_f32 v[22:23], v[22:23], v[44:45]
	s_andn2_saveexec_b64 s[38:39], s[38:39]
	s_cbranch_execz .LBB136_16
.LBB136_42:                             ;   in Loop: Header=BB136_14 Depth=1
	v_mov_b32_e32 v29, 0
	v_mov_b32_e32 v28, 0
	v_mov_b32_e32 v27, 0
	v_mov_b32_e32 v26, 0
	v_mov_b32_e32 v25, 0
	v_mov_b32_e32 v24, 0
	s_waitcnt lgkmcnt(0)
	v_mov_b32_e32 v23, 0
	v_mov_b32_e32 v22, 0
	s_and_saveexec_b64 s[40:41], s[8:9]
	s_cbranch_execz .LBB136_48
; %bb.43:                               ;   in Loop: Header=BB136_14 Depth=1
	v_mov_b32_e32 v29, 0
	s_andn2_b64 vcc, exec, s[30:31]
	v_mov_b32_e32 v28, v29
	v_mov_b32_e32 v27, v29
	;; [unrolled: 1-line block ×7, first 2 shown]
	s_cbranch_vccnz .LBB136_48
; %bb.44:                               ;   in Loop: Header=BB136_14 Depth=1
	v_mov_b32_e32 v9, 0
	v_mov_b32_e32 v22, v8
	s_mov_b32 s29, s35
.LBB136_45:                             ;   Parent Loop BB136_14 Depth=1
                                        ; =>  This Inner Loop Header: Depth=2
	v_ashrrev_i32_e32 v23, 31, v22
	v_lshl_add_u64 v[24:25], v[22:23], 3, s[24:25]
	global_load_dwordx2 v[24:25], v[24:25], off
	s_add_i32 s29, s29, -1
	v_add_u32_e32 v22, s33, v22
	s_cmp_eq_u32 s29, 0
	s_waitcnt vmcnt(0)
	scratch_store_dwordx2 v9, v[24:25], off
	v_add_u32_e32 v9, 8, v9
	s_cbranch_scc0 .LBB136_45
; %bb.46:                               ;   in Loop: Header=BB136_14 Depth=1
	s_ashr_i32 s37, s36, 31
	v_mov_b32_e32 v22, 0
	v_lshl_add_u64 v[30:31], s[36:37], 3, v[18:19]
	v_mov_b32_e32 v9, 0
	s_mov_b32 s42, s53
	s_mov_b32 s44, s52
	;; [unrolled: 1-line block ×4, first 2 shown]
	v_mov_b32_e32 v23, v22
	v_mov_b32_e32 v24, v22
	v_mov_b32_e32 v25, v22
	v_mov_b32_e32 v26, v22
	v_mov_b32_e32 v27, v22
	v_mov_b32_e32 v28, v22
	v_mov_b32_e32 v29, v22
.LBB136_47:                             ;   Parent Loop BB136_14 Depth=1
                                        ; =>  This Inner Loop Header: Depth=2
	global_load_dwordx2 v[44:45], v[30:31], off offset:-4
	s_ashr_i32 s47, s46, 31
	s_ashr_i32 s45, s44, 31
	;; [unrolled: 1-line block ×3, first 2 shown]
	scratch_load_dwordx2 v[46:47], v9, off
	v_lshl_add_u64 v[48:49], s[46:47], 3, v[2:3]
	v_lshl_add_u64 v[50:51], s[44:45], 3, v[2:3]
	;; [unrolled: 1-line block ×3, first 2 shown]
	global_load_dwordx2 v[48:49], v[48:49], off
	s_nop 0
	global_load_dwordx2 v[50:51], v[50:51], off
	s_nop 0
	global_load_dwordx2 v[52:53], v[52:53], off
	s_add_i32 s29, s29, -1
	s_add_i32 s46, s46, 1
	s_add_i32 s44, s44, 1
	;; [unrolled: 1-line block ×3, first 2 shown]
	v_add_u32_e32 v9, 8, v9
	v_lshl_add_u64 v[30:31], v[30:31], 0, 8
	s_cmp_lg_u32 s29, 0
	s_waitcnt vmcnt(3)
	v_pk_mul_f32 v[54:55], v[46:47], v[44:45] op_sel:[0,1]
	s_nop 0
	v_pk_fma_f32 v[56:57], v[46:47], v[44:45], v[54:55] op_sel:[0,0,1] op_sel_hi:[1,1,0]
	v_pk_fma_f32 v[44:45], v[46:47], v[44:45], v[54:55] op_sel:[0,0,1] op_sel_hi:[1,0,0] neg_lo:[0,0,1] neg_hi:[0,0,1]
	s_waitcnt vmcnt(1)
	v_pk_mul_f32 v[54:55], v[46:47], v[50:51] op_sel:[0,1]
	v_mov_b32_e32 v57, v45
	v_pk_mul_f32 v[44:45], v[46:47], v[48:49] op_sel:[0,1]
	s_waitcnt vmcnt(0)
	v_pk_mul_f32 v[58:59], v[46:47], v[52:53] op_sel:[0,1]
	v_pk_add_f32 v[28:29], v[28:29], v[56:57]
	v_pk_fma_f32 v[56:57], v[46:47], v[48:49], v[44:45] op_sel:[0,0,1] op_sel_hi:[1,1,0]
	v_pk_fma_f32 v[44:45], v[46:47], v[48:49], v[44:45] op_sel:[0,0,1] op_sel_hi:[1,0,0] neg_lo:[0,0,1] neg_hi:[0,0,1]
	v_pk_fma_f32 v[48:49], v[46:47], v[50:51], v[54:55] op_sel:[0,0,1] op_sel_hi:[1,1,0]
	v_pk_fma_f32 v[50:51], v[46:47], v[50:51], v[54:55] op_sel:[0,0,1] op_sel_hi:[1,0,0] neg_lo:[0,0,1] neg_hi:[0,0,1]
	;; [unrolled: 2-line block ×3, first 2 shown]
	v_mov_b32_e32 v57, v45
	v_mov_b32_e32 v49, v51
	;; [unrolled: 1-line block ×3, first 2 shown]
	v_pk_add_f32 v[26:27], v[26:27], v[56:57]
	v_pk_add_f32 v[24:25], v[24:25], v[48:49]
	;; [unrolled: 1-line block ×3, first 2 shown]
	s_cbranch_scc1 .LBB136_47
.LBB136_48:                             ;   in Loop: Header=BB136_14 Depth=1
	s_or_b64 exec, exec, s[40:41]
	s_or_b64 exec, exec, s[38:39]
	s_and_saveexec_b64 s[38:39], s[0:1]
	s_cbranch_execnz .LBB136_17
	s_branch .LBB136_18
.LBB136_49:                             ;   in Loop: Header=BB136_14 Depth=1
	ds_read_b64 v[28:29], v41
	s_or_b64 exec, exec, s[38:39]
	s_and_saveexec_b64 s[38:39], s[0:1]
	s_cbranch_execz .LBB136_22
.LBB136_50:                             ;   in Loop: Header=BB136_14 Depth=1
	s_waitcnt lgkmcnt(0)
	ds_bpermute_b32 v30, v39, v28
	ds_bpermute_b32 v31, v39, v29
	s_waitcnt lgkmcnt(0)
	v_pk_add_f32 v[28:29], v[28:29], v[30:31]
	ds_bpermute_b32 v30, v40, v28
	ds_bpermute_b32 v31, v40, v29
	s_waitcnt lgkmcnt(0)
	v_pk_add_f32 v[28:29], v[28:29], v[30:31]
	s_or_b64 exec, exec, s[38:39]
	s_and_saveexec_b64 s[38:39], s[0:1]
	s_cbranch_execnz .LBB136_23
	s_branch .LBB136_24
.LBB136_51:                             ;   in Loop: Header=BB136_14 Depth=1
	ds_read_b64 v[26:27], v41
	s_or_b64 exec, exec, s[38:39]
	s_and_saveexec_b64 s[38:39], s[0:1]
	s_cbranch_execz .LBB136_28
.LBB136_52:                             ;   in Loop: Header=BB136_14 Depth=1
	s_waitcnt lgkmcnt(0)
	ds_bpermute_b32 v30, v39, v26
	ds_bpermute_b32 v31, v39, v27
	s_waitcnt lgkmcnt(0)
	v_pk_add_f32 v[26:27], v[26:27], v[30:31]
	ds_bpermute_b32 v30, v40, v26
	ds_bpermute_b32 v31, v40, v27
	s_waitcnt lgkmcnt(0)
	v_pk_add_f32 v[26:27], v[26:27], v[30:31]
	s_or_b64 exec, exec, s[38:39]
	s_and_saveexec_b64 s[38:39], s[0:1]
	s_cbranch_execnz .LBB136_29
	s_branch .LBB136_30
.LBB136_53:                             ;   in Loop: Header=BB136_14 Depth=1
	ds_read_b64 v[24:25], v41
	s_or_b64 exec, exec, s[38:39]
	s_and_saveexec_b64 s[38:39], s[0:1]
	s_cbranch_execz .LBB136_34
.LBB136_54:                             ;   in Loop: Header=BB136_14 Depth=1
	s_waitcnt lgkmcnt(0)
	ds_bpermute_b32 v30, v39, v24
	ds_bpermute_b32 v31, v39, v25
	s_waitcnt lgkmcnt(0)
	v_pk_add_f32 v[24:25], v[24:25], v[30:31]
	ds_bpermute_b32 v30, v40, v24
	ds_bpermute_b32 v31, v40, v25
	s_waitcnt lgkmcnt(0)
	v_pk_add_f32 v[24:25], v[24:25], v[30:31]
	s_or_b64 exec, exec, s[38:39]
	s_and_saveexec_b64 s[38:39], s[0:1]
	s_cbranch_execnz .LBB136_35
	s_branch .LBB136_36
.LBB136_55:                             ;   in Loop: Header=BB136_14 Depth=1
	ds_read_b64 v[22:23], v41
	s_or_b64 exec, exec, s[38:39]
	s_and_saveexec_b64 s[38:39], s[0:1]
	s_cbranch_execz .LBB136_40
.LBB136_56:                             ;   in Loop: Header=BB136_14 Depth=1
	s_waitcnt lgkmcnt(0)
	ds_bpermute_b32 v30, v39, v22
	ds_bpermute_b32 v31, v39, v23
	s_waitcnt lgkmcnt(0)
	v_pk_add_f32 v[22:23], v[22:23], v[30:31]
	ds_bpermute_b32 v30, v40, v22
	ds_bpermute_b32 v31, v40, v23
	s_waitcnt lgkmcnt(0)
	v_pk_add_f32 v[22:23], v[22:23], v[30:31]
	s_or_b64 exec, exec, s[38:39]
	s_and_saveexec_b64 s[38:39], s[12:13]
	s_cbranch_execz .LBB136_13
.LBB136_57:                             ;   in Loop: Header=BB136_14 Depth=1
	s_mul_i32 s29, s48, s22
	v_pk_mul_f32 v[30:31], v[28:29], s[14:15]
	v_mov_b32_e32 v44, v29
	s_add_i32 s40, s29, s2
	s_mov_b32 s41, s28
	v_mov_b32_e32 v30, v31
	v_pk_mul_f32 v[44:45], v[44:45], s[14:15]
	s_lshl_b64 s[42:43], s[40:41], 3
	v_pk_fma_f32 v[30:31], v[28:29], s[14:15], v[30:31] neg_lo:[0,0,1] neg_hi:[0,0,1]
	v_pk_fma_f32 v[28:29], v[28:29], s[34:35], v[44:45]
	s_add_u32 s42, s49, s42
	s_addc_u32 s43, s50, s43
	v_mov_b32_e32 v31, v28
	global_store_dwordx2 v20, v[30:31], s[42:43]
	v_pk_mul_f32 v[28:29], v[26:27], s[14:15]
	v_mov_b32_e32 v30, v27
	s_add_i32 s40, s40, s22
	v_mov_b32_e32 v28, v29
	v_pk_mul_f32 v[30:31], v[30:31], s[14:15]
	s_lshl_b64 s[42:43], s[40:41], 3
	v_pk_fma_f32 v[28:29], v[26:27], s[14:15], v[28:29] neg_lo:[0,0,1] neg_hi:[0,0,1]
	v_pk_fma_f32 v[26:27], v[26:27], s[34:35], v[30:31]
	s_add_u32 s42, s49, s42
	s_addc_u32 s43, s50, s43
	v_mov_b32_e32 v29, v26
	s_add_i32 s40, s40, s22
	global_store_dwordx2 v20, v[28:29], s[42:43]
	v_pk_mul_f32 v[26:27], v[24:25], s[14:15]
	v_mov_b32_e32 v28, v25
	s_lshl_b64 s[42:43], s[40:41], 3
	v_mov_b32_e32 v26, v27
	v_pk_mul_f32 v[28:29], v[28:29], s[14:15]
	s_add_u32 s42, s49, s42
	v_pk_fma_f32 v[26:27], v[24:25], s[14:15], v[26:27] neg_lo:[0,0,1] neg_hi:[0,0,1]
	v_pk_fma_f32 v[24:25], v[24:25], s[34:35], v[28:29]
	s_addc_u32 s43, s50, s43
	s_add_i32 s40, s40, s22
	v_mov_b32_e32 v27, v24
	s_waitcnt lgkmcnt(0)
	v_pk_mul_f32 v[24:25], v[22:23], s[14:15] op_sel:[1,0]
	s_lshl_b64 s[40:41], s[40:41], 3
	global_store_dwordx2 v20, v[26:27], s[42:43]
	s_add_u32 s40, s49, s40
	v_pk_fma_f32 v[26:27], v[22:23], s[14:15], v[24:25] op_sel:[0,0,1] op_sel_hi:[1,1,0] neg_lo:[0,0,1] neg_hi:[0,0,1]
	v_pk_fma_f32 v[22:23], v[22:23], s[14:15], v[24:25] op_sel:[0,0,1] op_sel_hi:[0,1,0]
	s_addc_u32 s41, s50, s41
	v_mov_b32_e32 v27, v23
	global_store_dwordx2 v20, v[26:27], s[40:41]
	s_branch .LBB136_13
.LBB136_58:
	s_mov_b32 s48, 0
.LBB136_59:
	s_cmp_ge_i32 s48, s21
	s_cbranch_scc1 .LBB136_81
; %bb.60:
	v_mbcnt_hi_u32_b32 v8, -1, v32
	v_and_b32_e32 v9, 63, v8
	v_cmp_gt_u32_e64 s[4:5], 32, v9
	s_mov_b32 s12, 0
	s_cmp_gt_i32 s35, 0
	v_cndmask_b32_e64 v10, 0, 1, s[4:5]
	v_lshlrev_b32_e32 v10, 5, v10
	v_cmp_gt_u32_e64 s[4:5], 48, v9
	v_add_lshl_u32 v21, v10, v8, 2
	s_mov_b32 s3, s12
	v_cndmask_b32_e64 v10, 0, 1, s[4:5]
	v_lshlrev_b32_e32 v10, 4, v10
	v_cmp_gt_u32_e64 s[4:5], 56, v9
	s_waitcnt lgkmcnt(0)
	v_add_lshl_u32 v22, v10, v8, 2
	s_cselect_b64 s[30:31], -1, 0
	v_cndmask_b32_e64 v10, 0, 1, s[4:5]
	v_lshlrev_b32_e32 v10, 3, v10
	v_cmp_gt_u32_e64 s[4:5], 60, v9
	v_add_lshl_u32 v23, v10, v8, 2
	s_lshl_b64 s[2:3], s[2:3], 3
	v_cndmask_b32_e64 v10, 0, 1, s[4:5]
	v_lshlrev_b32_e32 v10, 2, v10
	v_cmp_gt_u32_e64 s[4:5], 62, v9
	v_cmp_ge_i32_e32 vcc, s20, v33
	v_cmp_ge_i32_e64 s[10:11], s20, v34
	v_add_lshl_u32 v24, v10, v8, 2
	v_cndmask_b32_e64 v10, 0, 1, s[4:5]
	s_add_u32 s20, s49, s2
	v_lshlrev_b32_e32 v10, 1, v10
	s_addc_u32 s28, s50, s3
	s_and_b64 s[2:3], s[30:31], s[10:11]
	v_add_lshl_u32 v25, v10, v8, 2
	v_add_u32_e32 v10, s33, v4
	s_add_u32 s10, s26, s18
	v_cmp_ne_u32_e64 s[4:5], 63, v9
	v_add_u32_e32 v12, s33, v10
	s_addc_u32 s11, s27, s19
	v_addc_co_u32_e64 v8, s[4:5], 0, v8, s[4:5]
	v_ashrrev_i32_e32 v11, 31, v10
	v_ashrrev_i32_e32 v13, 31, v12
	s_add_u32 s10, s16, s10
	v_lshlrev_b32_e32 v26, 2, v8
	v_lshl_add_u64 v[8:9], v[10:11], 3, s[24:25]
	v_lshl_add_u64 v[10:11], v[12:13], 3, s[24:25]
	v_add_u32_e32 v12, s33, v12
	s_addc_u32 s11, s17, s11
	v_and_b32_e32 v27, 24, v5
	v_ashrrev_i32_e32 v5, 31, v4
	v_ashrrev_i32_e32 v13, 31, v12
	v_lshl_add_u64 v[6:7], v[6:7], 3, s[10:11]
	v_cmp_gt_u32_e64 s[0:1], 64, v0
	v_lshlrev_b32_e32 v20, 3, v1
	v_cmp_eq_u32_e64 s[4:5], 0, v1
	v_cmp_gt_u32_e64 s[6:7], 4, v0
	v_cmp_eq_u32_e64 s[8:9], 0, v0
	v_lshl_add_u64 v[0:1], v[4:5], 3, s[24:25]
	v_lshl_add_u64 v[12:13], v[12:13], 3, s[24:25]
	;; [unrolled: 1-line block ×3, first 2 shown]
	s_mul_i32 s10, s48, s23
	v_mov_b32_e32 v14, 0
	s_branch .LBB136_62
.LBB136_61:                             ;   in Loop: Header=BB136_62 Depth=1
	s_or_b64 exec, exec, s[16:17]
	s_add_i32 s48, s48, 1
	s_add_i32 s10, s10, s23
	s_cmp_lt_i32 s48, s21
	s_cbranch_scc0 .LBB136_81
.LBB136_62:                             ; =>This Loop Header: Depth=1
                                        ;     Child Loop BB136_74 Depth 2
                                        ;     Child Loop BB136_76 Depth 2
                                        ; implicit-def: $vgpr17
	s_and_saveexec_b64 s[16:17], vcc
	s_xor_b64 s[16:17], exec, s[16:17]
	s_cbranch_execnz .LBB136_71
; %bb.63:                               ;   in Loop: Header=BB136_62 Depth=1
	s_andn2_saveexec_b64 s[16:17], s[16:17]
	s_cbranch_execnz .LBB136_72
.LBB136_64:                             ;   in Loop: Header=BB136_62 Depth=1
	s_or_b64 exec, exec, s[16:17]
	s_and_saveexec_b64 s[16:17], s[0:1]
	s_cbranch_execz .LBB136_66
.LBB136_65:                             ;   in Loop: Header=BB136_62 Depth=1
	v_mov_b32_e32 v15, v14
	ds_write_b64 v20, v[14:15]
.LBB136_66:                             ;   in Loop: Header=BB136_62 Depth=1
	s_or_b64 exec, exec, s[16:17]
	s_waitcnt lgkmcnt(0)
	ds_bpermute_b32 v18, v21, v16
	ds_bpermute_b32 v19, v21, v17
	s_waitcnt lgkmcnt(0)
	s_barrier
	v_pk_add_f32 v[16:17], v[16:17], v[18:19]
	ds_bpermute_b32 v18, v22, v16
	ds_bpermute_b32 v19, v22, v17
	s_waitcnt lgkmcnt(0)
	v_pk_add_f32 v[16:17], v[16:17], v[18:19]
	ds_bpermute_b32 v18, v23, v16
	ds_bpermute_b32 v19, v23, v17
	s_waitcnt lgkmcnt(0)
	;; [unrolled: 4-line block ×4, first 2 shown]
	v_pk_add_f32 v[16:17], v[16:17], v[18:19]
	ds_bpermute_b32 v18, v26, v16
	ds_bpermute_b32 v19, v26, v17
	s_and_saveexec_b64 s[16:17], s[4:5]
	s_cbranch_execz .LBB136_68
; %bb.67:                               ;   in Loop: Header=BB136_62 Depth=1
	s_waitcnt lgkmcnt(0)
	v_pk_add_f32 v[16:17], v[16:17], v[18:19]
	ds_write_b64 v27, v[16:17]
.LBB136_68:                             ;   in Loop: Header=BB136_62 Depth=1
	s_or_b64 exec, exec, s[16:17]
	s_mov_b32 s13, s12
	v_mov_b64_e32 v[16:17], s[12:13]
	s_waitcnt lgkmcnt(0)
	s_barrier
	s_and_saveexec_b64 s[16:17], s[6:7]
	s_cbranch_execnz .LBB136_78
; %bb.69:                               ;   in Loop: Header=BB136_62 Depth=1
	s_or_b64 exec, exec, s[16:17]
	s_and_saveexec_b64 s[16:17], s[0:1]
	s_cbranch_execnz .LBB136_79
.LBB136_70:                             ;   in Loop: Header=BB136_62 Depth=1
	s_or_b64 exec, exec, s[16:17]
	s_and_saveexec_b64 s[16:17], s[8:9]
	s_cbranch_execz .LBB136_61
	s_branch .LBB136_80
.LBB136_71:                             ;   in Loop: Header=BB136_62 Depth=1
	s_mul_i32 s18, s48, s23
	s_ashr_i32 s19, s18, 31
	v_lshl_add_u64 v[40:41], s[18:19], 3, v[2:3]
	s_waitcnt lgkmcnt(0)
	global_load_dwordx2 v[16:17], v[0:1], off
	global_load_dwordx2 v[18:19], v[8:9], off
	;; [unrolled: 1-line block ×4, first 2 shown]
	global_load_dwordx4 v[32:35], v[40:41], off
	global_load_dwordx4 v[36:39], v[40:41], off offset:16
	s_waitcnt vmcnt(4)
	scratch_store_dwordx4 off, v[16:19], off
	s_waitcnt vmcnt(3)
	scratch_store_dwordx4 off, v[28:31], off offset:16
	s_waitcnt vmcnt(3)
	v_mul_f32_e32 v42, v33, v17
	v_mul_f32_e32 v5, v33, v16
	v_mov_b32_e32 v40, v29
	v_mul_f32_e32 v44, v35, v19
	v_mul_f32_e32 v15, v35, v18
	s_waitcnt vmcnt(2)
	v_pk_mul_f32 v[46:47], v[36:37], v[28:29] op_sel_hi:[1,0]
	v_fmac_f32_e32 v42, v32, v16
	v_fma_f32 v43, v32, v17, -v5
	v_pk_mul_f32 v[48:49], v[38:39], v[30:31] op_sel:[0,1]
	v_fmac_f32_e32 v44, v34, v18
	v_fma_f32 v45, v34, v19, -v15
	v_pk_fma_f32 v[16:17], v[36:37], v[40:41], v[46:47] op_sel:[1,0,0] op_sel_hi:[0,1,1]
	v_pk_fma_f32 v[18:19], v[36:37], v[28:29], v[46:47] op_sel:[1,1,0] op_sel_hi:[0,1,1] neg_lo:[0,0,1] neg_hi:[0,0,1]
	v_pk_add_f32 v[32:33], v[42:43], 0 op_sel_hi:[1,0]
	v_pk_fma_f32 v[28:29], v[38:39], v[30:31], v[48:49] op_sel:[0,0,1] op_sel_hi:[1,1,0]
	v_pk_fma_f32 v[30:31], v[38:39], v[30:31], v[48:49] op_sel:[0,0,1] op_sel_hi:[1,0,0] neg_lo:[1,0,0] neg_hi:[1,0,0]
	v_mov_b32_e32 v17, v19
	v_pk_add_f32 v[18:19], v[32:33], v[44:45]
	v_mov_b32_e32 v29, v31
	v_pk_add_f32 v[16:17], v[18:19], v[16:17]
	s_nop 0
	v_pk_add_f32 v[16:17], v[16:17], v[28:29]
	s_andn2_saveexec_b64 s[16:17], s[16:17]
	s_cbranch_execz .LBB136_64
.LBB136_72:                             ;   in Loop: Header=BB136_62 Depth=1
	s_waitcnt lgkmcnt(0)
	v_mov_b32_e32 v17, 0
	v_mov_b32_e32 v16, v17
	s_and_saveexec_b64 s[18:19], s[2:3]
	s_cbranch_execz .LBB136_77
; %bb.73:                               ;   in Loop: Header=BB136_62 Depth=1
	v_mov_b32_e32 v5, 0
	v_mov_b32_e32 v16, v4
	s_mov_b32 s11, s35
.LBB136_74:                             ;   Parent Loop BB136_62 Depth=1
                                        ; =>  This Inner Loop Header: Depth=2
	v_ashrrev_i32_e32 v17, 31, v16
	v_lshl_add_u64 v[18:19], v[16:17], 3, s[24:25]
	global_load_dwordx2 v[18:19], v[18:19], off
	s_add_i32 s11, s11, -1
	v_add_u32_e32 v16, s33, v16
	s_cmp_eq_u32 s11, 0
	s_waitcnt vmcnt(0)
	scratch_store_dwordx2 v5, v[18:19], off
	v_add_u32_e32 v5, 8, v5
	s_cbranch_scc0 .LBB136_74
; %bb.75:                               ;   in Loop: Header=BB136_62 Depth=1
	s_ashr_i32 s11, s10, 31
	v_mov_b32_e32 v16, 0
	v_lshl_add_u64 v[18:19], s[10:11], 3, v[6:7]
	v_mov_b32_e32 v5, 0
	s_mov_b32 s11, s35
	v_mov_b32_e32 v17, v16
.LBB136_76:                             ;   Parent Loop BB136_62 Depth=1
                                        ; =>  This Inner Loop Header: Depth=2
	global_load_dwordx2 v[28:29], v[18:19], off offset:-4
	scratch_load_dwordx2 v[30:31], v5, off
	s_add_i32 s11, s11, -1
	v_add_u32_e32 v5, 8, v5
	v_lshl_add_u64 v[18:19], v[18:19], 0, 8
	s_cmp_lg_u32 s11, 0
	s_waitcnt vmcnt(0)
	v_pk_mul_f32 v[32:33], v[28:29], v[30:31] op_sel:[1,0]
	s_nop 0
	v_pk_fma_f32 v[34:35], v[28:29], v[30:31], v[32:33] op_sel:[0,0,1] op_sel_hi:[1,1,0]
	v_pk_fma_f32 v[28:29], v[28:29], v[30:31], v[32:33] op_sel:[0,0,1] op_sel_hi:[0,1,0] neg_lo:[0,0,1] neg_hi:[0,0,1]
	v_mov_b32_e32 v35, v29
	v_pk_add_f32 v[16:17], v[16:17], v[34:35]
	s_cbranch_scc1 .LBB136_76
.LBB136_77:                             ;   in Loop: Header=BB136_62 Depth=1
	s_or_b64 exec, exec, s[18:19]
	s_or_b64 exec, exec, s[16:17]
	s_and_saveexec_b64 s[16:17], s[0:1]
	s_cbranch_execnz .LBB136_65
	s_branch .LBB136_66
.LBB136_78:                             ;   in Loop: Header=BB136_62 Depth=1
	ds_read_b64 v[16:17], v20
	s_or_b64 exec, exec, s[16:17]
	s_and_saveexec_b64 s[16:17], s[0:1]
	s_cbranch_execz .LBB136_70
.LBB136_79:                             ;   in Loop: Header=BB136_62 Depth=1
	s_waitcnt lgkmcnt(0)
	ds_bpermute_b32 v18, v25, v16
	ds_bpermute_b32 v19, v25, v17
	s_waitcnt lgkmcnt(0)
	v_pk_add_f32 v[16:17], v[16:17], v[18:19]
	ds_bpermute_b32 v18, v26, v16
	ds_bpermute_b32 v19, v26, v17
	s_waitcnt lgkmcnt(0)
	v_pk_add_f32 v[16:17], v[16:17], v[18:19]
	s_or_b64 exec, exec, s[16:17]
	s_and_saveexec_b64 s[16:17], s[8:9]
	s_cbranch_execz .LBB136_61
.LBB136_80:                             ;   in Loop: Header=BB136_62 Depth=1
	s_mul_hi_u32 s19, s48, s22
	s_mul_i32 s18, s48, s22
	s_waitcnt lgkmcnt(0)
	v_pk_mul_f32 v[18:19], v[16:17], s[14:15] op_sel:[1,0]
	s_lshl_b64 s[18:19], s[18:19], 3
	s_add_u32 s18, s20, s18
	v_pk_fma_f32 v[28:29], v[16:17], s[14:15], v[18:19] op_sel:[0,0,1] op_sel_hi:[1,1,0] neg_lo:[0,0,1] neg_hi:[0,0,1]
	v_pk_fma_f32 v[16:17], v[16:17], s[14:15], v[18:19] op_sel:[0,0,1] op_sel_hi:[0,1,0]
	s_addc_u32 s19, s28, s19
	v_mov_b32_e32 v29, v17
	global_store_dwordx2 v14, v[28:29], s[18:19]
	s_branch .LBB136_61
.LBB136_81:
	s_endpgm
	.section	.rodata,"a",@progbits
	.p2align	6, 0x0
	.amdhsa_kernel _ZL23rocblas_gemvt_sn_kernelILb1ELi256ELi4Ei19rocblas_complex_numIfEPKS1_S1_EviiT4_lPKT3_lilS7_lilPT5_i
		.amdhsa_group_segment_fixed_size 512
		.amdhsa_private_segment_fixed_size 48
		.amdhsa_kernarg_size 360
		.amdhsa_user_sgpr_count 2
		.amdhsa_user_sgpr_dispatch_ptr 0
		.amdhsa_user_sgpr_queue_ptr 0
		.amdhsa_user_sgpr_kernarg_segment_ptr 1
		.amdhsa_user_sgpr_dispatch_id 0
		.amdhsa_user_sgpr_kernarg_preload_length 0
		.amdhsa_user_sgpr_kernarg_preload_offset 0
		.amdhsa_user_sgpr_private_segment_size 0
		.amdhsa_uses_dynamic_stack 0
		.amdhsa_enable_private_segment 1
		.amdhsa_system_sgpr_workgroup_id_x 1
		.amdhsa_system_sgpr_workgroup_id_y 0
		.amdhsa_system_sgpr_workgroup_id_z 1
		.amdhsa_system_sgpr_workgroup_info 0
		.amdhsa_system_vgpr_workitem_id 0
		.amdhsa_next_free_vgpr 86
		.amdhsa_next_free_sgpr 55
		.amdhsa_accum_offset 88
		.amdhsa_reserve_vcc 1
		.amdhsa_float_round_mode_32 0
		.amdhsa_float_round_mode_16_64 0
		.amdhsa_float_denorm_mode_32 3
		.amdhsa_float_denorm_mode_16_64 3
		.amdhsa_dx10_clamp 1
		.amdhsa_ieee_mode 1
		.amdhsa_fp16_overflow 0
		.amdhsa_tg_split 0
		.amdhsa_exception_fp_ieee_invalid_op 0
		.amdhsa_exception_fp_denorm_src 0
		.amdhsa_exception_fp_ieee_div_zero 0
		.amdhsa_exception_fp_ieee_overflow 0
		.amdhsa_exception_fp_ieee_underflow 0
		.amdhsa_exception_fp_ieee_inexact 0
		.amdhsa_exception_int_div_zero 0
	.end_amdhsa_kernel
	.section	.text._ZL23rocblas_gemvt_sn_kernelILb1ELi256ELi4Ei19rocblas_complex_numIfEPKS1_S1_EviiT4_lPKT3_lilS7_lilPT5_i,"axG",@progbits,_ZL23rocblas_gemvt_sn_kernelILb1ELi256ELi4Ei19rocblas_complex_numIfEPKS1_S1_EviiT4_lPKT3_lilS7_lilPT5_i,comdat
.Lfunc_end136:
	.size	_ZL23rocblas_gemvt_sn_kernelILb1ELi256ELi4Ei19rocblas_complex_numIfEPKS1_S1_EviiT4_lPKT3_lilS7_lilPT5_i, .Lfunc_end136-_ZL23rocblas_gemvt_sn_kernelILb1ELi256ELi4Ei19rocblas_complex_numIfEPKS1_S1_EviiT4_lPKT3_lilS7_lilPT5_i
                                        ; -- End function
	.section	.AMDGPU.csdata,"",@progbits
; Kernel info:
; codeLenInByte = 5400
; NumSgprs: 61
; NumVgprs: 86
; NumAgprs: 0
; TotalNumVgprs: 86
; ScratchSize: 48
; MemoryBound: 0
; FloatMode: 240
; IeeeMode: 1
; LDSByteSize: 512 bytes/workgroup (compile time only)
; SGPRBlocks: 7
; VGPRBlocks: 10
; NumSGPRsForWavesPerEU: 61
; NumVGPRsForWavesPerEU: 86
; AccumOffset: 88
; Occupancy: 5
; WaveLimiterHint : 1
; COMPUTE_PGM_RSRC2:SCRATCH_EN: 1
; COMPUTE_PGM_RSRC2:USER_SGPR: 2
; COMPUTE_PGM_RSRC2:TRAP_HANDLER: 0
; COMPUTE_PGM_RSRC2:TGID_X_EN: 1
; COMPUTE_PGM_RSRC2:TGID_Y_EN: 0
; COMPUTE_PGM_RSRC2:TGID_Z_EN: 1
; COMPUTE_PGM_RSRC2:TIDIG_COMP_CNT: 0
; COMPUTE_PGM_RSRC3_GFX90A:ACCUM_OFFSET: 21
; COMPUTE_PGM_RSRC3_GFX90A:TG_SPLIT: 0
	.section	.text._ZL23rocblas_gemvt_sn_kernelILb1ELi256ELi4El19rocblas_complex_numIfEPKS1_S1_EviiT4_lPKT3_lilS7_lilPT5_i,"axG",@progbits,_ZL23rocblas_gemvt_sn_kernelILb1ELi256ELi4El19rocblas_complex_numIfEPKS1_S1_EviiT4_lPKT3_lilS7_lilPT5_i,comdat
	.globl	_ZL23rocblas_gemvt_sn_kernelILb1ELi256ELi4El19rocblas_complex_numIfEPKS1_S1_EviiT4_lPKT3_lilS7_lilPT5_i ; -- Begin function _ZL23rocblas_gemvt_sn_kernelILb1ELi256ELi4El19rocblas_complex_numIfEPKS1_S1_EviiT4_lPKT3_lilS7_lilPT5_i
	.p2align	8
	.type	_ZL23rocblas_gemvt_sn_kernelILb1ELi256ELi4El19rocblas_complex_numIfEPKS1_S1_EviiT4_lPKT3_lilS7_lilPT5_i,@function
_ZL23rocblas_gemvt_sn_kernelILb1ELi256ELi4El19rocblas_complex_numIfEPKS1_S1_EviiT4_lPKT3_lilS7_lilPT5_i: ; @_ZL23rocblas_gemvt_sn_kernelILb1ELi256ELi4El19rocblas_complex_numIfEPKS1_S1_EviiT4_lPKT3_lilS7_lilPT5_i
; %bb.0:
	s_load_dwordx8 s[12:19], s[0:1], 0x8
	s_load_dwordx2 s[20:21], s[0:1], 0x0
	s_mov_b32 s4, s3
	s_mov_b32 s23, 0
	v_cmp_eq_u32_e32 vcc, 0, v0
	s_waitcnt lgkmcnt(0)
	s_mul_i32 s3, s3, s15
	s_mul_hi_u32 s5, s4, s14
	s_add_i32 s7, s5, s3
	s_mul_i32 s6, s4, s14
	s_lshl_b64 s[6:7], s[6:7], 3
	s_add_u32 s6, s12, s6
	s_addc_u32 s7, s13, s7
	s_load_dwordx2 s[24:25], s[6:7], 0x0
	s_load_dwordx4 s[8:11], s[0:1], 0x50
	s_load_dword s22, s[0:1], 0x68
	s_ashr_i32 s5, s21, 31
	s_mul_hi_u32 s3, s21, s4
	s_mul_i32 s6, s5, s4
	s_add_i32 s13, s3, s6
	s_mul_i32 s12, s21, s4
	s_waitcnt lgkmcnt(0)
	s_mul_i32 s3, s13, s22
	s_mul_hi_u32 s6, s12, s22
	s_add_i32 s7, s6, s3
	s_mul_i32 s6, s12, s22
	s_lshl_b64 s[6:7], s[6:7], 3
	s_add_u32 s45, s10, s6
	s_addc_u32 s56, s11, s7
	s_or_b32 s3, s24, s25
	s_bitset0_b32 s3, 31
	s_cmp_lg_u32 s3, 0
	s_mov_b64 s[6:7], -1
	s_cbranch_scc1 .LBB137_10
; %bb.1:
	s_cmp_gt_i32 s21, 0
	s_cselect_b64 s[6:7], -1, 0
	s_and_b64 s[14:15], vcc, s[6:7]
	s_and_saveexec_b64 s[6:7], s[14:15]
	s_cbranch_execz .LBB137_9
; %bb.2:
	s_cmp_gt_u32 s21, 3
	s_cselect_b64 s[14:15], -1, 0
	s_cmp_eq_u32 s22, 1
	s_cselect_b64 s[30:31], -1, 0
	s_mov_b32 s3, 0
	s_and_b64 s[14:15], s[14:15], s[30:31]
	s_mov_b32 s26, 1
	s_mov_b64 s[28:29], -1
	s_andn2_b64 vcc, exec, s[14:15]
	s_mov_b32 s14, s3
	s_cbranch_vccnz .LBB137_6
; %bb.3:
	s_lshl_b64 s[28:29], s[2:3], 3
	s_add_u32 s15, s45, s28
	s_addc_u32 s30, s56, s29
	s_mov_b32 s29, 0
	s_and_b32 s14, s21, 0x7ffffffc
	s_mov_b32 s28, s29
	v_mov_b32_e32 v1, 0
	v_mov_b64_e32 v[2:3], s[28:29]
	s_mov_b32 s31, s14
.LBB137_4:                              ; =>This Inner Loop Header: Depth=1
	s_add_i32 s34, s26, 2
	s_add_i32 s36, s28, 2
	s_lshl_b64 s[38:39], s[28:29], 3
	s_mov_b32 s27, s29
	s_add_u32 s38, s15, s38
	s_addc_u32 s39, s30, s39
	s_lshl_b64 s[40:41], s[26:27], 3
	s_mov_b32 s37, s29
	s_add_u32 s40, s15, s40
	s_addc_u32 s41, s30, s41
	;; [unrolled: 4-line block ×3, first 2 shown]
	s_lshl_b64 s[34:35], s[34:35], 3
	s_add_u32 s34, s15, s34
	s_addc_u32 s35, s30, s35
	s_add_i32 s28, s28, 4
	s_add_i32 s26, s26, 4
	s_add_i32 s31, s31, -4
	s_cmp_lg_u32 s31, 0
	global_store_dwordx2 v1, v[2:3], s[38:39]
	global_store_dwordx2 v1, v[2:3], s[40:41]
	;; [unrolled: 1-line block ×4, first 2 shown]
	s_cbranch_scc1 .LBB137_4
; %bb.5:
	s_cmp_lg_u32 s14, s21
	s_cselect_b64 s[28:29], -1, 0
.LBB137_6:
	s_and_b64 vcc, exec, s[28:29]
	s_cbranch_vccz .LBB137_9
; %bb.7:
	s_mov_b32 s15, 0
	s_sub_i32 s26, s21, s14
	s_lshl_b64 s[12:13], s[12:13], 3
	s_lshl_b64 s[14:15], s[14:15], 3
	s_add_u32 s12, s12, s14
	s_addc_u32 s13, s13, s15
	s_mul_i32 s13, s13, s22
	s_mul_hi_u32 s14, s12, s22
	s_add_i32 s14, s14, s13
	s_mul_i32 s15, s12, s22
	s_lshl_b64 s[12:13], s[2:3], 3
	s_add_u32 s3, s15, s12
	s_addc_u32 s12, s14, s13
	s_add_u32 s10, s10, s3
	v_mov_b32_e32 v2, 0
	s_addc_u32 s11, s11, s12
	s_lshl_b64 s[12:13], s[22:23], 3
	v_mov_b32_e32 v3, v2
.LBB137_8:                              ; =>This Inner Loop Header: Depth=1
	s_add_i32 s26, s26, -1
	global_store_dwordx2 v2, v[2:3], s[10:11]
	s_add_u32 s10, s10, s12
	s_addc_u32 s11, s11, s13
	s_cmp_eq_u32 s26, 0
	s_cbranch_scc0 .LBB137_8
.LBB137_9:
	s_or_b64 exec, exec, s[6:7]
	s_mov_b64 s[6:7], 0
.LBB137_10:
	s_andn2_b64 vcc, exec, s[6:7]
	s_cbranch_vccnz .LBB137_81
; %bb.11:
	s_load_dword s26, s[0:1], 0x28
	s_load_dword s28, s[0:1], 0x48
	s_load_dwordx2 s[6:7], s[0:1], 0x40
	s_load_dwordx4 s[12:15], s[0:1], 0x30
	s_mul_i32 s0, s4, s9
	s_mul_hi_u32 s1, s4, s8
	s_add_i32 s1, s1, s0
	s_mul_i32 s0, s4, s8
	s_waitcnt lgkmcnt(0)
	s_ashr_i32 s27, s26, 31
	s_ashr_i32 s29, s28, 31
	s_lshl_b64 s[30:31], s[0:1], 3
	s_add_u32 s0, s14, s30
	s_addc_u32 s1, s15, s31
	s_lshl_b64 s[36:37], s[6:7], 3
	s_add_u32 s38, s0, s36
	s_addc_u32 s39, s1, s37
	s_mul_i32 s0, s4, s13
	s_mul_hi_u32 s1, s4, s12
	s_add_i32 s1, s1, s0
	s_mul_i32 s0, s4, s12
	s_lshl_b64 s[34:35], s[0:1], 3
	s_add_u32 s0, s16, s34
	s_addc_u32 s1, s17, s35
	s_lshl_b64 s[18:19], s[18:19], 3
	s_add_u32 s0, s0, s18
	s_addc_u32 s1, s1, s19
	s_lshl_b32 s3, s2, 10
	v_lshl_or_b32 v4, v0, 2, s3
	v_ashrrev_i32_e32 v5, 31, v4
	v_lshl_add_u64 v[2:3], v[4:5], 3, s[0:1]
	s_lshr_b32 s0, s5, 30
	s_add_i32 s0, s21, s0
	s_and_b32 s57, s0, -4
	s_ashr_i32 s0, s20, 31
	s_lshr_b32 s0, s0, 30
	s_add_i32 s0, s20, s0
	s_and_b32 s0, s0, -4
	s_sub_i32 s23, s20, s0
	s_cmp_lt_i32 s57, 1
	v_add_u32_e32 v35, 4, v4
	v_add_u32_e32 v36, s23, v4
	v_and_b32_e32 v1, 63, v0
	v_cmp_gt_u32_e64 s[0:1], 64, v0
	v_mbcnt_lo_u32_b32 v34, -1, 0
	v_cmp_gt_u32_e64 s[4:5], 4, v0
	v_lshrrev_b32_e32 v33, 3, v0
	v_or_b32_e32 v32, 1, v4
	v_or_b32_e32 v31, 2, v4
	;; [unrolled: 1-line block ×3, first 2 shown]
	s_cbranch_scc1 .LBB137_58
; %bb.12:
	v_mbcnt_hi_u32_b32 v6, -1, v34
	v_and_b32_e32 v7, 63, v6
	v_cmp_gt_u32_e32 vcc, 32, v7
	s_mov_b32 s40, 0
	s_cmp_gt_i32 s23, 0
	v_cndmask_b32_e64 v8, 0, 1, vcc
	v_lshlrev_b32_e32 v8, 5, v8
	v_cmp_gt_u32_e32 vcc, 48, v7
	v_add_lshl_u32 v37, v8, v6, 2
	s_mov_b32 s3, s40
	v_cndmask_b32_e64 v8, 0, 1, vcc
	v_lshlrev_b32_e32 v8, 4, v8
	v_cmp_gt_u32_e32 vcc, 56, v7
	v_add_lshl_u32 v38, v8, v6, 2
	s_cselect_b64 s[42:43], -1, 0
	v_cndmask_b32_e64 v8, 0, 1, vcc
	v_lshlrev_b32_e32 v8, 3, v8
	v_cmp_gt_u32_e32 vcc, 60, v7
	v_add_lshl_u32 v39, v8, v6, 2
	s_lshl_b64 s[46:47], s[2:3], 3
	v_cndmask_b32_e64 v8, 0, 1, vcc
	v_lshlrev_b32_e32 v8, 2, v8
	v_cmp_gt_u32_e32 vcc, 62, v7
	v_add_lshl_u32 v40, v8, v6, 2
	s_add_u32 s3, s45, s46
	v_cndmask_b32_e64 v8, 0, 1, vcc
	v_lshlrev_b32_e32 v8, 1, v8
	v_cmp_ne_u32_e32 vcc, 63, v7
	s_addc_u32 s58, s56, s47
	v_add_lshl_u32 v41, v8, v6, 2
	v_addc_co_u32_e32 v6, vcc, 0, v6, vcc
	s_add_u32 s33, s14, s36
	v_lshlrev_b32_e32 v42, 2, v6
	v_mad_i64_i32 v[6:7], s[46:47], s28, v4, 0
	v_mad_i64_i32 v[8:9], s[46:47], s28, v32, 0
	;; [unrolled: 1-line block ×4, first 2 shown]
	s_addc_u32 s41, s15, s37
	s_add_u32 s46, s33, s30
	v_lshlrev_b64 v[14:15], 3, v[6:7]
	s_addc_u32 s47, s41, s31
	v_cmp_ge_i32_e64 s[6:7], s20, v35
	v_cmp_ge_i32_e64 s[8:9], s20, v36
	v_cmp_eq_u32_e64 s[10:11], 0, v1
	v_lshlrev_b32_e32 v43, 3, v1
	v_and_b32_e32 v44, 24, v33
	v_cmp_eq_u32_e64 s[12:13], 0, v0
	v_lshl_add_u64 v[6:7], s[38:39], 0, v[14:15]
	v_lshl_add_u64 v[8:9], v[8:9], 3, s[38:39]
	;; [unrolled: 1-line block ×4, first 2 shown]
	s_mov_b32 s44, s25
	v_lshl_add_u64 v[14:15], s[46:47], 0, v[14:15]
	s_lshl_b64 s[46:47], s[28:29], 3
	s_lshl_b64 s[48:49], s[26:27], 5
	;; [unrolled: 1-line block ×3, first 2 shown]
	v_mov_b32_e32 v16, 0
	v_mov_b64_e32 v[18:19], v[2:3]
	s_mov_b32 s33, 0
	s_branch .LBB137_14
.LBB137_13:                             ;   in Loop: Header=BB137_14 Depth=1
	s_or_b64 exec, exec, s[52:53]
	s_add_i32 s33, s33, 4
	s_cmp_ge_i32 s33, s57
	v_lshl_add_u64 v[18:19], v[18:19], 0, s[48:49]
	s_cbranch_scc1 .LBB137_59
.LBB137_14:                             ; =>This Loop Header: Depth=1
                                        ;     Child Loop BB137_45 Depth 2
                                        ;     Child Loop BB137_47 Depth 2
                                        ; implicit-def: $vgpr27
                                        ; implicit-def: $vgpr25
                                        ; implicit-def: $vgpr23
                                        ; implicit-def: $vgpr21
	s_and_saveexec_b64 s[52:53], s[6:7]
	s_xor_b64 s[52:53], exec, s[52:53]
	s_cbranch_execnz .LBB137_41
; %bb.15:                               ;   in Loop: Header=BB137_14 Depth=1
	s_andn2_saveexec_b64 s[52:53], s[52:53]
	s_cbranch_execnz .LBB137_42
.LBB137_16:                             ;   in Loop: Header=BB137_14 Depth=1
	s_or_b64 exec, exec, s[52:53]
	s_and_saveexec_b64 s[52:53], s[0:1]
	s_cbranch_execz .LBB137_18
.LBB137_17:                             ;   in Loop: Header=BB137_14 Depth=1
	v_mov_b32_e32 v17, v16
	ds_write_b64 v43, v[16:17]
.LBB137_18:                             ;   in Loop: Header=BB137_14 Depth=1
	s_or_b64 exec, exec, s[52:53]
	ds_bpermute_b32 v28, v37, v26
	ds_bpermute_b32 v29, v37, v27
	s_waitcnt lgkmcnt(0)
	s_barrier
	v_pk_add_f32 v[26:27], v[26:27], v[28:29]
	ds_bpermute_b32 v28, v38, v26
	ds_bpermute_b32 v29, v38, v27
	s_waitcnt lgkmcnt(0)
	v_pk_add_f32 v[26:27], v[26:27], v[28:29]
	ds_bpermute_b32 v28, v39, v26
	ds_bpermute_b32 v29, v39, v27
	s_waitcnt lgkmcnt(0)
	;; [unrolled: 4-line block ×4, first 2 shown]
	v_pk_add_f32 v[26:27], v[26:27], v[28:29]
	ds_bpermute_b32 v28, v42, v26
	ds_bpermute_b32 v29, v42, v27
	s_and_saveexec_b64 s[52:53], s[10:11]
	s_cbranch_execz .LBB137_20
; %bb.19:                               ;   in Loop: Header=BB137_14 Depth=1
	s_waitcnt lgkmcnt(0)
	v_pk_add_f32 v[26:27], v[26:27], v[28:29]
	ds_write_b64 v44, v[26:27]
.LBB137_20:                             ;   in Loop: Header=BB137_14 Depth=1
	s_or_b64 exec, exec, s[52:53]
	s_mov_b32 s41, s40
	v_mov_b64_e32 v[26:27], s[40:41]
	s_waitcnt lgkmcnt(0)
	s_barrier
	s_and_saveexec_b64 s[52:53], s[4:5]
	s_cbranch_execnz .LBB137_49
; %bb.21:                               ;   in Loop: Header=BB137_14 Depth=1
	s_or_b64 exec, exec, s[52:53]
	s_and_saveexec_b64 s[52:53], s[0:1]
	s_cbranch_execnz .LBB137_50
.LBB137_22:                             ;   in Loop: Header=BB137_14 Depth=1
	s_or_b64 exec, exec, s[52:53]
	s_and_saveexec_b64 s[52:53], s[0:1]
	s_cbranch_execz .LBB137_24
.LBB137_23:                             ;   in Loop: Header=BB137_14 Depth=1
	v_mov_b32_e32 v17, v16
	ds_write_b64 v43, v[16:17]
.LBB137_24:                             ;   in Loop: Header=BB137_14 Depth=1
	s_or_b64 exec, exec, s[52:53]
	ds_bpermute_b32 v28, v37, v24
	ds_bpermute_b32 v29, v37, v25
	s_waitcnt lgkmcnt(0)
	s_barrier
	v_pk_add_f32 v[24:25], v[24:25], v[28:29]
	ds_bpermute_b32 v28, v38, v24
	ds_bpermute_b32 v29, v38, v25
	s_waitcnt lgkmcnt(0)
	v_pk_add_f32 v[24:25], v[24:25], v[28:29]
	ds_bpermute_b32 v28, v39, v24
	ds_bpermute_b32 v29, v39, v25
	s_waitcnt lgkmcnt(0)
	;; [unrolled: 4-line block ×4, first 2 shown]
	v_pk_add_f32 v[24:25], v[24:25], v[28:29]
	ds_bpermute_b32 v28, v42, v24
	ds_bpermute_b32 v29, v42, v25
	s_and_saveexec_b64 s[52:53], s[10:11]
	s_cbranch_execz .LBB137_26
; %bb.25:                               ;   in Loop: Header=BB137_14 Depth=1
	s_waitcnt lgkmcnt(0)
	v_pk_add_f32 v[24:25], v[24:25], v[28:29]
	ds_write_b64 v44, v[24:25]
.LBB137_26:                             ;   in Loop: Header=BB137_14 Depth=1
	s_or_b64 exec, exec, s[52:53]
	s_mov_b32 s41, s40
	v_mov_b64_e32 v[24:25], s[40:41]
	s_waitcnt lgkmcnt(0)
	s_barrier
	s_and_saveexec_b64 s[52:53], s[4:5]
	s_cbranch_execnz .LBB137_51
; %bb.27:                               ;   in Loop: Header=BB137_14 Depth=1
	s_or_b64 exec, exec, s[52:53]
	s_and_saveexec_b64 s[52:53], s[0:1]
	s_cbranch_execnz .LBB137_52
.LBB137_28:                             ;   in Loop: Header=BB137_14 Depth=1
	s_or_b64 exec, exec, s[52:53]
	s_and_saveexec_b64 s[52:53], s[0:1]
	s_cbranch_execz .LBB137_30
.LBB137_29:                             ;   in Loop: Header=BB137_14 Depth=1
	v_mov_b32_e32 v17, v16
	ds_write_b64 v43, v[16:17]
.LBB137_30:                             ;   in Loop: Header=BB137_14 Depth=1
	s_or_b64 exec, exec, s[52:53]
	ds_bpermute_b32 v28, v37, v22
	ds_bpermute_b32 v29, v37, v23
	s_waitcnt lgkmcnt(0)
	s_barrier
	v_pk_add_f32 v[22:23], v[22:23], v[28:29]
	ds_bpermute_b32 v28, v38, v22
	ds_bpermute_b32 v29, v38, v23
	s_waitcnt lgkmcnt(0)
	v_pk_add_f32 v[22:23], v[22:23], v[28:29]
	ds_bpermute_b32 v28, v39, v22
	ds_bpermute_b32 v29, v39, v23
	s_waitcnt lgkmcnt(0)
	;; [unrolled: 4-line block ×4, first 2 shown]
	v_pk_add_f32 v[22:23], v[22:23], v[28:29]
	ds_bpermute_b32 v28, v42, v22
	ds_bpermute_b32 v29, v42, v23
	s_and_saveexec_b64 s[52:53], s[10:11]
	s_cbranch_execz .LBB137_32
; %bb.31:                               ;   in Loop: Header=BB137_14 Depth=1
	s_waitcnt lgkmcnt(0)
	v_pk_add_f32 v[22:23], v[22:23], v[28:29]
	ds_write_b64 v44, v[22:23]
.LBB137_32:                             ;   in Loop: Header=BB137_14 Depth=1
	s_or_b64 exec, exec, s[52:53]
	s_mov_b32 s41, s40
	v_mov_b64_e32 v[22:23], s[40:41]
	s_waitcnt lgkmcnt(0)
	s_barrier
	s_and_saveexec_b64 s[52:53], s[4:5]
	s_cbranch_execnz .LBB137_53
; %bb.33:                               ;   in Loop: Header=BB137_14 Depth=1
	s_or_b64 exec, exec, s[52:53]
	s_and_saveexec_b64 s[52:53], s[0:1]
	s_cbranch_execnz .LBB137_54
.LBB137_34:                             ;   in Loop: Header=BB137_14 Depth=1
	s_or_b64 exec, exec, s[52:53]
	s_and_saveexec_b64 s[52:53], s[0:1]
	s_cbranch_execz .LBB137_36
.LBB137_35:                             ;   in Loop: Header=BB137_14 Depth=1
	v_mov_b32_e32 v17, v16
	ds_write_b64 v43, v[16:17]
.LBB137_36:                             ;   in Loop: Header=BB137_14 Depth=1
	s_or_b64 exec, exec, s[52:53]
	ds_bpermute_b32 v28, v37, v20
	ds_bpermute_b32 v29, v37, v21
	s_waitcnt lgkmcnt(0)
	s_barrier
	v_pk_add_f32 v[20:21], v[20:21], v[28:29]
	ds_bpermute_b32 v28, v38, v20
	ds_bpermute_b32 v29, v38, v21
	s_waitcnt lgkmcnt(0)
	v_pk_add_f32 v[20:21], v[20:21], v[28:29]
	ds_bpermute_b32 v28, v39, v20
	ds_bpermute_b32 v29, v39, v21
	s_waitcnt lgkmcnt(0)
	;; [unrolled: 4-line block ×4, first 2 shown]
	v_pk_add_f32 v[20:21], v[20:21], v[28:29]
	ds_bpermute_b32 v28, v42, v20
	ds_bpermute_b32 v29, v42, v21
	s_and_saveexec_b64 s[52:53], s[10:11]
	s_cbranch_execz .LBB137_38
; %bb.37:                               ;   in Loop: Header=BB137_14 Depth=1
	s_waitcnt lgkmcnt(0)
	v_pk_add_f32 v[20:21], v[20:21], v[28:29]
	ds_write_b64 v44, v[20:21]
.LBB137_38:                             ;   in Loop: Header=BB137_14 Depth=1
	s_or_b64 exec, exec, s[52:53]
	s_mov_b32 s41, s40
	v_mov_b64_e32 v[20:21], s[40:41]
	s_waitcnt lgkmcnt(0)
	s_barrier
	s_and_saveexec_b64 s[52:53], s[4:5]
	s_cbranch_execnz .LBB137_55
; %bb.39:                               ;   in Loop: Header=BB137_14 Depth=1
	s_or_b64 exec, exec, s[52:53]
	s_and_saveexec_b64 s[52:53], s[0:1]
	s_cbranch_execnz .LBB137_56
.LBB137_40:                             ;   in Loop: Header=BB137_14 Depth=1
	s_or_b64 exec, exec, s[52:53]
	s_and_saveexec_b64 s[52:53], s[12:13]
	s_cbranch_execz .LBB137_13
	s_branch .LBB137_57
.LBB137_41:                             ;   in Loop: Header=BB137_14 Depth=1
	s_mul_i32 s41, s33, s27
	s_mul_hi_u32 s54, s33, s26
	s_add_i32 s55, s54, s41
	s_mul_i32 s54, s33, s26
	s_or_b32 s41, s33, 1
	v_lshl_add_u64 v[28:29], s[54:55], 3, v[2:3]
	s_mul_i32 s54, s41, s27
	s_mul_hi_u32 s55, s41, s26
	s_add_i32 s55, s55, s54
	s_mul_i32 s54, s41, s26
	s_or_b32 s41, s33, 2
	s_waitcnt lgkmcnt(0)
	global_load_dwordx2 v[20:21], v[6:7], off
	global_load_dwordx2 v[22:23], v[8:9], off
	;; [unrolled: 1-line block ×4, first 2 shown]
	global_load_dwordx4 v[24:27], v[28:29], off offset:16
	global_load_dwordx4 v[50:53], v[28:29], off
	v_lshl_add_u64 v[28:29], s[54:55], 3, v[2:3]
	s_mul_i32 s54, s41, s27
	s_mul_hi_u32 s55, s41, s26
	s_add_i32 s55, s55, s54
	s_mul_i32 s54, s41, s26
	s_or_b32 s41, s33, 3
	v_lshl_add_u64 v[74:75], s[54:55], 3, v[2:3]
	s_mul_i32 s54, s41, s27
	s_mul_hi_u32 s55, s41, s26
	global_load_dwordx4 v[54:57], v[28:29], off
	global_load_dwordx4 v[58:61], v[74:75], off
	s_add_i32 s55, s55, s54
	s_mul_i32 s54, s41, s26
	v_lshl_add_u64 v[66:67], s[54:55], 3, v[2:3]
	global_load_dwordx4 v[62:65], v[66:67], off
	s_nop 0
	global_load_dwordx4 v[66:69], v[66:67], off offset:16
	s_nop 0
	global_load_dwordx4 v[70:73], v[28:29], off offset:16
	s_nop 0
	global_load_dwordx4 v[74:77], v[74:75], off offset:16
	s_waitcnt vmcnt(10)
	scratch_store_dwordx4 off, v[20:23], off
	s_waitcnt vmcnt(9)
	scratch_store_dwordx4 off, v[46:49], off offset:16
	s_waitcnt vmcnt(8)
	v_mul_f32_e32 v28, v51, v21
	v_mul_f32_e32 v17, v51, v20
	;; [unrolled: 1-line block ×4, first 2 shown]
	v_pk_mul_f32 v[80:81], v[46:47], v[24:25] op_sel:[0,1]
	v_mov_b32_e32 v82, v27
	v_fmac_f32_e32 v28, v50, v20
	v_fma_f32 v29, v50, v21, -v17
	v_fma_f32 v79, v52, v23, -v45
	v_fmac_f32_e32 v78, v52, v22
	s_waitcnt vmcnt(7)
	v_mul_f32_e32 v50, v55, v21
	v_mul_f32_e32 v17, v55, v20
	s_waitcnt vmcnt(6)
	v_mul_f32_e32 v52, v59, v21
	v_mul_f32_e32 v27, v57, v22
	v_mul_f32_e32 v84, v57, v23
	v_mul_f32_e32 v45, v59, v20
	s_waitcnt vmcnt(5)
	v_mul_f32_e32 v86, v63, v21
	v_mul_f32_e32 v55, v61, v22
	v_mul_f32_e32 v88, v61, v23
	v_mul_f32_e32 v57, v63, v20
	v_mul_f32_e32 v90, v65, v23
	v_mul_f32_e32 v59, v65, v22
	s_waitcnt vmcnt(4)
	v_pk_mul_f32 v[92:93], v[46:47], v[66:67] op_sel:[0,1]
	v_pk_fma_f32 v[94:95], v[46:47], v[24:25], v[80:81] op_sel:[0,0,1] op_sel_hi:[1,1,0]
	v_pk_fma_f32 v[24:25], v[46:47], v[24:25], v[80:81] op_sel:[0,0,1] op_sel_hi:[1,0,0] neg_lo:[0,0,1] neg_hi:[0,0,1]
	v_pk_mul_f32 v[80:81], v[48:49], v[82:83] op_sel_hi:[1,0]
	v_fma_f32 v51, v54, v21, -v17
	v_fma_f32 v85, v56, v23, -v27
	v_fmac_f32_e32 v50, v54, v20
	v_fmac_f32_e32 v84, v56, v22
	v_fma_f32 v53, v58, v21, -v45
	v_fma_f32 v89, v60, v23, -v55
	v_fmac_f32_e32 v52, v58, v20
	v_fmac_f32_e32 v88, v60, v22
	;; [unrolled: 4-line block ×3, first 2 shown]
	v_pk_fma_f32 v[20:21], v[46:47], v[66:67], v[92:93] op_sel:[0,0,1] op_sel_hi:[1,1,0]
	v_pk_fma_f32 v[22:23], v[46:47], v[66:67], v[92:93] op_sel:[0,0,1] op_sel_hi:[1,0,0] neg_lo:[0,0,1] neg_hi:[0,0,1]
	v_pk_add_f32 v[28:29], v[28:29], 0 op_sel_hi:[1,0]
	v_mov_b32_e32 v95, v25
	v_pk_fma_f32 v[24:25], v[48:49], v[26:27], v[80:81] op_sel:[0,0,1] op_sel_hi:[1,1,0]
	v_pk_fma_f32 v[26:27], v[48:49], v[26:27], v[80:81] op_sel:[0,0,1] op_sel_hi:[1,0,0] neg_lo:[0,0,1] neg_hi:[0,0,1]
	v_pk_add_f32 v[54:55], v[86:87], 0 op_sel_hi:[1,0]
	v_mov_b32_e32 v21, v23
	v_pk_add_f32 v[22:23], v[28:29], v[78:79]
	v_mov_b32_e32 v25, v27
	v_pk_add_f32 v[26:27], v[54:55], v[90:91]
	v_pk_add_f32 v[22:23], v[22:23], v[94:95]
	;; [unrolled: 1-line block ×4, first 2 shown]
	s_waitcnt vmcnt(3)
	v_pk_mul_f32 v[24:25], v[46:47], v[70:71] op_sel:[0,1]
	v_pk_add_f32 v[22:23], v[50:51], 0 op_sel_hi:[1,0]
	v_pk_fma_f32 v[28:29], v[46:47], v[70:71], v[24:25] op_sel:[0,0,1] op_sel_hi:[1,1,0]
	v_pk_fma_f32 v[24:25], v[46:47], v[70:71], v[24:25] op_sel:[0,0,1] op_sel_hi:[1,0,0] neg_lo:[0,0,1] neg_hi:[0,0,1]
	v_pk_add_f32 v[22:23], v[22:23], v[84:85]
	v_mov_b32_e32 v24, v73
	v_mov_b32_e32 v29, v25
	v_pk_mul_f32 v[24:25], v[48:49], v[24:25] op_sel_hi:[1,0]
	v_pk_add_f32 v[22:23], v[22:23], v[28:29]
	v_pk_fma_f32 v[28:29], v[48:49], v[72:73], v[24:25] op_sel:[0,0,1] op_sel_hi:[1,1,0]
	v_pk_fma_f32 v[24:25], v[48:49], v[72:73], v[24:25] op_sel:[0,0,1] op_sel_hi:[1,0,0] neg_lo:[0,0,1] neg_hi:[0,0,1]
	s_nop 0
	v_mov_b32_e32 v29, v25
	v_pk_add_f32 v[24:25], v[22:23], v[28:29]
	s_waitcnt vmcnt(2)
	v_pk_mul_f32 v[28:29], v[46:47], v[74:75] op_sel:[0,1]
	v_pk_add_f32 v[22:23], v[52:53], 0 op_sel_hi:[1,0]
	v_pk_fma_f32 v[50:51], v[46:47], v[74:75], v[28:29] op_sel:[0,0,1] op_sel_hi:[1,1,0]
	v_pk_fma_f32 v[28:29], v[46:47], v[74:75], v[28:29] op_sel:[0,0,1] op_sel_hi:[1,0,0] neg_lo:[0,0,1] neg_hi:[0,0,1]
	v_pk_add_f32 v[22:23], v[22:23], v[88:89]
	v_mov_b32_e32 v28, v77
	v_mov_b32_e32 v51, v29
	v_pk_mul_f32 v[28:29], v[48:49], v[28:29] op_sel_hi:[1,0]
	v_pk_add_f32 v[22:23], v[22:23], v[50:51]
	v_pk_fma_f32 v[46:47], v[48:49], v[76:77], v[28:29] op_sel:[0,0,1] op_sel_hi:[1,1,0]
	v_pk_fma_f32 v[28:29], v[48:49], v[76:77], v[28:29] op_sel:[0,0,1] op_sel_hi:[1,0,0] neg_lo:[0,0,1] neg_hi:[0,0,1]
	s_nop 0
	v_mov_b32_e32 v28, v69
	v_mov_b32_e32 v47, v29
	v_pk_mul_f32 v[28:29], v[48:49], v[28:29] op_sel_hi:[1,0]
	v_pk_add_f32 v[22:23], v[22:23], v[46:47]
	v_pk_fma_f32 v[46:47], v[48:49], v[68:69], v[28:29] op_sel:[0,0,1] op_sel_hi:[1,1,0]
	v_pk_fma_f32 v[28:29], v[48:49], v[68:69], v[28:29] op_sel:[0,0,1] op_sel_hi:[1,0,0] neg_lo:[0,0,1] neg_hi:[0,0,1]
	s_nop 0
	v_mov_b32_e32 v47, v29
	v_pk_add_f32 v[20:21], v[20:21], v[46:47]
	s_andn2_saveexec_b64 s[52:53], s[52:53]
	s_cbranch_execz .LBB137_16
.LBB137_42:                             ;   in Loop: Header=BB137_14 Depth=1
	v_mov_b32_e32 v27, 0
	v_mov_b32_e32 v26, 0
	;; [unrolled: 1-line block ×6, first 2 shown]
	s_waitcnt lgkmcnt(0)
	v_mov_b32_e32 v21, 0
	v_mov_b32_e32 v20, 0
	s_and_saveexec_b64 s[54:55], s[8:9]
	s_cbranch_execz .LBB137_48
; %bb.43:                               ;   in Loop: Header=BB137_14 Depth=1
	v_mov_b32_e32 v27, 0
	s_andn2_b64 vcc, exec, s[42:43]
	v_mov_b32_e32 v26, v27
	v_mov_b32_e32 v25, v27
	;; [unrolled: 1-line block ×7, first 2 shown]
	s_cbranch_vccnz .LBB137_48
; %bb.44:                               ;   in Loop: Header=BB137_14 Depth=1
	v_mov_b32_e32 v17, 0
	v_mov_b64_e32 v[20:21], v[14:15]
	s_mov_b32 s41, s23
.LBB137_45:                             ;   Parent Loop BB137_14 Depth=1
                                        ; =>  This Inner Loop Header: Depth=2
	global_load_dwordx2 v[22:23], v[20:21], off
	s_add_i32 s41, s41, -1
	v_lshl_add_u64 v[20:21], v[20:21], 0, s[46:47]
	s_cmp_eq_u32 s41, 0
	s_waitcnt vmcnt(0)
	scratch_store_dwordx2 v17, v[22:23], off
	v_add_u32_e32 v17, 8, v17
	s_cbranch_scc0 .LBB137_45
; %bb.46:                               ;   in Loop: Header=BB137_14 Depth=1
	v_mov_b32_e32 v20, 0
	v_mov_b32_e32 v17, 0
	v_mov_b64_e32 v[28:29], v[18:19]
	s_mov_b32 s41, s23
	v_mov_b32_e32 v21, v20
	v_mov_b32_e32 v22, v20
	;; [unrolled: 1-line block ×7, first 2 shown]
.LBB137_47:                             ;   Parent Loop BB137_14 Depth=1
                                        ; =>  This Inner Loop Header: Depth=2
	global_load_dwordx2 v[46:47], v[28:29], off
	scratch_load_dwordx2 v[48:49], v17, off
	v_lshl_add_u64 v[50:51], v[28:29], 0, s[50:51]
	global_load_dwordx2 v[52:53], v[50:51], off
	v_lshl_add_u64 v[50:51], v[50:51], 0, s[50:51]
	global_load_dwordx2 v[54:55], v[50:51], off
	;; [unrolled: 2-line block ×3, first 2 shown]
	s_add_i32 s41, s41, -1
	v_add_u32_e32 v17, 8, v17
	s_cmp_lg_u32 s41, 0
	v_lshl_add_u64 v[28:29], v[28:29], 0, 8
	s_waitcnt vmcnt(3)
	v_pk_mul_f32 v[56:57], v[48:49], v[46:47] op_sel:[0,1]
	s_nop 0
	v_pk_fma_f32 v[58:59], v[48:49], v[46:47], v[56:57] op_sel:[0,0,1] op_sel_hi:[1,1,0]
	v_pk_fma_f32 v[46:47], v[48:49], v[46:47], v[56:57] op_sel:[0,0,1] op_sel_hi:[1,0,0] neg_lo:[0,0,1] neg_hi:[0,0,1]
	s_waitcnt vmcnt(2)
	v_pk_mul_f32 v[56:57], v[48:49], v[52:53] op_sel:[0,1]
	v_mov_b32_e32 v59, v47
	v_pk_fma_f32 v[46:47], v[48:49], v[52:53], v[56:57] op_sel:[0,0,1] op_sel_hi:[1,1,0]
	v_pk_fma_f32 v[52:53], v[48:49], v[52:53], v[56:57] op_sel:[0,0,1] op_sel_hi:[1,0,0] neg_lo:[0,0,1] neg_hi:[0,0,1]
	s_waitcnt vmcnt(1)
	v_pk_mul_f32 v[56:57], v[48:49], v[54:55] op_sel:[0,1]
	v_mov_b32_e32 v47, v53
	v_pk_fma_f32 v[52:53], v[48:49], v[54:55], v[56:57] op_sel:[0,0,1] op_sel_hi:[1,1,0]
	v_pk_fma_f32 v[54:55], v[48:49], v[54:55], v[56:57] op_sel:[0,0,1] op_sel_hi:[1,0,0] neg_lo:[0,0,1] neg_hi:[0,0,1]
	s_waitcnt vmcnt(0)
	v_pk_mul_f32 v[56:57], v[48:49], v[50:51] op_sel:[0,1]
	v_pk_add_f32 v[24:25], v[24:25], v[46:47]
	v_pk_fma_f32 v[46:47], v[48:49], v[50:51], v[56:57] op_sel:[0,0,1] op_sel_hi:[1,1,0]
	v_pk_fma_f32 v[48:49], v[48:49], v[50:51], v[56:57] op_sel:[0,0,1] op_sel_hi:[1,0,0] neg_lo:[0,0,1] neg_hi:[0,0,1]
	v_mov_b32_e32 v53, v55
	v_mov_b32_e32 v47, v49
	v_pk_add_f32 v[26:27], v[26:27], v[58:59]
	v_pk_add_f32 v[22:23], v[22:23], v[52:53]
	;; [unrolled: 1-line block ×3, first 2 shown]
	s_cbranch_scc1 .LBB137_47
.LBB137_48:                             ;   in Loop: Header=BB137_14 Depth=1
	s_or_b64 exec, exec, s[54:55]
	s_or_b64 exec, exec, s[52:53]
	s_and_saveexec_b64 s[52:53], s[0:1]
	s_cbranch_execnz .LBB137_17
	s_branch .LBB137_18
.LBB137_49:                             ;   in Loop: Header=BB137_14 Depth=1
	ds_read_b64 v[26:27], v43
	s_or_b64 exec, exec, s[52:53]
	s_and_saveexec_b64 s[52:53], s[0:1]
	s_cbranch_execz .LBB137_22
.LBB137_50:                             ;   in Loop: Header=BB137_14 Depth=1
	s_waitcnt lgkmcnt(0)
	ds_bpermute_b32 v28, v41, v26
	ds_bpermute_b32 v29, v41, v27
	s_waitcnt lgkmcnt(0)
	v_pk_add_f32 v[26:27], v[26:27], v[28:29]
	ds_bpermute_b32 v28, v42, v26
	ds_bpermute_b32 v29, v42, v27
	s_waitcnt lgkmcnt(0)
	v_pk_add_f32 v[26:27], v[26:27], v[28:29]
	s_or_b64 exec, exec, s[52:53]
	s_and_saveexec_b64 s[52:53], s[0:1]
	s_cbranch_execnz .LBB137_23
	s_branch .LBB137_24
.LBB137_51:                             ;   in Loop: Header=BB137_14 Depth=1
	ds_read_b64 v[24:25], v43
	s_or_b64 exec, exec, s[52:53]
	s_and_saveexec_b64 s[52:53], s[0:1]
	s_cbranch_execz .LBB137_28
.LBB137_52:                             ;   in Loop: Header=BB137_14 Depth=1
	s_waitcnt lgkmcnt(0)
	ds_bpermute_b32 v28, v41, v24
	ds_bpermute_b32 v29, v41, v25
	s_waitcnt lgkmcnt(0)
	v_pk_add_f32 v[24:25], v[24:25], v[28:29]
	ds_bpermute_b32 v28, v42, v24
	ds_bpermute_b32 v29, v42, v25
	s_waitcnt lgkmcnt(0)
	v_pk_add_f32 v[24:25], v[24:25], v[28:29]
	s_or_b64 exec, exec, s[52:53]
	s_and_saveexec_b64 s[52:53], s[0:1]
	s_cbranch_execnz .LBB137_29
	s_branch .LBB137_30
.LBB137_53:                             ;   in Loop: Header=BB137_14 Depth=1
	ds_read_b64 v[22:23], v43
	s_or_b64 exec, exec, s[52:53]
	s_and_saveexec_b64 s[52:53], s[0:1]
	s_cbranch_execz .LBB137_34
.LBB137_54:                             ;   in Loop: Header=BB137_14 Depth=1
	s_waitcnt lgkmcnt(0)
	ds_bpermute_b32 v28, v41, v22
	ds_bpermute_b32 v29, v41, v23
	s_waitcnt lgkmcnt(0)
	v_pk_add_f32 v[22:23], v[22:23], v[28:29]
	ds_bpermute_b32 v28, v42, v22
	ds_bpermute_b32 v29, v42, v23
	s_waitcnt lgkmcnt(0)
	v_pk_add_f32 v[22:23], v[22:23], v[28:29]
	s_or_b64 exec, exec, s[52:53]
	s_and_saveexec_b64 s[52:53], s[0:1]
	s_cbranch_execnz .LBB137_35
	s_branch .LBB137_36
.LBB137_55:                             ;   in Loop: Header=BB137_14 Depth=1
	ds_read_b64 v[20:21], v43
	s_or_b64 exec, exec, s[52:53]
	s_and_saveexec_b64 s[52:53], s[0:1]
	s_cbranch_execz .LBB137_40
.LBB137_56:                             ;   in Loop: Header=BB137_14 Depth=1
	s_waitcnt lgkmcnt(0)
	ds_bpermute_b32 v28, v41, v20
	ds_bpermute_b32 v29, v41, v21
	s_waitcnt lgkmcnt(0)
	v_pk_add_f32 v[20:21], v[20:21], v[28:29]
	ds_bpermute_b32 v28, v42, v20
	ds_bpermute_b32 v29, v42, v21
	s_waitcnt lgkmcnt(0)
	v_pk_add_f32 v[20:21], v[20:21], v[28:29]
	s_or_b64 exec, exec, s[52:53]
	s_and_saveexec_b64 s[52:53], s[12:13]
	s_cbranch_execz .LBB137_13
.LBB137_57:                             ;   in Loop: Header=BB137_14 Depth=1
	v_pk_mul_f32 v[28:29], v[26:27], s[24:25]
	v_mov_b32_e32 v46, v27
	s_mul_hi_u32 s55, s33, s22
	s_mul_i32 s54, s33, s22
	v_mov_b32_e32 v28, v29
	v_pk_mul_f32 v[46:47], v[46:47], s[24:25]
	s_lshl_b64 s[54:55], s[54:55], 3
	v_pk_fma_f32 v[28:29], v[26:27], s[24:25], v[28:29] neg_lo:[0,0,1] neg_hi:[0,0,1]
	v_pk_fma_f32 v[26:27], v[26:27], s[44:45], v[46:47]
	s_add_u32 s54, s3, s54
	s_addc_u32 s55, s58, s55
	v_mov_b32_e32 v29, v26
	s_or_b32 s41, s33, 1
	global_store_dwordx2 v16, v[28:29], s[54:55]
	v_pk_mul_f32 v[26:27], v[24:25], s[24:25]
	v_mov_b32_e32 v28, v25
	s_mul_hi_u32 s55, s41, s22
	s_mul_i32 s54, s41, s22
	v_mov_b32_e32 v26, v27
	v_pk_mul_f32 v[28:29], v[28:29], s[24:25]
	s_lshl_b64 s[54:55], s[54:55], 3
	v_pk_fma_f32 v[26:27], v[24:25], s[24:25], v[26:27] neg_lo:[0,0,1] neg_hi:[0,0,1]
	v_pk_fma_f32 v[24:25], v[24:25], s[44:45], v[28:29]
	s_add_u32 s54, s3, s54
	s_addc_u32 s55, s58, s55
	v_mov_b32_e32 v27, v24
	s_or_b32 s41, s33, 2
	global_store_dwordx2 v16, v[26:27], s[54:55]
	;; [unrolled: 14-line block ×3, first 2 shown]
	s_mul_hi_u32 s55, s41, s22
	s_mul_i32 s54, s41, s22
	s_waitcnt lgkmcnt(0)
	v_pk_mul_f32 v[22:23], v[20:21], s[24:25] op_sel:[1,0]
	s_lshl_b64 s[54:55], s[54:55], 3
	s_add_u32 s54, s3, s54
	v_pk_fma_f32 v[24:25], v[20:21], s[24:25], v[22:23] op_sel:[0,0,1] op_sel_hi:[1,1,0] neg_lo:[0,0,1] neg_hi:[0,0,1]
	v_pk_fma_f32 v[20:21], v[20:21], s[24:25], v[22:23] op_sel:[0,0,1] op_sel_hi:[0,1,0]
	s_addc_u32 s55, s58, s55
	v_mov_b32_e32 v25, v21
	global_store_dwordx2 v16, v[24:25], s[54:55]
	s_branch .LBB137_13
.LBB137_58:
	s_mov_b32 s33, 0
.LBB137_59:
	s_cmp_ge_i32 s33, s21
	s_cbranch_scc1 .LBB137_81
; %bb.60:
	v_mbcnt_hi_u32_b32 v6, -1, v34
	v_and_b32_e32 v7, 63, v6
	v_cmp_gt_u32_e64 s[4:5], 32, v7
	s_mov_b32 s12, 0
	s_cmp_gt_i32 s23, 0
	v_cndmask_b32_e64 v8, 0, 1, s[4:5]
	v_lshlrev_b32_e32 v8, 5, v8
	v_cmp_gt_u32_e64 s[4:5], 48, v7
	s_waitcnt lgkmcnt(0)
	v_add_lshl_u32 v21, v8, v6, 2
	s_mov_b32 s3, s12
	v_cndmask_b32_e64 v8, 0, 1, s[4:5]
	v_lshlrev_b32_e32 v8, 4, v8
	v_cmp_gt_u32_e64 s[4:5], 56, v7
	v_add_lshl_u32 v22, v8, v6, 2
	s_cselect_b64 s[42:43], -1, 0
	v_cndmask_b32_e64 v8, 0, 1, s[4:5]
	v_lshlrev_b32_e32 v8, 3, v8
	v_cmp_gt_u32_e64 s[4:5], 60, v7
	v_add_lshl_u32 v23, v8, v6, 2
	s_lshl_b64 s[2:3], s[2:3], 3
	v_cndmask_b32_e64 v8, 0, 1, s[4:5]
	v_lshlrev_b32_e32 v8, 2, v8
	v_cmp_gt_u32_e64 s[4:5], 62, v7
	v_add_lshl_u32 v24, v8, v6, 2
	v_cmp_ge_i32_e32 vcc, s20, v35
	v_cndmask_b32_e64 v8, 0, 1, s[4:5]
	v_lshlrev_b32_e32 v8, 1, v8
	v_cmp_ne_u32_e64 s[4:5], 63, v7
	v_cmp_ge_i32_e64 s[10:11], s20, v36
	v_add_lshl_u32 v25, v8, v6, 2
	v_addc_co_u32_e64 v6, s[4:5], 0, v6, s[4:5]
	s_add_u32 s20, s45, s2
	v_cmp_gt_u32_e64 s[0:1], 64, v0
	v_lshlrev_b32_e32 v20, 3, v1
	v_lshlrev_b32_e32 v26, 2, v6
	v_cmp_eq_u32_e64 s[4:5], 0, v1
	v_cmp_gt_u32_e64 s[6:7], 4, v0
	v_cmp_eq_u32_e64 s[8:9], 0, v0
	s_addc_u32 s40, s56, s3
	v_mad_i64_i32 v[0:1], s[2:3], s28, v4, 0
	v_mad_i64_i32 v[6:7], s[2:3], s28, v32, 0
	v_mad_i64_i32 v[8:9], s[2:3], s28, v31, 0
	v_mad_i64_i32 v[10:11], s[2:3], s28, v30, 0
	s_and_b64 s[2:3], s[42:43], s[10:11]
	s_add_u32 s10, s14, s36
	s_addc_u32 s11, s15, s37
	s_add_u32 s10, s10, s30
	s_mul_i32 s13, s27, s33
	s_mul_hi_u32 s14, s26, s33
	v_lshlrev_b64 v[12:13], 3, v[0:1]
	s_addc_u32 s11, s11, s31
	s_add_i32 s15, s14, s13
	s_mul_i32 s14, s26, s33
	v_lshl_add_u64 v[0:1], s[38:39], 0, v[12:13]
	v_lshl_add_u64 v[12:13], s[10:11], 0, v[12:13]
	s_lshl_b64 s[10:11], s[28:29], 3
	s_lshl_b64 s[14:15], s[14:15], 3
	s_add_u32 s13, s34, s14
	s_addc_u32 s14, s35, s15
	s_add_u32 s13, s13, s18
	s_addc_u32 s15, s14, s19
	;; [unrolled: 2-line block ×3, first 2 shown]
	v_lshl_add_u64 v[4:5], v[4:5], 3, s[14:15]
	v_and_b32_e32 v27, 24, v33
	v_lshl_add_u64 v[6:7], v[6:7], 3, s[38:39]
	v_lshl_add_u64 v[8:9], v[8:9], 3, s[38:39]
	;; [unrolled: 1-line block ×4, first 2 shown]
	s_lshl_b64 s[14:15], s[26:27], 3
	v_mov_b32_e32 v14, 0
	s_branch .LBB137_62
.LBB137_61:                             ;   in Loop: Header=BB137_62 Depth=1
	s_or_b64 exec, exec, s[16:17]
	s_add_i32 s33, s33, 1
	s_cmp_lt_i32 s33, s21
	v_lshl_add_u64 v[4:5], v[4:5], 0, s[14:15]
	s_cbranch_scc0 .LBB137_81
.LBB137_62:                             ; =>This Loop Header: Depth=1
                                        ;     Child Loop BB137_74 Depth 2
                                        ;     Child Loop BB137_76 Depth 2
                                        ; implicit-def: $vgpr17
	s_and_saveexec_b64 s[16:17], vcc
	s_xor_b64 s[16:17], exec, s[16:17]
	s_cbranch_execnz .LBB137_71
; %bb.63:                               ;   in Loop: Header=BB137_62 Depth=1
	s_andn2_saveexec_b64 s[16:17], s[16:17]
	s_cbranch_execnz .LBB137_72
.LBB137_64:                             ;   in Loop: Header=BB137_62 Depth=1
	s_or_b64 exec, exec, s[16:17]
	s_and_saveexec_b64 s[16:17], s[0:1]
	s_cbranch_execz .LBB137_66
.LBB137_65:                             ;   in Loop: Header=BB137_62 Depth=1
	v_mov_b32_e32 v15, v14
	ds_write_b64 v20, v[14:15]
.LBB137_66:                             ;   in Loop: Header=BB137_62 Depth=1
	s_or_b64 exec, exec, s[16:17]
	s_waitcnt lgkmcnt(0)
	ds_bpermute_b32 v18, v21, v16
	ds_bpermute_b32 v19, v21, v17
	s_waitcnt lgkmcnt(0)
	s_barrier
	v_pk_add_f32 v[16:17], v[16:17], v[18:19]
	ds_bpermute_b32 v18, v22, v16
	ds_bpermute_b32 v19, v22, v17
	s_waitcnt lgkmcnt(0)
	v_pk_add_f32 v[16:17], v[16:17], v[18:19]
	ds_bpermute_b32 v18, v23, v16
	ds_bpermute_b32 v19, v23, v17
	s_waitcnt lgkmcnt(0)
	;; [unrolled: 4-line block ×4, first 2 shown]
	v_pk_add_f32 v[16:17], v[16:17], v[18:19]
	ds_bpermute_b32 v18, v26, v16
	ds_bpermute_b32 v19, v26, v17
	s_and_saveexec_b64 s[16:17], s[4:5]
	s_cbranch_execz .LBB137_68
; %bb.67:                               ;   in Loop: Header=BB137_62 Depth=1
	s_waitcnt lgkmcnt(0)
	v_pk_add_f32 v[16:17], v[16:17], v[18:19]
	ds_write_b64 v27, v[16:17]
.LBB137_68:                             ;   in Loop: Header=BB137_62 Depth=1
	s_or_b64 exec, exec, s[16:17]
	s_mov_b32 s13, s12
	v_mov_b64_e32 v[16:17], s[12:13]
	s_waitcnt lgkmcnt(0)
	s_barrier
	s_and_saveexec_b64 s[16:17], s[6:7]
	s_cbranch_execnz .LBB137_78
; %bb.69:                               ;   in Loop: Header=BB137_62 Depth=1
	s_or_b64 exec, exec, s[16:17]
	s_and_saveexec_b64 s[16:17], s[0:1]
	s_cbranch_execnz .LBB137_79
.LBB137_70:                             ;   in Loop: Header=BB137_62 Depth=1
	s_or_b64 exec, exec, s[16:17]
	s_and_saveexec_b64 s[16:17], s[8:9]
	s_cbranch_execz .LBB137_61
	s_branch .LBB137_80
.LBB137_71:                             ;   in Loop: Header=BB137_62 Depth=1
	s_mul_i32 s13, s33, s27
	s_mul_hi_u32 s18, s33, s26
	s_add_i32 s19, s18, s13
	s_mul_i32 s18, s33, s26
	v_lshl_add_u64 v[40:41], s[18:19], 3, v[2:3]
	s_waitcnt lgkmcnt(0)
	global_load_dwordx2 v[16:17], v[0:1], off
	global_load_dwordx2 v[18:19], v[6:7], off
	;; [unrolled: 1-line block ×4, first 2 shown]
	global_load_dwordx4 v[32:35], v[40:41], off
	global_load_dwordx4 v[36:39], v[40:41], off offset:16
	s_waitcnt vmcnt(4)
	scratch_store_dwordx4 off, v[16:19], off
	s_waitcnt vmcnt(3)
	scratch_store_dwordx4 off, v[28:31], off offset:16
	s_waitcnt vmcnt(3)
	v_mul_f32_e32 v42, v33, v17
	v_mul_f32_e32 v15, v33, v16
	v_mov_b32_e32 v40, v29
	v_mul_f32_e32 v44, v35, v19
	v_mul_f32_e32 v33, v35, v18
	s_waitcnt vmcnt(2)
	v_pk_mul_f32 v[46:47], v[36:37], v[28:29] op_sel_hi:[1,0]
	v_fmac_f32_e32 v42, v32, v16
	v_fma_f32 v43, v32, v17, -v15
	v_pk_mul_f32 v[48:49], v[38:39], v[30:31] op_sel:[0,1]
	v_fmac_f32_e32 v44, v34, v18
	v_fma_f32 v45, v34, v19, -v33
	v_pk_fma_f32 v[16:17], v[36:37], v[40:41], v[46:47] op_sel:[1,0,0] op_sel_hi:[0,1,1]
	v_pk_fma_f32 v[18:19], v[36:37], v[28:29], v[46:47] op_sel:[1,1,0] op_sel_hi:[0,1,1] neg_lo:[0,0,1] neg_hi:[0,0,1]
	v_pk_add_f32 v[32:33], v[42:43], 0 op_sel_hi:[1,0]
	v_pk_fma_f32 v[28:29], v[38:39], v[30:31], v[48:49] op_sel:[0,0,1] op_sel_hi:[1,1,0]
	v_pk_fma_f32 v[30:31], v[38:39], v[30:31], v[48:49] op_sel:[0,0,1] op_sel_hi:[1,0,0] neg_lo:[1,0,0] neg_hi:[1,0,0]
	v_mov_b32_e32 v17, v19
	v_pk_add_f32 v[18:19], v[32:33], v[44:45]
	v_mov_b32_e32 v29, v31
	v_pk_add_f32 v[16:17], v[18:19], v[16:17]
	s_nop 0
	v_pk_add_f32 v[16:17], v[16:17], v[28:29]
	s_andn2_saveexec_b64 s[16:17], s[16:17]
	s_cbranch_execz .LBB137_64
.LBB137_72:                             ;   in Loop: Header=BB137_62 Depth=1
	s_waitcnt lgkmcnt(0)
	v_mov_b32_e32 v17, 0
	v_mov_b32_e32 v16, v17
	s_and_saveexec_b64 s[18:19], s[2:3]
	s_cbranch_execz .LBB137_77
; %bb.73:                               ;   in Loop: Header=BB137_62 Depth=1
	v_mov_b32_e32 v15, 0
	v_mov_b64_e32 v[16:17], v[12:13]
	s_mov_b32 s13, s23
.LBB137_74:                             ;   Parent Loop BB137_62 Depth=1
                                        ; =>  This Inner Loop Header: Depth=2
	global_load_dwordx2 v[18:19], v[16:17], off
	s_add_i32 s13, s13, -1
	v_lshl_add_u64 v[16:17], v[16:17], 0, s[10:11]
	s_cmp_eq_u32 s13, 0
	s_waitcnt vmcnt(0)
	scratch_store_dwordx2 v15, v[18:19], off
	v_add_u32_e32 v15, 8, v15
	s_cbranch_scc0 .LBB137_74
; %bb.75:                               ;   in Loop: Header=BB137_62 Depth=1
	v_mov_b32_e32 v16, 0
	v_mov_b32_e32 v15, 0
	v_mov_b64_e32 v[18:19], v[4:5]
	s_mov_b32 s13, s23
	v_mov_b32_e32 v17, v16
.LBB137_76:                             ;   Parent Loop BB137_62 Depth=1
                                        ; =>  This Inner Loop Header: Depth=2
	global_load_dwordx2 v[28:29], v[18:19], off offset:-4
	scratch_load_dwordx2 v[30:31], v15, off
	s_add_i32 s13, s13, -1
	v_add_u32_e32 v15, 8, v15
	v_lshl_add_u64 v[18:19], v[18:19], 0, 8
	s_cmp_lg_u32 s13, 0
	s_waitcnt vmcnt(0)
	v_pk_mul_f32 v[32:33], v[28:29], v[30:31] op_sel:[1,0]
	s_nop 0
	v_pk_fma_f32 v[34:35], v[28:29], v[30:31], v[32:33] op_sel:[0,0,1] op_sel_hi:[1,1,0]
	v_pk_fma_f32 v[28:29], v[28:29], v[30:31], v[32:33] op_sel:[0,0,1] op_sel_hi:[0,1,0] neg_lo:[0,0,1] neg_hi:[0,0,1]
	v_mov_b32_e32 v35, v29
	v_pk_add_f32 v[16:17], v[16:17], v[34:35]
	s_cbranch_scc1 .LBB137_76
.LBB137_77:                             ;   in Loop: Header=BB137_62 Depth=1
	s_or_b64 exec, exec, s[18:19]
	s_or_b64 exec, exec, s[16:17]
	s_and_saveexec_b64 s[16:17], s[0:1]
	s_cbranch_execnz .LBB137_65
	s_branch .LBB137_66
.LBB137_78:                             ;   in Loop: Header=BB137_62 Depth=1
	ds_read_b64 v[16:17], v20
	s_or_b64 exec, exec, s[16:17]
	s_and_saveexec_b64 s[16:17], s[0:1]
	s_cbranch_execz .LBB137_70
.LBB137_79:                             ;   in Loop: Header=BB137_62 Depth=1
	s_waitcnt lgkmcnt(0)
	ds_bpermute_b32 v18, v25, v16
	ds_bpermute_b32 v19, v25, v17
	s_waitcnt lgkmcnt(0)
	v_pk_add_f32 v[16:17], v[16:17], v[18:19]
	ds_bpermute_b32 v18, v26, v16
	ds_bpermute_b32 v19, v26, v17
	s_waitcnt lgkmcnt(0)
	v_pk_add_f32 v[16:17], v[16:17], v[18:19]
	s_or_b64 exec, exec, s[16:17]
	s_and_saveexec_b64 s[16:17], s[8:9]
	s_cbranch_execz .LBB137_61
.LBB137_80:                             ;   in Loop: Header=BB137_62 Depth=1
	s_mul_hi_u32 s19, s33, s22
	s_mul_i32 s18, s33, s22
	s_waitcnt lgkmcnt(0)
	v_pk_mul_f32 v[18:19], v[16:17], s[24:25] op_sel:[1,0]
	s_lshl_b64 s[18:19], s[18:19], 3
	s_add_u32 s18, s20, s18
	v_pk_fma_f32 v[28:29], v[16:17], s[24:25], v[18:19] op_sel:[0,0,1] op_sel_hi:[1,1,0] neg_lo:[0,0,1] neg_hi:[0,0,1]
	v_pk_fma_f32 v[16:17], v[16:17], s[24:25], v[18:19] op_sel:[0,0,1] op_sel_hi:[0,1,0]
	s_addc_u32 s19, s40, s19
	v_mov_b32_e32 v29, v17
	global_store_dwordx2 v14, v[28:29], s[18:19]
	s_branch .LBB137_61
.LBB137_81:
	s_endpgm
	.section	.rodata,"a",@progbits
	.p2align	6, 0x0
	.amdhsa_kernel _ZL23rocblas_gemvt_sn_kernelILb1ELi256ELi4El19rocblas_complex_numIfEPKS1_S1_EviiT4_lPKT3_lilS7_lilPT5_i
		.amdhsa_group_segment_fixed_size 512
		.amdhsa_private_segment_fixed_size 48
		.amdhsa_kernarg_size 360
		.amdhsa_user_sgpr_count 2
		.amdhsa_user_sgpr_dispatch_ptr 0
		.amdhsa_user_sgpr_queue_ptr 0
		.amdhsa_user_sgpr_kernarg_segment_ptr 1
		.amdhsa_user_sgpr_dispatch_id 0
		.amdhsa_user_sgpr_kernarg_preload_length 0
		.amdhsa_user_sgpr_kernarg_preload_offset 0
		.amdhsa_user_sgpr_private_segment_size 0
		.amdhsa_uses_dynamic_stack 0
		.amdhsa_enable_private_segment 1
		.amdhsa_system_sgpr_workgroup_id_x 1
		.amdhsa_system_sgpr_workgroup_id_y 0
		.amdhsa_system_sgpr_workgroup_id_z 1
		.amdhsa_system_sgpr_workgroup_info 0
		.amdhsa_system_vgpr_workitem_id 0
		.amdhsa_next_free_vgpr 96
		.amdhsa_next_free_sgpr 59
		.amdhsa_accum_offset 96
		.amdhsa_reserve_vcc 1
		.amdhsa_float_round_mode_32 0
		.amdhsa_float_round_mode_16_64 0
		.amdhsa_float_denorm_mode_32 3
		.amdhsa_float_denorm_mode_16_64 3
		.amdhsa_dx10_clamp 1
		.amdhsa_ieee_mode 1
		.amdhsa_fp16_overflow 0
		.amdhsa_tg_split 0
		.amdhsa_exception_fp_ieee_invalid_op 0
		.amdhsa_exception_fp_denorm_src 0
		.amdhsa_exception_fp_ieee_div_zero 0
		.amdhsa_exception_fp_ieee_overflow 0
		.amdhsa_exception_fp_ieee_underflow 0
		.amdhsa_exception_fp_ieee_inexact 0
		.amdhsa_exception_int_div_zero 0
	.end_amdhsa_kernel
	.section	.text._ZL23rocblas_gemvt_sn_kernelILb1ELi256ELi4El19rocblas_complex_numIfEPKS1_S1_EviiT4_lPKT3_lilS7_lilPT5_i,"axG",@progbits,_ZL23rocblas_gemvt_sn_kernelILb1ELi256ELi4El19rocblas_complex_numIfEPKS1_S1_EviiT4_lPKT3_lilS7_lilPT5_i,comdat
.Lfunc_end137:
	.size	_ZL23rocblas_gemvt_sn_kernelILb1ELi256ELi4El19rocblas_complex_numIfEPKS1_S1_EviiT4_lPKT3_lilS7_lilPT5_i, .Lfunc_end137-_ZL23rocblas_gemvt_sn_kernelILb1ELi256ELi4El19rocblas_complex_numIfEPKS1_S1_EviiT4_lPKT3_lilS7_lilPT5_i
                                        ; -- End function
	.section	.AMDGPU.csdata,"",@progbits
; Kernel info:
; codeLenInByte = 5500
; NumSgprs: 65
; NumVgprs: 96
; NumAgprs: 0
; TotalNumVgprs: 96
; ScratchSize: 48
; MemoryBound: 0
; FloatMode: 240
; IeeeMode: 1
; LDSByteSize: 512 bytes/workgroup (compile time only)
; SGPRBlocks: 8
; VGPRBlocks: 11
; NumSGPRsForWavesPerEU: 65
; NumVGPRsForWavesPerEU: 96
; AccumOffset: 96
; Occupancy: 5
; WaveLimiterHint : 1
; COMPUTE_PGM_RSRC2:SCRATCH_EN: 1
; COMPUTE_PGM_RSRC2:USER_SGPR: 2
; COMPUTE_PGM_RSRC2:TRAP_HANDLER: 0
; COMPUTE_PGM_RSRC2:TGID_X_EN: 1
; COMPUTE_PGM_RSRC2:TGID_Y_EN: 0
; COMPUTE_PGM_RSRC2:TGID_Z_EN: 1
; COMPUTE_PGM_RSRC2:TIDIG_COMP_CNT: 0
; COMPUTE_PGM_RSRC3_GFX90A:ACCUM_OFFSET: 23
; COMPUTE_PGM_RSRC3_GFX90A:TG_SPLIT: 0
	.section	.text._ZL23rocblas_gemvt_sn_kernelILb1ELi256ELi4Ei19rocblas_complex_numIfES1_S1_EviiT4_lPKT3_lilS5_lilPT5_i,"axG",@progbits,_ZL23rocblas_gemvt_sn_kernelILb1ELi256ELi4Ei19rocblas_complex_numIfES1_S1_EviiT4_lPKT3_lilS5_lilPT5_i,comdat
	.globl	_ZL23rocblas_gemvt_sn_kernelILb1ELi256ELi4Ei19rocblas_complex_numIfES1_S1_EviiT4_lPKT3_lilS5_lilPT5_i ; -- Begin function _ZL23rocblas_gemvt_sn_kernelILb1ELi256ELi4Ei19rocblas_complex_numIfES1_S1_EviiT4_lPKT3_lilS5_lilPT5_i
	.p2align	8
	.type	_ZL23rocblas_gemvt_sn_kernelILb1ELi256ELi4Ei19rocblas_complex_numIfES1_S1_EviiT4_lPKT3_lilS5_lilPT5_i,@function
_ZL23rocblas_gemvt_sn_kernelILb1ELi256ELi4Ei19rocblas_complex_numIfES1_S1_EviiT4_lPKT3_lilS5_lilPT5_i: ; @_ZL23rocblas_gemvt_sn_kernelILb1ELi256ELi4Ei19rocblas_complex_numIfES1_S1_EviiT4_lPKT3_lilS5_lilPT5_i
; %bb.0:
	s_load_dwordx4 s[16:19], s[0:1], 0x0
	s_load_dwordx4 s[8:11], s[0:1], 0x50
	s_load_dword s14, s[0:1], 0x68
	s_mov_b32 s4, s3
	s_mov_b32 s15, 0
	s_waitcnt lgkmcnt(0)
	s_ashr_i32 s5, s17, 31
	s_mul_hi_u32 s3, s17, s3
	s_mul_i32 s6, s5, s4
	s_add_i32 s13, s3, s6
	s_mul_i32 s12, s17, s4
	s_mul_i32 s3, s13, s14
	s_mul_hi_u32 s6, s12, s14
	s_add_i32 s7, s6, s3
	s_mul_i32 s6, s12, s14
	s_lshl_b64 s[6:7], s[6:7], 3
	s_add_u32 s49, s10, s6
	s_addc_u32 s50, s11, s7
	s_or_b32 s3, s18, s19
	s_bitset0_b32 s3, 31
	s_cmp_lg_u32 s3, 0
	s_mov_b64 s[6:7], -1
	v_cmp_eq_u32_e32 vcc, 0, v0
	s_cbranch_scc1 .LBB138_10
; %bb.1:
	s_cmp_gt_i32 s17, 0
	s_cselect_b64 s[6:7], -1, 0
	s_and_b64 s[20:21], vcc, s[6:7]
	s_and_saveexec_b64 s[6:7], s[20:21]
	s_cbranch_execz .LBB138_9
; %bb.2:
	s_cmp_gt_u32 s17, 3
	s_cselect_b64 s[20:21], -1, 0
	s_cmp_eq_u32 s14, 1
	s_cselect_b64 s[26:27], -1, 0
	s_mov_b32 s3, 0
	s_and_b64 s[20:21], s[20:21], s[26:27]
	s_mov_b32 s22, 1
	s_mov_b64 s[24:25], -1
	s_andn2_b64 vcc, exec, s[20:21]
	s_mov_b32 s20, s3
	s_cbranch_vccnz .LBB138_6
; %bb.3:
	s_lshl_b64 s[24:25], s[2:3], 3
	s_add_u32 s21, s49, s24
	s_addc_u32 s26, s50, s25
	s_mov_b32 s25, 0
	s_and_b32 s20, s17, 0x7ffffffc
	s_mov_b32 s24, s25
	v_mov_b32_e32 v1, 0
	v_mov_b64_e32 v[2:3], s[24:25]
	s_mov_b32 s27, s20
.LBB138_4:                              ; =>This Inner Loop Header: Depth=1
	s_add_i32 s28, s22, 2
	s_add_i32 s30, s24, 2
	s_lshl_b64 s[34:35], s[24:25], 3
	s_mov_b32 s23, s25
	s_add_u32 s34, s21, s34
	s_addc_u32 s35, s26, s35
	s_lshl_b64 s[36:37], s[22:23], 3
	s_mov_b32 s31, s25
	s_add_u32 s36, s21, s36
	s_addc_u32 s37, s26, s37
	;; [unrolled: 4-line block ×3, first 2 shown]
	s_lshl_b64 s[28:29], s[28:29], 3
	s_add_u32 s28, s21, s28
	s_addc_u32 s29, s26, s29
	s_add_i32 s24, s24, 4
	s_add_i32 s22, s22, 4
	s_add_i32 s27, s27, -4
	s_cmp_lg_u32 s27, 0
	global_store_dwordx2 v1, v[2:3], s[34:35]
	global_store_dwordx2 v1, v[2:3], s[36:37]
	;; [unrolled: 1-line block ×4, first 2 shown]
	s_cbranch_scc1 .LBB138_4
; %bb.5:
	s_cmp_lg_u32 s20, s17
	s_cselect_b64 s[24:25], -1, 0
.LBB138_6:
	s_and_b64 vcc, exec, s[24:25]
	s_cbranch_vccz .LBB138_9
; %bb.7:
	s_mov_b32 s21, 0
	s_sub_i32 s22, s17, s20
	s_lshl_b64 s[12:13], s[12:13], 3
	s_lshl_b64 s[20:21], s[20:21], 3
	s_add_u32 s12, s12, s20
	s_addc_u32 s13, s13, s21
	s_mul_i32 s13, s13, s14
	s_mul_hi_u32 s20, s12, s14
	s_add_i32 s20, s20, s13
	s_mul_i32 s21, s12, s14
	s_lshl_b64 s[12:13], s[2:3], 3
	s_add_u32 s3, s21, s12
	s_addc_u32 s12, s20, s13
	s_add_u32 s10, s10, s3
	v_mov_b32_e32 v2, 0
	s_addc_u32 s11, s11, s12
	s_lshl_b64 s[12:13], s[14:15], 3
	v_mov_b32_e32 v3, v2
.LBB138_8:                              ; =>This Inner Loop Header: Depth=1
	s_add_i32 s22, s22, -1
	global_store_dwordx2 v2, v[2:3], s[10:11]
	s_add_u32 s10, s10, s12
	s_addc_u32 s11, s11, s13
	s_cmp_eq_u32 s22, 0
	s_cbranch_scc0 .LBB138_8
.LBB138_9:
	s_or_b64 exec, exec, s[6:7]
	s_mov_b64 s[6:7], 0
.LBB138_10:
	s_andn2_b64 vcc, exec, s[6:7]
	s_cbranch_vccnz .LBB138_81
; %bb.11:
	s_load_dwordx4 s[20:23], s[0:1], 0x18
	s_load_dword s15, s[0:1], 0x28
	s_load_dwordx4 s[28:31], s[0:1], 0x30
	s_load_dwordx2 s[6:7], s[0:1], 0x40
	s_load_dword s33, s[0:1], 0x48
	s_mul_i32 s0, s4, s9
	s_mul_hi_u32 s1, s4, s8
	s_add_i32 s1, s1, s0
	s_mul_i32 s0, s4, s8
	s_lshl_b64 s[0:1], s[0:1], 3
	s_waitcnt lgkmcnt(0)
	s_add_u32 s3, s30, s0
	s_addc_u32 s8, s31, s1
	s_lshl_b64 s[0:1], s[6:7], 3
	s_add_u32 s24, s3, s0
	s_addc_u32 s25, s8, s1
	s_mul_i32 s0, s4, s29
	s_mul_hi_u32 s1, s4, s28
	s_add_i32 s1, s1, s0
	s_mul_i32 s0, s4, s28
	s_lshl_b64 s[26:27], s[0:1], 3
	s_add_u32 s0, s20, s26
	s_addc_u32 s1, s21, s27
	s_lshl_b64 s[22:23], s[22:23], 3
	s_add_u32 s0, s0, s22
	s_addc_u32 s1, s1, s23
	s_lshl_b32 s3, s2, 10
	v_lshl_or_b32 v6, v0, 2, s3
	v_ashrrev_i32_e32 v7, 31, v6
	v_lshl_add_u64 v[2:3], v[6:7], 3, s[0:1]
	s_lshr_b32 s0, s5, 30
	s_add_i32 s0, s17, s0
	s_and_b32 s3, s0, -4
	s_ashr_i32 s0, s16, 31
	s_lshr_b32 s0, s0, 30
	s_add_i32 s0, s16, s0
	s_and_b32 s0, s0, -4
	s_sub_i32 s35, s16, s0
	s_cmp_lt_i32 s3, 1
	v_add_u32_e32 v33, 4, v6
	v_add_u32_e32 v34, s35, v6
	v_and_b32_e32 v1, 63, v0
	v_cmp_gt_u32_e64 s[0:1], 64, v0
	v_mbcnt_lo_u32_b32 v32, -1, 0
	v_cmp_gt_u32_e64 s[4:5], 4, v0
	v_lshrrev_b32_e32 v5, 3, v0
	v_mul_lo_u32 v4, v6, s33
	s_cbranch_scc1 .LBB138_58
; %bb.12:
	v_mbcnt_hi_u32_b32 v8, -1, v32
	v_and_b32_e32 v9, 63, v8
	v_cmp_gt_u32_e32 vcc, 32, v9
	s_cmp_gt_i32 s35, 0
	s_cselect_b64 s[30:31], -1, 0
	v_cndmask_b32_e64 v10, 0, 1, vcc
	v_lshlrev_b32_e32 v10, 5, v10
	v_cmp_gt_u32_e32 vcc, 48, v9
	v_add_lshl_u32 v35, v10, v8, 2
	s_lshl_b32 s51, s15, 2
	v_cndmask_b32_e64 v10, 0, 1, vcc
	v_lshlrev_b32_e32 v10, 4, v10
	v_cmp_gt_u32_e32 vcc, 56, v9
	v_add_lshl_u32 v36, v10, v8, 2
	s_lshl_b32 s52, s15, 1
	v_cndmask_b32_e64 v10, 0, 1, vcc
	v_lshlrev_b32_e32 v10, 3, v10
	v_cmp_gt_u32_e32 vcc, 60, v9
	v_add_lshl_u32 v37, v10, v8, 2
	s_add_u32 s29, s26, s22
	v_cndmask_b32_e64 v10, 0, 1, vcc
	v_lshlrev_b32_e32 v10, 2, v10
	v_cmp_gt_u32_e32 vcc, 62, v9
	v_add_lshl_u32 v38, v10, v8, 2
	s_addc_u32 s37, s27, s23
	v_cndmask_b32_e64 v10, 0, 1, vcc
	v_lshlrev_b32_e32 v10, 1, v10
	v_cmp_ne_u32_e32 vcc, 63, v9
	v_add_lshl_u32 v39, v10, v8, 2
	s_add_u32 s36, s20, s29
	v_addc_co_u32_e32 v8, vcc, 0, v8, vcc
	v_lshlrev_b32_e32 v40, 2, v8
	v_mul_lo_u32 v8, v6, s33
	v_add_u32_e32 v14, s33, v8
	v_add_u32_e32 v16, s33, v14
	v_ashrrev_i32_e32 v15, 31, v14
	v_ashrrev_i32_e32 v17, 31, v16
	v_lshl_add_u64 v[12:13], v[14:15], 3, s[24:25]
	v_lshl_add_u64 v[14:15], v[16:17], 3, s[24:25]
	v_add_u32_e32 v16, s33, v16
	s_addc_u32 s37, s21, s37
	v_ashrrev_i32_e32 v9, 31, v8
	v_ashrrev_i32_e32 v17, 31, v16
	v_lshl_add_u64 v[18:19], v[6:7], 3, s[36:37]
	v_cmp_ge_i32_e64 s[6:7], s16, v33
	v_cmp_ge_i32_e64 s[8:9], s16, v34
	s_mov_b32 s28, 0
	v_cmp_eq_u32_e64 s[10:11], 0, v1
	v_lshlrev_b32_e32 v41, 3, v1
	v_and_b32_e32 v42, 24, v5
	v_cmp_eq_u32_e64 s[12:13], 0, v0
	v_lshl_add_u64 v[10:11], v[8:9], 3, s[24:25]
	v_lshl_add_u64 v[16:17], v[16:17], 3, s[24:25]
	s_mov_b32 s34, s19
	s_mul_i32 s53, s15, 3
	v_lshl_add_u64 v[18:19], v[18:19], 0, 4
	v_mov_b32_e32 v20, 0
	s_mov_b32 s36, 0
	s_mov_b32 s54, s15
	;; [unrolled: 1-line block ×3, first 2 shown]
	s_branch .LBB138_14
.LBB138_13:                             ;   in Loop: Header=BB138_14 Depth=1
	s_or_b64 exec, exec, s[38:39]
	s_add_i32 s48, s48, 4
	s_add_i32 s54, s54, s51
	;; [unrolled: 1-line block ×5, first 2 shown]
	s_cmp_ge_i32 s48, s3
	s_cbranch_scc1 .LBB138_59
.LBB138_14:                             ; =>This Loop Header: Depth=1
                                        ;     Child Loop BB138_45 Depth 2
                                        ;     Child Loop BB138_47 Depth 2
                                        ; implicit-def: $vgpr29
                                        ; implicit-def: $vgpr27
                                        ; implicit-def: $vgpr25
                                        ; implicit-def: $vgpr23
	s_and_saveexec_b64 s[38:39], s[6:7]
	s_xor_b64 s[38:39], exec, s[38:39]
	s_cbranch_execnz .LBB138_41
; %bb.15:                               ;   in Loop: Header=BB138_14 Depth=1
	s_andn2_saveexec_b64 s[38:39], s[38:39]
	s_cbranch_execnz .LBB138_42
.LBB138_16:                             ;   in Loop: Header=BB138_14 Depth=1
	s_or_b64 exec, exec, s[38:39]
	s_and_saveexec_b64 s[38:39], s[0:1]
	s_cbranch_execz .LBB138_18
.LBB138_17:                             ;   in Loop: Header=BB138_14 Depth=1
	v_mov_b32_e32 v21, v20
	ds_write_b64 v41, v[20:21]
.LBB138_18:                             ;   in Loop: Header=BB138_14 Depth=1
	s_or_b64 exec, exec, s[38:39]
	ds_bpermute_b32 v30, v35, v28
	ds_bpermute_b32 v31, v35, v29
	s_waitcnt lgkmcnt(0)
	s_barrier
	v_pk_add_f32 v[28:29], v[28:29], v[30:31]
	ds_bpermute_b32 v30, v36, v28
	ds_bpermute_b32 v31, v36, v29
	s_waitcnt lgkmcnt(0)
	v_pk_add_f32 v[28:29], v[28:29], v[30:31]
	ds_bpermute_b32 v30, v37, v28
	ds_bpermute_b32 v31, v37, v29
	s_waitcnt lgkmcnt(0)
	v_pk_add_f32 v[28:29], v[28:29], v[30:31]
	ds_bpermute_b32 v30, v38, v28
	ds_bpermute_b32 v31, v38, v29
	s_waitcnt lgkmcnt(0)
	v_pk_add_f32 v[28:29], v[28:29], v[30:31]
	ds_bpermute_b32 v30, v39, v28
	ds_bpermute_b32 v31, v39, v29
	s_waitcnt lgkmcnt(0)
	v_pk_add_f32 v[28:29], v[28:29], v[30:31]
	ds_bpermute_b32 v30, v40, v28
	ds_bpermute_b32 v31, v40, v29
	s_and_saveexec_b64 s[38:39], s[10:11]
	s_cbranch_execz .LBB138_20
; %bb.19:                               ;   in Loop: Header=BB138_14 Depth=1
	s_waitcnt lgkmcnt(0)
	v_pk_add_f32 v[28:29], v[28:29], v[30:31]
	ds_write_b64 v42, v[28:29]
.LBB138_20:                             ;   in Loop: Header=BB138_14 Depth=1
	s_or_b64 exec, exec, s[38:39]
	s_mov_b32 s29, s28
	v_mov_b64_e32 v[28:29], s[28:29]
	s_waitcnt lgkmcnt(0)
	s_barrier
	s_and_saveexec_b64 s[38:39], s[4:5]
	s_cbranch_execnz .LBB138_49
; %bb.21:                               ;   in Loop: Header=BB138_14 Depth=1
	s_or_b64 exec, exec, s[38:39]
	s_and_saveexec_b64 s[38:39], s[0:1]
	s_cbranch_execnz .LBB138_50
.LBB138_22:                             ;   in Loop: Header=BB138_14 Depth=1
	s_or_b64 exec, exec, s[38:39]
	s_and_saveexec_b64 s[38:39], s[0:1]
	s_cbranch_execz .LBB138_24
.LBB138_23:                             ;   in Loop: Header=BB138_14 Depth=1
	v_mov_b32_e32 v21, v20
	ds_write_b64 v41, v[20:21]
.LBB138_24:                             ;   in Loop: Header=BB138_14 Depth=1
	s_or_b64 exec, exec, s[38:39]
	ds_bpermute_b32 v30, v35, v26
	ds_bpermute_b32 v31, v35, v27
	s_waitcnt lgkmcnt(0)
	s_barrier
	v_pk_add_f32 v[26:27], v[26:27], v[30:31]
	ds_bpermute_b32 v30, v36, v26
	ds_bpermute_b32 v31, v36, v27
	s_waitcnt lgkmcnt(0)
	v_pk_add_f32 v[26:27], v[26:27], v[30:31]
	ds_bpermute_b32 v30, v37, v26
	ds_bpermute_b32 v31, v37, v27
	s_waitcnt lgkmcnt(0)
	;; [unrolled: 4-line block ×4, first 2 shown]
	v_pk_add_f32 v[26:27], v[26:27], v[30:31]
	ds_bpermute_b32 v30, v40, v26
	ds_bpermute_b32 v31, v40, v27
	s_and_saveexec_b64 s[38:39], s[10:11]
	s_cbranch_execz .LBB138_26
; %bb.25:                               ;   in Loop: Header=BB138_14 Depth=1
	s_waitcnt lgkmcnt(0)
	v_pk_add_f32 v[26:27], v[26:27], v[30:31]
	ds_write_b64 v42, v[26:27]
.LBB138_26:                             ;   in Loop: Header=BB138_14 Depth=1
	s_or_b64 exec, exec, s[38:39]
	s_mov_b32 s29, s28
	v_mov_b64_e32 v[26:27], s[28:29]
	s_waitcnt lgkmcnt(0)
	s_barrier
	s_and_saveexec_b64 s[38:39], s[4:5]
	s_cbranch_execnz .LBB138_51
; %bb.27:                               ;   in Loop: Header=BB138_14 Depth=1
	s_or_b64 exec, exec, s[38:39]
	s_and_saveexec_b64 s[38:39], s[0:1]
	s_cbranch_execnz .LBB138_52
.LBB138_28:                             ;   in Loop: Header=BB138_14 Depth=1
	s_or_b64 exec, exec, s[38:39]
	s_and_saveexec_b64 s[38:39], s[0:1]
	s_cbranch_execz .LBB138_30
.LBB138_29:                             ;   in Loop: Header=BB138_14 Depth=1
	v_mov_b32_e32 v21, v20
	ds_write_b64 v41, v[20:21]
.LBB138_30:                             ;   in Loop: Header=BB138_14 Depth=1
	s_or_b64 exec, exec, s[38:39]
	ds_bpermute_b32 v30, v35, v24
	ds_bpermute_b32 v31, v35, v25
	s_waitcnt lgkmcnt(0)
	s_barrier
	v_pk_add_f32 v[24:25], v[24:25], v[30:31]
	ds_bpermute_b32 v30, v36, v24
	ds_bpermute_b32 v31, v36, v25
	s_waitcnt lgkmcnt(0)
	v_pk_add_f32 v[24:25], v[24:25], v[30:31]
	ds_bpermute_b32 v30, v37, v24
	ds_bpermute_b32 v31, v37, v25
	s_waitcnt lgkmcnt(0)
	;; [unrolled: 4-line block ×4, first 2 shown]
	v_pk_add_f32 v[24:25], v[24:25], v[30:31]
	ds_bpermute_b32 v30, v40, v24
	ds_bpermute_b32 v31, v40, v25
	s_and_saveexec_b64 s[38:39], s[10:11]
	s_cbranch_execz .LBB138_32
; %bb.31:                               ;   in Loop: Header=BB138_14 Depth=1
	s_waitcnt lgkmcnt(0)
	v_pk_add_f32 v[24:25], v[24:25], v[30:31]
	ds_write_b64 v42, v[24:25]
.LBB138_32:                             ;   in Loop: Header=BB138_14 Depth=1
	s_or_b64 exec, exec, s[38:39]
	s_mov_b32 s29, s28
	v_mov_b64_e32 v[24:25], s[28:29]
	s_waitcnt lgkmcnt(0)
	s_barrier
	s_and_saveexec_b64 s[38:39], s[4:5]
	s_cbranch_execnz .LBB138_53
; %bb.33:                               ;   in Loop: Header=BB138_14 Depth=1
	s_or_b64 exec, exec, s[38:39]
	s_and_saveexec_b64 s[38:39], s[0:1]
	s_cbranch_execnz .LBB138_54
.LBB138_34:                             ;   in Loop: Header=BB138_14 Depth=1
	s_or_b64 exec, exec, s[38:39]
	s_and_saveexec_b64 s[38:39], s[0:1]
	s_cbranch_execz .LBB138_36
.LBB138_35:                             ;   in Loop: Header=BB138_14 Depth=1
	v_mov_b32_e32 v21, v20
	ds_write_b64 v41, v[20:21]
.LBB138_36:                             ;   in Loop: Header=BB138_14 Depth=1
	s_or_b64 exec, exec, s[38:39]
	ds_bpermute_b32 v30, v35, v22
	ds_bpermute_b32 v31, v35, v23
	s_waitcnt lgkmcnt(0)
	s_barrier
	v_pk_add_f32 v[22:23], v[22:23], v[30:31]
	ds_bpermute_b32 v30, v36, v22
	ds_bpermute_b32 v31, v36, v23
	s_waitcnt lgkmcnt(0)
	v_pk_add_f32 v[22:23], v[22:23], v[30:31]
	ds_bpermute_b32 v30, v37, v22
	ds_bpermute_b32 v31, v37, v23
	s_waitcnt lgkmcnt(0)
	;; [unrolled: 4-line block ×4, first 2 shown]
	v_pk_add_f32 v[22:23], v[22:23], v[30:31]
	ds_bpermute_b32 v30, v40, v22
	ds_bpermute_b32 v31, v40, v23
	s_and_saveexec_b64 s[38:39], s[10:11]
	s_cbranch_execz .LBB138_38
; %bb.37:                               ;   in Loop: Header=BB138_14 Depth=1
	s_waitcnt lgkmcnt(0)
	v_pk_add_f32 v[22:23], v[22:23], v[30:31]
	ds_write_b64 v42, v[22:23]
.LBB138_38:                             ;   in Loop: Header=BB138_14 Depth=1
	s_or_b64 exec, exec, s[38:39]
	s_mov_b32 s29, s28
	v_mov_b64_e32 v[22:23], s[28:29]
	s_waitcnt lgkmcnt(0)
	s_barrier
	s_and_saveexec_b64 s[38:39], s[4:5]
	s_cbranch_execnz .LBB138_55
; %bb.39:                               ;   in Loop: Header=BB138_14 Depth=1
	s_or_b64 exec, exec, s[38:39]
	s_and_saveexec_b64 s[38:39], s[0:1]
	s_cbranch_execnz .LBB138_56
.LBB138_40:                             ;   in Loop: Header=BB138_14 Depth=1
	s_or_b64 exec, exec, s[38:39]
	s_and_saveexec_b64 s[38:39], s[12:13]
	s_cbranch_execz .LBB138_13
	s_branch .LBB138_57
.LBB138_41:                             ;   in Loop: Header=BB138_14 Depth=1
	s_mul_i32 s40, s48, s15
	s_ashr_i32 s41, s40, 31
	v_lshl_add_u64 v[30:31], s[40:41], 3, v[2:3]
	s_add_i32 s40, s40, s15
	s_ashr_i32 s41, s40, 31
	s_waitcnt lgkmcnt(0)
	global_load_dwordx2 v[22:23], v[10:11], off
	global_load_dwordx2 v[24:25], v[12:13], off
	;; [unrolled: 1-line block ×4, first 2 shown]
	global_load_dwordx4 v[26:29], v[30:31], off
	global_load_dwordx4 v[48:51], v[30:31], off offset:16
	v_lshl_add_u64 v[30:31], s[40:41], 3, v[2:3]
	s_add_i32 s40, s40, s15
	s_ashr_i32 s41, s40, 31
	global_load_dwordx4 v[52:55], v[30:31], off
	global_load_dwordx4 v[56:59], v[30:31], off offset:16
	v_lshl_add_u64 v[30:31], s[40:41], 3, v[2:3]
	global_load_dwordx4 v[60:63], v[30:31], off
	s_add_i32 s40, s40, s15
	s_ashr_i32 s41, s40, 31
	v_lshl_add_u64 v[76:77], s[40:41], 3, v[2:3]
	global_load_dwordx4 v[64:67], v[76:77], off
	global_load_dwordx4 v[68:71], v[76:77], off offset:16
	global_load_dwordx4 v[72:75], v[30:31], off offset:16
	s_waitcnt vmcnt(10)
	scratch_store_dwordx4 off, v[22:25], off
	s_waitcnt vmcnt(9)
	scratch_store_dwordx4 off, v[44:47], off offset:16
	s_waitcnt vmcnt(9)
	v_mul_f32_e32 v30, v27, v23
	v_mul_f32_e32 v9, v27, v22
	s_waitcnt vmcnt(8)
	v_pk_mul_f32 v[78:79], v[44:45], v[48:49] op_sel:[0,1]
	v_mov_b32_e32 v80, v51
	v_mul_f32_e32 v76, v29, v25
	v_mul_f32_e32 v21, v29, v24
	v_fmac_f32_e32 v30, v26, v22
	v_fma_f32 v31, v26, v23, -v9
	s_waitcnt vmcnt(7)
	v_mul_f32_e32 v26, v53, v23
	v_mul_f32_e32 v9, v53, v22
	v_pk_fma_f32 v[82:83], v[44:45], v[48:49], v[78:79] op_sel:[0,0,1] op_sel_hi:[1,1,0]
	v_pk_fma_f32 v[48:49], v[44:45], v[48:49], v[78:79] op_sel:[0,0,1] op_sel_hi:[1,0,0] neg_lo:[0,0,1] neg_hi:[0,0,1]
	v_pk_mul_f32 v[78:79], v[46:47], v[80:81] op_sel_hi:[1,0]
	v_fma_f32 v77, v28, v25, -v21
	v_fmac_f32_e32 v76, v28, v24
	v_mul_f32_e32 v28, v55, v25
	v_mul_f32_e32 v21, v55, v24
	s_waitcnt vmcnt(6)
	v_pk_mul_f32 v[80:81], v[44:45], v[56:57] op_sel:[0,1]
	v_mov_b32_e32 v48, v59
	v_fma_f32 v27, v52, v23, -v9
	v_fmac_f32_e32 v26, v52, v22
	v_pk_fma_f32 v[52:53], v[46:47], v[50:51], v[78:79] op_sel:[0,0,1] op_sel_hi:[1,1,0]
	v_pk_fma_f32 v[50:51], v[46:47], v[50:51], v[78:79] op_sel:[0,0,1] op_sel_hi:[1,0,0] neg_lo:[0,0,1] neg_hi:[0,0,1]
	s_waitcnt vmcnt(5)
	v_mul_f32_e32 v9, v61, v22
	v_fma_f32 v29, v54, v25, -v21
	v_fmac_f32_e32 v28, v54, v24
	v_mul_f32_e32 v54, v61, v23
	v_mov_b32_e32 v83, v49
	v_mul_f32_e32 v21, v63, v24
	v_pk_add_f32 v[30:31], v[30:31], 0 op_sel_hi:[1,0]
	v_pk_fma_f32 v[84:85], v[44:45], v[56:57], v[80:81] op_sel:[0,0,1] op_sel_hi:[1,1,0]
	v_pk_fma_f32 v[56:57], v[44:45], v[56:57], v[80:81] op_sel:[0,0,1] op_sel_hi:[1,0,0] neg_lo:[0,0,1] neg_hi:[0,0,1]
	v_pk_mul_f32 v[48:49], v[46:47], v[48:49] op_sel_hi:[1,0]
	v_fma_f32 v55, v60, v23, -v9
	s_waitcnt vmcnt(4)
	v_mul_f32_e32 v50, v65, v23
	v_mul_f32_e32 v9, v65, v22
	;; [unrolled: 1-line block ×3, first 2 shown]
	v_fma_f32 v79, v62, v25, -v21
	v_fmac_f32_e32 v54, v60, v22
	v_pk_fma_f32 v[60:61], v[46:47], v[58:59], v[48:49] op_sel:[0,0,1] op_sel_hi:[1,1,0]
	v_pk_fma_f32 v[48:49], v[46:47], v[58:59], v[48:49] op_sel:[0,0,1] op_sel_hi:[1,0,0] neg_lo:[0,0,1] neg_hi:[0,0,1]
	v_pk_add_f32 v[30:31], v[30:31], v[76:77]
	v_mul_f32_e32 v56, v67, v25
	v_mul_f32_e32 v21, v67, v24
	v_mov_b32_e32 v53, v51
	s_waitcnt vmcnt(3)
	v_pk_mul_f32 v[58:59], v[44:45], v[68:69] op_sel:[0,1]
	v_fmac_f32_e32 v50, v64, v22
	v_fma_f32 v51, v64, v23, -v9
	v_fmac_f32_e32 v78, v62, v24
	v_pk_add_f32 v[26:27], v[26:27], 0 op_sel_hi:[1,0]
	v_mov_b32_e32 v85, v57
	v_fmac_f32_e32 v56, v66, v24
	v_fma_f32 v57, v66, v25, -v21
	v_pk_fma_f32 v[22:23], v[44:45], v[68:69], v[58:59] op_sel:[0,0,1] op_sel_hi:[1,1,0]
	v_pk_fma_f32 v[24:25], v[44:45], v[68:69], v[58:59] op_sel:[0,0,1] op_sel_hi:[1,0,0] neg_lo:[0,0,1] neg_hi:[0,0,1]
	v_pk_add_f32 v[30:31], v[30:31], v[82:83]
	v_mov_b32_e32 v61, v49
	v_pk_add_f32 v[48:49], v[50:51], 0 op_sel_hi:[1,0]
	v_pk_add_f32 v[26:27], v[26:27], v[28:29]
	v_mov_b32_e32 v23, v25
	v_pk_add_f32 v[28:29], v[30:31], v[52:53]
	v_pk_add_f32 v[30:31], v[48:49], v[56:57]
	;; [unrolled: 1-line block ×4, first 2 shown]
	s_waitcnt vmcnt(2)
	v_pk_mul_f32 v[30:31], v[44:45], v[72:73] op_sel:[0,1]
	v_pk_add_f32 v[26:27], v[24:25], v[60:61]
	v_pk_fma_f32 v[48:49], v[44:45], v[72:73], v[30:31] op_sel:[0,0,1] op_sel_hi:[1,1,0]
	v_pk_fma_f32 v[30:31], v[44:45], v[72:73], v[30:31] op_sel:[0,0,1] op_sel_hi:[1,0,0] neg_lo:[0,0,1] neg_hi:[0,0,1]
	v_pk_add_f32 v[24:25], v[54:55], 0 op_sel_hi:[1,0]
	v_mov_b32_e32 v30, v75
	v_mov_b32_e32 v49, v31
	v_pk_mul_f32 v[30:31], v[46:47], v[30:31] op_sel_hi:[1,0]
	v_pk_add_f32 v[24:25], v[24:25], v[78:79]
	v_pk_fma_f32 v[44:45], v[46:47], v[74:75], v[30:31] op_sel:[0,0,1] op_sel_hi:[1,1,0]
	v_pk_fma_f32 v[30:31], v[46:47], v[74:75], v[30:31] op_sel:[0,0,1] op_sel_hi:[1,0,0] neg_lo:[0,0,1] neg_hi:[0,0,1]
	v_pk_add_f32 v[24:25], v[24:25], v[48:49]
	v_mov_b32_e32 v30, v71
	v_mov_b32_e32 v45, v31
	v_pk_mul_f32 v[30:31], v[46:47], v[30:31] op_sel_hi:[1,0]
	v_pk_add_f32 v[24:25], v[24:25], v[44:45]
	v_pk_fma_f32 v[44:45], v[46:47], v[70:71], v[30:31] op_sel:[0,0,1] op_sel_hi:[1,1,0]
	v_pk_fma_f32 v[30:31], v[46:47], v[70:71], v[30:31] op_sel:[0,0,1] op_sel_hi:[1,0,0] neg_lo:[0,0,1] neg_hi:[0,0,1]
	s_nop 0
	v_mov_b32_e32 v45, v31
	v_pk_add_f32 v[22:23], v[22:23], v[44:45]
	s_andn2_saveexec_b64 s[38:39], s[38:39]
	s_cbranch_execz .LBB138_16
.LBB138_42:                             ;   in Loop: Header=BB138_14 Depth=1
	v_mov_b32_e32 v29, 0
	v_mov_b32_e32 v28, 0
	;; [unrolled: 1-line block ×6, first 2 shown]
	s_waitcnt lgkmcnt(0)
	v_mov_b32_e32 v23, 0
	v_mov_b32_e32 v22, 0
	s_and_saveexec_b64 s[40:41], s[8:9]
	s_cbranch_execz .LBB138_48
; %bb.43:                               ;   in Loop: Header=BB138_14 Depth=1
	v_mov_b32_e32 v29, 0
	s_andn2_b64 vcc, exec, s[30:31]
	v_mov_b32_e32 v28, v29
	v_mov_b32_e32 v27, v29
	;; [unrolled: 1-line block ×7, first 2 shown]
	s_cbranch_vccnz .LBB138_48
; %bb.44:                               ;   in Loop: Header=BB138_14 Depth=1
	v_mov_b32_e32 v9, 0
	v_mov_b32_e32 v22, v8
	s_mov_b32 s29, s35
.LBB138_45:                             ;   Parent Loop BB138_14 Depth=1
                                        ; =>  This Inner Loop Header: Depth=2
	v_ashrrev_i32_e32 v23, 31, v22
	v_lshl_add_u64 v[24:25], v[22:23], 3, s[24:25]
	global_load_dwordx2 v[24:25], v[24:25], off
	s_add_i32 s29, s29, -1
	v_add_u32_e32 v22, s33, v22
	s_cmp_eq_u32 s29, 0
	s_waitcnt vmcnt(0)
	scratch_store_dwordx2 v9, v[24:25], off
	v_add_u32_e32 v9, 8, v9
	s_cbranch_scc0 .LBB138_45
; %bb.46:                               ;   in Loop: Header=BB138_14 Depth=1
	s_ashr_i32 s37, s36, 31
	v_mov_b32_e32 v22, 0
	v_lshl_add_u64 v[30:31], s[36:37], 3, v[18:19]
	v_mov_b32_e32 v9, 0
	s_mov_b32 s42, s53
	s_mov_b32 s44, s52
	;; [unrolled: 1-line block ×4, first 2 shown]
	v_mov_b32_e32 v23, v22
	v_mov_b32_e32 v24, v22
	;; [unrolled: 1-line block ×7, first 2 shown]
.LBB138_47:                             ;   Parent Loop BB138_14 Depth=1
                                        ; =>  This Inner Loop Header: Depth=2
	global_load_dwordx2 v[44:45], v[30:31], off offset:-4
	s_ashr_i32 s47, s46, 31
	s_ashr_i32 s45, s44, 31
	;; [unrolled: 1-line block ×3, first 2 shown]
	scratch_load_dwordx2 v[46:47], v9, off
	v_lshl_add_u64 v[48:49], s[46:47], 3, v[2:3]
	v_lshl_add_u64 v[50:51], s[44:45], 3, v[2:3]
	;; [unrolled: 1-line block ×3, first 2 shown]
	global_load_dwordx2 v[48:49], v[48:49], off
	s_nop 0
	global_load_dwordx2 v[50:51], v[50:51], off
	s_nop 0
	global_load_dwordx2 v[52:53], v[52:53], off
	s_add_i32 s29, s29, -1
	s_add_i32 s46, s46, 1
	s_add_i32 s44, s44, 1
	;; [unrolled: 1-line block ×3, first 2 shown]
	v_add_u32_e32 v9, 8, v9
	v_lshl_add_u64 v[30:31], v[30:31], 0, 8
	s_cmp_lg_u32 s29, 0
	s_waitcnt vmcnt(3)
	v_pk_mul_f32 v[54:55], v[46:47], v[44:45] op_sel:[0,1]
	s_nop 0
	v_pk_fma_f32 v[56:57], v[46:47], v[44:45], v[54:55] op_sel:[0,0,1] op_sel_hi:[1,1,0]
	v_pk_fma_f32 v[44:45], v[46:47], v[44:45], v[54:55] op_sel:[0,0,1] op_sel_hi:[1,0,0] neg_lo:[0,0,1] neg_hi:[0,0,1]
	s_waitcnt vmcnt(1)
	v_pk_mul_f32 v[54:55], v[46:47], v[50:51] op_sel:[0,1]
	v_mov_b32_e32 v57, v45
	v_pk_mul_f32 v[44:45], v[46:47], v[48:49] op_sel:[0,1]
	s_waitcnt vmcnt(0)
	v_pk_mul_f32 v[58:59], v[46:47], v[52:53] op_sel:[0,1]
	v_pk_add_f32 v[28:29], v[28:29], v[56:57]
	v_pk_fma_f32 v[56:57], v[46:47], v[48:49], v[44:45] op_sel:[0,0,1] op_sel_hi:[1,1,0]
	v_pk_fma_f32 v[44:45], v[46:47], v[48:49], v[44:45] op_sel:[0,0,1] op_sel_hi:[1,0,0] neg_lo:[0,0,1] neg_hi:[0,0,1]
	v_pk_fma_f32 v[48:49], v[46:47], v[50:51], v[54:55] op_sel:[0,0,1] op_sel_hi:[1,1,0]
	v_pk_fma_f32 v[50:51], v[46:47], v[50:51], v[54:55] op_sel:[0,0,1] op_sel_hi:[1,0,0] neg_lo:[0,0,1] neg_hi:[0,0,1]
	;; [unrolled: 2-line block ×3, first 2 shown]
	v_mov_b32_e32 v57, v45
	v_mov_b32_e32 v49, v51
	;; [unrolled: 1-line block ×3, first 2 shown]
	v_pk_add_f32 v[26:27], v[26:27], v[56:57]
	v_pk_add_f32 v[24:25], v[24:25], v[48:49]
	;; [unrolled: 1-line block ×3, first 2 shown]
	s_cbranch_scc1 .LBB138_47
.LBB138_48:                             ;   in Loop: Header=BB138_14 Depth=1
	s_or_b64 exec, exec, s[40:41]
	s_or_b64 exec, exec, s[38:39]
	s_and_saveexec_b64 s[38:39], s[0:1]
	s_cbranch_execnz .LBB138_17
	s_branch .LBB138_18
.LBB138_49:                             ;   in Loop: Header=BB138_14 Depth=1
	ds_read_b64 v[28:29], v41
	s_or_b64 exec, exec, s[38:39]
	s_and_saveexec_b64 s[38:39], s[0:1]
	s_cbranch_execz .LBB138_22
.LBB138_50:                             ;   in Loop: Header=BB138_14 Depth=1
	s_waitcnt lgkmcnt(0)
	ds_bpermute_b32 v30, v39, v28
	ds_bpermute_b32 v31, v39, v29
	s_waitcnt lgkmcnt(0)
	v_pk_add_f32 v[28:29], v[28:29], v[30:31]
	ds_bpermute_b32 v30, v40, v28
	ds_bpermute_b32 v31, v40, v29
	s_waitcnt lgkmcnt(0)
	v_pk_add_f32 v[28:29], v[28:29], v[30:31]
	s_or_b64 exec, exec, s[38:39]
	s_and_saveexec_b64 s[38:39], s[0:1]
	s_cbranch_execnz .LBB138_23
	s_branch .LBB138_24
.LBB138_51:                             ;   in Loop: Header=BB138_14 Depth=1
	ds_read_b64 v[26:27], v41
	s_or_b64 exec, exec, s[38:39]
	s_and_saveexec_b64 s[38:39], s[0:1]
	s_cbranch_execz .LBB138_28
.LBB138_52:                             ;   in Loop: Header=BB138_14 Depth=1
	s_waitcnt lgkmcnt(0)
	ds_bpermute_b32 v30, v39, v26
	ds_bpermute_b32 v31, v39, v27
	s_waitcnt lgkmcnt(0)
	v_pk_add_f32 v[26:27], v[26:27], v[30:31]
	ds_bpermute_b32 v30, v40, v26
	ds_bpermute_b32 v31, v40, v27
	s_waitcnt lgkmcnt(0)
	v_pk_add_f32 v[26:27], v[26:27], v[30:31]
	s_or_b64 exec, exec, s[38:39]
	s_and_saveexec_b64 s[38:39], s[0:1]
	s_cbranch_execnz .LBB138_29
	s_branch .LBB138_30
.LBB138_53:                             ;   in Loop: Header=BB138_14 Depth=1
	ds_read_b64 v[24:25], v41
	s_or_b64 exec, exec, s[38:39]
	s_and_saveexec_b64 s[38:39], s[0:1]
	s_cbranch_execz .LBB138_34
.LBB138_54:                             ;   in Loop: Header=BB138_14 Depth=1
	s_waitcnt lgkmcnt(0)
	ds_bpermute_b32 v30, v39, v24
	ds_bpermute_b32 v31, v39, v25
	s_waitcnt lgkmcnt(0)
	v_pk_add_f32 v[24:25], v[24:25], v[30:31]
	ds_bpermute_b32 v30, v40, v24
	ds_bpermute_b32 v31, v40, v25
	s_waitcnt lgkmcnt(0)
	v_pk_add_f32 v[24:25], v[24:25], v[30:31]
	s_or_b64 exec, exec, s[38:39]
	s_and_saveexec_b64 s[38:39], s[0:1]
	s_cbranch_execnz .LBB138_35
	s_branch .LBB138_36
.LBB138_55:                             ;   in Loop: Header=BB138_14 Depth=1
	ds_read_b64 v[22:23], v41
	s_or_b64 exec, exec, s[38:39]
	s_and_saveexec_b64 s[38:39], s[0:1]
	s_cbranch_execz .LBB138_40
.LBB138_56:                             ;   in Loop: Header=BB138_14 Depth=1
	s_waitcnt lgkmcnt(0)
	ds_bpermute_b32 v30, v39, v22
	ds_bpermute_b32 v31, v39, v23
	s_waitcnt lgkmcnt(0)
	v_pk_add_f32 v[22:23], v[22:23], v[30:31]
	ds_bpermute_b32 v30, v40, v22
	ds_bpermute_b32 v31, v40, v23
	s_waitcnt lgkmcnt(0)
	v_pk_add_f32 v[22:23], v[22:23], v[30:31]
	s_or_b64 exec, exec, s[38:39]
	s_and_saveexec_b64 s[38:39], s[12:13]
	s_cbranch_execz .LBB138_13
.LBB138_57:                             ;   in Loop: Header=BB138_14 Depth=1
	s_mul_i32 s29, s48, s14
	v_pk_mul_f32 v[30:31], v[28:29], s[18:19]
	v_mov_b32_e32 v44, v29
	s_add_i32 s40, s29, s2
	s_mov_b32 s41, s28
	v_mov_b32_e32 v30, v31
	v_pk_mul_f32 v[44:45], v[44:45], s[18:19]
	s_lshl_b64 s[42:43], s[40:41], 3
	v_pk_fma_f32 v[30:31], v[28:29], s[18:19], v[30:31] neg_lo:[0,0,1] neg_hi:[0,0,1]
	v_pk_fma_f32 v[28:29], v[28:29], s[34:35], v[44:45]
	s_add_u32 s42, s49, s42
	s_addc_u32 s43, s50, s43
	v_mov_b32_e32 v31, v28
	global_store_dwordx2 v20, v[30:31], s[42:43]
	v_pk_mul_f32 v[28:29], v[26:27], s[18:19]
	v_mov_b32_e32 v30, v27
	s_add_i32 s40, s40, s14
	v_mov_b32_e32 v28, v29
	v_pk_mul_f32 v[30:31], v[30:31], s[18:19]
	s_lshl_b64 s[42:43], s[40:41], 3
	v_pk_fma_f32 v[28:29], v[26:27], s[18:19], v[28:29] neg_lo:[0,0,1] neg_hi:[0,0,1]
	v_pk_fma_f32 v[26:27], v[26:27], s[34:35], v[30:31]
	s_add_u32 s42, s49, s42
	s_addc_u32 s43, s50, s43
	v_mov_b32_e32 v29, v26
	s_add_i32 s40, s40, s14
	global_store_dwordx2 v20, v[28:29], s[42:43]
	v_pk_mul_f32 v[26:27], v[24:25], s[18:19]
	v_mov_b32_e32 v28, v25
	s_lshl_b64 s[42:43], s[40:41], 3
	v_mov_b32_e32 v26, v27
	v_pk_mul_f32 v[28:29], v[28:29], s[18:19]
	s_add_u32 s42, s49, s42
	v_pk_fma_f32 v[26:27], v[24:25], s[18:19], v[26:27] neg_lo:[0,0,1] neg_hi:[0,0,1]
	v_pk_fma_f32 v[24:25], v[24:25], s[34:35], v[28:29]
	s_addc_u32 s43, s50, s43
	s_add_i32 s40, s40, s14
	v_mov_b32_e32 v27, v24
	s_waitcnt lgkmcnt(0)
	v_pk_mul_f32 v[24:25], v[22:23], s[18:19] op_sel:[1,0]
	s_lshl_b64 s[40:41], s[40:41], 3
	global_store_dwordx2 v20, v[26:27], s[42:43]
	s_add_u32 s40, s49, s40
	v_pk_fma_f32 v[26:27], v[22:23], s[18:19], v[24:25] op_sel:[0,0,1] op_sel_hi:[1,1,0] neg_lo:[0,0,1] neg_hi:[0,0,1]
	v_pk_fma_f32 v[22:23], v[22:23], s[18:19], v[24:25] op_sel:[0,0,1] op_sel_hi:[0,1,0]
	s_addc_u32 s41, s50, s41
	v_mov_b32_e32 v27, v23
	global_store_dwordx2 v20, v[26:27], s[40:41]
	s_branch .LBB138_13
.LBB138_58:
	s_mov_b32 s48, 0
.LBB138_59:
	s_cmp_ge_i32 s48, s17
	s_cbranch_scc1 .LBB138_81
; %bb.60:
	v_mbcnt_hi_u32_b32 v8, -1, v32
	v_and_b32_e32 v9, 63, v8
	v_cmp_gt_u32_e64 s[4:5], 32, v9
	s_mov_b32 s12, 0
	s_cmp_gt_i32 s35, 0
	v_cndmask_b32_e64 v10, 0, 1, s[4:5]
	v_lshlrev_b32_e32 v10, 5, v10
	v_cmp_gt_u32_e64 s[4:5], 48, v9
	v_add_lshl_u32 v21, v10, v8, 2
	s_mov_b32 s3, s12
	v_cndmask_b32_e64 v10, 0, 1, s[4:5]
	v_lshlrev_b32_e32 v10, 4, v10
	v_cmp_gt_u32_e64 s[4:5], 56, v9
	s_waitcnt lgkmcnt(0)
	v_add_lshl_u32 v22, v10, v8, 2
	s_cselect_b64 s[30:31], -1, 0
	v_cndmask_b32_e64 v10, 0, 1, s[4:5]
	v_lshlrev_b32_e32 v10, 3, v10
	v_cmp_gt_u32_e64 s[4:5], 60, v9
	v_add_lshl_u32 v23, v10, v8, 2
	s_lshl_b64 s[2:3], s[2:3], 3
	v_cndmask_b32_e64 v10, 0, 1, s[4:5]
	v_lshlrev_b32_e32 v10, 2, v10
	v_cmp_gt_u32_e64 s[4:5], 62, v9
	v_cmp_ge_i32_e32 vcc, s16, v33
	v_cmp_ge_i32_e64 s[10:11], s16, v34
	v_add_lshl_u32 v24, v10, v8, 2
	v_cndmask_b32_e64 v10, 0, 1, s[4:5]
	s_add_u32 s16, s49, s2
	v_lshlrev_b32_e32 v10, 1, v10
	s_addc_u32 s28, s50, s3
	s_and_b64 s[2:3], s[30:31], s[10:11]
	v_add_lshl_u32 v25, v10, v8, 2
	v_add_u32_e32 v10, s33, v4
	s_add_u32 s10, s26, s22
	v_cmp_ne_u32_e64 s[4:5], 63, v9
	v_add_u32_e32 v12, s33, v10
	s_addc_u32 s11, s27, s23
	v_addc_co_u32_e64 v8, s[4:5], 0, v8, s[4:5]
	v_ashrrev_i32_e32 v11, 31, v10
	v_ashrrev_i32_e32 v13, 31, v12
	s_add_u32 s10, s20, s10
	v_lshlrev_b32_e32 v26, 2, v8
	v_lshl_add_u64 v[8:9], v[10:11], 3, s[24:25]
	v_lshl_add_u64 v[10:11], v[12:13], 3, s[24:25]
	v_add_u32_e32 v12, s33, v12
	s_addc_u32 s11, s21, s11
	v_and_b32_e32 v27, 24, v5
	v_ashrrev_i32_e32 v5, 31, v4
	v_ashrrev_i32_e32 v13, 31, v12
	v_lshl_add_u64 v[6:7], v[6:7], 3, s[10:11]
	v_cmp_gt_u32_e64 s[0:1], 64, v0
	v_lshlrev_b32_e32 v20, 3, v1
	v_cmp_eq_u32_e64 s[4:5], 0, v1
	v_cmp_gt_u32_e64 s[6:7], 4, v0
	v_cmp_eq_u32_e64 s[8:9], 0, v0
	v_lshl_add_u64 v[0:1], v[4:5], 3, s[24:25]
	v_lshl_add_u64 v[12:13], v[12:13], 3, s[24:25]
	;; [unrolled: 1-line block ×3, first 2 shown]
	s_mul_i32 s10, s48, s15
	v_mov_b32_e32 v14, 0
	s_branch .LBB138_62
.LBB138_61:                             ;   in Loop: Header=BB138_62 Depth=1
	s_or_b64 exec, exec, s[20:21]
	s_add_i32 s48, s48, 1
	s_add_i32 s10, s10, s15
	s_cmp_lt_i32 s48, s17
	s_cbranch_scc0 .LBB138_81
.LBB138_62:                             ; =>This Loop Header: Depth=1
                                        ;     Child Loop BB138_74 Depth 2
                                        ;     Child Loop BB138_76 Depth 2
                                        ; implicit-def: $vgpr17
	s_and_saveexec_b64 s[20:21], vcc
	s_xor_b64 s[20:21], exec, s[20:21]
	s_cbranch_execnz .LBB138_71
; %bb.63:                               ;   in Loop: Header=BB138_62 Depth=1
	s_andn2_saveexec_b64 s[20:21], s[20:21]
	s_cbranch_execnz .LBB138_72
.LBB138_64:                             ;   in Loop: Header=BB138_62 Depth=1
	s_or_b64 exec, exec, s[20:21]
	s_and_saveexec_b64 s[20:21], s[0:1]
	s_cbranch_execz .LBB138_66
.LBB138_65:                             ;   in Loop: Header=BB138_62 Depth=1
	v_mov_b32_e32 v15, v14
	ds_write_b64 v20, v[14:15]
.LBB138_66:                             ;   in Loop: Header=BB138_62 Depth=1
	s_or_b64 exec, exec, s[20:21]
	s_waitcnt lgkmcnt(0)
	ds_bpermute_b32 v18, v21, v16
	ds_bpermute_b32 v19, v21, v17
	s_waitcnt lgkmcnt(0)
	s_barrier
	v_pk_add_f32 v[16:17], v[16:17], v[18:19]
	ds_bpermute_b32 v18, v22, v16
	ds_bpermute_b32 v19, v22, v17
	s_waitcnt lgkmcnt(0)
	v_pk_add_f32 v[16:17], v[16:17], v[18:19]
	ds_bpermute_b32 v18, v23, v16
	ds_bpermute_b32 v19, v23, v17
	s_waitcnt lgkmcnt(0)
	;; [unrolled: 4-line block ×4, first 2 shown]
	v_pk_add_f32 v[16:17], v[16:17], v[18:19]
	ds_bpermute_b32 v18, v26, v16
	ds_bpermute_b32 v19, v26, v17
	s_and_saveexec_b64 s[20:21], s[4:5]
	s_cbranch_execz .LBB138_68
; %bb.67:                               ;   in Loop: Header=BB138_62 Depth=1
	s_waitcnt lgkmcnt(0)
	v_pk_add_f32 v[16:17], v[16:17], v[18:19]
	ds_write_b64 v27, v[16:17]
.LBB138_68:                             ;   in Loop: Header=BB138_62 Depth=1
	s_or_b64 exec, exec, s[20:21]
	s_mov_b32 s13, s12
	v_mov_b64_e32 v[16:17], s[12:13]
	s_waitcnt lgkmcnt(0)
	s_barrier
	s_and_saveexec_b64 s[20:21], s[6:7]
	s_cbranch_execnz .LBB138_78
; %bb.69:                               ;   in Loop: Header=BB138_62 Depth=1
	s_or_b64 exec, exec, s[20:21]
	s_and_saveexec_b64 s[20:21], s[0:1]
	s_cbranch_execnz .LBB138_79
.LBB138_70:                             ;   in Loop: Header=BB138_62 Depth=1
	s_or_b64 exec, exec, s[20:21]
	s_and_saveexec_b64 s[20:21], s[8:9]
	s_cbranch_execz .LBB138_61
	s_branch .LBB138_80
.LBB138_71:                             ;   in Loop: Header=BB138_62 Depth=1
	s_mul_i32 s22, s48, s15
	s_ashr_i32 s23, s22, 31
	v_lshl_add_u64 v[40:41], s[22:23], 3, v[2:3]
	s_waitcnt lgkmcnt(0)
	global_load_dwordx2 v[16:17], v[0:1], off
	global_load_dwordx2 v[18:19], v[8:9], off
	;; [unrolled: 1-line block ×4, first 2 shown]
	global_load_dwordx4 v[32:35], v[40:41], off
	global_load_dwordx4 v[36:39], v[40:41], off offset:16
	s_waitcnt vmcnt(4)
	scratch_store_dwordx4 off, v[16:19], off
	s_waitcnt vmcnt(3)
	scratch_store_dwordx4 off, v[28:31], off offset:16
	s_waitcnt vmcnt(3)
	v_mul_f32_e32 v42, v33, v17
	v_mul_f32_e32 v5, v33, v16
	v_mov_b32_e32 v40, v29
	v_mul_f32_e32 v44, v35, v19
	v_mul_f32_e32 v15, v35, v18
	s_waitcnt vmcnt(2)
	v_pk_mul_f32 v[46:47], v[36:37], v[28:29] op_sel_hi:[1,0]
	v_fmac_f32_e32 v42, v32, v16
	v_fma_f32 v43, v32, v17, -v5
	v_pk_mul_f32 v[48:49], v[38:39], v[30:31] op_sel:[0,1]
	v_fmac_f32_e32 v44, v34, v18
	v_fma_f32 v45, v34, v19, -v15
	v_pk_fma_f32 v[16:17], v[36:37], v[40:41], v[46:47] op_sel:[1,0,0] op_sel_hi:[0,1,1]
	v_pk_fma_f32 v[18:19], v[36:37], v[28:29], v[46:47] op_sel:[1,1,0] op_sel_hi:[0,1,1] neg_lo:[0,0,1] neg_hi:[0,0,1]
	v_pk_add_f32 v[32:33], v[42:43], 0 op_sel_hi:[1,0]
	v_pk_fma_f32 v[28:29], v[38:39], v[30:31], v[48:49] op_sel:[0,0,1] op_sel_hi:[1,1,0]
	v_pk_fma_f32 v[30:31], v[38:39], v[30:31], v[48:49] op_sel:[0,0,1] op_sel_hi:[1,0,0] neg_lo:[1,0,0] neg_hi:[1,0,0]
	v_mov_b32_e32 v17, v19
	v_pk_add_f32 v[18:19], v[32:33], v[44:45]
	v_mov_b32_e32 v29, v31
	v_pk_add_f32 v[16:17], v[18:19], v[16:17]
	s_nop 0
	v_pk_add_f32 v[16:17], v[16:17], v[28:29]
	s_andn2_saveexec_b64 s[20:21], s[20:21]
	s_cbranch_execz .LBB138_64
.LBB138_72:                             ;   in Loop: Header=BB138_62 Depth=1
	s_waitcnt lgkmcnt(0)
	v_mov_b32_e32 v17, 0
	v_mov_b32_e32 v16, v17
	s_and_saveexec_b64 s[22:23], s[2:3]
	s_cbranch_execz .LBB138_77
; %bb.73:                               ;   in Loop: Header=BB138_62 Depth=1
	v_mov_b32_e32 v5, 0
	v_mov_b32_e32 v16, v4
	s_mov_b32 s11, s35
.LBB138_74:                             ;   Parent Loop BB138_62 Depth=1
                                        ; =>  This Inner Loop Header: Depth=2
	v_ashrrev_i32_e32 v17, 31, v16
	v_lshl_add_u64 v[18:19], v[16:17], 3, s[24:25]
	global_load_dwordx2 v[18:19], v[18:19], off
	s_add_i32 s11, s11, -1
	v_add_u32_e32 v16, s33, v16
	s_cmp_eq_u32 s11, 0
	s_waitcnt vmcnt(0)
	scratch_store_dwordx2 v5, v[18:19], off
	v_add_u32_e32 v5, 8, v5
	s_cbranch_scc0 .LBB138_74
; %bb.75:                               ;   in Loop: Header=BB138_62 Depth=1
	s_ashr_i32 s11, s10, 31
	v_mov_b32_e32 v16, 0
	v_lshl_add_u64 v[18:19], s[10:11], 3, v[6:7]
	v_mov_b32_e32 v5, 0
	s_mov_b32 s11, s35
	v_mov_b32_e32 v17, v16
.LBB138_76:                             ;   Parent Loop BB138_62 Depth=1
                                        ; =>  This Inner Loop Header: Depth=2
	global_load_dwordx2 v[28:29], v[18:19], off offset:-4
	scratch_load_dwordx2 v[30:31], v5, off
	s_add_i32 s11, s11, -1
	v_add_u32_e32 v5, 8, v5
	v_lshl_add_u64 v[18:19], v[18:19], 0, 8
	s_cmp_lg_u32 s11, 0
	s_waitcnt vmcnt(0)
	v_pk_mul_f32 v[32:33], v[28:29], v[30:31] op_sel:[1,0]
	s_nop 0
	v_pk_fma_f32 v[34:35], v[28:29], v[30:31], v[32:33] op_sel:[0,0,1] op_sel_hi:[1,1,0]
	v_pk_fma_f32 v[28:29], v[28:29], v[30:31], v[32:33] op_sel:[0,0,1] op_sel_hi:[0,1,0] neg_lo:[0,0,1] neg_hi:[0,0,1]
	v_mov_b32_e32 v35, v29
	v_pk_add_f32 v[16:17], v[16:17], v[34:35]
	s_cbranch_scc1 .LBB138_76
.LBB138_77:                             ;   in Loop: Header=BB138_62 Depth=1
	s_or_b64 exec, exec, s[22:23]
	s_or_b64 exec, exec, s[20:21]
	s_and_saveexec_b64 s[20:21], s[0:1]
	s_cbranch_execnz .LBB138_65
	s_branch .LBB138_66
.LBB138_78:                             ;   in Loop: Header=BB138_62 Depth=1
	ds_read_b64 v[16:17], v20
	s_or_b64 exec, exec, s[20:21]
	s_and_saveexec_b64 s[20:21], s[0:1]
	s_cbranch_execz .LBB138_70
.LBB138_79:                             ;   in Loop: Header=BB138_62 Depth=1
	s_waitcnt lgkmcnt(0)
	ds_bpermute_b32 v18, v25, v16
	ds_bpermute_b32 v19, v25, v17
	s_waitcnt lgkmcnt(0)
	v_pk_add_f32 v[16:17], v[16:17], v[18:19]
	ds_bpermute_b32 v18, v26, v16
	ds_bpermute_b32 v19, v26, v17
	s_waitcnt lgkmcnt(0)
	v_pk_add_f32 v[16:17], v[16:17], v[18:19]
	s_or_b64 exec, exec, s[20:21]
	s_and_saveexec_b64 s[20:21], s[8:9]
	s_cbranch_execz .LBB138_61
.LBB138_80:                             ;   in Loop: Header=BB138_62 Depth=1
	s_mul_hi_u32 s23, s48, s14
	s_mul_i32 s22, s48, s14
	s_waitcnt lgkmcnt(0)
	v_pk_mul_f32 v[18:19], v[16:17], s[18:19] op_sel:[1,0]
	s_lshl_b64 s[22:23], s[22:23], 3
	s_add_u32 s22, s16, s22
	v_pk_fma_f32 v[28:29], v[16:17], s[18:19], v[18:19] op_sel:[0,0,1] op_sel_hi:[1,1,0] neg_lo:[0,0,1] neg_hi:[0,0,1]
	v_pk_fma_f32 v[16:17], v[16:17], s[18:19], v[18:19] op_sel:[0,0,1] op_sel_hi:[0,1,0]
	s_addc_u32 s23, s28, s23
	v_mov_b32_e32 v29, v17
	global_store_dwordx2 v14, v[28:29], s[22:23]
	s_branch .LBB138_61
.LBB138_81:
	s_endpgm
	.section	.rodata,"a",@progbits
	.p2align	6, 0x0
	.amdhsa_kernel _ZL23rocblas_gemvt_sn_kernelILb1ELi256ELi4Ei19rocblas_complex_numIfES1_S1_EviiT4_lPKT3_lilS5_lilPT5_i
		.amdhsa_group_segment_fixed_size 512
		.amdhsa_private_segment_fixed_size 48
		.amdhsa_kernarg_size 360
		.amdhsa_user_sgpr_count 2
		.amdhsa_user_sgpr_dispatch_ptr 0
		.amdhsa_user_sgpr_queue_ptr 0
		.amdhsa_user_sgpr_kernarg_segment_ptr 1
		.amdhsa_user_sgpr_dispatch_id 0
		.amdhsa_user_sgpr_kernarg_preload_length 0
		.amdhsa_user_sgpr_kernarg_preload_offset 0
		.amdhsa_user_sgpr_private_segment_size 0
		.amdhsa_uses_dynamic_stack 0
		.amdhsa_enable_private_segment 1
		.amdhsa_system_sgpr_workgroup_id_x 1
		.amdhsa_system_sgpr_workgroup_id_y 0
		.amdhsa_system_sgpr_workgroup_id_z 1
		.amdhsa_system_sgpr_workgroup_info 0
		.amdhsa_system_vgpr_workitem_id 0
		.amdhsa_next_free_vgpr 86
		.amdhsa_next_free_sgpr 55
		.amdhsa_accum_offset 88
		.amdhsa_reserve_vcc 1
		.amdhsa_float_round_mode_32 0
		.amdhsa_float_round_mode_16_64 0
		.amdhsa_float_denorm_mode_32 3
		.amdhsa_float_denorm_mode_16_64 3
		.amdhsa_dx10_clamp 1
		.amdhsa_ieee_mode 1
		.amdhsa_fp16_overflow 0
		.amdhsa_tg_split 0
		.amdhsa_exception_fp_ieee_invalid_op 0
		.amdhsa_exception_fp_denorm_src 0
		.amdhsa_exception_fp_ieee_div_zero 0
		.amdhsa_exception_fp_ieee_overflow 0
		.amdhsa_exception_fp_ieee_underflow 0
		.amdhsa_exception_fp_ieee_inexact 0
		.amdhsa_exception_int_div_zero 0
	.end_amdhsa_kernel
	.section	.text._ZL23rocblas_gemvt_sn_kernelILb1ELi256ELi4Ei19rocblas_complex_numIfES1_S1_EviiT4_lPKT3_lilS5_lilPT5_i,"axG",@progbits,_ZL23rocblas_gemvt_sn_kernelILb1ELi256ELi4Ei19rocblas_complex_numIfES1_S1_EviiT4_lPKT3_lilS5_lilPT5_i,comdat
.Lfunc_end138:
	.size	_ZL23rocblas_gemvt_sn_kernelILb1ELi256ELi4Ei19rocblas_complex_numIfES1_S1_EviiT4_lPKT3_lilS5_lilPT5_i, .Lfunc_end138-_ZL23rocblas_gemvt_sn_kernelILb1ELi256ELi4Ei19rocblas_complex_numIfES1_S1_EviiT4_lPKT3_lilS5_lilPT5_i
                                        ; -- End function
	.section	.AMDGPU.csdata,"",@progbits
; Kernel info:
; codeLenInByte = 5360
; NumSgprs: 61
; NumVgprs: 86
; NumAgprs: 0
; TotalNumVgprs: 86
; ScratchSize: 48
; MemoryBound: 0
; FloatMode: 240
; IeeeMode: 1
; LDSByteSize: 512 bytes/workgroup (compile time only)
; SGPRBlocks: 7
; VGPRBlocks: 10
; NumSGPRsForWavesPerEU: 61
; NumVGPRsForWavesPerEU: 86
; AccumOffset: 88
; Occupancy: 5
; WaveLimiterHint : 1
; COMPUTE_PGM_RSRC2:SCRATCH_EN: 1
; COMPUTE_PGM_RSRC2:USER_SGPR: 2
; COMPUTE_PGM_RSRC2:TRAP_HANDLER: 0
; COMPUTE_PGM_RSRC2:TGID_X_EN: 1
; COMPUTE_PGM_RSRC2:TGID_Y_EN: 0
; COMPUTE_PGM_RSRC2:TGID_Z_EN: 1
; COMPUTE_PGM_RSRC2:TIDIG_COMP_CNT: 0
; COMPUTE_PGM_RSRC3_GFX90A:ACCUM_OFFSET: 21
; COMPUTE_PGM_RSRC3_GFX90A:TG_SPLIT: 0
	.section	.text._ZL23rocblas_gemvt_sn_kernelILb1ELi256ELi4El19rocblas_complex_numIfES1_S1_EviiT4_lPKT3_lilS5_lilPT5_i,"axG",@progbits,_ZL23rocblas_gemvt_sn_kernelILb1ELi256ELi4El19rocblas_complex_numIfES1_S1_EviiT4_lPKT3_lilS5_lilPT5_i,comdat
	.globl	_ZL23rocblas_gemvt_sn_kernelILb1ELi256ELi4El19rocblas_complex_numIfES1_S1_EviiT4_lPKT3_lilS5_lilPT5_i ; -- Begin function _ZL23rocblas_gemvt_sn_kernelILb1ELi256ELi4El19rocblas_complex_numIfES1_S1_EviiT4_lPKT3_lilS5_lilPT5_i
	.p2align	8
	.type	_ZL23rocblas_gemvt_sn_kernelILb1ELi256ELi4El19rocblas_complex_numIfES1_S1_EviiT4_lPKT3_lilS5_lilPT5_i,@function
_ZL23rocblas_gemvt_sn_kernelILb1ELi256ELi4El19rocblas_complex_numIfES1_S1_EviiT4_lPKT3_lilS5_lilPT5_i: ; @_ZL23rocblas_gemvt_sn_kernelILb1ELi256ELi4El19rocblas_complex_numIfES1_S1_EviiT4_lPKT3_lilS5_lilPT5_i
; %bb.0:
	s_load_dwordx4 s[16:19], s[0:1], 0x0
	s_load_dwordx4 s[8:11], s[0:1], 0x50
	s_load_dword s24, s[0:1], 0x68
	s_mov_b32 s4, s3
	s_mov_b32 s25, 0
	s_waitcnt lgkmcnt(0)
	s_ashr_i32 s5, s17, 31
	s_mul_hi_u32 s3, s17, s3
	s_mul_i32 s6, s5, s4
	s_add_i32 s13, s3, s6
	s_mul_i32 s12, s17, s4
	s_mul_i32 s3, s13, s24
	s_mul_hi_u32 s6, s12, s24
	s_add_i32 s7, s6, s3
	s_mul_i32 s6, s12, s24
	s_lshl_b64 s[6:7], s[6:7], 3
	s_add_u32 s45, s10, s6
	s_addc_u32 s56, s11, s7
	s_or_b32 s3, s18, s19
	s_bitset0_b32 s3, 31
	s_cmp_lg_u32 s3, 0
	s_mov_b64 s[6:7], -1
	v_cmp_eq_u32_e32 vcc, 0, v0
	s_cbranch_scc1 .LBB139_10
; %bb.1:
	s_cmp_gt_i32 s17, 0
	s_cselect_b64 s[6:7], -1, 0
	s_and_b64 s[14:15], vcc, s[6:7]
	s_and_saveexec_b64 s[6:7], s[14:15]
	s_cbranch_execz .LBB139_9
; %bb.2:
	s_cmp_gt_u32 s17, 3
	s_cselect_b64 s[14:15], -1, 0
	s_cmp_eq_u32 s24, 1
	s_cselect_b64 s[26:27], -1, 0
	s_mov_b32 s3, 0
	s_and_b64 s[14:15], s[14:15], s[26:27]
	s_mov_b32 s20, 1
	s_mov_b64 s[22:23], -1
	s_andn2_b64 vcc, exec, s[14:15]
	s_mov_b32 s14, s3
	s_cbranch_vccnz .LBB139_6
; %bb.3:
	s_lshl_b64 s[22:23], s[2:3], 3
	s_add_u32 s15, s45, s22
	s_addc_u32 s26, s56, s23
	s_mov_b32 s23, 0
	s_and_b32 s14, s17, 0x7ffffffc
	s_mov_b32 s22, s23
	v_mov_b32_e32 v1, 0
	v_mov_b64_e32 v[2:3], s[22:23]
	s_mov_b32 s27, s14
.LBB139_4:                              ; =>This Inner Loop Header: Depth=1
	s_add_i32 s28, s20, 2
	s_add_i32 s30, s22, 2
	s_lshl_b64 s[34:35], s[22:23], 3
	s_mov_b32 s21, s23
	s_add_u32 s34, s15, s34
	s_addc_u32 s35, s26, s35
	s_lshl_b64 s[36:37], s[20:21], 3
	s_mov_b32 s31, s23
	s_add_u32 s36, s15, s36
	s_addc_u32 s37, s26, s37
	;; [unrolled: 4-line block ×3, first 2 shown]
	s_lshl_b64 s[28:29], s[28:29], 3
	s_add_u32 s28, s15, s28
	s_addc_u32 s29, s26, s29
	s_add_i32 s22, s22, 4
	s_add_i32 s20, s20, 4
	s_add_i32 s27, s27, -4
	s_cmp_lg_u32 s27, 0
	global_store_dwordx2 v1, v[2:3], s[34:35]
	global_store_dwordx2 v1, v[2:3], s[36:37]
	;; [unrolled: 1-line block ×4, first 2 shown]
	s_cbranch_scc1 .LBB139_4
; %bb.5:
	s_cmp_lg_u32 s14, s17
	s_cselect_b64 s[22:23], -1, 0
.LBB139_6:
	s_and_b64 vcc, exec, s[22:23]
	s_cbranch_vccz .LBB139_9
; %bb.7:
	s_mov_b32 s15, 0
	s_sub_i32 s20, s17, s14
	s_lshl_b64 s[12:13], s[12:13], 3
	s_lshl_b64 s[14:15], s[14:15], 3
	s_add_u32 s12, s12, s14
	s_addc_u32 s13, s13, s15
	s_mul_i32 s13, s13, s24
	s_mul_hi_u32 s14, s12, s24
	s_add_i32 s14, s14, s13
	s_mul_i32 s15, s12, s24
	s_lshl_b64 s[12:13], s[2:3], 3
	s_add_u32 s3, s15, s12
	s_addc_u32 s12, s14, s13
	s_add_u32 s10, s10, s3
	v_mov_b32_e32 v2, 0
	s_addc_u32 s11, s11, s12
	s_lshl_b64 s[12:13], s[24:25], 3
	v_mov_b32_e32 v3, v2
.LBB139_8:                              ; =>This Inner Loop Header: Depth=1
	s_add_i32 s20, s20, -1
	global_store_dwordx2 v2, v[2:3], s[10:11]
	s_add_u32 s10, s10, s12
	s_addc_u32 s11, s11, s13
	s_cmp_eq_u32 s20, 0
	s_cbranch_scc0 .LBB139_8
.LBB139_9:
	s_or_b64 exec, exec, s[6:7]
	s_mov_b64 s[6:7], 0
.LBB139_10:
	s_andn2_b64 vcc, exec, s[6:7]
	s_cbranch_vccnz .LBB139_81
; %bb.11:
	s_load_dword s26, s[0:1], 0x28
	s_load_dword s28, s[0:1], 0x48
	s_load_dwordx4 s[20:23], s[0:1], 0x18
	s_load_dwordx4 s[12:15], s[0:1], 0x30
	s_load_dwordx2 s[6:7], s[0:1], 0x40
	s_mul_i32 s0, s4, s9
	s_mul_hi_u32 s1, s4, s8
	s_add_i32 s1, s1, s0
	s_mul_i32 s0, s4, s8
	s_waitcnt lgkmcnt(0)
	s_ashr_i32 s27, s26, 31
	s_ashr_i32 s29, s28, 31
	s_lshl_b64 s[30:31], s[0:1], 3
	s_add_u32 s0, s14, s30
	s_addc_u32 s1, s15, s31
	s_lshl_b64 s[36:37], s[6:7], 3
	s_add_u32 s38, s0, s36
	s_addc_u32 s39, s1, s37
	s_mul_i32 s0, s4, s13
	s_mul_hi_u32 s1, s4, s12
	s_add_i32 s1, s1, s0
	s_mul_i32 s0, s4, s12
	s_lshl_b64 s[34:35], s[0:1], 3
	s_add_u32 s0, s20, s34
	s_addc_u32 s1, s21, s35
	s_lshl_b64 s[22:23], s[22:23], 3
	s_add_u32 s0, s0, s22
	s_addc_u32 s1, s1, s23
	s_lshl_b32 s3, s2, 10
	v_lshl_or_b32 v4, v0, 2, s3
	v_ashrrev_i32_e32 v5, 31, v4
	v_lshl_add_u64 v[2:3], v[4:5], 3, s[0:1]
	s_lshr_b32 s0, s5, 30
	s_add_i32 s0, s17, s0
	s_and_b32 s57, s0, -4
	s_ashr_i32 s0, s16, 31
	s_lshr_b32 s0, s0, 30
	s_add_i32 s0, s16, s0
	s_and_b32 s0, s0, -4
	s_sub_i32 s25, s16, s0
	s_cmp_lt_i32 s57, 1
	v_add_u32_e32 v35, 4, v4
	v_add_u32_e32 v36, s25, v4
	v_and_b32_e32 v1, 63, v0
	v_cmp_gt_u32_e64 s[0:1], 64, v0
	v_mbcnt_lo_u32_b32 v34, -1, 0
	v_cmp_gt_u32_e64 s[4:5], 4, v0
	v_lshrrev_b32_e32 v33, 3, v0
	v_or_b32_e32 v32, 1, v4
	v_or_b32_e32 v31, 2, v4
	;; [unrolled: 1-line block ×3, first 2 shown]
	s_cbranch_scc1 .LBB139_58
; %bb.12:
	v_mbcnt_hi_u32_b32 v6, -1, v34
	v_and_b32_e32 v7, 63, v6
	v_cmp_gt_u32_e32 vcc, 32, v7
	s_mov_b32 s40, 0
	s_cmp_gt_i32 s25, 0
	v_cndmask_b32_e64 v8, 0, 1, vcc
	v_lshlrev_b32_e32 v8, 5, v8
	v_cmp_gt_u32_e32 vcc, 48, v7
	v_add_lshl_u32 v37, v8, v6, 2
	s_mov_b32 s3, s40
	v_cndmask_b32_e64 v8, 0, 1, vcc
	v_lshlrev_b32_e32 v8, 4, v8
	v_cmp_gt_u32_e32 vcc, 56, v7
	v_add_lshl_u32 v38, v8, v6, 2
	s_cselect_b64 s[42:43], -1, 0
	v_cndmask_b32_e64 v8, 0, 1, vcc
	v_lshlrev_b32_e32 v8, 3, v8
	v_cmp_gt_u32_e32 vcc, 60, v7
	v_add_lshl_u32 v39, v8, v6, 2
	s_lshl_b64 s[46:47], s[2:3], 3
	v_cndmask_b32_e64 v8, 0, 1, vcc
	v_lshlrev_b32_e32 v8, 2, v8
	v_cmp_gt_u32_e32 vcc, 62, v7
	v_add_lshl_u32 v40, v8, v6, 2
	s_add_u32 s3, s45, s46
	v_cndmask_b32_e64 v8, 0, 1, vcc
	v_lshlrev_b32_e32 v8, 1, v8
	v_cmp_ne_u32_e32 vcc, 63, v7
	s_addc_u32 s58, s56, s47
	v_add_lshl_u32 v41, v8, v6, 2
	v_addc_co_u32_e32 v6, vcc, 0, v6, vcc
	s_add_u32 s33, s14, s36
	v_lshlrev_b32_e32 v42, 2, v6
	v_mad_i64_i32 v[6:7], s[46:47], s28, v4, 0
	v_mad_i64_i32 v[8:9], s[46:47], s28, v32, 0
	;; [unrolled: 1-line block ×4, first 2 shown]
	s_addc_u32 s41, s15, s37
	s_add_u32 s46, s33, s30
	v_lshlrev_b64 v[14:15], 3, v[6:7]
	s_addc_u32 s47, s41, s31
	v_cmp_ge_i32_e64 s[6:7], s16, v35
	v_cmp_ge_i32_e64 s[8:9], s16, v36
	v_cmp_eq_u32_e64 s[10:11], 0, v1
	v_lshlrev_b32_e32 v43, 3, v1
	v_and_b32_e32 v44, 24, v33
	v_cmp_eq_u32_e64 s[12:13], 0, v0
	v_lshl_add_u64 v[6:7], s[38:39], 0, v[14:15]
	v_lshl_add_u64 v[8:9], v[8:9], 3, s[38:39]
	;; [unrolled: 1-line block ×4, first 2 shown]
	s_mov_b32 s44, s19
	v_lshl_add_u64 v[14:15], s[46:47], 0, v[14:15]
	s_lshl_b64 s[46:47], s[28:29], 3
	s_lshl_b64 s[48:49], s[26:27], 5
	;; [unrolled: 1-line block ×3, first 2 shown]
	v_mov_b32_e32 v16, 0
	v_mov_b64_e32 v[18:19], v[2:3]
	s_mov_b32 s33, 0
	s_branch .LBB139_14
.LBB139_13:                             ;   in Loop: Header=BB139_14 Depth=1
	s_or_b64 exec, exec, s[52:53]
	s_add_i32 s33, s33, 4
	s_cmp_ge_i32 s33, s57
	v_lshl_add_u64 v[18:19], v[18:19], 0, s[48:49]
	s_cbranch_scc1 .LBB139_59
.LBB139_14:                             ; =>This Loop Header: Depth=1
                                        ;     Child Loop BB139_45 Depth 2
                                        ;     Child Loop BB139_47 Depth 2
                                        ; implicit-def: $vgpr27
                                        ; implicit-def: $vgpr25
                                        ; implicit-def: $vgpr23
                                        ; implicit-def: $vgpr21
	s_and_saveexec_b64 s[52:53], s[6:7]
	s_xor_b64 s[52:53], exec, s[52:53]
	s_cbranch_execnz .LBB139_41
; %bb.15:                               ;   in Loop: Header=BB139_14 Depth=1
	s_andn2_saveexec_b64 s[52:53], s[52:53]
	s_cbranch_execnz .LBB139_42
.LBB139_16:                             ;   in Loop: Header=BB139_14 Depth=1
	s_or_b64 exec, exec, s[52:53]
	s_and_saveexec_b64 s[52:53], s[0:1]
	s_cbranch_execz .LBB139_18
.LBB139_17:                             ;   in Loop: Header=BB139_14 Depth=1
	v_mov_b32_e32 v17, v16
	ds_write_b64 v43, v[16:17]
.LBB139_18:                             ;   in Loop: Header=BB139_14 Depth=1
	s_or_b64 exec, exec, s[52:53]
	ds_bpermute_b32 v28, v37, v26
	ds_bpermute_b32 v29, v37, v27
	s_waitcnt lgkmcnt(0)
	s_barrier
	v_pk_add_f32 v[26:27], v[26:27], v[28:29]
	ds_bpermute_b32 v28, v38, v26
	ds_bpermute_b32 v29, v38, v27
	s_waitcnt lgkmcnt(0)
	v_pk_add_f32 v[26:27], v[26:27], v[28:29]
	ds_bpermute_b32 v28, v39, v26
	ds_bpermute_b32 v29, v39, v27
	s_waitcnt lgkmcnt(0)
	;; [unrolled: 4-line block ×4, first 2 shown]
	v_pk_add_f32 v[26:27], v[26:27], v[28:29]
	ds_bpermute_b32 v28, v42, v26
	ds_bpermute_b32 v29, v42, v27
	s_and_saveexec_b64 s[52:53], s[10:11]
	s_cbranch_execz .LBB139_20
; %bb.19:                               ;   in Loop: Header=BB139_14 Depth=1
	s_waitcnt lgkmcnt(0)
	v_pk_add_f32 v[26:27], v[26:27], v[28:29]
	ds_write_b64 v44, v[26:27]
.LBB139_20:                             ;   in Loop: Header=BB139_14 Depth=1
	s_or_b64 exec, exec, s[52:53]
	s_mov_b32 s41, s40
	v_mov_b64_e32 v[26:27], s[40:41]
	s_waitcnt lgkmcnt(0)
	s_barrier
	s_and_saveexec_b64 s[52:53], s[4:5]
	s_cbranch_execnz .LBB139_49
; %bb.21:                               ;   in Loop: Header=BB139_14 Depth=1
	s_or_b64 exec, exec, s[52:53]
	s_and_saveexec_b64 s[52:53], s[0:1]
	s_cbranch_execnz .LBB139_50
.LBB139_22:                             ;   in Loop: Header=BB139_14 Depth=1
	s_or_b64 exec, exec, s[52:53]
	s_and_saveexec_b64 s[52:53], s[0:1]
	s_cbranch_execz .LBB139_24
.LBB139_23:                             ;   in Loop: Header=BB139_14 Depth=1
	v_mov_b32_e32 v17, v16
	ds_write_b64 v43, v[16:17]
.LBB139_24:                             ;   in Loop: Header=BB139_14 Depth=1
	s_or_b64 exec, exec, s[52:53]
	ds_bpermute_b32 v28, v37, v24
	ds_bpermute_b32 v29, v37, v25
	s_waitcnt lgkmcnt(0)
	s_barrier
	v_pk_add_f32 v[24:25], v[24:25], v[28:29]
	ds_bpermute_b32 v28, v38, v24
	ds_bpermute_b32 v29, v38, v25
	s_waitcnt lgkmcnt(0)
	v_pk_add_f32 v[24:25], v[24:25], v[28:29]
	ds_bpermute_b32 v28, v39, v24
	ds_bpermute_b32 v29, v39, v25
	s_waitcnt lgkmcnt(0)
	;; [unrolled: 4-line block ×4, first 2 shown]
	v_pk_add_f32 v[24:25], v[24:25], v[28:29]
	ds_bpermute_b32 v28, v42, v24
	ds_bpermute_b32 v29, v42, v25
	s_and_saveexec_b64 s[52:53], s[10:11]
	s_cbranch_execz .LBB139_26
; %bb.25:                               ;   in Loop: Header=BB139_14 Depth=1
	s_waitcnt lgkmcnt(0)
	v_pk_add_f32 v[24:25], v[24:25], v[28:29]
	ds_write_b64 v44, v[24:25]
.LBB139_26:                             ;   in Loop: Header=BB139_14 Depth=1
	s_or_b64 exec, exec, s[52:53]
	s_mov_b32 s41, s40
	v_mov_b64_e32 v[24:25], s[40:41]
	s_waitcnt lgkmcnt(0)
	s_barrier
	s_and_saveexec_b64 s[52:53], s[4:5]
	s_cbranch_execnz .LBB139_51
; %bb.27:                               ;   in Loop: Header=BB139_14 Depth=1
	s_or_b64 exec, exec, s[52:53]
	s_and_saveexec_b64 s[52:53], s[0:1]
	s_cbranch_execnz .LBB139_52
.LBB139_28:                             ;   in Loop: Header=BB139_14 Depth=1
	s_or_b64 exec, exec, s[52:53]
	s_and_saveexec_b64 s[52:53], s[0:1]
	s_cbranch_execz .LBB139_30
.LBB139_29:                             ;   in Loop: Header=BB139_14 Depth=1
	v_mov_b32_e32 v17, v16
	ds_write_b64 v43, v[16:17]
.LBB139_30:                             ;   in Loop: Header=BB139_14 Depth=1
	s_or_b64 exec, exec, s[52:53]
	ds_bpermute_b32 v28, v37, v22
	ds_bpermute_b32 v29, v37, v23
	s_waitcnt lgkmcnt(0)
	s_barrier
	v_pk_add_f32 v[22:23], v[22:23], v[28:29]
	ds_bpermute_b32 v28, v38, v22
	ds_bpermute_b32 v29, v38, v23
	s_waitcnt lgkmcnt(0)
	v_pk_add_f32 v[22:23], v[22:23], v[28:29]
	ds_bpermute_b32 v28, v39, v22
	ds_bpermute_b32 v29, v39, v23
	s_waitcnt lgkmcnt(0)
	;; [unrolled: 4-line block ×4, first 2 shown]
	v_pk_add_f32 v[22:23], v[22:23], v[28:29]
	ds_bpermute_b32 v28, v42, v22
	ds_bpermute_b32 v29, v42, v23
	s_and_saveexec_b64 s[52:53], s[10:11]
	s_cbranch_execz .LBB139_32
; %bb.31:                               ;   in Loop: Header=BB139_14 Depth=1
	s_waitcnt lgkmcnt(0)
	v_pk_add_f32 v[22:23], v[22:23], v[28:29]
	ds_write_b64 v44, v[22:23]
.LBB139_32:                             ;   in Loop: Header=BB139_14 Depth=1
	s_or_b64 exec, exec, s[52:53]
	s_mov_b32 s41, s40
	v_mov_b64_e32 v[22:23], s[40:41]
	s_waitcnt lgkmcnt(0)
	s_barrier
	s_and_saveexec_b64 s[52:53], s[4:5]
	s_cbranch_execnz .LBB139_53
; %bb.33:                               ;   in Loop: Header=BB139_14 Depth=1
	s_or_b64 exec, exec, s[52:53]
	s_and_saveexec_b64 s[52:53], s[0:1]
	s_cbranch_execnz .LBB139_54
.LBB139_34:                             ;   in Loop: Header=BB139_14 Depth=1
	s_or_b64 exec, exec, s[52:53]
	s_and_saveexec_b64 s[52:53], s[0:1]
	s_cbranch_execz .LBB139_36
.LBB139_35:                             ;   in Loop: Header=BB139_14 Depth=1
	v_mov_b32_e32 v17, v16
	ds_write_b64 v43, v[16:17]
.LBB139_36:                             ;   in Loop: Header=BB139_14 Depth=1
	s_or_b64 exec, exec, s[52:53]
	ds_bpermute_b32 v28, v37, v20
	ds_bpermute_b32 v29, v37, v21
	s_waitcnt lgkmcnt(0)
	s_barrier
	v_pk_add_f32 v[20:21], v[20:21], v[28:29]
	ds_bpermute_b32 v28, v38, v20
	ds_bpermute_b32 v29, v38, v21
	s_waitcnt lgkmcnt(0)
	v_pk_add_f32 v[20:21], v[20:21], v[28:29]
	ds_bpermute_b32 v28, v39, v20
	ds_bpermute_b32 v29, v39, v21
	s_waitcnt lgkmcnt(0)
	;; [unrolled: 4-line block ×4, first 2 shown]
	v_pk_add_f32 v[20:21], v[20:21], v[28:29]
	ds_bpermute_b32 v28, v42, v20
	ds_bpermute_b32 v29, v42, v21
	s_and_saveexec_b64 s[52:53], s[10:11]
	s_cbranch_execz .LBB139_38
; %bb.37:                               ;   in Loop: Header=BB139_14 Depth=1
	s_waitcnt lgkmcnt(0)
	v_pk_add_f32 v[20:21], v[20:21], v[28:29]
	ds_write_b64 v44, v[20:21]
.LBB139_38:                             ;   in Loop: Header=BB139_14 Depth=1
	s_or_b64 exec, exec, s[52:53]
	s_mov_b32 s41, s40
	v_mov_b64_e32 v[20:21], s[40:41]
	s_waitcnt lgkmcnt(0)
	s_barrier
	s_and_saveexec_b64 s[52:53], s[4:5]
	s_cbranch_execnz .LBB139_55
; %bb.39:                               ;   in Loop: Header=BB139_14 Depth=1
	s_or_b64 exec, exec, s[52:53]
	s_and_saveexec_b64 s[52:53], s[0:1]
	s_cbranch_execnz .LBB139_56
.LBB139_40:                             ;   in Loop: Header=BB139_14 Depth=1
	s_or_b64 exec, exec, s[52:53]
	s_and_saveexec_b64 s[52:53], s[12:13]
	s_cbranch_execz .LBB139_13
	s_branch .LBB139_57
.LBB139_41:                             ;   in Loop: Header=BB139_14 Depth=1
	s_mul_i32 s41, s33, s27
	s_mul_hi_u32 s54, s33, s26
	s_add_i32 s55, s54, s41
	s_mul_i32 s54, s33, s26
	s_or_b32 s41, s33, 1
	v_lshl_add_u64 v[28:29], s[54:55], 3, v[2:3]
	s_mul_i32 s54, s41, s27
	s_mul_hi_u32 s55, s41, s26
	s_add_i32 s55, s55, s54
	s_mul_i32 s54, s41, s26
	s_or_b32 s41, s33, 2
	s_waitcnt lgkmcnt(0)
	global_load_dwordx2 v[20:21], v[6:7], off
	global_load_dwordx2 v[22:23], v[8:9], off
	;; [unrolled: 1-line block ×4, first 2 shown]
	global_load_dwordx4 v[24:27], v[28:29], off offset:16
	global_load_dwordx4 v[50:53], v[28:29], off
	v_lshl_add_u64 v[28:29], s[54:55], 3, v[2:3]
	s_mul_i32 s54, s41, s27
	s_mul_hi_u32 s55, s41, s26
	s_add_i32 s55, s55, s54
	s_mul_i32 s54, s41, s26
	s_or_b32 s41, s33, 3
	v_lshl_add_u64 v[74:75], s[54:55], 3, v[2:3]
	s_mul_i32 s54, s41, s27
	s_mul_hi_u32 s55, s41, s26
	global_load_dwordx4 v[54:57], v[28:29], off
	global_load_dwordx4 v[58:61], v[74:75], off
	s_add_i32 s55, s55, s54
	s_mul_i32 s54, s41, s26
	v_lshl_add_u64 v[66:67], s[54:55], 3, v[2:3]
	global_load_dwordx4 v[62:65], v[66:67], off
	s_nop 0
	global_load_dwordx4 v[66:69], v[66:67], off offset:16
	s_nop 0
	global_load_dwordx4 v[70:73], v[28:29], off offset:16
	;; [unrolled: 2-line block ×3, first 2 shown]
	s_waitcnt vmcnt(10)
	scratch_store_dwordx4 off, v[20:23], off
	s_waitcnt vmcnt(9)
	scratch_store_dwordx4 off, v[46:49], off offset:16
	s_waitcnt vmcnt(8)
	v_mul_f32_e32 v28, v51, v21
	v_mul_f32_e32 v17, v51, v20
	;; [unrolled: 1-line block ×4, first 2 shown]
	v_pk_mul_f32 v[80:81], v[46:47], v[24:25] op_sel:[0,1]
	v_mov_b32_e32 v82, v27
	v_fmac_f32_e32 v28, v50, v20
	v_fma_f32 v29, v50, v21, -v17
	v_fma_f32 v79, v52, v23, -v45
	v_fmac_f32_e32 v78, v52, v22
	s_waitcnt vmcnt(7)
	v_mul_f32_e32 v50, v55, v21
	v_mul_f32_e32 v17, v55, v20
	s_waitcnt vmcnt(6)
	v_mul_f32_e32 v52, v59, v21
	v_mul_f32_e32 v27, v57, v22
	;; [unrolled: 1-line block ×4, first 2 shown]
	s_waitcnt vmcnt(5)
	v_mul_f32_e32 v86, v63, v21
	v_mul_f32_e32 v55, v61, v22
	;; [unrolled: 1-line block ×6, first 2 shown]
	s_waitcnt vmcnt(4)
	v_pk_mul_f32 v[92:93], v[46:47], v[66:67] op_sel:[0,1]
	v_pk_fma_f32 v[94:95], v[46:47], v[24:25], v[80:81] op_sel:[0,0,1] op_sel_hi:[1,1,0]
	v_pk_fma_f32 v[24:25], v[46:47], v[24:25], v[80:81] op_sel:[0,0,1] op_sel_hi:[1,0,0] neg_lo:[0,0,1] neg_hi:[0,0,1]
	v_pk_mul_f32 v[80:81], v[48:49], v[82:83] op_sel_hi:[1,0]
	v_fma_f32 v51, v54, v21, -v17
	v_fma_f32 v85, v56, v23, -v27
	v_fmac_f32_e32 v50, v54, v20
	v_fmac_f32_e32 v84, v56, v22
	v_fma_f32 v53, v58, v21, -v45
	v_fma_f32 v89, v60, v23, -v55
	v_fmac_f32_e32 v52, v58, v20
	v_fmac_f32_e32 v88, v60, v22
	;; [unrolled: 4-line block ×3, first 2 shown]
	v_pk_fma_f32 v[20:21], v[46:47], v[66:67], v[92:93] op_sel:[0,0,1] op_sel_hi:[1,1,0]
	v_pk_fma_f32 v[22:23], v[46:47], v[66:67], v[92:93] op_sel:[0,0,1] op_sel_hi:[1,0,0] neg_lo:[0,0,1] neg_hi:[0,0,1]
	v_pk_add_f32 v[28:29], v[28:29], 0 op_sel_hi:[1,0]
	v_mov_b32_e32 v95, v25
	v_pk_fma_f32 v[24:25], v[48:49], v[26:27], v[80:81] op_sel:[0,0,1] op_sel_hi:[1,1,0]
	v_pk_fma_f32 v[26:27], v[48:49], v[26:27], v[80:81] op_sel:[0,0,1] op_sel_hi:[1,0,0] neg_lo:[0,0,1] neg_hi:[0,0,1]
	v_pk_add_f32 v[54:55], v[86:87], 0 op_sel_hi:[1,0]
	v_mov_b32_e32 v21, v23
	v_pk_add_f32 v[22:23], v[28:29], v[78:79]
	v_mov_b32_e32 v25, v27
	v_pk_add_f32 v[26:27], v[54:55], v[90:91]
	v_pk_add_f32 v[22:23], v[22:23], v[94:95]
	;; [unrolled: 1-line block ×4, first 2 shown]
	s_waitcnt vmcnt(3)
	v_pk_mul_f32 v[24:25], v[46:47], v[70:71] op_sel:[0,1]
	v_pk_add_f32 v[22:23], v[50:51], 0 op_sel_hi:[1,0]
	v_pk_fma_f32 v[28:29], v[46:47], v[70:71], v[24:25] op_sel:[0,0,1] op_sel_hi:[1,1,0]
	v_pk_fma_f32 v[24:25], v[46:47], v[70:71], v[24:25] op_sel:[0,0,1] op_sel_hi:[1,0,0] neg_lo:[0,0,1] neg_hi:[0,0,1]
	v_pk_add_f32 v[22:23], v[22:23], v[84:85]
	v_mov_b32_e32 v24, v73
	v_mov_b32_e32 v29, v25
	v_pk_mul_f32 v[24:25], v[48:49], v[24:25] op_sel_hi:[1,0]
	v_pk_add_f32 v[22:23], v[22:23], v[28:29]
	v_pk_fma_f32 v[28:29], v[48:49], v[72:73], v[24:25] op_sel:[0,0,1] op_sel_hi:[1,1,0]
	v_pk_fma_f32 v[24:25], v[48:49], v[72:73], v[24:25] op_sel:[0,0,1] op_sel_hi:[1,0,0] neg_lo:[0,0,1] neg_hi:[0,0,1]
	s_nop 0
	v_mov_b32_e32 v29, v25
	v_pk_add_f32 v[24:25], v[22:23], v[28:29]
	s_waitcnt vmcnt(2)
	v_pk_mul_f32 v[28:29], v[46:47], v[74:75] op_sel:[0,1]
	v_pk_add_f32 v[22:23], v[52:53], 0 op_sel_hi:[1,0]
	v_pk_fma_f32 v[50:51], v[46:47], v[74:75], v[28:29] op_sel:[0,0,1] op_sel_hi:[1,1,0]
	v_pk_fma_f32 v[28:29], v[46:47], v[74:75], v[28:29] op_sel:[0,0,1] op_sel_hi:[1,0,0] neg_lo:[0,0,1] neg_hi:[0,0,1]
	v_pk_add_f32 v[22:23], v[22:23], v[88:89]
	v_mov_b32_e32 v28, v77
	v_mov_b32_e32 v51, v29
	v_pk_mul_f32 v[28:29], v[48:49], v[28:29] op_sel_hi:[1,0]
	v_pk_add_f32 v[22:23], v[22:23], v[50:51]
	v_pk_fma_f32 v[46:47], v[48:49], v[76:77], v[28:29] op_sel:[0,0,1] op_sel_hi:[1,1,0]
	v_pk_fma_f32 v[28:29], v[48:49], v[76:77], v[28:29] op_sel:[0,0,1] op_sel_hi:[1,0,0] neg_lo:[0,0,1] neg_hi:[0,0,1]
	s_nop 0
	v_mov_b32_e32 v28, v69
	v_mov_b32_e32 v47, v29
	v_pk_mul_f32 v[28:29], v[48:49], v[28:29] op_sel_hi:[1,0]
	v_pk_add_f32 v[22:23], v[22:23], v[46:47]
	v_pk_fma_f32 v[46:47], v[48:49], v[68:69], v[28:29] op_sel:[0,0,1] op_sel_hi:[1,1,0]
	v_pk_fma_f32 v[28:29], v[48:49], v[68:69], v[28:29] op_sel:[0,0,1] op_sel_hi:[1,0,0] neg_lo:[0,0,1] neg_hi:[0,0,1]
	s_nop 0
	v_mov_b32_e32 v47, v29
	v_pk_add_f32 v[20:21], v[20:21], v[46:47]
	s_andn2_saveexec_b64 s[52:53], s[52:53]
	s_cbranch_execz .LBB139_16
.LBB139_42:                             ;   in Loop: Header=BB139_14 Depth=1
	v_mov_b32_e32 v27, 0
	v_mov_b32_e32 v26, 0
	;; [unrolled: 1-line block ×6, first 2 shown]
	s_waitcnt lgkmcnt(0)
	v_mov_b32_e32 v21, 0
	v_mov_b32_e32 v20, 0
	s_and_saveexec_b64 s[54:55], s[8:9]
	s_cbranch_execz .LBB139_48
; %bb.43:                               ;   in Loop: Header=BB139_14 Depth=1
	v_mov_b32_e32 v27, 0
	s_andn2_b64 vcc, exec, s[42:43]
	v_mov_b32_e32 v26, v27
	v_mov_b32_e32 v25, v27
	;; [unrolled: 1-line block ×7, first 2 shown]
	s_cbranch_vccnz .LBB139_48
; %bb.44:                               ;   in Loop: Header=BB139_14 Depth=1
	v_mov_b32_e32 v17, 0
	v_mov_b64_e32 v[20:21], v[14:15]
	s_mov_b32 s41, s25
.LBB139_45:                             ;   Parent Loop BB139_14 Depth=1
                                        ; =>  This Inner Loop Header: Depth=2
	global_load_dwordx2 v[22:23], v[20:21], off
	s_add_i32 s41, s41, -1
	v_lshl_add_u64 v[20:21], v[20:21], 0, s[46:47]
	s_cmp_eq_u32 s41, 0
	s_waitcnt vmcnt(0)
	scratch_store_dwordx2 v17, v[22:23], off
	v_add_u32_e32 v17, 8, v17
	s_cbranch_scc0 .LBB139_45
; %bb.46:                               ;   in Loop: Header=BB139_14 Depth=1
	v_mov_b32_e32 v20, 0
	v_mov_b32_e32 v17, 0
	v_mov_b64_e32 v[28:29], v[18:19]
	s_mov_b32 s41, s25
	v_mov_b32_e32 v21, v20
	v_mov_b32_e32 v22, v20
	;; [unrolled: 1-line block ×7, first 2 shown]
.LBB139_47:                             ;   Parent Loop BB139_14 Depth=1
                                        ; =>  This Inner Loop Header: Depth=2
	global_load_dwordx2 v[46:47], v[28:29], off
	scratch_load_dwordx2 v[48:49], v17, off
	v_lshl_add_u64 v[50:51], v[28:29], 0, s[50:51]
	global_load_dwordx2 v[52:53], v[50:51], off
	v_lshl_add_u64 v[50:51], v[50:51], 0, s[50:51]
	global_load_dwordx2 v[54:55], v[50:51], off
	;; [unrolled: 2-line block ×3, first 2 shown]
	s_add_i32 s41, s41, -1
	v_add_u32_e32 v17, 8, v17
	s_cmp_lg_u32 s41, 0
	v_lshl_add_u64 v[28:29], v[28:29], 0, 8
	s_waitcnt vmcnt(3)
	v_pk_mul_f32 v[56:57], v[48:49], v[46:47] op_sel:[0,1]
	s_nop 0
	v_pk_fma_f32 v[58:59], v[48:49], v[46:47], v[56:57] op_sel:[0,0,1] op_sel_hi:[1,1,0]
	v_pk_fma_f32 v[46:47], v[48:49], v[46:47], v[56:57] op_sel:[0,0,1] op_sel_hi:[1,0,0] neg_lo:[0,0,1] neg_hi:[0,0,1]
	s_waitcnt vmcnt(2)
	v_pk_mul_f32 v[56:57], v[48:49], v[52:53] op_sel:[0,1]
	v_mov_b32_e32 v59, v47
	v_pk_fma_f32 v[46:47], v[48:49], v[52:53], v[56:57] op_sel:[0,0,1] op_sel_hi:[1,1,0]
	v_pk_fma_f32 v[52:53], v[48:49], v[52:53], v[56:57] op_sel:[0,0,1] op_sel_hi:[1,0,0] neg_lo:[0,0,1] neg_hi:[0,0,1]
	s_waitcnt vmcnt(1)
	v_pk_mul_f32 v[56:57], v[48:49], v[54:55] op_sel:[0,1]
	v_mov_b32_e32 v47, v53
	v_pk_fma_f32 v[52:53], v[48:49], v[54:55], v[56:57] op_sel:[0,0,1] op_sel_hi:[1,1,0]
	v_pk_fma_f32 v[54:55], v[48:49], v[54:55], v[56:57] op_sel:[0,0,1] op_sel_hi:[1,0,0] neg_lo:[0,0,1] neg_hi:[0,0,1]
	s_waitcnt vmcnt(0)
	v_pk_mul_f32 v[56:57], v[48:49], v[50:51] op_sel:[0,1]
	v_pk_add_f32 v[24:25], v[24:25], v[46:47]
	v_pk_fma_f32 v[46:47], v[48:49], v[50:51], v[56:57] op_sel:[0,0,1] op_sel_hi:[1,1,0]
	v_pk_fma_f32 v[48:49], v[48:49], v[50:51], v[56:57] op_sel:[0,0,1] op_sel_hi:[1,0,0] neg_lo:[0,0,1] neg_hi:[0,0,1]
	v_mov_b32_e32 v53, v55
	v_mov_b32_e32 v47, v49
	v_pk_add_f32 v[26:27], v[26:27], v[58:59]
	v_pk_add_f32 v[22:23], v[22:23], v[52:53]
	;; [unrolled: 1-line block ×3, first 2 shown]
	s_cbranch_scc1 .LBB139_47
.LBB139_48:                             ;   in Loop: Header=BB139_14 Depth=1
	s_or_b64 exec, exec, s[54:55]
	s_or_b64 exec, exec, s[52:53]
	s_and_saveexec_b64 s[52:53], s[0:1]
	s_cbranch_execnz .LBB139_17
	s_branch .LBB139_18
.LBB139_49:                             ;   in Loop: Header=BB139_14 Depth=1
	ds_read_b64 v[26:27], v43
	s_or_b64 exec, exec, s[52:53]
	s_and_saveexec_b64 s[52:53], s[0:1]
	s_cbranch_execz .LBB139_22
.LBB139_50:                             ;   in Loop: Header=BB139_14 Depth=1
	s_waitcnt lgkmcnt(0)
	ds_bpermute_b32 v28, v41, v26
	ds_bpermute_b32 v29, v41, v27
	s_waitcnt lgkmcnt(0)
	v_pk_add_f32 v[26:27], v[26:27], v[28:29]
	ds_bpermute_b32 v28, v42, v26
	ds_bpermute_b32 v29, v42, v27
	s_waitcnt lgkmcnt(0)
	v_pk_add_f32 v[26:27], v[26:27], v[28:29]
	s_or_b64 exec, exec, s[52:53]
	s_and_saveexec_b64 s[52:53], s[0:1]
	s_cbranch_execnz .LBB139_23
	s_branch .LBB139_24
.LBB139_51:                             ;   in Loop: Header=BB139_14 Depth=1
	ds_read_b64 v[24:25], v43
	s_or_b64 exec, exec, s[52:53]
	s_and_saveexec_b64 s[52:53], s[0:1]
	s_cbranch_execz .LBB139_28
.LBB139_52:                             ;   in Loop: Header=BB139_14 Depth=1
	s_waitcnt lgkmcnt(0)
	ds_bpermute_b32 v28, v41, v24
	ds_bpermute_b32 v29, v41, v25
	s_waitcnt lgkmcnt(0)
	v_pk_add_f32 v[24:25], v[24:25], v[28:29]
	ds_bpermute_b32 v28, v42, v24
	ds_bpermute_b32 v29, v42, v25
	s_waitcnt lgkmcnt(0)
	v_pk_add_f32 v[24:25], v[24:25], v[28:29]
	s_or_b64 exec, exec, s[52:53]
	s_and_saveexec_b64 s[52:53], s[0:1]
	s_cbranch_execnz .LBB139_29
	s_branch .LBB139_30
.LBB139_53:                             ;   in Loop: Header=BB139_14 Depth=1
	ds_read_b64 v[22:23], v43
	s_or_b64 exec, exec, s[52:53]
	s_and_saveexec_b64 s[52:53], s[0:1]
	s_cbranch_execz .LBB139_34
.LBB139_54:                             ;   in Loop: Header=BB139_14 Depth=1
	s_waitcnt lgkmcnt(0)
	ds_bpermute_b32 v28, v41, v22
	ds_bpermute_b32 v29, v41, v23
	s_waitcnt lgkmcnt(0)
	v_pk_add_f32 v[22:23], v[22:23], v[28:29]
	ds_bpermute_b32 v28, v42, v22
	ds_bpermute_b32 v29, v42, v23
	s_waitcnt lgkmcnt(0)
	v_pk_add_f32 v[22:23], v[22:23], v[28:29]
	s_or_b64 exec, exec, s[52:53]
	s_and_saveexec_b64 s[52:53], s[0:1]
	s_cbranch_execnz .LBB139_35
	s_branch .LBB139_36
.LBB139_55:                             ;   in Loop: Header=BB139_14 Depth=1
	ds_read_b64 v[20:21], v43
	s_or_b64 exec, exec, s[52:53]
	s_and_saveexec_b64 s[52:53], s[0:1]
	s_cbranch_execz .LBB139_40
.LBB139_56:                             ;   in Loop: Header=BB139_14 Depth=1
	s_waitcnt lgkmcnt(0)
	ds_bpermute_b32 v28, v41, v20
	ds_bpermute_b32 v29, v41, v21
	s_waitcnt lgkmcnt(0)
	v_pk_add_f32 v[20:21], v[20:21], v[28:29]
	ds_bpermute_b32 v28, v42, v20
	ds_bpermute_b32 v29, v42, v21
	s_waitcnt lgkmcnt(0)
	v_pk_add_f32 v[20:21], v[20:21], v[28:29]
	s_or_b64 exec, exec, s[52:53]
	s_and_saveexec_b64 s[52:53], s[12:13]
	s_cbranch_execz .LBB139_13
.LBB139_57:                             ;   in Loop: Header=BB139_14 Depth=1
	v_pk_mul_f32 v[28:29], v[26:27], s[18:19]
	v_mov_b32_e32 v46, v27
	s_mul_hi_u32 s55, s33, s24
	s_mul_i32 s54, s33, s24
	v_mov_b32_e32 v28, v29
	v_pk_mul_f32 v[46:47], v[46:47], s[18:19]
	s_lshl_b64 s[54:55], s[54:55], 3
	v_pk_fma_f32 v[28:29], v[26:27], s[18:19], v[28:29] neg_lo:[0,0,1] neg_hi:[0,0,1]
	v_pk_fma_f32 v[26:27], v[26:27], s[44:45], v[46:47]
	s_add_u32 s54, s3, s54
	s_addc_u32 s55, s58, s55
	v_mov_b32_e32 v29, v26
	s_or_b32 s41, s33, 1
	global_store_dwordx2 v16, v[28:29], s[54:55]
	v_pk_mul_f32 v[26:27], v[24:25], s[18:19]
	v_mov_b32_e32 v28, v25
	s_mul_hi_u32 s55, s41, s24
	s_mul_i32 s54, s41, s24
	v_mov_b32_e32 v26, v27
	v_pk_mul_f32 v[28:29], v[28:29], s[18:19]
	s_lshl_b64 s[54:55], s[54:55], 3
	v_pk_fma_f32 v[26:27], v[24:25], s[18:19], v[26:27] neg_lo:[0,0,1] neg_hi:[0,0,1]
	v_pk_fma_f32 v[24:25], v[24:25], s[44:45], v[28:29]
	s_add_u32 s54, s3, s54
	s_addc_u32 s55, s58, s55
	v_mov_b32_e32 v27, v24
	s_or_b32 s41, s33, 2
	global_store_dwordx2 v16, v[26:27], s[54:55]
	v_pk_mul_f32 v[24:25], v[22:23], s[18:19]
	v_mov_b32_e32 v26, v23
	s_mul_hi_u32 s55, s41, s24
	s_mul_i32 s54, s41, s24
	v_mov_b32_e32 v24, v25
	v_pk_mul_f32 v[26:27], v[26:27], s[18:19]
	s_lshl_b64 s[54:55], s[54:55], 3
	v_pk_fma_f32 v[24:25], v[22:23], s[18:19], v[24:25] neg_lo:[0,0,1] neg_hi:[0,0,1]
	v_pk_fma_f32 v[22:23], v[22:23], s[44:45], v[26:27]
	s_add_u32 s54, s3, s54
	s_addc_u32 s55, s58, s55
	v_mov_b32_e32 v25, v22
	s_or_b32 s41, s33, 3
	global_store_dwordx2 v16, v[24:25], s[54:55]
	s_mul_hi_u32 s55, s41, s24
	s_mul_i32 s54, s41, s24
	s_waitcnt lgkmcnt(0)
	v_pk_mul_f32 v[22:23], v[20:21], s[18:19] op_sel:[1,0]
	s_lshl_b64 s[54:55], s[54:55], 3
	s_add_u32 s54, s3, s54
	v_pk_fma_f32 v[24:25], v[20:21], s[18:19], v[22:23] op_sel:[0,0,1] op_sel_hi:[1,1,0] neg_lo:[0,0,1] neg_hi:[0,0,1]
	v_pk_fma_f32 v[20:21], v[20:21], s[18:19], v[22:23] op_sel:[0,0,1] op_sel_hi:[0,1,0]
	s_addc_u32 s55, s58, s55
	v_mov_b32_e32 v25, v21
	global_store_dwordx2 v16, v[24:25], s[54:55]
	s_branch .LBB139_13
.LBB139_58:
	s_mov_b32 s33, 0
.LBB139_59:
	s_cmp_ge_i32 s33, s17
	s_cbranch_scc1 .LBB139_81
; %bb.60:
	v_mbcnt_hi_u32_b32 v6, -1, v34
	v_and_b32_e32 v7, 63, v6
	v_cmp_gt_u32_e64 s[4:5], 32, v7
	s_mov_b32 s12, 0
	s_cmp_gt_i32 s25, 0
	v_cndmask_b32_e64 v8, 0, 1, s[4:5]
	v_lshlrev_b32_e32 v8, 5, v8
	v_cmp_gt_u32_e64 s[4:5], 48, v7
	s_waitcnt lgkmcnt(0)
	v_add_lshl_u32 v21, v8, v6, 2
	s_mov_b32 s3, s12
	v_cndmask_b32_e64 v8, 0, 1, s[4:5]
	v_lshlrev_b32_e32 v8, 4, v8
	v_cmp_gt_u32_e64 s[4:5], 56, v7
	v_add_lshl_u32 v22, v8, v6, 2
	s_cselect_b64 s[42:43], -1, 0
	v_cndmask_b32_e64 v8, 0, 1, s[4:5]
	v_lshlrev_b32_e32 v8, 3, v8
	v_cmp_gt_u32_e64 s[4:5], 60, v7
	v_add_lshl_u32 v23, v8, v6, 2
	s_lshl_b64 s[2:3], s[2:3], 3
	v_cndmask_b32_e64 v8, 0, 1, s[4:5]
	v_lshlrev_b32_e32 v8, 2, v8
	v_cmp_gt_u32_e64 s[4:5], 62, v7
	v_add_lshl_u32 v24, v8, v6, 2
	v_cmp_ge_i32_e32 vcc, s16, v35
	v_cndmask_b32_e64 v8, 0, 1, s[4:5]
	v_lshlrev_b32_e32 v8, 1, v8
	v_cmp_ne_u32_e64 s[4:5], 63, v7
	v_cmp_ge_i32_e64 s[10:11], s16, v36
	v_add_lshl_u32 v25, v8, v6, 2
	v_addc_co_u32_e64 v6, s[4:5], 0, v6, s[4:5]
	s_add_u32 s16, s45, s2
	v_cmp_gt_u32_e64 s[0:1], 64, v0
	v_lshlrev_b32_e32 v20, 3, v1
	v_lshlrev_b32_e32 v26, 2, v6
	v_cmp_eq_u32_e64 s[4:5], 0, v1
	v_cmp_gt_u32_e64 s[6:7], 4, v0
	v_cmp_eq_u32_e64 s[8:9], 0, v0
	s_addc_u32 s40, s56, s3
	v_mad_i64_i32 v[0:1], s[2:3], s28, v4, 0
	v_mad_i64_i32 v[6:7], s[2:3], s28, v32, 0
	;; [unrolled: 1-line block ×4, first 2 shown]
	s_and_b64 s[2:3], s[42:43], s[10:11]
	s_add_u32 s10, s14, s36
	s_addc_u32 s11, s15, s37
	s_add_u32 s10, s10, s30
	s_mul_i32 s13, s27, s33
	s_mul_hi_u32 s14, s26, s33
	v_lshlrev_b64 v[12:13], 3, v[0:1]
	s_addc_u32 s11, s11, s31
	s_add_i32 s15, s14, s13
	s_mul_i32 s14, s26, s33
	v_lshl_add_u64 v[0:1], s[38:39], 0, v[12:13]
	v_lshl_add_u64 v[12:13], s[10:11], 0, v[12:13]
	s_lshl_b64 s[10:11], s[28:29], 3
	s_lshl_b64 s[14:15], s[14:15], 3
	s_add_u32 s13, s34, s14
	s_addc_u32 s14, s35, s15
	s_add_u32 s13, s13, s22
	s_addc_u32 s15, s14, s23
	;; [unrolled: 2-line block ×3, first 2 shown]
	v_lshl_add_u64 v[4:5], v[4:5], 3, s[14:15]
	v_and_b32_e32 v27, 24, v33
	v_lshl_add_u64 v[6:7], v[6:7], 3, s[38:39]
	v_lshl_add_u64 v[8:9], v[8:9], 3, s[38:39]
	;; [unrolled: 1-line block ×4, first 2 shown]
	s_lshl_b64 s[14:15], s[26:27], 3
	v_mov_b32_e32 v14, 0
	s_branch .LBB139_62
.LBB139_61:                             ;   in Loop: Header=BB139_62 Depth=1
	s_or_b64 exec, exec, s[20:21]
	s_add_i32 s33, s33, 1
	s_cmp_lt_i32 s33, s17
	v_lshl_add_u64 v[4:5], v[4:5], 0, s[14:15]
	s_cbranch_scc0 .LBB139_81
.LBB139_62:                             ; =>This Loop Header: Depth=1
                                        ;     Child Loop BB139_74 Depth 2
                                        ;     Child Loop BB139_76 Depth 2
                                        ; implicit-def: $vgpr17
	s_and_saveexec_b64 s[20:21], vcc
	s_xor_b64 s[20:21], exec, s[20:21]
	s_cbranch_execnz .LBB139_71
; %bb.63:                               ;   in Loop: Header=BB139_62 Depth=1
	s_andn2_saveexec_b64 s[20:21], s[20:21]
	s_cbranch_execnz .LBB139_72
.LBB139_64:                             ;   in Loop: Header=BB139_62 Depth=1
	s_or_b64 exec, exec, s[20:21]
	s_and_saveexec_b64 s[20:21], s[0:1]
	s_cbranch_execz .LBB139_66
.LBB139_65:                             ;   in Loop: Header=BB139_62 Depth=1
	v_mov_b32_e32 v15, v14
	ds_write_b64 v20, v[14:15]
.LBB139_66:                             ;   in Loop: Header=BB139_62 Depth=1
	s_or_b64 exec, exec, s[20:21]
	s_waitcnt lgkmcnt(0)
	ds_bpermute_b32 v18, v21, v16
	ds_bpermute_b32 v19, v21, v17
	s_waitcnt lgkmcnt(0)
	s_barrier
	v_pk_add_f32 v[16:17], v[16:17], v[18:19]
	ds_bpermute_b32 v18, v22, v16
	ds_bpermute_b32 v19, v22, v17
	s_waitcnt lgkmcnt(0)
	v_pk_add_f32 v[16:17], v[16:17], v[18:19]
	ds_bpermute_b32 v18, v23, v16
	ds_bpermute_b32 v19, v23, v17
	s_waitcnt lgkmcnt(0)
	;; [unrolled: 4-line block ×4, first 2 shown]
	v_pk_add_f32 v[16:17], v[16:17], v[18:19]
	ds_bpermute_b32 v18, v26, v16
	ds_bpermute_b32 v19, v26, v17
	s_and_saveexec_b64 s[20:21], s[4:5]
	s_cbranch_execz .LBB139_68
; %bb.67:                               ;   in Loop: Header=BB139_62 Depth=1
	s_waitcnt lgkmcnt(0)
	v_pk_add_f32 v[16:17], v[16:17], v[18:19]
	ds_write_b64 v27, v[16:17]
.LBB139_68:                             ;   in Loop: Header=BB139_62 Depth=1
	s_or_b64 exec, exec, s[20:21]
	s_mov_b32 s13, s12
	v_mov_b64_e32 v[16:17], s[12:13]
	s_waitcnt lgkmcnt(0)
	s_barrier
	s_and_saveexec_b64 s[20:21], s[6:7]
	s_cbranch_execnz .LBB139_78
; %bb.69:                               ;   in Loop: Header=BB139_62 Depth=1
	s_or_b64 exec, exec, s[20:21]
	s_and_saveexec_b64 s[20:21], s[0:1]
	s_cbranch_execnz .LBB139_79
.LBB139_70:                             ;   in Loop: Header=BB139_62 Depth=1
	s_or_b64 exec, exec, s[20:21]
	s_and_saveexec_b64 s[20:21], s[8:9]
	s_cbranch_execz .LBB139_61
	s_branch .LBB139_80
.LBB139_71:                             ;   in Loop: Header=BB139_62 Depth=1
	s_mul_i32 s13, s33, s27
	s_mul_hi_u32 s22, s33, s26
	s_add_i32 s23, s22, s13
	s_mul_i32 s22, s33, s26
	v_lshl_add_u64 v[40:41], s[22:23], 3, v[2:3]
	s_waitcnt lgkmcnt(0)
	global_load_dwordx2 v[16:17], v[0:1], off
	global_load_dwordx2 v[18:19], v[6:7], off
	;; [unrolled: 1-line block ×4, first 2 shown]
	global_load_dwordx4 v[32:35], v[40:41], off
	global_load_dwordx4 v[36:39], v[40:41], off offset:16
	s_waitcnt vmcnt(4)
	scratch_store_dwordx4 off, v[16:19], off
	s_waitcnt vmcnt(3)
	scratch_store_dwordx4 off, v[28:31], off offset:16
	s_waitcnt vmcnt(3)
	v_mul_f32_e32 v42, v33, v17
	v_mul_f32_e32 v15, v33, v16
	v_mov_b32_e32 v40, v29
	v_mul_f32_e32 v44, v35, v19
	v_mul_f32_e32 v33, v35, v18
	s_waitcnt vmcnt(2)
	v_pk_mul_f32 v[46:47], v[36:37], v[28:29] op_sel_hi:[1,0]
	v_fmac_f32_e32 v42, v32, v16
	v_fma_f32 v43, v32, v17, -v15
	v_pk_mul_f32 v[48:49], v[38:39], v[30:31] op_sel:[0,1]
	v_fmac_f32_e32 v44, v34, v18
	v_fma_f32 v45, v34, v19, -v33
	v_pk_fma_f32 v[16:17], v[36:37], v[40:41], v[46:47] op_sel:[1,0,0] op_sel_hi:[0,1,1]
	v_pk_fma_f32 v[18:19], v[36:37], v[28:29], v[46:47] op_sel:[1,1,0] op_sel_hi:[0,1,1] neg_lo:[0,0,1] neg_hi:[0,0,1]
	v_pk_add_f32 v[32:33], v[42:43], 0 op_sel_hi:[1,0]
	v_pk_fma_f32 v[28:29], v[38:39], v[30:31], v[48:49] op_sel:[0,0,1] op_sel_hi:[1,1,0]
	v_pk_fma_f32 v[30:31], v[38:39], v[30:31], v[48:49] op_sel:[0,0,1] op_sel_hi:[1,0,0] neg_lo:[1,0,0] neg_hi:[1,0,0]
	v_mov_b32_e32 v17, v19
	v_pk_add_f32 v[18:19], v[32:33], v[44:45]
	v_mov_b32_e32 v29, v31
	v_pk_add_f32 v[16:17], v[18:19], v[16:17]
	s_nop 0
	v_pk_add_f32 v[16:17], v[16:17], v[28:29]
	s_andn2_saveexec_b64 s[20:21], s[20:21]
	s_cbranch_execz .LBB139_64
.LBB139_72:                             ;   in Loop: Header=BB139_62 Depth=1
	s_waitcnt lgkmcnt(0)
	v_mov_b32_e32 v17, 0
	v_mov_b32_e32 v16, v17
	s_and_saveexec_b64 s[22:23], s[2:3]
	s_cbranch_execz .LBB139_77
; %bb.73:                               ;   in Loop: Header=BB139_62 Depth=1
	v_mov_b32_e32 v15, 0
	v_mov_b64_e32 v[16:17], v[12:13]
	s_mov_b32 s13, s25
.LBB139_74:                             ;   Parent Loop BB139_62 Depth=1
                                        ; =>  This Inner Loop Header: Depth=2
	global_load_dwordx2 v[18:19], v[16:17], off
	s_add_i32 s13, s13, -1
	v_lshl_add_u64 v[16:17], v[16:17], 0, s[10:11]
	s_cmp_eq_u32 s13, 0
	s_waitcnt vmcnt(0)
	scratch_store_dwordx2 v15, v[18:19], off
	v_add_u32_e32 v15, 8, v15
	s_cbranch_scc0 .LBB139_74
; %bb.75:                               ;   in Loop: Header=BB139_62 Depth=1
	v_mov_b32_e32 v16, 0
	v_mov_b32_e32 v15, 0
	v_mov_b64_e32 v[18:19], v[4:5]
	s_mov_b32 s13, s25
	v_mov_b32_e32 v17, v16
.LBB139_76:                             ;   Parent Loop BB139_62 Depth=1
                                        ; =>  This Inner Loop Header: Depth=2
	global_load_dwordx2 v[28:29], v[18:19], off offset:-4
	scratch_load_dwordx2 v[30:31], v15, off
	s_add_i32 s13, s13, -1
	v_add_u32_e32 v15, 8, v15
	v_lshl_add_u64 v[18:19], v[18:19], 0, 8
	s_cmp_lg_u32 s13, 0
	s_waitcnt vmcnt(0)
	v_pk_mul_f32 v[32:33], v[28:29], v[30:31] op_sel:[1,0]
	s_nop 0
	v_pk_fma_f32 v[34:35], v[28:29], v[30:31], v[32:33] op_sel:[0,0,1] op_sel_hi:[1,1,0]
	v_pk_fma_f32 v[28:29], v[28:29], v[30:31], v[32:33] op_sel:[0,0,1] op_sel_hi:[0,1,0] neg_lo:[0,0,1] neg_hi:[0,0,1]
	v_mov_b32_e32 v35, v29
	v_pk_add_f32 v[16:17], v[16:17], v[34:35]
	s_cbranch_scc1 .LBB139_76
.LBB139_77:                             ;   in Loop: Header=BB139_62 Depth=1
	s_or_b64 exec, exec, s[22:23]
	s_or_b64 exec, exec, s[20:21]
	s_and_saveexec_b64 s[20:21], s[0:1]
	s_cbranch_execnz .LBB139_65
	s_branch .LBB139_66
.LBB139_78:                             ;   in Loop: Header=BB139_62 Depth=1
	ds_read_b64 v[16:17], v20
	s_or_b64 exec, exec, s[20:21]
	s_and_saveexec_b64 s[20:21], s[0:1]
	s_cbranch_execz .LBB139_70
.LBB139_79:                             ;   in Loop: Header=BB139_62 Depth=1
	s_waitcnt lgkmcnt(0)
	ds_bpermute_b32 v18, v25, v16
	ds_bpermute_b32 v19, v25, v17
	s_waitcnt lgkmcnt(0)
	v_pk_add_f32 v[16:17], v[16:17], v[18:19]
	ds_bpermute_b32 v18, v26, v16
	ds_bpermute_b32 v19, v26, v17
	s_waitcnt lgkmcnt(0)
	v_pk_add_f32 v[16:17], v[16:17], v[18:19]
	s_or_b64 exec, exec, s[20:21]
	s_and_saveexec_b64 s[20:21], s[8:9]
	s_cbranch_execz .LBB139_61
.LBB139_80:                             ;   in Loop: Header=BB139_62 Depth=1
	s_mul_hi_u32 s23, s33, s24
	s_mul_i32 s22, s33, s24
	s_waitcnt lgkmcnt(0)
	v_pk_mul_f32 v[18:19], v[16:17], s[18:19] op_sel:[1,0]
	s_lshl_b64 s[22:23], s[22:23], 3
	s_add_u32 s22, s16, s22
	v_pk_fma_f32 v[28:29], v[16:17], s[18:19], v[18:19] op_sel:[0,0,1] op_sel_hi:[1,1,0] neg_lo:[0,0,1] neg_hi:[0,0,1]
	v_pk_fma_f32 v[16:17], v[16:17], s[18:19], v[18:19] op_sel:[0,0,1] op_sel_hi:[0,1,0]
	s_addc_u32 s23, s40, s23
	v_mov_b32_e32 v29, v17
	global_store_dwordx2 v14, v[28:29], s[22:23]
	s_branch .LBB139_61
.LBB139_81:
	s_endpgm
	.section	.rodata,"a",@progbits
	.p2align	6, 0x0
	.amdhsa_kernel _ZL23rocblas_gemvt_sn_kernelILb1ELi256ELi4El19rocblas_complex_numIfES1_S1_EviiT4_lPKT3_lilS5_lilPT5_i
		.amdhsa_group_segment_fixed_size 512
		.amdhsa_private_segment_fixed_size 48
		.amdhsa_kernarg_size 360
		.amdhsa_user_sgpr_count 2
		.amdhsa_user_sgpr_dispatch_ptr 0
		.amdhsa_user_sgpr_queue_ptr 0
		.amdhsa_user_sgpr_kernarg_segment_ptr 1
		.amdhsa_user_sgpr_dispatch_id 0
		.amdhsa_user_sgpr_kernarg_preload_length 0
		.amdhsa_user_sgpr_kernarg_preload_offset 0
		.amdhsa_user_sgpr_private_segment_size 0
		.amdhsa_uses_dynamic_stack 0
		.amdhsa_enable_private_segment 1
		.amdhsa_system_sgpr_workgroup_id_x 1
		.amdhsa_system_sgpr_workgroup_id_y 0
		.amdhsa_system_sgpr_workgroup_id_z 1
		.amdhsa_system_sgpr_workgroup_info 0
		.amdhsa_system_vgpr_workitem_id 0
		.amdhsa_next_free_vgpr 96
		.amdhsa_next_free_sgpr 59
		.amdhsa_accum_offset 96
		.amdhsa_reserve_vcc 1
		.amdhsa_float_round_mode_32 0
		.amdhsa_float_round_mode_16_64 0
		.amdhsa_float_denorm_mode_32 3
		.amdhsa_float_denorm_mode_16_64 3
		.amdhsa_dx10_clamp 1
		.amdhsa_ieee_mode 1
		.amdhsa_fp16_overflow 0
		.amdhsa_tg_split 0
		.amdhsa_exception_fp_ieee_invalid_op 0
		.amdhsa_exception_fp_denorm_src 0
		.amdhsa_exception_fp_ieee_div_zero 0
		.amdhsa_exception_fp_ieee_overflow 0
		.amdhsa_exception_fp_ieee_underflow 0
		.amdhsa_exception_fp_ieee_inexact 0
		.amdhsa_exception_int_div_zero 0
	.end_amdhsa_kernel
	.section	.text._ZL23rocblas_gemvt_sn_kernelILb1ELi256ELi4El19rocblas_complex_numIfES1_S1_EviiT4_lPKT3_lilS5_lilPT5_i,"axG",@progbits,_ZL23rocblas_gemvt_sn_kernelILb1ELi256ELi4El19rocblas_complex_numIfES1_S1_EviiT4_lPKT3_lilS5_lilPT5_i,comdat
.Lfunc_end139:
	.size	_ZL23rocblas_gemvt_sn_kernelILb1ELi256ELi4El19rocblas_complex_numIfES1_S1_EviiT4_lPKT3_lilS5_lilPT5_i, .Lfunc_end139-_ZL23rocblas_gemvt_sn_kernelILb1ELi256ELi4El19rocblas_complex_numIfES1_S1_EviiT4_lPKT3_lilS5_lilPT5_i
                                        ; -- End function
	.section	.AMDGPU.csdata,"",@progbits
; Kernel info:
; codeLenInByte = 5460
; NumSgprs: 65
; NumVgprs: 96
; NumAgprs: 0
; TotalNumVgprs: 96
; ScratchSize: 48
; MemoryBound: 0
; FloatMode: 240
; IeeeMode: 1
; LDSByteSize: 512 bytes/workgroup (compile time only)
; SGPRBlocks: 8
; VGPRBlocks: 11
; NumSGPRsForWavesPerEU: 65
; NumVGPRsForWavesPerEU: 96
; AccumOffset: 96
; Occupancy: 5
; WaveLimiterHint : 1
; COMPUTE_PGM_RSRC2:SCRATCH_EN: 1
; COMPUTE_PGM_RSRC2:USER_SGPR: 2
; COMPUTE_PGM_RSRC2:TRAP_HANDLER: 0
; COMPUTE_PGM_RSRC2:TGID_X_EN: 1
; COMPUTE_PGM_RSRC2:TGID_Y_EN: 0
; COMPUTE_PGM_RSRC2:TGID_Z_EN: 1
; COMPUTE_PGM_RSRC2:TIDIG_COMP_CNT: 0
; COMPUTE_PGM_RSRC3_GFX90A:ACCUM_OFFSET: 23
; COMPUTE_PGM_RSRC3_GFX90A:TG_SPLIT: 0
	.section	.text._ZL20rocblas_gemvt_kernelILb1ELi256E19rocblas_complex_numIfEPKS1_S1_EviiT2_lPKT1_lilS7_lilS4_lPT3_lili,"axG",@progbits,_ZL20rocblas_gemvt_kernelILb1ELi256E19rocblas_complex_numIfEPKS1_S1_EviiT2_lPKT1_lilS7_lilS4_lPT3_lili,comdat
	.globl	_ZL20rocblas_gemvt_kernelILb1ELi256E19rocblas_complex_numIfEPKS1_S1_EviiT2_lPKT1_lilS7_lilS4_lPT3_lili ; -- Begin function _ZL20rocblas_gemvt_kernelILb1ELi256E19rocblas_complex_numIfEPKS1_S1_EviiT2_lPKT1_lilS7_lilS4_lPT3_lili
	.p2align	8
	.type	_ZL20rocblas_gemvt_kernelILb1ELi256E19rocblas_complex_numIfEPKS1_S1_EviiT2_lPKT1_lilS7_lilS4_lPT3_lili,@function
_ZL20rocblas_gemvt_kernelILb1ELi256E19rocblas_complex_numIfEPKS1_S1_EviiT2_lPKT1_lilS7_lilS4_lPT3_lili: ; @_ZL20rocblas_gemvt_kernelILb1ELi256E19rocblas_complex_numIfEPKS1_S1_EviiT2_lPKT1_lilS7_lilS4_lPT3_lili
; %bb.0:
	s_load_dwordx8 s[4:11], s[0:1], 0x8
	s_load_dwordx8 s[12:19], s[0:1], 0x50
	s_waitcnt lgkmcnt(0)
	s_mul_i32 s7, s3, s7
	s_mul_hi_u32 s20, s3, s6
	s_add_i32 s7, s20, s7
	s_mul_i32 s6, s3, s6
	s_lshl_b64 s[6:7], s[6:7], 3
	s_add_u32 s4, s4, s6
	s_addc_u32 s5, s5, s7
	s_load_dwordx2 s[20:21], s[4:5], 0x0
	s_mul_i32 s4, s3, s17
	s_mul_hi_u32 s5, s3, s16
	s_add_i32 s5, s5, s4
	s_mul_i32 s4, s3, s16
	s_lshl_b64 s[4:5], s[4:5], 3
	s_add_u32 s4, s14, s4
	s_addc_u32 s5, s15, s5
	s_load_dwordx2 s[14:15], s[4:5], 0x0
	s_waitcnt lgkmcnt(0)
	v_cmp_eq_f32_e64 s[4:5], s20, 0
	v_cmp_eq_f32_e64 s[6:7], s21, 0
	s_and_b64 s[4:5], s[4:5], s[6:7]
	v_cmp_eq_f32_e64 s[6:7], s14, 1.0
	v_cmp_eq_f32_e64 s[16:17], s15, 0
	s_and_b64 s[6:7], s[6:7], s[16:17]
	s_and_b64 s[4:5], s[4:5], s[6:7]
	s_and_b64 vcc, exec, s[4:5]
	s_cbranch_vccnz .LBB140_35
; %bb.1:
	s_load_dwordx2 s[4:5], s[0:1], 0x80
	s_load_dwordx2 s[6:7], s[0:1], 0x70
	s_load_dword s33, s[0:1], 0x78
	v_cmp_eq_u32_e32 vcc, 0, v0
	s_waitcnt lgkmcnt(0)
	s_mul_i32 s5, s3, s5
	s_mul_hi_u32 s16, s3, s4
	s_mul_i32 s4, s3, s4
	s_add_i32 s5, s16, s5
	s_lshl_b64 s[4:5], s[4:5], 3
	s_add_u32 s16, s18, s4
	s_addc_u32 s17, s19, s5
	s_lshl_b64 s[4:5], s[6:7], 3
	s_add_u32 s30, s16, s4
	s_addc_u32 s31, s17, s5
	s_or_b32 s4, s20, s21
	s_bitset0_b32 s4, 31
	s_cmp_lg_u32 s4, 0
	s_mov_b64 s[4:5], -1
	s_cbranch_scc1 .LBB140_7
; %bb.2:
	s_and_saveexec_b64 s[4:5], vcc
	s_cbranch_execz .LBB140_6
; %bb.3:
	v_cmp_neq_f32_e64 s[16:17], s14, 0
	v_cmp_neq_f32_e64 s[18:19], s15, 0
	s_or_b64 s[16:17], s[16:17], s[18:19]
	s_mul_hi_i32 s7, s33, s2
	s_mul_i32 s6, s33, s2
	v_mov_b32_e32 v1, 0
	s_andn2_b64 vcc, exec, s[16:17]
	v_mov_b32_e32 v2, 0
	v_mov_b32_e32 v3, 0
	s_cbranch_vccnz .LBB140_5
; %bb.4:
	s_lshl_b64 s[16:17], s[6:7], 3
	s_add_u32 s16, s30, s16
	s_addc_u32 s17, s31, s17
	s_load_dwordx2 s[16:17], s[16:17], 0x0
	s_waitcnt lgkmcnt(0)
	v_mov_b64_e32 v[4:5], s[16:17]
	v_pk_mul_f32 v[6:7], s[14:15], v[4:5] op_sel:[0,1]
	s_nop 0
	v_pk_fma_f32 v[2:3], s[14:15], v[4:5], v[6:7] op_sel:[0,0,1] op_sel_hi:[1,1,0] neg_lo:[0,0,1] neg_hi:[0,0,1]
	v_pk_fma_f32 v[4:5], s[14:15], v[4:5], v[6:7] op_sel:[0,0,1] op_sel_hi:[1,0,0]
	s_nop 0
	v_mov_b32_e32 v3, v5
.LBB140_5:
	s_lshl_b64 s[6:7], s[6:7], 3
	s_add_u32 s6, s30, s6
	s_addc_u32 s7, s31, s7
	global_store_dwordx2 v1, v[2:3], s[6:7]
.LBB140_6:
	s_or_b64 exec, exec, s[4:5]
	s_mov_b64 s[4:5], 0
.LBB140_7:
	s_andn2_b64 vcc, exec, s[4:5]
	s_cbranch_vccnz .LBB140_35
; %bb.8:
	s_load_dword s34, s[0:1], 0x0
	s_load_dword s22, s[0:1], 0x28
	s_load_dwordx4 s[4:7], s[0:1], 0x30
	s_load_dwordx2 s[16:17], s[0:1], 0x40
	s_mul_i32 s13, s3, s13
	s_load_dword s0, s[0:1], 0x48
	s_mul_hi_u32 s18, s3, s12
	s_waitcnt lgkmcnt(0)
	s_mul_i32 s1, s3, s5
	s_mul_hi_u32 s5, s3, s4
	s_add_i32 s19, s5, s1
	s_ashr_i32 s1, s34, 31
	s_lshr_b32 s1, s1, 24
	s_mov_b32 s24, 0
	v_cmp_gt_i32_e32 vcc, s34, v0
	s_add_i32 s1, s34, s1
	s_add_i32 s13, s18, s13
	s_mul_i32 s18, s3, s4
	v_cndmask_b32_e32 v1, 0, v0, vcc
	s_and_b32 s4, s1, 0xffffff00
	s_mov_b32 s25, s24
	s_mul_i32 s12, s3, s12
	v_mov_b32_e32 v4, 0
	s_mul_hi_i32 s23, s22, s2
	s_mul_i32 s22, s22, s2
	s_cmpk_lt_i32 s34, 0x100
	v_mov_b64_e32 v[6:7], s[24:25]
	v_lshlrev_b32_e32 v2, 3, v1
	s_cbranch_scc1 .LBB140_12
; %bb.9:
	v_mad_i64_i32 v[6:7], s[28:29], s0, v0, 0
	s_ashr_i32 s1, s0, 31
	s_lshl_b64 s[26:27], s[12:13], 3
	s_lshl_b64 s[28:29], s[16:17], 3
	s_add_u32 s3, s6, s28
	s_addc_u32 s5, s7, s29
	s_add_u32 s26, s3, s26
	s_addc_u32 s27, s5, s27
	v_lshl_add_u64 v[6:7], v[6:7], 3, s[26:27]
	s_lshl_b64 s[26:27], s[0:1], 11
	s_lshl_b64 s[28:29], s[22:23], 3
	;; [unrolled: 1-line block ×3, first 2 shown]
	s_add_u32 s1, s28, s36
	s_addc_u32 s3, s29, s37
	s_lshl_b64 s[28:29], s[10:11], 3
	s_add_u32 s1, s1, s28
	s_addc_u32 s3, s3, s29
	s_add_u32 s28, s8, s1
	v_mov_b32_e32 v3, v4
	s_addc_u32 s29, s9, s3
	v_lshl_add_u64 v[8:9], s[28:29], 0, v[2:3]
	v_lshl_add_u64 v[8:9], v[8:9], 0, 4
	s_mov_b64 s[28:29], 0x800
	v_mov_b32_e32 v5, v4
.LBB140_10:                             ; =>This Inner Loop Header: Depth=1
	global_load_dwordx2 v[10:11], v[8:9], off offset:-4
	global_load_dwordx2 v[12:13], v[6:7], off
	s_addk_i32 s24, 0x100
	v_lshl_add_u64 v[6:7], v[6:7], 0, s[26:27]
	v_lshl_add_u64 v[8:9], v[8:9], 0, s[28:29]
	s_cmp_ge_i32 s24, s4
	s_waitcnt vmcnt(0)
	v_pk_mul_f32 v[14:15], v[10:11], v[12:13] op_sel:[1,0]
	s_nop 0
	v_pk_fma_f32 v[16:17], v[10:11], v[12:13], v[14:15] op_sel:[0,0,1] op_sel_hi:[1,1,0]
	v_pk_fma_f32 v[10:11], v[10:11], v[12:13], v[14:15] op_sel:[0,0,1] op_sel_hi:[0,1,0] neg_lo:[0,0,1] neg_hi:[0,0,1]
	v_mov_b32_e32 v17, v11
	v_pk_add_f32 v[4:5], v[4:5], v[16:17]
	s_cbranch_scc0 .LBB140_10
; %bb.11:
	v_mov_b64_e32 v[6:7], v[4:5]
.LBB140_12:
	v_add_u32_e32 v1, s4, v0
	v_cmp_gt_i32_e32 vcc, s34, v1
	s_and_saveexec_b64 s[24:25], vcc
	s_cbranch_execz .LBB140_14
; %bb.13:
	s_lshl_b64 s[18:19], s[18:19], 3
	s_add_u32 s1, s8, s18
	s_addc_u32 s3, s9, s19
	s_lshl_b64 s[8:9], s[10:11], 3
	s_add_u32 s1, s1, s8
	s_addc_u32 s3, s3, s9
	s_lshl_b64 s[8:9], s[22:23], 3
	s_lshl_b64 s[10:11], s[12:13], 3
	s_add_u32 s5, s6, s10
	s_addc_u32 s10, s7, s11
	s_lshl_b64 s[6:7], s[16:17], 3
	s_add_u32 s6, s5, s6
	s_addc_u32 s7, s10, s7
	s_ashr_i32 s5, s4, 31
	s_lshl_b64 s[4:5], s[4:5], 3
	s_add_u32 s4, s4, s8
	s_addc_u32 s5, s5, s9
	s_add_u32 s4, s4, s1
	v_mad_i64_i32 v[4:5], s[0:1], s0, v1, 0
	v_lshl_add_u64 v[4:5], v[4:5], 3, s[6:7]
	s_addc_u32 s5, s5, s3
	global_load_dwordx2 v[8:9], v[4:5], off
	global_load_dwordx2 v[10:11], v2, s[4:5]
	s_waitcnt vmcnt(0)
	v_pk_mul_f32 v[2:3], v[10:11], v[8:9] op_sel:[1,0]
	s_nop 0
	v_pk_fma_f32 v[4:5], v[10:11], v[8:9], v[2:3] op_sel:[0,0,1] op_sel_hi:[1,1,0]
	v_pk_fma_f32 v[2:3], v[10:11], v[8:9], v[2:3] op_sel:[0,0,1] op_sel_hi:[0,1,0] neg_lo:[0,0,1] neg_hi:[0,0,1]
	v_mov_b32_e32 v5, v3
	v_pk_add_f32 v[6:7], v[6:7], v[4:5]
.LBB140_14:
	s_or_b64 exec, exec, s[24:25]
	s_movk_i32 s0, 0x80
	v_lshlrev_b32_e32 v1, 3, v0
	v_cmp_gt_u32_e32 vcc, s0, v0
	ds_write_b64 v1, v[6:7]
	s_waitcnt lgkmcnt(0)
	s_barrier
	s_and_saveexec_b64 s[0:1], vcc
	s_cbranch_execz .LBB140_16
; %bb.15:
	ds_read2st64_b64 v[2:5], v1 offset1:2
	s_waitcnt lgkmcnt(0)
	v_pk_add_f32 v[2:3], v[4:5], v[2:3]
	ds_write_b64 v1, v[2:3]
.LBB140_16:
	s_or_b64 exec, exec, s[0:1]
	v_cmp_gt_u32_e32 vcc, 64, v0
	s_waitcnt lgkmcnt(0)
	s_barrier
	s_and_saveexec_b64 s[0:1], vcc
	s_cbranch_execz .LBB140_18
; %bb.17:
	ds_read2st64_b64 v[2:5], v1 offset1:1
	s_waitcnt lgkmcnt(0)
	v_pk_add_f32 v[2:3], v[4:5], v[2:3]
	ds_write_b64 v1, v[2:3]
.LBB140_18:
	s_or_b64 exec, exec, s[0:1]
	v_cmp_gt_u32_e32 vcc, 32, v0
	s_waitcnt lgkmcnt(0)
	s_barrier
	s_and_saveexec_b64 s[0:1], vcc
	s_cbranch_execz .LBB140_20
; %bb.19:
	ds_read2_b64 v[2:5], v1 offset1:32
	s_waitcnt lgkmcnt(0)
	v_pk_add_f32 v[2:3], v[4:5], v[2:3]
	ds_write_b64 v1, v[2:3]
.LBB140_20:
	s_or_b64 exec, exec, s[0:1]
	v_cmp_gt_u32_e32 vcc, 16, v0
	s_waitcnt lgkmcnt(0)
	s_barrier
	s_and_saveexec_b64 s[0:1], vcc
	s_cbranch_execz .LBB140_22
; %bb.21:
	ds_read2_b64 v[2:5], v1 offset1:16
	s_waitcnt lgkmcnt(0)
	v_pk_add_f32 v[2:3], v[4:5], v[2:3]
	ds_write_b64 v1, v[2:3]
.LBB140_22:
	;; [unrolled: 12-line block ×5, first 2 shown]
	s_or_b64 exec, exec, s[0:1]
	v_cmp_eq_u32_e32 vcc, 0, v0
	s_waitcnt lgkmcnt(0)
	s_barrier
	s_and_saveexec_b64 s[0:1], vcc
	s_cbranch_execz .LBB140_30
; %bb.29:
	v_mov_b32_e32 v4, 0
	ds_read_b128 v[0:3], v4
	s_waitcnt lgkmcnt(0)
	v_pk_add_f32 v[0:1], v[2:3], v[0:1]
	ds_write_b64 v4, v[0:1]
.LBB140_30:
	s_or_b64 exec, exec, s[0:1]
	s_waitcnt lgkmcnt(0)
	s_barrier
	s_and_saveexec_b64 s[0:1], vcc
	s_cbranch_execz .LBB140_35
; %bb.31:
	v_mov_b32_e32 v4, 0
	ds_read_b64 v[2:3], v4
	v_cmp_neq_f32_e64 s[4:5], s14, 0
	v_cmp_neq_f32_e64 s[6:7], s15, 0
	s_mov_b32 s0, s21
	s_or_b64 s[4:5], s[4:5], s[6:7]
	s_waitcnt lgkmcnt(0)
	v_pk_mul_f32 v[0:1], v[2:3], s[20:21]
	v_mov_b32_e32 v6, v3
	v_mov_b32_e32 v0, v1
	v_pk_mul_f32 v[6:7], v[6:7], s[20:21]
	v_pk_fma_f32 v[0:1], v[2:3], s[20:21], v[0:1] neg_lo:[0,0,1] neg_hi:[0,0,1]
	v_pk_fma_f32 v[2:3], v[2:3], s[0:1], v[6:7]
	s_mul_hi_i32 s1, s33, s2
	s_andn2_b64 vcc, exec, s[4:5]
	s_mul_i32 s0, s33, s2
	s_cbranch_vccnz .LBB140_33
; %bb.32:
	s_lshl_b64 s[2:3], s[0:1], 3
	s_add_u32 s2, s30, s2
	s_addc_u32 s3, s31, s3
	global_load_dwordx2 v[6:7], v4, s[2:3]
	s_waitcnt vmcnt(0)
	v_pk_mul_f32 v[8:9], s[14:15], v[6:7]
	v_mul_f32_e32 v1, s15, v6
	v_sub_f32_e32 v3, v8, v9
	v_fmac_f32_e32 v1, s14, v7
	v_add_f32_e32 v0, v0, v3
	v_add_f32_e32 v1, v2, v1
	s_branch .LBB140_34
.LBB140_33:
	v_mov_b32_e32 v1, v2
.LBB140_34:
	s_lshl_b64 s[0:1], s[0:1], 3
	s_add_u32 s0, s30, s0
	s_addc_u32 s1, s31, s1
	global_store_dwordx2 v4, v[0:1], s[0:1]
.LBB140_35:
	s_endpgm
	.section	.rodata,"a",@progbits
	.p2align	6, 0x0
	.amdhsa_kernel _ZL20rocblas_gemvt_kernelILb1ELi256E19rocblas_complex_numIfEPKS1_S1_EviiT2_lPKT1_lilS7_lilS4_lPT3_lili
		.amdhsa_group_segment_fixed_size 2048
		.amdhsa_private_segment_fixed_size 0
		.amdhsa_kernarg_size 140
		.amdhsa_user_sgpr_count 2
		.amdhsa_user_sgpr_dispatch_ptr 0
		.amdhsa_user_sgpr_queue_ptr 0
		.amdhsa_user_sgpr_kernarg_segment_ptr 1
		.amdhsa_user_sgpr_dispatch_id 0
		.amdhsa_user_sgpr_kernarg_preload_length 0
		.amdhsa_user_sgpr_kernarg_preload_offset 0
		.amdhsa_user_sgpr_private_segment_size 0
		.amdhsa_uses_dynamic_stack 0
		.amdhsa_enable_private_segment 0
		.amdhsa_system_sgpr_workgroup_id_x 1
		.amdhsa_system_sgpr_workgroup_id_y 0
		.amdhsa_system_sgpr_workgroup_id_z 1
		.amdhsa_system_sgpr_workgroup_info 0
		.amdhsa_system_vgpr_workitem_id 0
		.amdhsa_next_free_vgpr 18
		.amdhsa_next_free_sgpr 38
		.amdhsa_accum_offset 20
		.amdhsa_reserve_vcc 1
		.amdhsa_float_round_mode_32 0
		.amdhsa_float_round_mode_16_64 0
		.amdhsa_float_denorm_mode_32 3
		.amdhsa_float_denorm_mode_16_64 3
		.amdhsa_dx10_clamp 1
		.amdhsa_ieee_mode 1
		.amdhsa_fp16_overflow 0
		.amdhsa_tg_split 0
		.amdhsa_exception_fp_ieee_invalid_op 0
		.amdhsa_exception_fp_denorm_src 0
		.amdhsa_exception_fp_ieee_div_zero 0
		.amdhsa_exception_fp_ieee_overflow 0
		.amdhsa_exception_fp_ieee_underflow 0
		.amdhsa_exception_fp_ieee_inexact 0
		.amdhsa_exception_int_div_zero 0
	.end_amdhsa_kernel
	.section	.text._ZL20rocblas_gemvt_kernelILb1ELi256E19rocblas_complex_numIfEPKS1_S1_EviiT2_lPKT1_lilS7_lilS4_lPT3_lili,"axG",@progbits,_ZL20rocblas_gemvt_kernelILb1ELi256E19rocblas_complex_numIfEPKS1_S1_EviiT2_lPKT1_lilS7_lilS4_lPT3_lili,comdat
.Lfunc_end140:
	.size	_ZL20rocblas_gemvt_kernelILb1ELi256E19rocblas_complex_numIfEPKS1_S1_EviiT2_lPKT1_lilS7_lilS4_lPT3_lili, .Lfunc_end140-_ZL20rocblas_gemvt_kernelILb1ELi256E19rocblas_complex_numIfEPKS1_S1_EviiT2_lPKT1_lilS7_lilS4_lPT3_lili
                                        ; -- End function
	.section	.AMDGPU.csdata,"",@progbits
; Kernel info:
; codeLenInByte = 1548
; NumSgprs: 44
; NumVgprs: 18
; NumAgprs: 0
; TotalNumVgprs: 18
; ScratchSize: 0
; MemoryBound: 0
; FloatMode: 240
; IeeeMode: 1
; LDSByteSize: 2048 bytes/workgroup (compile time only)
; SGPRBlocks: 5
; VGPRBlocks: 2
; NumSGPRsForWavesPerEU: 44
; NumVGPRsForWavesPerEU: 18
; AccumOffset: 20
; Occupancy: 8
; WaveLimiterHint : 1
; COMPUTE_PGM_RSRC2:SCRATCH_EN: 0
; COMPUTE_PGM_RSRC2:USER_SGPR: 2
; COMPUTE_PGM_RSRC2:TRAP_HANDLER: 0
; COMPUTE_PGM_RSRC2:TGID_X_EN: 1
; COMPUTE_PGM_RSRC2:TGID_Y_EN: 0
; COMPUTE_PGM_RSRC2:TGID_Z_EN: 1
; COMPUTE_PGM_RSRC2:TIDIG_COMP_CNT: 0
; COMPUTE_PGM_RSRC3_GFX90A:ACCUM_OFFSET: 4
; COMPUTE_PGM_RSRC3_GFX90A:TG_SPLIT: 0
	.section	.text._ZL20rocblas_gemvt_kernelILb1ELi256E19rocblas_complex_numIfES1_S1_EviiT2_lPKT1_lilS5_lilS2_lPT3_lili,"axG",@progbits,_ZL20rocblas_gemvt_kernelILb1ELi256E19rocblas_complex_numIfES1_S1_EviiT2_lPKT1_lilS5_lilS2_lPT3_lili,comdat
	.globl	_ZL20rocblas_gemvt_kernelILb1ELi256E19rocblas_complex_numIfES1_S1_EviiT2_lPKT1_lilS5_lilS2_lPT3_lili ; -- Begin function _ZL20rocblas_gemvt_kernelILb1ELi256E19rocblas_complex_numIfES1_S1_EviiT2_lPKT1_lilS5_lilS2_lPT3_lili
	.p2align	8
	.type	_ZL20rocblas_gemvt_kernelILb1ELi256E19rocblas_complex_numIfES1_S1_EviiT2_lPKT1_lilS5_lilS2_lPT3_lili,@function
_ZL20rocblas_gemvt_kernelILb1ELi256E19rocblas_complex_numIfES1_S1_EviiT2_lPKT1_lilS5_lilS2_lPT3_lili: ; @_ZL20rocblas_gemvt_kernelILb1ELi256E19rocblas_complex_numIfES1_S1_EviiT2_lPKT1_lilS5_lilS2_lPT3_lili
; %bb.0:
	s_load_dwordx2 s[14:15], s[0:1], 0x8
	s_load_dwordx2 s[12:13], s[0:1], 0x58
	s_waitcnt lgkmcnt(0)
	v_cmp_eq_f32_e64 s[4:5], s14, 0
	v_cmp_eq_f32_e64 s[6:7], s15, 0
	s_and_b64 s[4:5], s[4:5], s[6:7]
	v_cmp_eq_f32_e64 s[6:7], s12, 1.0
	v_cmp_eq_f32_e64 s[8:9], s13, 0
	s_and_b64 s[6:7], s[6:7], s[8:9]
	s_and_b64 s[4:5], s[4:5], s[6:7]
	s_and_b64 vcc, exec, s[4:5]
	s_cbranch_vccnz .LBB141_35
; %bb.1:
	s_load_dwordx2 s[8:9], s[0:1], 0x80
	s_load_dwordx4 s[4:7], s[0:1], 0x68
	s_load_dword s33, s[0:1], 0x78
	v_cmp_eq_u32_e32 vcc, 0, v0
	s_waitcnt lgkmcnt(0)
	s_mul_i32 s9, s3, s9
	s_mul_hi_u32 s10, s3, s8
	s_mul_i32 s8, s3, s8
	s_add_i32 s9, s10, s9
	s_lshl_b64 s[8:9], s[8:9], 3
	s_add_u32 s8, s4, s8
	s_addc_u32 s9, s5, s9
	s_lshl_b64 s[4:5], s[6:7], 3
	s_add_u32 s30, s8, s4
	s_addc_u32 s31, s9, s5
	s_or_b32 s4, s14, s15
	s_bitset0_b32 s4, 31
	s_cmp_lg_u32 s4, 0
	s_mov_b64 s[4:5], -1
	s_cbranch_scc1 .LBB141_7
; %bb.2:
	s_and_saveexec_b64 s[4:5], vcc
	s_cbranch_execz .LBB141_6
; %bb.3:
	v_cmp_neq_f32_e64 s[8:9], s12, 0
	v_cmp_neq_f32_e64 s[10:11], s13, 0
	s_or_b64 s[8:9], s[8:9], s[10:11]
	s_mul_hi_i32 s7, s33, s2
	s_mul_i32 s6, s33, s2
	v_mov_b32_e32 v1, 0
	s_andn2_b64 vcc, exec, s[8:9]
	v_mov_b32_e32 v2, 0
	v_mov_b32_e32 v3, 0
	s_cbranch_vccnz .LBB141_5
; %bb.4:
	s_lshl_b64 s[8:9], s[6:7], 3
	s_add_u32 s8, s30, s8
	s_addc_u32 s9, s31, s9
	s_load_dwordx2 s[8:9], s[8:9], 0x0
	s_waitcnt lgkmcnt(0)
	v_mov_b64_e32 v[4:5], s[8:9]
	v_pk_mul_f32 v[6:7], s[12:13], v[4:5] op_sel:[0,1]
	s_nop 0
	v_pk_fma_f32 v[2:3], s[12:13], v[4:5], v[6:7] op_sel:[0,0,1] op_sel_hi:[1,1,0] neg_lo:[0,0,1] neg_hi:[0,0,1]
	v_pk_fma_f32 v[4:5], s[12:13], v[4:5], v[6:7] op_sel:[0,0,1] op_sel_hi:[1,0,0]
	s_nop 0
	v_mov_b32_e32 v3, v5
.LBB141_5:
	s_lshl_b64 s[6:7], s[6:7], 3
	s_add_u32 s6, s30, s6
	s_addc_u32 s7, s31, s7
	global_store_dwordx2 v1, v[2:3], s[6:7]
.LBB141_6:
	s_or_b64 exec, exec, s[4:5]
	s_mov_b64 s[4:5], 0
.LBB141_7:
	s_andn2_b64 vcc, exec, s[4:5]
	s_cbranch_vccnz .LBB141_35
; %bb.8:
	s_load_dwordx2 s[20:21], s[0:1], 0x50
	s_load_dword s34, s[0:1], 0x0
	s_load_dwordx4 s[8:11], s[0:1], 0x18
	s_load_dword s17, s[0:1], 0x28
	s_load_dwordx4 s[4:7], s[0:1], 0x30
	s_load_dwordx2 s[18:19], s[0:1], 0x40
	s_load_dword s16, s[0:1], 0x48
	s_waitcnt lgkmcnt(0)
	s_mul_i32 s0, s3, s21
	s_mul_hi_u32 s1, s3, s20
	s_add_i32 s1, s1, s0
	s_mul_i32 s0, s3, s20
	s_mul_i32 s5, s3, s5
	s_mul_hi_u32 s20, s3, s4
	s_add_i32 s21, s20, s5
	s_mul_i32 s20, s3, s4
	s_ashr_i32 s3, s34, 31
	s_lshr_b32 s3, s3, 24
	s_mov_b32 s24, 0
	v_cmp_gt_i32_e32 vcc, s34, v0
	s_add_i32 s3, s34, s3
	s_and_b32 s4, s3, 0xffffff00
	v_cndmask_b32_e32 v1, 0, v0, vcc
	s_mov_b32 s25, s24
	v_mov_b32_e32 v4, 0
	s_mul_hi_i32 s23, s17, s2
	s_mul_i32 s22, s17, s2
	s_cmpk_lt_i32 s34, 0x100
	v_mov_b64_e32 v[6:7], s[24:25]
	v_lshlrev_b32_e32 v2, 3, v1
	s_cbranch_scc1 .LBB141_12
; %bb.9:
	v_mad_i64_i32 v[6:7], s[28:29], s16, v0, 0
	s_ashr_i32 s17, s16, 31
	s_lshl_b64 s[26:27], s[0:1], 3
	s_lshl_b64 s[28:29], s[18:19], 3
	s_add_u32 s3, s6, s28
	s_addc_u32 s5, s7, s29
	s_add_u32 s26, s3, s26
	s_addc_u32 s27, s5, s27
	v_lshl_add_u64 v[6:7], v[6:7], 3, s[26:27]
	s_lshl_b64 s[26:27], s[16:17], 11
	s_lshl_b64 s[28:29], s[22:23], 3
	;; [unrolled: 1-line block ×3, first 2 shown]
	s_add_u32 s3, s28, s36
	s_addc_u32 s5, s29, s37
	s_lshl_b64 s[28:29], s[10:11], 3
	s_add_u32 s3, s3, s28
	s_addc_u32 s5, s5, s29
	s_add_u32 s28, s8, s3
	v_mov_b32_e32 v3, v4
	s_addc_u32 s29, s9, s5
	v_lshl_add_u64 v[8:9], s[28:29], 0, v[2:3]
	v_lshl_add_u64 v[8:9], v[8:9], 0, 4
	s_mov_b64 s[28:29], 0x800
	v_mov_b32_e32 v5, v4
.LBB141_10:                             ; =>This Inner Loop Header: Depth=1
	global_load_dwordx2 v[10:11], v[8:9], off offset:-4
	global_load_dwordx2 v[12:13], v[6:7], off
	s_addk_i32 s24, 0x100
	v_lshl_add_u64 v[6:7], v[6:7], 0, s[26:27]
	v_lshl_add_u64 v[8:9], v[8:9], 0, s[28:29]
	s_cmp_ge_i32 s24, s4
	s_waitcnt vmcnt(0)
	v_pk_mul_f32 v[14:15], v[10:11], v[12:13] op_sel:[1,0]
	s_nop 0
	v_pk_fma_f32 v[16:17], v[10:11], v[12:13], v[14:15] op_sel:[0,0,1] op_sel_hi:[1,1,0]
	v_pk_fma_f32 v[10:11], v[10:11], v[12:13], v[14:15] op_sel:[0,0,1] op_sel_hi:[0,1,0] neg_lo:[0,0,1] neg_hi:[0,0,1]
	v_mov_b32_e32 v17, v11
	v_pk_add_f32 v[4:5], v[4:5], v[16:17]
	s_cbranch_scc0 .LBB141_10
; %bb.11:
	v_mov_b64_e32 v[6:7], v[4:5]
.LBB141_12:
	v_add_u32_e32 v1, s4, v0
	v_cmp_gt_i32_e32 vcc, s34, v1
	s_and_saveexec_b64 s[24:25], vcc
	s_cbranch_execz .LBB141_14
; %bb.13:
	s_lshl_b64 s[20:21], s[20:21], 3
	s_add_u32 s3, s8, s20
	s_addc_u32 s5, s9, s21
	s_lshl_b64 s[8:9], s[10:11], 3
	s_add_u32 s3, s3, s8
	s_addc_u32 s10, s5, s9
	s_lshl_b64 s[8:9], s[22:23], 3
	s_lshl_b64 s[0:1], s[0:1], 3
	s_add_u32 s5, s6, s0
	s_addc_u32 s6, s7, s1
	s_lshl_b64 s[0:1], s[18:19], 3
	s_add_u32 s0, s5, s0
	s_addc_u32 s1, s6, s1
	s_ashr_i32 s5, s4, 31
	s_lshl_b64 s[4:5], s[4:5], 3
	s_add_u32 s4, s4, s8
	s_addc_u32 s5, s5, s9
	v_mad_i64_i32 v[4:5], s[6:7], s16, v1, 0
	s_add_u32 s4, s4, s3
	v_lshl_add_u64 v[4:5], v[4:5], 3, s[0:1]
	s_addc_u32 s5, s5, s10
	global_load_dwordx2 v[8:9], v[4:5], off
	global_load_dwordx2 v[10:11], v2, s[4:5]
	s_waitcnt vmcnt(0)
	v_pk_mul_f32 v[2:3], v[10:11], v[8:9] op_sel:[1,0]
	s_nop 0
	v_pk_fma_f32 v[4:5], v[10:11], v[8:9], v[2:3] op_sel:[0,0,1] op_sel_hi:[1,1,0]
	v_pk_fma_f32 v[2:3], v[10:11], v[8:9], v[2:3] op_sel:[0,0,1] op_sel_hi:[0,1,0] neg_lo:[0,0,1] neg_hi:[0,0,1]
	v_mov_b32_e32 v5, v3
	v_pk_add_f32 v[6:7], v[6:7], v[4:5]
.LBB141_14:
	s_or_b64 exec, exec, s[24:25]
	s_movk_i32 s0, 0x80
	v_lshlrev_b32_e32 v1, 3, v0
	v_cmp_gt_u32_e32 vcc, s0, v0
	ds_write_b64 v1, v[6:7]
	s_waitcnt lgkmcnt(0)
	s_barrier
	s_and_saveexec_b64 s[0:1], vcc
	s_cbranch_execz .LBB141_16
; %bb.15:
	ds_read2st64_b64 v[2:5], v1 offset1:2
	s_waitcnt lgkmcnt(0)
	v_pk_add_f32 v[2:3], v[4:5], v[2:3]
	ds_write_b64 v1, v[2:3]
.LBB141_16:
	s_or_b64 exec, exec, s[0:1]
	v_cmp_gt_u32_e32 vcc, 64, v0
	s_waitcnt lgkmcnt(0)
	s_barrier
	s_and_saveexec_b64 s[0:1], vcc
	s_cbranch_execz .LBB141_18
; %bb.17:
	ds_read2st64_b64 v[2:5], v1 offset1:1
	s_waitcnt lgkmcnt(0)
	v_pk_add_f32 v[2:3], v[4:5], v[2:3]
	ds_write_b64 v1, v[2:3]
.LBB141_18:
	s_or_b64 exec, exec, s[0:1]
	v_cmp_gt_u32_e32 vcc, 32, v0
	s_waitcnt lgkmcnt(0)
	s_barrier
	s_and_saveexec_b64 s[0:1], vcc
	s_cbranch_execz .LBB141_20
; %bb.19:
	ds_read2_b64 v[2:5], v1 offset1:32
	s_waitcnt lgkmcnt(0)
	v_pk_add_f32 v[2:3], v[4:5], v[2:3]
	ds_write_b64 v1, v[2:3]
.LBB141_20:
	s_or_b64 exec, exec, s[0:1]
	v_cmp_gt_u32_e32 vcc, 16, v0
	s_waitcnt lgkmcnt(0)
	s_barrier
	s_and_saveexec_b64 s[0:1], vcc
	s_cbranch_execz .LBB141_22
; %bb.21:
	ds_read2_b64 v[2:5], v1 offset1:16
	s_waitcnt lgkmcnt(0)
	v_pk_add_f32 v[2:3], v[4:5], v[2:3]
	ds_write_b64 v1, v[2:3]
.LBB141_22:
	;; [unrolled: 12-line block ×5, first 2 shown]
	s_or_b64 exec, exec, s[0:1]
	v_cmp_eq_u32_e32 vcc, 0, v0
	s_waitcnt lgkmcnt(0)
	s_barrier
	s_and_saveexec_b64 s[0:1], vcc
	s_cbranch_execz .LBB141_30
; %bb.29:
	v_mov_b32_e32 v4, 0
	ds_read_b128 v[0:3], v4
	s_waitcnt lgkmcnt(0)
	v_pk_add_f32 v[0:1], v[2:3], v[0:1]
	ds_write_b64 v4, v[0:1]
.LBB141_30:
	s_or_b64 exec, exec, s[0:1]
	s_waitcnt lgkmcnt(0)
	s_barrier
	s_and_saveexec_b64 s[0:1], vcc
	s_cbranch_execz .LBB141_35
; %bb.31:
	v_mov_b32_e32 v4, 0
	ds_read_b64 v[2:3], v4
	v_cmp_neq_f32_e64 s[4:5], s12, 0
	v_cmp_neq_f32_e64 s[6:7], s13, 0
	s_mov_b32 s0, s15
	s_or_b64 s[4:5], s[4:5], s[6:7]
	s_waitcnt lgkmcnt(0)
	v_pk_mul_f32 v[0:1], v[2:3], s[14:15]
	v_mov_b32_e32 v6, v3
	v_mov_b32_e32 v0, v1
	v_pk_mul_f32 v[6:7], v[6:7], s[14:15]
	v_pk_fma_f32 v[0:1], v[2:3], s[14:15], v[0:1] neg_lo:[0,0,1] neg_hi:[0,0,1]
	v_pk_fma_f32 v[2:3], v[2:3], s[0:1], v[6:7]
	s_mul_hi_i32 s1, s33, s2
	s_andn2_b64 vcc, exec, s[4:5]
	s_mul_i32 s0, s33, s2
	s_cbranch_vccnz .LBB141_33
; %bb.32:
	s_lshl_b64 s[2:3], s[0:1], 3
	s_add_u32 s2, s30, s2
	s_addc_u32 s3, s31, s3
	global_load_dwordx2 v[6:7], v4, s[2:3]
	s_waitcnt vmcnt(0)
	v_pk_mul_f32 v[8:9], s[12:13], v[6:7]
	v_mul_f32_e32 v1, s13, v6
	v_sub_f32_e32 v3, v8, v9
	v_fmac_f32_e32 v1, s12, v7
	v_add_f32_e32 v0, v0, v3
	v_add_f32_e32 v1, v2, v1
	s_branch .LBB141_34
.LBB141_33:
	v_mov_b32_e32 v1, v2
.LBB141_34:
	s_lshl_b64 s[0:1], s[0:1], 3
	s_add_u32 s0, s30, s0
	s_addc_u32 s1, s31, s1
	global_store_dwordx2 v4, v[0:1], s[0:1]
.LBB141_35:
	s_endpgm
	.section	.rodata,"a",@progbits
	.p2align	6, 0x0
	.amdhsa_kernel _ZL20rocblas_gemvt_kernelILb1ELi256E19rocblas_complex_numIfES1_S1_EviiT2_lPKT1_lilS5_lilS2_lPT3_lili
		.amdhsa_group_segment_fixed_size 2048
		.amdhsa_private_segment_fixed_size 0
		.amdhsa_kernarg_size 140
		.amdhsa_user_sgpr_count 2
		.amdhsa_user_sgpr_dispatch_ptr 0
		.amdhsa_user_sgpr_queue_ptr 0
		.amdhsa_user_sgpr_kernarg_segment_ptr 1
		.amdhsa_user_sgpr_dispatch_id 0
		.amdhsa_user_sgpr_kernarg_preload_length 0
		.amdhsa_user_sgpr_kernarg_preload_offset 0
		.amdhsa_user_sgpr_private_segment_size 0
		.amdhsa_uses_dynamic_stack 0
		.amdhsa_enable_private_segment 0
		.amdhsa_system_sgpr_workgroup_id_x 1
		.amdhsa_system_sgpr_workgroup_id_y 0
		.amdhsa_system_sgpr_workgroup_id_z 1
		.amdhsa_system_sgpr_workgroup_info 0
		.amdhsa_system_vgpr_workitem_id 0
		.amdhsa_next_free_vgpr 18
		.amdhsa_next_free_sgpr 38
		.amdhsa_accum_offset 20
		.amdhsa_reserve_vcc 1
		.amdhsa_float_round_mode_32 0
		.amdhsa_float_round_mode_16_64 0
		.amdhsa_float_denorm_mode_32 3
		.amdhsa_float_denorm_mode_16_64 3
		.amdhsa_dx10_clamp 1
		.amdhsa_ieee_mode 1
		.amdhsa_fp16_overflow 0
		.amdhsa_tg_split 0
		.amdhsa_exception_fp_ieee_invalid_op 0
		.amdhsa_exception_fp_denorm_src 0
		.amdhsa_exception_fp_ieee_div_zero 0
		.amdhsa_exception_fp_ieee_overflow 0
		.amdhsa_exception_fp_ieee_underflow 0
		.amdhsa_exception_fp_ieee_inexact 0
		.amdhsa_exception_int_div_zero 0
	.end_amdhsa_kernel
	.section	.text._ZL20rocblas_gemvt_kernelILb1ELi256E19rocblas_complex_numIfES1_S1_EviiT2_lPKT1_lilS5_lilS2_lPT3_lili,"axG",@progbits,_ZL20rocblas_gemvt_kernelILb1ELi256E19rocblas_complex_numIfES1_S1_EviiT2_lPKT1_lilS5_lilS2_lPT3_lili,comdat
.Lfunc_end141:
	.size	_ZL20rocblas_gemvt_kernelILb1ELi256E19rocblas_complex_numIfES1_S1_EviiT2_lPKT1_lilS5_lilS2_lPT3_lili, .Lfunc_end141-_ZL20rocblas_gemvt_kernelILb1ELi256E19rocblas_complex_numIfES1_S1_EviiT2_lPKT1_lilS5_lilS2_lPT3_lili
                                        ; -- End function
	.section	.AMDGPU.csdata,"",@progbits
; Kernel info:
; codeLenInByte = 1488
; NumSgprs: 44
; NumVgprs: 18
; NumAgprs: 0
; TotalNumVgprs: 18
; ScratchSize: 0
; MemoryBound: 0
; FloatMode: 240
; IeeeMode: 1
; LDSByteSize: 2048 bytes/workgroup (compile time only)
; SGPRBlocks: 5
; VGPRBlocks: 2
; NumSGPRsForWavesPerEU: 44
; NumVGPRsForWavesPerEU: 18
; AccumOffset: 20
; Occupancy: 8
; WaveLimiterHint : 1
; COMPUTE_PGM_RSRC2:SCRATCH_EN: 0
; COMPUTE_PGM_RSRC2:USER_SGPR: 2
; COMPUTE_PGM_RSRC2:TRAP_HANDLER: 0
; COMPUTE_PGM_RSRC2:TGID_X_EN: 1
; COMPUTE_PGM_RSRC2:TGID_Y_EN: 0
; COMPUTE_PGM_RSRC2:TGID_Z_EN: 1
; COMPUTE_PGM_RSRC2:TIDIG_COMP_CNT: 0
; COMPUTE_PGM_RSRC3_GFX90A:ACCUM_OFFSET: 4
; COMPUTE_PGM_RSRC3_GFX90A:TG_SPLIT: 0
	.section	.text._ZL32rocblas_gemvt_warp_reduce_kernelILb1ELi1024Ei19rocblas_complex_numIfEPKS1_S1_EviiT3_lPKT2_lT1_lS7_lS8_lS4_lPT4_lS8_li,"axG",@progbits,_ZL32rocblas_gemvt_warp_reduce_kernelILb1ELi1024Ei19rocblas_complex_numIfEPKS1_S1_EviiT3_lPKT2_lT1_lS7_lS8_lS4_lPT4_lS8_li,comdat
	.globl	_ZL32rocblas_gemvt_warp_reduce_kernelILb1ELi1024Ei19rocblas_complex_numIfEPKS1_S1_EviiT3_lPKT2_lT1_lS7_lS8_lS4_lPT4_lS8_li ; -- Begin function _ZL32rocblas_gemvt_warp_reduce_kernelILb1ELi1024Ei19rocblas_complex_numIfEPKS1_S1_EviiT3_lPKT2_lT1_lS7_lS8_lS4_lPT4_lS8_li
	.p2align	8
	.type	_ZL32rocblas_gemvt_warp_reduce_kernelILb1ELi1024Ei19rocblas_complex_numIfEPKS1_S1_EviiT3_lPKT2_lT1_lS7_lS8_lS4_lPT4_lS8_li,@function
_ZL32rocblas_gemvt_warp_reduce_kernelILb1ELi1024Ei19rocblas_complex_numIfEPKS1_S1_EviiT3_lPKT2_lT1_lS7_lS8_lS4_lPT4_lS8_li: ; @_ZL32rocblas_gemvt_warp_reduce_kernelILb1ELi1024Ei19rocblas_complex_numIfEPKS1_S1_EviiT3_lPKT2_lT1_lS7_lS8_lS4_lPT4_lS8_li
; %bb.0:
	s_load_dwordx8 s[4:11], s[0:1], 0x8
	s_load_dwordx8 s[12:19], s[0:1], 0x50
	s_waitcnt lgkmcnt(0)
	s_mul_i32 s7, s3, s7
	s_mul_hi_u32 s20, s3, s6
	s_add_i32 s7, s20, s7
	s_mul_i32 s6, s3, s6
	s_lshl_b64 s[6:7], s[6:7], 3
	s_add_u32 s4, s4, s6
	s_addc_u32 s5, s5, s7
	s_mul_i32 s6, s3, s17
	s_mul_hi_u32 s7, s3, s16
	s_add_i32 s7, s7, s6
	s_mul_i32 s6, s3, s16
	s_lshl_b64 s[16:17], s[6:7], 3
	s_load_dwordx2 s[6:7], s[4:5], 0x0
	s_add_u32 s4, s14, s16
	s_addc_u32 s5, s15, s17
	s_load_dwordx2 s[4:5], s[4:5], 0x0
	s_waitcnt lgkmcnt(0)
	v_cmp_eq_f32_e64 s[14:15], s6, 0
	v_cmp_eq_f32_e64 s[16:17], s7, 0
	s_and_b64 s[14:15], s[14:15], s[16:17]
	v_cmp_eq_f32_e64 s[16:17], s4, 1.0
	v_cmp_eq_f32_e64 s[20:21], s5, 0
	s_and_b64 s[16:17], s[16:17], s[20:21]
	s_and_b64 s[14:15], s[14:15], s[16:17]
	s_and_b64 vcc, exec, s[14:15]
	s_cbranch_vccnz .LBB142_21
; %bb.1:
	s_load_dwordx2 s[14:15], s[0:1], 0x80
	s_load_dwordx2 s[16:17], s[0:1], 0x70
	s_load_dword s20, s[0:1], 0x78
	v_cmp_eq_u32_e32 vcc, 0, v0
	s_waitcnt lgkmcnt(0)
	s_mul_i32 s15, s3, s15
	s_mul_hi_u32 s21, s3, s14
	s_mul_i32 s14, s3, s14
	s_add_i32 s15, s21, s15
	s_lshl_b64 s[14:15], s[14:15], 3
	s_add_u32 s18, s18, s14
	s_addc_u32 s19, s19, s15
	s_lshl_b64 s[14:15], s[16:17], 3
	s_add_u32 s18, s18, s14
	s_addc_u32 s19, s19, s15
	s_or_b32 s14, s6, s7
	s_bitset0_b32 s14, 31
	s_cmp_lg_u32 s14, 0
	s_mov_b64 s[14:15], -1
	s_cbranch_scc1 .LBB142_7
; %bb.2:
	s_and_saveexec_b64 s[14:15], vcc
	s_cbranch_execz .LBB142_6
; %bb.3:
	v_cmp_neq_f32_e64 s[22:23], s4, 0
	v_cmp_neq_f32_e64 s[24:25], s5, 0
	s_mul_i32 s16, s2, s20
	s_or_b64 s[22:23], s[22:23], s[24:25]
	s_ashr_i32 s17, s16, 31
	v_mov_b32_e32 v1, 0
	s_andn2_b64 vcc, exec, s[22:23]
	v_mov_b32_e32 v2, 0
	v_mov_b32_e32 v3, 0
	s_cbranch_vccnz .LBB142_5
; %bb.4:
	s_lshl_b64 s[22:23], s[16:17], 3
	s_add_u32 s22, s18, s22
	s_addc_u32 s23, s19, s23
	s_load_dwordx2 s[22:23], s[22:23], 0x0
	s_waitcnt lgkmcnt(0)
	v_mov_b64_e32 v[4:5], s[22:23]
	v_pk_mul_f32 v[6:7], s[4:5], v[4:5] op_sel:[0,1]
	s_nop 0
	v_pk_fma_f32 v[2:3], s[4:5], v[4:5], v[6:7] op_sel:[0,0,1] op_sel_hi:[1,1,0] neg_lo:[0,0,1] neg_hi:[0,0,1]
	v_pk_fma_f32 v[4:5], s[4:5], v[4:5], v[6:7] op_sel:[0,0,1] op_sel_hi:[1,0,0]
	s_nop 0
	v_mov_b32_e32 v3, v5
.LBB142_5:
	s_lshl_b64 s[16:17], s[16:17], 3
	s_add_u32 s16, s18, s16
	s_addc_u32 s17, s19, s17
	global_store_dwordx2 v1, v[2:3], s[16:17]
.LBB142_6:
	s_or_b64 exec, exec, s[14:15]
	s_mov_b64 s[14:15], 0
.LBB142_7:
	s_andn2_b64 vcc, exec, s[14:15]
	s_cbranch_vccnz .LBB142_21
; %bb.8:
	s_load_dword s16, s[0:1], 0x0
	s_load_dword s21, s[0:1], 0x28
	s_load_dwordx4 s[24:27], s[0:1], 0x30
	s_load_dwordx2 s[14:15], s[0:1], 0x40
	s_mul_i32 s13, s3, s13
	s_mul_hi_u32 s17, s3, s12
	s_add_i32 s13, s17, s13
	s_mul_i32 s12, s3, s12
	s_lshl_b64 s[12:13], s[12:13], 3
	s_waitcnt lgkmcnt(0)
	s_add_u32 s17, s26, s12
	s_addc_u32 s22, s27, s13
	s_lshl_b64 s[12:13], s[14:15], 3
	s_add_u32 s12, s17, s12
	s_load_dword s17, s[0:1], 0x48
	s_mul_i32 s0, s3, s25
	s_mul_hi_u32 s1, s3, s24
	s_addc_u32 s13, s22, s13
	s_add_i32 s1, s1, s0
	s_mul_i32 s0, s3, s24
	s_lshl_b64 s[0:1], s[0:1], 3
	s_add_u32 s3, s8, s0
	s_addc_u32 s8, s9, s1
	s_lshl_b64 s[0:1], s[10:11], 3
	s_add_u32 s3, s3, s0
	s_mul_i32 s0, s2, s21
	s_addc_u32 s9, s8, s1
	s_ashr_i32 s1, s0, 31
	v_cmp_gt_i32_e32 vcc, s16, v0
	s_lshl_b64 s[0:1], s[0:1], 3
	v_mov_b32_e32 v4, 0
	v_cndmask_b32_e32 v1, 0, v0, vcc
	s_add_u32 s0, s0, s3
	v_lshlrev_b32_e32 v2, 3, v1
	v_mov_b32_e32 v3, v4
	s_addc_u32 s1, s1, s9
	v_lshl_add_u64 v[2:3], s[0:1], 0, v[2:3]
	s_ashr_i32 s0, s16, 31
	s_lshr_b32 s0, s0, 22
	s_mov_b32 s8, 0
	s_add_i32 s0, s16, s0
	s_and_b32 s0, s0, 0xfffffc00
	s_mov_b32 s9, s8
	v_cmp_gt_i32_e32 vcc, s0, v0
	v_mov_b64_e32 v[6:7], s[8:9]
	s_and_saveexec_b64 s[8:9], vcc
	s_cbranch_execz .LBB142_12
; %bb.9:
	s_waitcnt lgkmcnt(0)
	v_mul_lo_u32 v6, v0, s17
	s_lshl_b32 s1, s17, 10
	s_mov_b64 s[10:11], 0
	s_mov_b64 s[14:15], 0x2000
	v_mov_b64_e32 v[8:9], v[2:3]
	v_mov_b32_e32 v1, v0
	v_mov_b32_e32 v5, v4
.LBB142_10:                             ; =>This Inner Loop Header: Depth=1
	v_ashrrev_i32_e32 v7, 31, v6
	v_lshl_add_u64 v[12:13], v[6:7], 3, s[12:13]
	global_load_dwordx2 v[10:11], v[8:9], off
	v_add_u32_e32 v6, s1, v6
	global_load_dwordx2 v[12:13], v[12:13], off
	v_add_u32_e32 v1, 0x400, v1
	v_cmp_le_i32_e32 vcc, s0, v1
	v_lshl_add_u64 v[8:9], v[8:9], 0, s[14:15]
	s_or_b64 s[10:11], vcc, s[10:11]
	s_waitcnt vmcnt(1)
	v_mov_b32_e32 v14, v11
	s_waitcnt vmcnt(0)
	v_pk_mul_f32 v[16:17], v[10:11], v[12:13] op_sel:[0,1] op_sel_hi:[1,0]
	v_pk_mul_f32 v[14:15], v[14:15], v[12:13] op_sel:[0,1] op_sel_hi:[1,0]
	v_mov_b32_e32 v7, v16
	v_pk_fma_f32 v[14:15], v[10:11], v[12:13], v[14:15]
	v_pk_fma_f32 v[10:11], v[10:11], v[12:13], v[6:7] op_sel:[0,1,0] op_sel_hi:[1,0,1] neg_lo:[1,0,0] neg_hi:[1,0,0]
	s_nop 0
	v_mov_b32_e32 v15, v11
	v_pk_add_f32 v[4:5], v[4:5], v[14:15]
	s_andn2_b64 exec, exec, s[10:11]
	s_cbranch_execnz .LBB142_10
; %bb.11:
	s_or_b64 exec, exec, s[10:11]
	v_mov_b64_e32 v[6:7], v[4:5]
.LBB142_12:
	s_or_b64 exec, exec, s[8:9]
	v_or_b32_e32 v1, s0, v0
	v_cmp_gt_i32_e32 vcc, s16, v1
	s_and_saveexec_b64 s[8:9], vcc
	s_cbranch_execz .LBB142_14
; %bb.13:
	s_waitcnt lgkmcnt(0)
	v_mul_lo_u32 v4, v1, s17
	s_ashr_i32 s1, s0, 31
	v_ashrrev_i32_e32 v5, 31, v4
	v_lshl_add_u64 v[2:3], s[0:1], 3, v[2:3]
	v_lshl_add_u64 v[4:5], v[4:5], 3, s[12:13]
	global_load_dwordx2 v[2:3], v[2:3], off
	s_nop 0
	global_load_dwordx2 v[4:5], v[4:5], off
	s_waitcnt vmcnt(0)
	v_pk_mul_f32 v[8:9], v[2:3], v[4:5] op_sel:[1,0]
	s_nop 0
	v_pk_fma_f32 v[10:11], v[2:3], v[4:5], v[8:9] op_sel:[0,0,1] op_sel_hi:[1,1,0]
	v_pk_fma_f32 v[2:3], v[2:3], v[4:5], v[8:9] op_sel:[0,0,1] op_sel_hi:[0,1,0] neg_lo:[0,0,1] neg_hi:[0,0,1]
	v_mov_b32_e32 v11, v3
	v_pk_add_f32 v[6:7], v[6:7], v[10:11]
.LBB142_14:
	s_or_b64 exec, exec, s[8:9]
	v_and_b32_e32 v8, 63, v0
	v_cmp_gt_u32_e32 vcc, 64, v0
	v_lshlrev_b32_e32 v1, 3, v8
	s_and_saveexec_b64 s[0:1], vcc
	s_cbranch_execz .LBB142_16
; %bb.15:
	v_mov_b32_e32 v2, 0
	v_mov_b32_e32 v3, v2
	ds_write_b64 v1, v[2:3]
.LBB142_16:
	s_or_b64 exec, exec, s[0:1]
	v_mbcnt_lo_u32_b32 v2, -1, 0
	v_mbcnt_hi_u32_b32 v10, -1, v2
	v_and_b32_e32 v11, 63, v10
	v_cmp_gt_u32_e64 s[0:1], 32, v11
	s_mov_b32 s8, 0
	s_waitcnt lgkmcnt(0)
	v_cndmask_b32_e64 v2, 0, 1, s[0:1]
	v_lshlrev_b32_e32 v2, 5, v2
	v_add_lshl_u32 v3, v2, v10, 2
	ds_bpermute_b32 v2, v3, v6
	ds_bpermute_b32 v3, v3, v7
	v_cmp_gt_u32_e64 s[0:1], 48, v11
	s_barrier
	s_waitcnt lgkmcnt(0)
	v_cndmask_b32_e64 v4, 0, 1, s[0:1]
	v_lshlrev_b32_e32 v4, 4, v4
	v_add_lshl_u32 v5, v4, v10, 2
	v_pk_add_f32 v[2:3], v[6:7], v[2:3]
	ds_bpermute_b32 v4, v5, v2
	ds_bpermute_b32 v5, v5, v3
	v_cmp_gt_u32_e64 s[0:1], 56, v11
	s_waitcnt lgkmcnt(0)
	v_pk_add_f32 v[2:3], v[2:3], v[4:5]
	v_cndmask_b32_e64 v6, 0, 1, s[0:1]
	v_lshlrev_b32_e32 v6, 3, v6
	v_add_lshl_u32 v6, v6, v10, 2
	ds_bpermute_b32 v4, v6, v2
	ds_bpermute_b32 v5, v6, v3
	v_cmp_gt_u32_e64 s[0:1], 60, v11
	s_waitcnt lgkmcnt(0)
	v_pk_add_f32 v[2:3], v[2:3], v[4:5]
	v_cndmask_b32_e64 v7, 0, 1, s[0:1]
	v_lshlrev_b32_e32 v7, 2, v7
	v_add_lshl_u32 v7, v7, v10, 2
	;; [unrolled: 8-line block ×3, first 2 shown]
	ds_bpermute_b32 v4, v9, v2
	ds_bpermute_b32 v5, v9, v3
	v_cmp_ne_u32_e64 s[0:1], 63, v11
	s_waitcnt lgkmcnt(0)
	v_pk_add_f32 v[2:3], v[2:3], v[4:5]
	v_addc_co_u32_e64 v4, s[0:1], 0, v10, s[0:1]
	v_lshlrev_b32_e32 v10, 2, v4
	ds_bpermute_b32 v4, v10, v2
	ds_bpermute_b32 v5, v10, v3
	v_cmp_eq_u32_e64 s[0:1], 0, v8
	s_and_saveexec_b64 s[10:11], s[0:1]
	s_cbranch_execz .LBB142_18
; %bb.17:
	v_lshrrev_b32_e32 v8, 3, v0
	v_and_b32_e32 v8, 0x78, v8
	s_waitcnt lgkmcnt(0)
	v_pk_add_f32 v[2:3], v[2:3], v[4:5]
	ds_write_b64 v8, v[2:3]
.LBB142_18:
	s_or_b64 exec, exec, s[10:11]
	s_mov_b32 s9, s8
	v_cmp_gt_u32_e64 s[0:1], 16, v0
	v_mov_b64_e32 v[2:3], s[8:9]
	s_waitcnt lgkmcnt(0)
	s_barrier
	s_and_saveexec_b64 s[8:9], s[0:1]
	s_cbranch_execnz .LBB142_22
; %bb.19:
	s_or_b64 exec, exec, s[8:9]
	s_and_saveexec_b64 s[0:1], vcc
	s_cbranch_execnz .LBB142_23
.LBB142_20:
	s_or_b64 exec, exec, s[0:1]
	v_cmp_eq_u32_e32 vcc, 0, v0
	s_and_saveexec_b64 s[0:1], vcc
	s_cbranch_execnz .LBB142_24
.LBB142_21:
	s_endpgm
.LBB142_22:
	ds_read_b64 v[2:3], v1
	s_or_b64 exec, exec, s[8:9]
	s_and_saveexec_b64 s[0:1], vcc
	s_cbranch_execz .LBB142_20
.LBB142_23:
	s_waitcnt lgkmcnt(0)
	ds_bpermute_b32 v4, v6, v2
	ds_bpermute_b32 v5, v6, v3
	s_waitcnt lgkmcnt(0)
	v_pk_add_f32 v[2:3], v[2:3], v[4:5]
	ds_bpermute_b32 v4, v7, v2
	ds_bpermute_b32 v5, v7, v3
	s_waitcnt lgkmcnt(0)
	v_pk_add_f32 v[2:3], v[2:3], v[4:5]
	;; [unrolled: 4-line block ×4, first 2 shown]
	s_or_b64 exec, exec, s[0:1]
	v_cmp_eq_u32_e32 vcc, 0, v0
	s_and_saveexec_b64 s[0:1], vcc
	s_cbranch_execz .LBB142_21
.LBB142_24:
	v_cmp_neq_f32_e64 s[8:9], s4, 0
	v_cmp_neq_f32_e64 s[10:11], s5, 0
	s_waitcnt lgkmcnt(0)
	v_pk_mul_f32 v[4:5], v[2:3], s[6:7] op_sel:[1,0]
	s_mul_i32 s0, s2, s20
	s_or_b64 s[2:3], s[8:9], s[10:11]
	v_pk_fma_f32 v[0:1], v[2:3], s[6:7], v[4:5] op_sel:[0,0,1] op_sel_hi:[0,1,0] neg_lo:[0,0,1] neg_hi:[0,0,1]
	v_pk_fma_f32 v[2:3], v[2:3], s[6:7], v[4:5] op_sel:[0,0,1] op_sel_hi:[0,1,0]
	s_andn2_b64 vcc, exec, s[2:3]
	s_ashr_i32 s1, s0, 31
	s_cbranch_vccnz .LBB142_26
; %bb.25:
	s_lshl_b64 s[2:3], s[0:1], 3
	s_add_u32 s2, s18, s2
	s_addc_u32 s3, s19, s3
	v_mov_b32_e32 v1, 0
	global_load_dwordx2 v[4:5], v1, s[2:3]
	v_mov_b32_e32 v1, v3
	s_waitcnt vmcnt(0)
	v_pk_mul_f32 v[2:3], s[4:5], v[4:5] op_sel:[0,1]
	s_nop 0
	v_pk_fma_f32 v[6:7], s[4:5], v[4:5], v[2:3] op_sel:[0,0,1] op_sel_hi:[1,1,0] neg_lo:[0,0,1] neg_hi:[0,0,1]
	v_pk_fma_f32 v[2:3], s[4:5], v[4:5], v[2:3] op_sel:[0,0,1] op_sel_hi:[1,0,0]
	s_nop 0
	v_mov_b32_e32 v7, v3
	v_pk_add_f32 v[0:1], v[0:1], v[6:7]
	s_nop 0
	v_mov_b32_e32 v3, v1
.LBB142_26:
	s_lshl_b64 s[0:1], s[0:1], 3
	s_add_u32 s0, s18, s0
	s_addc_u32 s1, s19, s1
	v_mov_b32_e32 v2, 0
	v_mov_b32_e32 v1, v3
	global_store_dwordx2 v2, v[0:1], s[0:1]
	s_endpgm
	.section	.rodata,"a",@progbits
	.p2align	6, 0x0
	.amdhsa_kernel _ZL32rocblas_gemvt_warp_reduce_kernelILb1ELi1024Ei19rocblas_complex_numIfEPKS1_S1_EviiT3_lPKT2_lT1_lS7_lS8_lS4_lPT4_lS8_li
		.amdhsa_group_segment_fixed_size 512
		.amdhsa_private_segment_fixed_size 0
		.amdhsa_kernarg_size 140
		.amdhsa_user_sgpr_count 2
		.amdhsa_user_sgpr_dispatch_ptr 0
		.amdhsa_user_sgpr_queue_ptr 0
		.amdhsa_user_sgpr_kernarg_segment_ptr 1
		.amdhsa_user_sgpr_dispatch_id 0
		.amdhsa_user_sgpr_kernarg_preload_length 0
		.amdhsa_user_sgpr_kernarg_preload_offset 0
		.amdhsa_user_sgpr_private_segment_size 0
		.amdhsa_uses_dynamic_stack 0
		.amdhsa_enable_private_segment 0
		.amdhsa_system_sgpr_workgroup_id_x 1
		.amdhsa_system_sgpr_workgroup_id_y 0
		.amdhsa_system_sgpr_workgroup_id_z 1
		.amdhsa_system_sgpr_workgroup_info 0
		.amdhsa_system_vgpr_workitem_id 0
		.amdhsa_next_free_vgpr 18
		.amdhsa_next_free_sgpr 28
		.amdhsa_accum_offset 20
		.amdhsa_reserve_vcc 1
		.amdhsa_float_round_mode_32 0
		.amdhsa_float_round_mode_16_64 0
		.amdhsa_float_denorm_mode_32 3
		.amdhsa_float_denorm_mode_16_64 3
		.amdhsa_dx10_clamp 1
		.amdhsa_ieee_mode 1
		.amdhsa_fp16_overflow 0
		.amdhsa_tg_split 0
		.amdhsa_exception_fp_ieee_invalid_op 0
		.amdhsa_exception_fp_denorm_src 0
		.amdhsa_exception_fp_ieee_div_zero 0
		.amdhsa_exception_fp_ieee_overflow 0
		.amdhsa_exception_fp_ieee_underflow 0
		.amdhsa_exception_fp_ieee_inexact 0
		.amdhsa_exception_int_div_zero 0
	.end_amdhsa_kernel
	.section	.text._ZL32rocblas_gemvt_warp_reduce_kernelILb1ELi1024Ei19rocblas_complex_numIfEPKS1_S1_EviiT3_lPKT2_lT1_lS7_lS8_lS4_lPT4_lS8_li,"axG",@progbits,_ZL32rocblas_gemvt_warp_reduce_kernelILb1ELi1024Ei19rocblas_complex_numIfEPKS1_S1_EviiT3_lPKT2_lT1_lS7_lS8_lS4_lPT4_lS8_li,comdat
.Lfunc_end142:
	.size	_ZL32rocblas_gemvt_warp_reduce_kernelILb1ELi1024Ei19rocblas_complex_numIfEPKS1_S1_EviiT3_lPKT2_lT1_lS7_lS8_lS4_lPT4_lS8_li, .Lfunc_end142-_ZL32rocblas_gemvt_warp_reduce_kernelILb1ELi1024Ei19rocblas_complex_numIfEPKS1_S1_EviiT3_lPKT2_lT1_lS7_lS8_lS4_lPT4_lS8_li
                                        ; -- End function
	.section	.AMDGPU.csdata,"",@progbits
; Kernel info:
; codeLenInByte = 1748
; NumSgprs: 34
; NumVgprs: 18
; NumAgprs: 0
; TotalNumVgprs: 18
; ScratchSize: 0
; MemoryBound: 0
; FloatMode: 240
; IeeeMode: 1
; LDSByteSize: 512 bytes/workgroup (compile time only)
; SGPRBlocks: 4
; VGPRBlocks: 2
; NumSGPRsForWavesPerEU: 34
; NumVGPRsForWavesPerEU: 18
; AccumOffset: 20
; Occupancy: 8
; WaveLimiterHint : 1
; COMPUTE_PGM_RSRC2:SCRATCH_EN: 0
; COMPUTE_PGM_RSRC2:USER_SGPR: 2
; COMPUTE_PGM_RSRC2:TRAP_HANDLER: 0
; COMPUTE_PGM_RSRC2:TGID_X_EN: 1
; COMPUTE_PGM_RSRC2:TGID_Y_EN: 0
; COMPUTE_PGM_RSRC2:TGID_Z_EN: 1
; COMPUTE_PGM_RSRC2:TIDIG_COMP_CNT: 0
; COMPUTE_PGM_RSRC3_GFX90A:ACCUM_OFFSET: 4
; COMPUTE_PGM_RSRC3_GFX90A:TG_SPLIT: 0
	.section	.text._ZL32rocblas_gemvt_warp_reduce_kernelILb1ELi1024El19rocblas_complex_numIfEPKS1_S1_EviiT3_lPKT2_lT1_lS7_lS8_lS4_lPT4_lS8_li,"axG",@progbits,_ZL32rocblas_gemvt_warp_reduce_kernelILb1ELi1024El19rocblas_complex_numIfEPKS1_S1_EviiT3_lPKT2_lT1_lS7_lS8_lS4_lPT4_lS8_li,comdat
	.globl	_ZL32rocblas_gemvt_warp_reduce_kernelILb1ELi1024El19rocblas_complex_numIfEPKS1_S1_EviiT3_lPKT2_lT1_lS7_lS8_lS4_lPT4_lS8_li ; -- Begin function _ZL32rocblas_gemvt_warp_reduce_kernelILb1ELi1024El19rocblas_complex_numIfEPKS1_S1_EviiT3_lPKT2_lT1_lS7_lS8_lS4_lPT4_lS8_li
	.p2align	8
	.type	_ZL32rocblas_gemvt_warp_reduce_kernelILb1ELi1024El19rocblas_complex_numIfEPKS1_S1_EviiT3_lPKT2_lT1_lS7_lS8_lS4_lPT4_lS8_li,@function
_ZL32rocblas_gemvt_warp_reduce_kernelILb1ELi1024El19rocblas_complex_numIfEPKS1_S1_EviiT3_lPKT2_lT1_lS7_lS8_lS4_lPT4_lS8_li: ; @_ZL32rocblas_gemvt_warp_reduce_kernelILb1ELi1024El19rocblas_complex_numIfEPKS1_S1_EviiT3_lPKT2_lT1_lS7_lS8_lS4_lPT4_lS8_li
; %bb.0:
	s_load_dwordx16 s[36:51], s[0:1], 0x8
	s_load_dwordx16 s[4:19], s[0:1], 0x48
	s_waitcnt lgkmcnt(0)
	s_mul_i32 s20, s3, s39
	s_mul_hi_u32 s21, s3, s38
	s_add_i32 s21, s21, s20
	s_mul_i32 s20, s3, s38
	s_lshl_b64 s[20:21], s[20:21], 3
	s_add_u32 s20, s36, s20
	s_mul_i32 s11, s3, s11
	s_mul_hi_u32 s22, s3, s10
	s_addc_u32 s21, s37, s21
	s_add_i32 s11, s22, s11
	s_mul_i32 s10, s3, s10
	s_lshl_b64 s[22:23], s[10:11], 3
	s_add_u32 s8, s8, s22
	s_load_dwordx2 s[10:11], s[20:21], 0x0
	s_addc_u32 s9, s9, s23
	s_load_dwordx2 s[8:9], s[8:9], 0x0
	s_waitcnt lgkmcnt(0)
	v_cmp_eq_f32_e64 s[20:21], s10, 0
	v_cmp_eq_f32_e64 s[22:23], s11, 0
	s_and_b64 s[20:21], s[20:21], s[22:23]
	v_cmp_eq_f32_e64 s[22:23], s8, 1.0
	v_cmp_eq_f32_e64 s[24:25], s9, 0
	s_and_b64 s[22:23], s[22:23], s[24:25]
	s_and_b64 s[20:21], s[20:21], s[22:23]
	s_and_b64 vcc, exec, s[20:21]
	s_cbranch_vccnz .LBB143_21
; %bb.1:
	s_mul_i32 s19, s3, s19
	s_mul_hi_u32 s20, s3, s18
	s_add_i32 s19, s20, s19
	s_mul_i32 s18, s3, s18
	s_lshl_b64 s[18:19], s[18:19], 3
	s_add_u32 s18, s12, s18
	s_addc_u32 s19, s13, s19
	s_lshl_b64 s[12:13], s[14:15], 3
	s_add_u32 s22, s18, s12
	s_addc_u32 s23, s19, s13
	s_or_b32 s12, s10, s11
	s_bitset0_b32 s12, 31
	s_cmp_lg_u32 s12, 0
	s_mov_b64 s[12:13], -1
	v_cmp_eq_u32_e32 vcc, 0, v0
	s_cbranch_scc1 .LBB143_7
; %bb.2:
	s_and_saveexec_b64 s[12:13], vcc
	s_cbranch_execz .LBB143_6
; %bb.3:
	v_cmp_neq_f32_e64 s[18:19], s8, 0
	v_cmp_neq_f32_e64 s[20:21], s9, 0
	s_ashr_i32 s14, s2, 31
	s_mul_i32 s15, s2, s17
	s_mul_hi_u32 s24, s2, s16
	s_add_i32 s15, s24, s15
	s_mul_i32 s14, s14, s16
	s_or_b64 s[18:19], s[18:19], s[20:21]
	s_add_i32 s15, s15, s14
	s_mul_i32 s14, s2, s16
	v_mov_b32_e32 v1, 0
	s_andn2_b64 vcc, exec, s[18:19]
	v_mov_b32_e32 v2, 0
	v_mov_b32_e32 v3, 0
	s_cbranch_vccnz .LBB143_5
; %bb.4:
	s_lshl_b64 s[18:19], s[14:15], 3
	s_add_u32 s18, s22, s18
	s_addc_u32 s19, s23, s19
	s_load_dwordx2 s[18:19], s[18:19], 0x0
	s_waitcnt lgkmcnt(0)
	v_mov_b64_e32 v[4:5], s[18:19]
	v_pk_mul_f32 v[6:7], s[8:9], v[4:5] op_sel:[0,1]
	s_nop 0
	v_pk_fma_f32 v[2:3], s[8:9], v[4:5], v[6:7] op_sel:[0,0,1] op_sel_hi:[1,1,0] neg_lo:[0,0,1] neg_hi:[0,0,1]
	v_pk_fma_f32 v[4:5], s[8:9], v[4:5], v[6:7] op_sel:[0,0,1] op_sel_hi:[1,0,0]
	s_nop 0
	v_mov_b32_e32 v3, v5
.LBB143_5:
	s_lshl_b64 s[14:15], s[14:15], 3
	s_add_u32 s14, s22, s14
	s_addc_u32 s15, s23, s15
	global_store_dwordx2 v1, v[2:3], s[14:15]
.LBB143_6:
	s_or_b64 exec, exec, s[12:13]
	s_mov_b64 s[12:13], 0
.LBB143_7:
	s_andn2_b64 vcc, exec, s[12:13]
	s_cbranch_vccnz .LBB143_21
; %bb.8:
	s_mul_i32 s7, s3, s7
	s_mul_hi_u32 s12, s3, s6
	s_add_i32 s7, s12, s7
	s_load_dword s1, s[0:1], 0x0
	s_mul_i32 s0, s3, s47
	s_mul_hi_u32 s12, s3, s46
	s_add_i32 s13, s12, s0
	s_mul_i32 s12, s3, s46
	s_lshl_b64 s[12:13], s[12:13], 3
	s_add_u32 s0, s40, s12
	s_mul_i32 s6, s3, s6
	s_addc_u32 s3, s41, s13
	s_lshl_b64 s[12:13], s[42:43], 3
	s_add_u32 s0, s0, s12
	s_addc_u32 s13, s3, s13
	s_ashr_i32 s3, s2, 31
	s_mul_i32 s14, s2, s45
	s_mul_hi_u32 s15, s2, s44
	s_add_i32 s14, s15, s14
	s_mul_i32 s15, s3, s44
	s_add_i32 s15, s14, s15
	s_mul_i32 s14, s2, s44
	s_lshl_b64 s[14:15], s[14:15], 3
	s_add_u32 s14, s14, s0
	s_addc_u32 s15, s15, s13
	s_waitcnt lgkmcnt(0)
	s_ashr_i32 s0, s1, 31
	v_cmp_gt_i32_e32 vcc, s1, v0
	s_lshr_b32 s0, s0, 22
	s_mov_b32 s12, 0
	v_cndmask_b32_e32 v1, 0, v0, vcc
	v_mov_b32_e32 v4, 0
	s_add_i32 s0, s1, s0
	v_lshlrev_b32_e32 v2, 3, v1
	v_mov_b32_e32 v3, v4
	s_and_b32 s0, s0, 0xfffffc00
	s_mov_b32 s13, s12
	v_lshl_add_u64 v[2:3], s[14:15], 0, v[2:3]
	v_cmp_gt_i32_e32 vcc, s0, v0
	v_mov_b64_e32 v[6:7], s[12:13]
	s_and_saveexec_b64 s[12:13], vcc
	s_cbranch_execz .LBB143_12
; %bb.9:
	v_mad_u64_u32 v[6:7], s[18:19], s4, v0, 0
	v_mov_b32_e32 v8, v7
	v_mad_u64_u32 v[8:9], s[18:19], s5, v0, v[8:9]
	s_lshl_b64 s[14:15], s[6:7], 3
	s_lshl_b64 s[18:19], s[50:51], 3
	s_add_u32 s18, s48, s18
	s_addc_u32 s19, s49, s19
	s_add_u32 s14, s18, s14
	v_mov_b32_e32 v7, v8
	s_addc_u32 s15, s19, s15
	v_lshl_add_u64 v[6:7], v[6:7], 3, s[14:15]
	s_lshl_b64 s[18:19], s[4:5], 13
	s_mov_b64 s[14:15], 0
	s_mov_b64 s[20:21], 0x2000
	v_mov_b64_e32 v[8:9], v[2:3]
	v_mov_b32_e32 v1, v0
	v_mov_b32_e32 v5, v4
.LBB143_10:                             ; =>This Inner Loop Header: Depth=1
	global_load_dwordx2 v[10:11], v[8:9], off
	global_load_dwordx2 v[12:13], v[6:7], off
	v_add_u32_e32 v1, 0x400, v1
	v_cmp_le_i32_e32 vcc, s0, v1
	v_lshl_add_u64 v[8:9], v[8:9], 0, s[20:21]
	v_lshl_add_u64 v[6:7], v[6:7], 0, s[18:19]
	s_or_b64 s[14:15], vcc, s[14:15]
	s_waitcnt vmcnt(1)
	v_mov_b32_e32 v14, v11
	s_waitcnt vmcnt(0)
	v_pk_mul_f32 v[16:17], v[10:11], v[12:13] op_sel:[0,1] op_sel_hi:[1,0]
	v_pk_mul_f32 v[14:15], v[14:15], v[12:13] op_sel:[0,1] op_sel_hi:[1,0]
	v_mov_b32_e32 v17, v16
	v_pk_fma_f32 v[14:15], v[10:11], v[12:13], v[14:15]
	v_pk_fma_f32 v[10:11], v[10:11], v[12:13], v[16:17] op_sel:[0,1,0] op_sel_hi:[1,0,1] neg_lo:[1,0,0] neg_hi:[1,0,0]
	s_nop 0
	v_mov_b32_e32 v15, v11
	v_pk_add_f32 v[4:5], v[4:5], v[14:15]
	s_andn2_b64 exec, exec, s[14:15]
	s_cbranch_execnz .LBB143_10
; %bb.11:
	s_or_b64 exec, exec, s[14:15]
	v_mov_b64_e32 v[6:7], v[4:5]
.LBB143_12:
	s_or_b64 exec, exec, s[12:13]
	v_or_b32_e32 v1, s0, v0
	v_cmp_gt_i32_e32 vcc, s1, v1
	s_and_saveexec_b64 s[12:13], vcc
	s_cbranch_execz .LBB143_14
; %bb.13:
	s_lshl_b64 s[6:7], s[6:7], 3
	s_add_u32 s1, s48, s6
	s_addc_u32 s14, s49, s7
	s_lshl_b64 s[6:7], s[50:51], 3
	s_add_u32 s6, s1, s6
	s_addc_u32 s7, s14, s7
	s_ashr_i32 s1, s0, 31
	v_ashrrev_i32_e32 v4, 31, v1
	v_lshl_add_u64 v[2:3], s[0:1], 3, v[2:3]
	v_mul_lo_u32 v8, v1, s5
	v_mul_lo_u32 v9, v4, s4
	v_mad_u64_u32 v[4:5], s[0:1], v1, s4, 0
	v_add3_u32 v5, v5, v8, v9
	v_lshl_add_u64 v[4:5], v[4:5], 3, s[6:7]
	global_load_dwordx2 v[2:3], v[2:3], off
	s_nop 0
	global_load_dwordx2 v[4:5], v[4:5], off
	s_waitcnt vmcnt(0)
	v_pk_mul_f32 v[8:9], v[2:3], v[4:5] op_sel:[1,0]
	s_nop 0
	v_pk_fma_f32 v[10:11], v[2:3], v[4:5], v[8:9] op_sel:[0,0,1] op_sel_hi:[1,1,0]
	v_pk_fma_f32 v[2:3], v[2:3], v[4:5], v[8:9] op_sel:[0,0,1] op_sel_hi:[0,1,0] neg_lo:[0,0,1] neg_hi:[0,0,1]
	v_mov_b32_e32 v11, v3
	v_pk_add_f32 v[6:7], v[6:7], v[10:11]
.LBB143_14:
	s_or_b64 exec, exec, s[12:13]
	v_and_b32_e32 v8, 63, v0
	v_cmp_gt_u32_e32 vcc, 64, v0
	v_lshlrev_b32_e32 v1, 3, v8
	s_and_saveexec_b64 s[0:1], vcc
	s_cbranch_execz .LBB143_16
; %bb.15:
	v_mov_b32_e32 v2, 0
	v_mov_b32_e32 v3, v2
	ds_write_b64 v1, v[2:3]
.LBB143_16:
	s_or_b64 exec, exec, s[0:1]
	v_mbcnt_lo_u32_b32 v2, -1, 0
	v_mbcnt_hi_u32_b32 v10, -1, v2
	v_and_b32_e32 v11, 63, v10
	v_cmp_gt_u32_e64 s[0:1], 32, v11
	s_mov_b32 s4, 0
	s_waitcnt lgkmcnt(0)
	v_cndmask_b32_e64 v2, 0, 1, s[0:1]
	v_lshlrev_b32_e32 v2, 5, v2
	v_add_lshl_u32 v3, v2, v10, 2
	ds_bpermute_b32 v2, v3, v6
	ds_bpermute_b32 v3, v3, v7
	v_cmp_gt_u32_e64 s[0:1], 48, v11
	s_barrier
	s_waitcnt lgkmcnt(0)
	v_cndmask_b32_e64 v4, 0, 1, s[0:1]
	v_lshlrev_b32_e32 v4, 4, v4
	v_add_lshl_u32 v5, v4, v10, 2
	v_pk_add_f32 v[2:3], v[6:7], v[2:3]
	ds_bpermute_b32 v4, v5, v2
	ds_bpermute_b32 v5, v5, v3
	v_cmp_gt_u32_e64 s[0:1], 56, v11
	s_waitcnt lgkmcnt(0)
	v_pk_add_f32 v[2:3], v[2:3], v[4:5]
	v_cndmask_b32_e64 v6, 0, 1, s[0:1]
	v_lshlrev_b32_e32 v6, 3, v6
	v_add_lshl_u32 v6, v6, v10, 2
	ds_bpermute_b32 v4, v6, v2
	ds_bpermute_b32 v5, v6, v3
	v_cmp_gt_u32_e64 s[0:1], 60, v11
	s_waitcnt lgkmcnt(0)
	v_pk_add_f32 v[2:3], v[2:3], v[4:5]
	v_cndmask_b32_e64 v7, 0, 1, s[0:1]
	v_lshlrev_b32_e32 v7, 2, v7
	v_add_lshl_u32 v7, v7, v10, 2
	;; [unrolled: 8-line block ×3, first 2 shown]
	ds_bpermute_b32 v4, v9, v2
	ds_bpermute_b32 v5, v9, v3
	v_cmp_ne_u32_e64 s[0:1], 63, v11
	s_waitcnt lgkmcnt(0)
	v_pk_add_f32 v[2:3], v[2:3], v[4:5]
	v_addc_co_u32_e64 v4, s[0:1], 0, v10, s[0:1]
	v_lshlrev_b32_e32 v10, 2, v4
	ds_bpermute_b32 v4, v10, v2
	ds_bpermute_b32 v5, v10, v3
	v_cmp_eq_u32_e64 s[0:1], 0, v8
	s_and_saveexec_b64 s[6:7], s[0:1]
	s_cbranch_execz .LBB143_18
; %bb.17:
	v_lshrrev_b32_e32 v8, 3, v0
	v_and_b32_e32 v8, 0x78, v8
	s_waitcnt lgkmcnt(0)
	v_pk_add_f32 v[2:3], v[2:3], v[4:5]
	ds_write_b64 v8, v[2:3]
.LBB143_18:
	s_or_b64 exec, exec, s[6:7]
	s_mov_b32 s5, s4
	v_cmp_gt_u32_e64 s[0:1], 16, v0
	v_mov_b64_e32 v[2:3], s[4:5]
	s_waitcnt lgkmcnt(0)
	s_barrier
	s_and_saveexec_b64 s[4:5], s[0:1]
	s_cbranch_execnz .LBB143_22
; %bb.19:
	s_or_b64 exec, exec, s[4:5]
	s_and_saveexec_b64 s[0:1], vcc
	s_cbranch_execnz .LBB143_23
.LBB143_20:
	s_or_b64 exec, exec, s[0:1]
	v_cmp_eq_u32_e32 vcc, 0, v0
	s_and_saveexec_b64 s[0:1], vcc
	s_cbranch_execnz .LBB143_24
.LBB143_21:
	s_endpgm
.LBB143_22:
	ds_read_b64 v[2:3], v1
	s_or_b64 exec, exec, s[4:5]
	s_and_saveexec_b64 s[0:1], vcc
	s_cbranch_execz .LBB143_20
.LBB143_23:
	s_waitcnt lgkmcnt(0)
	ds_bpermute_b32 v4, v6, v2
	ds_bpermute_b32 v5, v6, v3
	s_waitcnt lgkmcnt(0)
	v_pk_add_f32 v[2:3], v[2:3], v[4:5]
	ds_bpermute_b32 v4, v7, v2
	ds_bpermute_b32 v5, v7, v3
	s_waitcnt lgkmcnt(0)
	v_pk_add_f32 v[2:3], v[2:3], v[4:5]
	;; [unrolled: 4-line block ×4, first 2 shown]
	s_or_b64 exec, exec, s[0:1]
	v_cmp_eq_u32_e32 vcc, 0, v0
	s_and_saveexec_b64 s[0:1], vcc
	s_cbranch_execz .LBB143_21
.LBB143_24:
	v_cmp_neq_f32_e64 s[4:5], s8, 0
	v_cmp_neq_f32_e64 s[6:7], s9, 0
	s_mul_i32 s0, s2, s17
	s_mul_hi_u32 s1, s2, s16
	s_waitcnt lgkmcnt(0)
	v_pk_mul_f32 v[4:5], v[2:3], s[10:11] op_sel:[1,0]
	s_add_i32 s0, s1, s0
	s_mul_i32 s1, s3, s16
	s_or_b64 s[4:5], s[4:5], s[6:7]
	v_pk_fma_f32 v[0:1], v[2:3], s[10:11], v[4:5] op_sel:[0,0,1] op_sel_hi:[0,1,0] neg_lo:[0,0,1] neg_hi:[0,0,1]
	v_pk_fma_f32 v[2:3], v[2:3], s[10:11], v[4:5] op_sel:[0,0,1] op_sel_hi:[0,1,0]
	s_add_i32 s1, s0, s1
	s_andn2_b64 vcc, exec, s[4:5]
	s_mul_i32 s0, s2, s16
	s_cbranch_vccnz .LBB143_26
; %bb.25:
	s_lshl_b64 s[2:3], s[0:1], 3
	s_add_u32 s2, s22, s2
	s_addc_u32 s3, s23, s3
	v_mov_b32_e32 v1, 0
	global_load_dwordx2 v[4:5], v1, s[2:3]
	v_mov_b32_e32 v1, v3
	s_waitcnt vmcnt(0)
	v_pk_mul_f32 v[2:3], s[8:9], v[4:5] op_sel:[0,1]
	s_nop 0
	v_pk_fma_f32 v[6:7], s[8:9], v[4:5], v[2:3] op_sel:[0,0,1] op_sel_hi:[1,1,0] neg_lo:[0,0,1] neg_hi:[0,0,1]
	v_pk_fma_f32 v[2:3], s[8:9], v[4:5], v[2:3] op_sel:[0,0,1] op_sel_hi:[1,0,0]
	s_nop 0
	v_mov_b32_e32 v7, v3
	v_pk_add_f32 v[0:1], v[0:1], v[6:7]
	s_nop 0
	v_mov_b32_e32 v3, v1
.LBB143_26:
	s_lshl_b64 s[0:1], s[0:1], 3
	s_add_u32 s0, s22, s0
	s_addc_u32 s1, s23, s1
	v_mov_b32_e32 v2, 0
	v_mov_b32_e32 v1, v3
	global_store_dwordx2 v2, v[0:1], s[0:1]
	s_endpgm
	.section	.rodata,"a",@progbits
	.p2align	6, 0x0
	.amdhsa_kernel _ZL32rocblas_gemvt_warp_reduce_kernelILb1ELi1024El19rocblas_complex_numIfEPKS1_S1_EviiT3_lPKT2_lT1_lS7_lS8_lS4_lPT4_lS8_li
		.amdhsa_group_segment_fixed_size 512
		.amdhsa_private_segment_fixed_size 0
		.amdhsa_kernarg_size 140
		.amdhsa_user_sgpr_count 2
		.amdhsa_user_sgpr_dispatch_ptr 0
		.amdhsa_user_sgpr_queue_ptr 0
		.amdhsa_user_sgpr_kernarg_segment_ptr 1
		.amdhsa_user_sgpr_dispatch_id 0
		.amdhsa_user_sgpr_kernarg_preload_length 0
		.amdhsa_user_sgpr_kernarg_preload_offset 0
		.amdhsa_user_sgpr_private_segment_size 0
		.amdhsa_uses_dynamic_stack 0
		.amdhsa_enable_private_segment 0
		.amdhsa_system_sgpr_workgroup_id_x 1
		.amdhsa_system_sgpr_workgroup_id_y 0
		.amdhsa_system_sgpr_workgroup_id_z 1
		.amdhsa_system_sgpr_workgroup_info 0
		.amdhsa_system_vgpr_workitem_id 0
		.amdhsa_next_free_vgpr 18
		.amdhsa_next_free_sgpr 52
		.amdhsa_accum_offset 20
		.amdhsa_reserve_vcc 1
		.amdhsa_float_round_mode_32 0
		.amdhsa_float_round_mode_16_64 0
		.amdhsa_float_denorm_mode_32 3
		.amdhsa_float_denorm_mode_16_64 3
		.amdhsa_dx10_clamp 1
		.amdhsa_ieee_mode 1
		.amdhsa_fp16_overflow 0
		.amdhsa_tg_split 0
		.amdhsa_exception_fp_ieee_invalid_op 0
		.amdhsa_exception_fp_denorm_src 0
		.amdhsa_exception_fp_ieee_div_zero 0
		.amdhsa_exception_fp_ieee_overflow 0
		.amdhsa_exception_fp_ieee_underflow 0
		.amdhsa_exception_fp_ieee_inexact 0
		.amdhsa_exception_int_div_zero 0
	.end_amdhsa_kernel
	.section	.text._ZL32rocblas_gemvt_warp_reduce_kernelILb1ELi1024El19rocblas_complex_numIfEPKS1_S1_EviiT3_lPKT2_lT1_lS7_lS8_lS4_lPT4_lS8_li,"axG",@progbits,_ZL32rocblas_gemvt_warp_reduce_kernelILb1ELi1024El19rocblas_complex_numIfEPKS1_S1_EviiT3_lPKT2_lT1_lS7_lS8_lS4_lPT4_lS8_li,comdat
.Lfunc_end143:
	.size	_ZL32rocblas_gemvt_warp_reduce_kernelILb1ELi1024El19rocblas_complex_numIfEPKS1_S1_EviiT3_lPKT2_lT1_lS7_lS8_lS4_lPT4_lS8_li, .Lfunc_end143-_ZL32rocblas_gemvt_warp_reduce_kernelILb1ELi1024El19rocblas_complex_numIfEPKS1_S1_EviiT3_lPKT2_lT1_lS7_lS8_lS4_lPT4_lS8_li
                                        ; -- End function
	.section	.AMDGPU.csdata,"",@progbits
; Kernel info:
; codeLenInByte = 1800
; NumSgprs: 58
; NumVgprs: 18
; NumAgprs: 0
; TotalNumVgprs: 18
; ScratchSize: 0
; MemoryBound: 0
; FloatMode: 240
; IeeeMode: 1
; LDSByteSize: 512 bytes/workgroup (compile time only)
; SGPRBlocks: 7
; VGPRBlocks: 2
; NumSGPRsForWavesPerEU: 58
; NumVGPRsForWavesPerEU: 18
; AccumOffset: 20
; Occupancy: 8
; WaveLimiterHint : 0
; COMPUTE_PGM_RSRC2:SCRATCH_EN: 0
; COMPUTE_PGM_RSRC2:USER_SGPR: 2
; COMPUTE_PGM_RSRC2:TRAP_HANDLER: 0
; COMPUTE_PGM_RSRC2:TGID_X_EN: 1
; COMPUTE_PGM_RSRC2:TGID_Y_EN: 0
; COMPUTE_PGM_RSRC2:TGID_Z_EN: 1
; COMPUTE_PGM_RSRC2:TIDIG_COMP_CNT: 0
; COMPUTE_PGM_RSRC3_GFX90A:ACCUM_OFFSET: 4
; COMPUTE_PGM_RSRC3_GFX90A:TG_SPLIT: 0
	.section	.text._ZL32rocblas_gemvt_warp_reduce_kernelILb1ELi1024Ei19rocblas_complex_numIfES1_S1_EviiT3_lPKT2_lT1_lS5_lS6_lS2_lPT4_lS6_li,"axG",@progbits,_ZL32rocblas_gemvt_warp_reduce_kernelILb1ELi1024Ei19rocblas_complex_numIfES1_S1_EviiT3_lPKT2_lT1_lS5_lS6_lS2_lPT4_lS6_li,comdat
	.globl	_ZL32rocblas_gemvt_warp_reduce_kernelILb1ELi1024Ei19rocblas_complex_numIfES1_S1_EviiT3_lPKT2_lT1_lS5_lS6_lS2_lPT4_lS6_li ; -- Begin function _ZL32rocblas_gemvt_warp_reduce_kernelILb1ELi1024Ei19rocblas_complex_numIfES1_S1_EviiT3_lPKT2_lT1_lS5_lS6_lS2_lPT4_lS6_li
	.p2align	8
	.type	_ZL32rocblas_gemvt_warp_reduce_kernelILb1ELi1024Ei19rocblas_complex_numIfES1_S1_EviiT3_lPKT2_lT1_lS5_lS6_lS2_lPT4_lS6_li,@function
_ZL32rocblas_gemvt_warp_reduce_kernelILb1ELi1024Ei19rocblas_complex_numIfES1_S1_EviiT3_lPKT2_lT1_lS5_lS6_lS2_lPT4_lS6_li: ; @_ZL32rocblas_gemvt_warp_reduce_kernelILb1ELi1024Ei19rocblas_complex_numIfES1_S1_EviiT3_lPKT2_lT1_lS5_lS6_lS2_lPT4_lS6_li
; %bb.0:
	s_load_dwordx2 s[6:7], s[0:1], 0x8
	s_load_dwordx2 s[4:5], s[0:1], 0x58
	s_waitcnt lgkmcnt(0)
	v_cmp_eq_f32_e64 s[8:9], s6, 0
	v_cmp_eq_f32_e64 s[10:11], s7, 0
	s_and_b64 s[8:9], s[8:9], s[10:11]
	v_cmp_eq_f32_e64 s[10:11], s4, 1.0
	v_cmp_eq_f32_e64 s[12:13], s5, 0
	s_and_b64 s[10:11], s[10:11], s[12:13]
	s_and_b64 s[8:9], s[8:9], s[10:11]
	s_and_b64 vcc, exec, s[8:9]
	s_cbranch_vccnz .LBB144_21
; %bb.1:
	s_load_dwordx2 s[12:13], s[0:1], 0x80
	s_load_dwordx4 s[8:11], s[0:1], 0x68
	s_load_dword s18, s[0:1], 0x78
	v_cmp_eq_u32_e32 vcc, 0, v0
	s_waitcnt lgkmcnt(0)
	s_mul_i32 s13, s3, s13
	s_mul_hi_u32 s14, s3, s12
	s_mul_i32 s12, s3, s12
	s_add_i32 s13, s14, s13
	s_lshl_b64 s[12:13], s[12:13], 3
	s_add_u32 s12, s8, s12
	s_addc_u32 s13, s9, s13
	s_lshl_b64 s[8:9], s[10:11], 3
	s_add_u32 s16, s12, s8
	s_addc_u32 s17, s13, s9
	s_or_b32 s8, s6, s7
	s_bitset0_b32 s8, 31
	s_cmp_lg_u32 s8, 0
	s_mov_b64 s[8:9], -1
	s_cbranch_scc1 .LBB144_7
; %bb.2:
	s_and_saveexec_b64 s[8:9], vcc
	s_cbranch_execz .LBB144_6
; %bb.3:
	v_cmp_neq_f32_e64 s[12:13], s4, 0
	v_cmp_neq_f32_e64 s[14:15], s5, 0
	s_mul_i32 s10, s2, s18
	s_or_b64 s[12:13], s[12:13], s[14:15]
	s_ashr_i32 s11, s10, 31
	v_mov_b32_e32 v1, 0
	s_andn2_b64 vcc, exec, s[12:13]
	v_mov_b32_e32 v2, 0
	v_mov_b32_e32 v3, 0
	s_cbranch_vccnz .LBB144_5
; %bb.4:
	s_lshl_b64 s[12:13], s[10:11], 3
	s_add_u32 s12, s16, s12
	s_addc_u32 s13, s17, s13
	s_load_dwordx2 s[12:13], s[12:13], 0x0
	s_waitcnt lgkmcnt(0)
	v_mov_b64_e32 v[4:5], s[12:13]
	v_pk_mul_f32 v[6:7], s[4:5], v[4:5] op_sel:[0,1]
	s_nop 0
	v_pk_fma_f32 v[2:3], s[4:5], v[4:5], v[6:7] op_sel:[0,0,1] op_sel_hi:[1,1,0] neg_lo:[0,0,1] neg_hi:[0,0,1]
	v_pk_fma_f32 v[4:5], s[4:5], v[4:5], v[6:7] op_sel:[0,0,1] op_sel_hi:[1,0,0]
	s_nop 0
	v_mov_b32_e32 v3, v5
.LBB144_5:
	s_lshl_b64 s[10:11], s[10:11], 3
	s_add_u32 s10, s16, s10
	s_addc_u32 s11, s17, s11
	global_store_dwordx2 v1, v[2:3], s[10:11]
.LBB144_6:
	s_or_b64 exec, exec, s[8:9]
	s_mov_b64 s[8:9], 0
.LBB144_7:
	s_andn2_b64 vcc, exec, s[8:9]
	s_cbranch_vccnz .LBB144_21
; %bb.8:
	s_load_dwordx2 s[10:11], s[0:1], 0x50
	s_load_dword s9, s[0:1], 0x0
	s_load_dwordx4 s[12:15], s[0:1], 0x18
	s_load_dword s8, s[0:1], 0x28
	s_load_dwordx4 s[20:23], s[0:1], 0x30
	s_load_dwordx2 s[24:25], s[0:1], 0x40
	s_load_dword s19, s[0:1], 0x48
	s_waitcnt lgkmcnt(0)
	s_mul_i32 s0, s3, s11
	s_mul_hi_u32 s1, s3, s10
	s_add_i32 s1, s1, s0
	s_mul_i32 s0, s3, s10
	s_lshl_b64 s[0:1], s[0:1], 3
	s_add_u32 s10, s22, s0
	s_addc_u32 s11, s23, s1
	s_lshl_b64 s[0:1], s[24:25], 3
	s_add_u32 s0, s10, s0
	s_addc_u32 s1, s11, s1
	s_mul_i32 s10, s3, s21
	s_mul_hi_u32 s11, s3, s20
	s_add_i32 s11, s11, s10
	s_mul_i32 s10, s3, s20
	s_lshl_b64 s[10:11], s[10:11], 3
	s_add_u32 s3, s12, s10
	s_addc_u32 s12, s13, s11
	s_lshl_b64 s[10:11], s[14:15], 3
	s_add_u32 s3, s3, s10
	s_addc_u32 s11, s12, s11
	s_mul_i32 s12, s2, s8
	s_ashr_i32 s13, s12, 31
	s_lshl_b64 s[12:13], s[12:13], 3
	s_add_u32 s12, s12, s3
	s_addc_u32 s13, s13, s11
	s_ashr_i32 s3, s9, 31
	v_cmp_gt_i32_e32 vcc, s9, v0
	s_lshr_b32 s3, s3, 22
	s_mov_b32 s10, 0
	v_cndmask_b32_e32 v1, 0, v0, vcc
	v_mov_b32_e32 v4, 0
	s_add_i32 s3, s9, s3
	v_lshlrev_b32_e32 v2, 3, v1
	v_mov_b32_e32 v3, v4
	s_and_b32 s8, s3, 0xfffffc00
	s_mov_b32 s11, s10
	v_lshl_add_u64 v[2:3], s[12:13], 0, v[2:3]
	v_cmp_gt_i32_e32 vcc, s8, v0
	v_mov_b64_e32 v[6:7], s[10:11]
	s_and_saveexec_b64 s[10:11], vcc
	s_cbranch_execz .LBB144_12
; %bb.9:
	v_mul_lo_u32 v6, v0, s19
	s_lshl_b32 s3, s19, 10
	s_mov_b64 s[12:13], 0
	s_mov_b64 s[14:15], 0x2000
	v_mov_b64_e32 v[8:9], v[2:3]
	v_mov_b32_e32 v1, v0
	v_mov_b32_e32 v5, v4
.LBB144_10:                             ; =>This Inner Loop Header: Depth=1
	v_ashrrev_i32_e32 v7, 31, v6
	v_lshl_add_u64 v[12:13], v[6:7], 3, s[0:1]
	global_load_dwordx2 v[10:11], v[8:9], off
	v_add_u32_e32 v6, s3, v6
	global_load_dwordx2 v[12:13], v[12:13], off
	v_add_u32_e32 v1, 0x400, v1
	v_cmp_le_i32_e32 vcc, s8, v1
	v_lshl_add_u64 v[8:9], v[8:9], 0, s[14:15]
	s_or_b64 s[12:13], vcc, s[12:13]
	s_waitcnt vmcnt(1)
	v_mov_b32_e32 v14, v11
	s_waitcnt vmcnt(0)
	v_pk_mul_f32 v[16:17], v[10:11], v[12:13] op_sel:[0,1] op_sel_hi:[1,0]
	v_pk_mul_f32 v[14:15], v[14:15], v[12:13] op_sel:[0,1] op_sel_hi:[1,0]
	v_mov_b32_e32 v7, v16
	v_pk_fma_f32 v[14:15], v[10:11], v[12:13], v[14:15]
	v_pk_fma_f32 v[10:11], v[10:11], v[12:13], v[6:7] op_sel:[0,1,0] op_sel_hi:[1,0,1] neg_lo:[1,0,0] neg_hi:[1,0,0]
	s_nop 0
	v_mov_b32_e32 v15, v11
	v_pk_add_f32 v[4:5], v[4:5], v[14:15]
	s_andn2_b64 exec, exec, s[12:13]
	s_cbranch_execnz .LBB144_10
; %bb.11:
	s_or_b64 exec, exec, s[12:13]
	v_mov_b64_e32 v[6:7], v[4:5]
.LBB144_12:
	s_or_b64 exec, exec, s[10:11]
	v_or_b32_e32 v1, s8, v0
	v_cmp_gt_i32_e32 vcc, s9, v1
	s_and_saveexec_b64 s[10:11], vcc
	s_cbranch_execz .LBB144_14
; %bb.13:
	v_mul_lo_u32 v4, v1, s19
	s_ashr_i32 s9, s8, 31
	v_ashrrev_i32_e32 v5, 31, v4
	v_lshl_add_u64 v[2:3], s[8:9], 3, v[2:3]
	v_lshl_add_u64 v[4:5], v[4:5], 3, s[0:1]
	global_load_dwordx2 v[2:3], v[2:3], off
	s_nop 0
	global_load_dwordx2 v[4:5], v[4:5], off
	s_waitcnt vmcnt(0)
	v_pk_mul_f32 v[8:9], v[2:3], v[4:5] op_sel:[1,0]
	s_nop 0
	v_pk_fma_f32 v[10:11], v[2:3], v[4:5], v[8:9] op_sel:[0,0,1] op_sel_hi:[1,1,0]
	v_pk_fma_f32 v[2:3], v[2:3], v[4:5], v[8:9] op_sel:[0,0,1] op_sel_hi:[0,1,0] neg_lo:[0,0,1] neg_hi:[0,0,1]
	v_mov_b32_e32 v11, v3
	v_pk_add_f32 v[6:7], v[6:7], v[10:11]
.LBB144_14:
	s_or_b64 exec, exec, s[10:11]
	v_and_b32_e32 v8, 63, v0
	v_cmp_gt_u32_e32 vcc, 64, v0
	v_lshlrev_b32_e32 v1, 3, v8
	s_and_saveexec_b64 s[0:1], vcc
	s_cbranch_execz .LBB144_16
; %bb.15:
	v_mov_b32_e32 v2, 0
	v_mov_b32_e32 v3, v2
	ds_write_b64 v1, v[2:3]
.LBB144_16:
	s_or_b64 exec, exec, s[0:1]
	v_mbcnt_lo_u32_b32 v2, -1, 0
	v_mbcnt_hi_u32_b32 v10, -1, v2
	v_and_b32_e32 v11, 63, v10
	v_cmp_gt_u32_e64 s[0:1], 32, v11
	s_mov_b32 s8, 0
	s_waitcnt lgkmcnt(0)
	v_cndmask_b32_e64 v2, 0, 1, s[0:1]
	v_lshlrev_b32_e32 v2, 5, v2
	v_add_lshl_u32 v3, v2, v10, 2
	ds_bpermute_b32 v2, v3, v6
	ds_bpermute_b32 v3, v3, v7
	v_cmp_gt_u32_e64 s[0:1], 48, v11
	s_barrier
	s_waitcnt lgkmcnt(0)
	v_cndmask_b32_e64 v4, 0, 1, s[0:1]
	v_lshlrev_b32_e32 v4, 4, v4
	v_add_lshl_u32 v5, v4, v10, 2
	v_pk_add_f32 v[2:3], v[6:7], v[2:3]
	ds_bpermute_b32 v4, v5, v2
	ds_bpermute_b32 v5, v5, v3
	v_cmp_gt_u32_e64 s[0:1], 56, v11
	s_waitcnt lgkmcnt(0)
	v_pk_add_f32 v[2:3], v[2:3], v[4:5]
	v_cndmask_b32_e64 v6, 0, 1, s[0:1]
	v_lshlrev_b32_e32 v6, 3, v6
	v_add_lshl_u32 v6, v6, v10, 2
	ds_bpermute_b32 v4, v6, v2
	ds_bpermute_b32 v5, v6, v3
	v_cmp_gt_u32_e64 s[0:1], 60, v11
	s_waitcnt lgkmcnt(0)
	v_pk_add_f32 v[2:3], v[2:3], v[4:5]
	v_cndmask_b32_e64 v7, 0, 1, s[0:1]
	v_lshlrev_b32_e32 v7, 2, v7
	v_add_lshl_u32 v7, v7, v10, 2
	;; [unrolled: 8-line block ×3, first 2 shown]
	ds_bpermute_b32 v4, v9, v2
	ds_bpermute_b32 v5, v9, v3
	v_cmp_ne_u32_e64 s[0:1], 63, v11
	s_waitcnt lgkmcnt(0)
	v_pk_add_f32 v[2:3], v[2:3], v[4:5]
	v_addc_co_u32_e64 v4, s[0:1], 0, v10, s[0:1]
	v_lshlrev_b32_e32 v10, 2, v4
	ds_bpermute_b32 v4, v10, v2
	ds_bpermute_b32 v5, v10, v3
	v_cmp_eq_u32_e64 s[0:1], 0, v8
	s_and_saveexec_b64 s[10:11], s[0:1]
	s_cbranch_execz .LBB144_18
; %bb.17:
	v_lshrrev_b32_e32 v8, 3, v0
	v_and_b32_e32 v8, 0x78, v8
	s_waitcnt lgkmcnt(0)
	v_pk_add_f32 v[2:3], v[2:3], v[4:5]
	ds_write_b64 v8, v[2:3]
.LBB144_18:
	s_or_b64 exec, exec, s[10:11]
	s_mov_b32 s9, s8
	v_cmp_gt_u32_e64 s[0:1], 16, v0
	v_mov_b64_e32 v[2:3], s[8:9]
	s_waitcnt lgkmcnt(0)
	s_barrier
	s_and_saveexec_b64 s[8:9], s[0:1]
	s_cbranch_execnz .LBB144_22
; %bb.19:
	s_or_b64 exec, exec, s[8:9]
	s_and_saveexec_b64 s[0:1], vcc
	s_cbranch_execnz .LBB144_23
.LBB144_20:
	s_or_b64 exec, exec, s[0:1]
	v_cmp_eq_u32_e32 vcc, 0, v0
	s_and_saveexec_b64 s[0:1], vcc
	s_cbranch_execnz .LBB144_24
.LBB144_21:
	s_endpgm
.LBB144_22:
	ds_read_b64 v[2:3], v1
	s_or_b64 exec, exec, s[8:9]
	s_and_saveexec_b64 s[0:1], vcc
	s_cbranch_execz .LBB144_20
.LBB144_23:
	s_waitcnt lgkmcnt(0)
	ds_bpermute_b32 v4, v6, v2
	ds_bpermute_b32 v5, v6, v3
	s_waitcnt lgkmcnt(0)
	v_pk_add_f32 v[2:3], v[2:3], v[4:5]
	ds_bpermute_b32 v4, v7, v2
	ds_bpermute_b32 v5, v7, v3
	s_waitcnt lgkmcnt(0)
	v_pk_add_f32 v[2:3], v[2:3], v[4:5]
	ds_bpermute_b32 v4, v9, v2
	ds_bpermute_b32 v5, v9, v3
	s_waitcnt lgkmcnt(0)
	v_pk_add_f32 v[2:3], v[2:3], v[4:5]
	ds_bpermute_b32 v4, v10, v2
	ds_bpermute_b32 v5, v10, v3
	s_waitcnt lgkmcnt(0)
	v_pk_add_f32 v[2:3], v[2:3], v[4:5]
	s_or_b64 exec, exec, s[0:1]
	v_cmp_eq_u32_e32 vcc, 0, v0
	s_and_saveexec_b64 s[0:1], vcc
	s_cbranch_execz .LBB144_21
.LBB144_24:
	v_cmp_neq_f32_e64 s[8:9], s4, 0
	v_cmp_neq_f32_e64 s[10:11], s5, 0
	s_waitcnt lgkmcnt(0)
	v_pk_mul_f32 v[4:5], v[2:3], s[6:7] op_sel:[1,0]
	s_mul_i32 s0, s2, s18
	s_or_b64 s[2:3], s[8:9], s[10:11]
	v_pk_fma_f32 v[0:1], v[2:3], s[6:7], v[4:5] op_sel:[0,0,1] op_sel_hi:[0,1,0] neg_lo:[0,0,1] neg_hi:[0,0,1]
	v_pk_fma_f32 v[2:3], v[2:3], s[6:7], v[4:5] op_sel:[0,0,1] op_sel_hi:[0,1,0]
	s_andn2_b64 vcc, exec, s[2:3]
	s_ashr_i32 s1, s0, 31
	s_cbranch_vccnz .LBB144_26
; %bb.25:
	s_lshl_b64 s[2:3], s[0:1], 3
	s_add_u32 s2, s16, s2
	s_addc_u32 s3, s17, s3
	v_mov_b32_e32 v1, 0
	global_load_dwordx2 v[4:5], v1, s[2:3]
	v_mov_b32_e32 v1, v3
	s_waitcnt vmcnt(0)
	v_pk_mul_f32 v[2:3], s[4:5], v[4:5] op_sel:[0,1]
	s_nop 0
	v_pk_fma_f32 v[6:7], s[4:5], v[4:5], v[2:3] op_sel:[0,0,1] op_sel_hi:[1,1,0] neg_lo:[0,0,1] neg_hi:[0,0,1]
	v_pk_fma_f32 v[2:3], s[4:5], v[4:5], v[2:3] op_sel:[0,0,1] op_sel_hi:[1,0,0]
	s_nop 0
	v_mov_b32_e32 v7, v3
	v_pk_add_f32 v[0:1], v[0:1], v[6:7]
	s_nop 0
	v_mov_b32_e32 v3, v1
.LBB144_26:
	s_lshl_b64 s[0:1], s[0:1], 3
	s_add_u32 s0, s16, s0
	s_addc_u32 s1, s17, s1
	v_mov_b32_e32 v2, 0
	v_mov_b32_e32 v1, v3
	global_store_dwordx2 v2, v[0:1], s[0:1]
	s_endpgm
	.section	.rodata,"a",@progbits
	.p2align	6, 0x0
	.amdhsa_kernel _ZL32rocblas_gemvt_warp_reduce_kernelILb1ELi1024Ei19rocblas_complex_numIfES1_S1_EviiT3_lPKT2_lT1_lS5_lS6_lS2_lPT4_lS6_li
		.amdhsa_group_segment_fixed_size 512
		.amdhsa_private_segment_fixed_size 0
		.amdhsa_kernarg_size 140
		.amdhsa_user_sgpr_count 2
		.amdhsa_user_sgpr_dispatch_ptr 0
		.amdhsa_user_sgpr_queue_ptr 0
		.amdhsa_user_sgpr_kernarg_segment_ptr 1
		.amdhsa_user_sgpr_dispatch_id 0
		.amdhsa_user_sgpr_kernarg_preload_length 0
		.amdhsa_user_sgpr_kernarg_preload_offset 0
		.amdhsa_user_sgpr_private_segment_size 0
		.amdhsa_uses_dynamic_stack 0
		.amdhsa_enable_private_segment 0
		.amdhsa_system_sgpr_workgroup_id_x 1
		.amdhsa_system_sgpr_workgroup_id_y 0
		.amdhsa_system_sgpr_workgroup_id_z 1
		.amdhsa_system_sgpr_workgroup_info 0
		.amdhsa_system_vgpr_workitem_id 0
		.amdhsa_next_free_vgpr 18
		.amdhsa_next_free_sgpr 26
		.amdhsa_accum_offset 20
		.amdhsa_reserve_vcc 1
		.amdhsa_float_round_mode_32 0
		.amdhsa_float_round_mode_16_64 0
		.amdhsa_float_denorm_mode_32 3
		.amdhsa_float_denorm_mode_16_64 3
		.amdhsa_dx10_clamp 1
		.amdhsa_ieee_mode 1
		.amdhsa_fp16_overflow 0
		.amdhsa_tg_split 0
		.amdhsa_exception_fp_ieee_invalid_op 0
		.amdhsa_exception_fp_denorm_src 0
		.amdhsa_exception_fp_ieee_div_zero 0
		.amdhsa_exception_fp_ieee_overflow 0
		.amdhsa_exception_fp_ieee_underflow 0
		.amdhsa_exception_fp_ieee_inexact 0
		.amdhsa_exception_int_div_zero 0
	.end_amdhsa_kernel
	.section	.text._ZL32rocblas_gemvt_warp_reduce_kernelILb1ELi1024Ei19rocblas_complex_numIfES1_S1_EviiT3_lPKT2_lT1_lS5_lS6_lS2_lPT4_lS6_li,"axG",@progbits,_ZL32rocblas_gemvt_warp_reduce_kernelILb1ELi1024Ei19rocblas_complex_numIfES1_S1_EviiT3_lPKT2_lT1_lS5_lS6_lS2_lPT4_lS6_li,comdat
.Lfunc_end144:
	.size	_ZL32rocblas_gemvt_warp_reduce_kernelILb1ELi1024Ei19rocblas_complex_numIfES1_S1_EviiT3_lPKT2_lT1_lS5_lS6_lS2_lPT4_lS6_li, .Lfunc_end144-_ZL32rocblas_gemvt_warp_reduce_kernelILb1ELi1024Ei19rocblas_complex_numIfES1_S1_EviiT3_lPKT2_lT1_lS5_lS6_lS2_lPT4_lS6_li
                                        ; -- End function
	.section	.AMDGPU.csdata,"",@progbits
; Kernel info:
; codeLenInByte = 1680
; NumSgprs: 32
; NumVgprs: 18
; NumAgprs: 0
; TotalNumVgprs: 18
; ScratchSize: 0
; MemoryBound: 0
; FloatMode: 240
; IeeeMode: 1
; LDSByteSize: 512 bytes/workgroup (compile time only)
; SGPRBlocks: 3
; VGPRBlocks: 2
; NumSGPRsForWavesPerEU: 32
; NumVGPRsForWavesPerEU: 18
; AccumOffset: 20
; Occupancy: 8
; WaveLimiterHint : 1
; COMPUTE_PGM_RSRC2:SCRATCH_EN: 0
; COMPUTE_PGM_RSRC2:USER_SGPR: 2
; COMPUTE_PGM_RSRC2:TRAP_HANDLER: 0
; COMPUTE_PGM_RSRC2:TGID_X_EN: 1
; COMPUTE_PGM_RSRC2:TGID_Y_EN: 0
; COMPUTE_PGM_RSRC2:TGID_Z_EN: 1
; COMPUTE_PGM_RSRC2:TIDIG_COMP_CNT: 0
; COMPUTE_PGM_RSRC3_GFX90A:ACCUM_OFFSET: 4
; COMPUTE_PGM_RSRC3_GFX90A:TG_SPLIT: 0
	.section	.text._ZL32rocblas_gemvt_warp_reduce_kernelILb1ELi1024El19rocblas_complex_numIfES1_S1_EviiT3_lPKT2_lT1_lS5_lS6_lS2_lPT4_lS6_li,"axG",@progbits,_ZL32rocblas_gemvt_warp_reduce_kernelILb1ELi1024El19rocblas_complex_numIfES1_S1_EviiT3_lPKT2_lT1_lS5_lS6_lS2_lPT4_lS6_li,comdat
	.globl	_ZL32rocblas_gemvt_warp_reduce_kernelILb1ELi1024El19rocblas_complex_numIfES1_S1_EviiT3_lPKT2_lT1_lS5_lS6_lS2_lPT4_lS6_li ; -- Begin function _ZL32rocblas_gemvt_warp_reduce_kernelILb1ELi1024El19rocblas_complex_numIfES1_S1_EviiT3_lPKT2_lT1_lS5_lS6_lS2_lPT4_lS6_li
	.p2align	8
	.type	_ZL32rocblas_gemvt_warp_reduce_kernelILb1ELi1024El19rocblas_complex_numIfES1_S1_EviiT3_lPKT2_lT1_lS5_lS6_lS2_lPT4_lS6_li,@function
_ZL32rocblas_gemvt_warp_reduce_kernelILb1ELi1024El19rocblas_complex_numIfES1_S1_EviiT3_lPKT2_lT1_lS5_lS6_lS2_lPT4_lS6_li: ; @_ZL32rocblas_gemvt_warp_reduce_kernelILb1ELi1024El19rocblas_complex_numIfES1_S1_EviiT3_lPKT2_lT1_lS5_lS6_lS2_lPT4_lS6_li
; %bb.0:
	s_load_dwordx2 s[26:27], s[0:1], 0x8
	s_load_dwordx2 s[24:25], s[0:1], 0x58
	s_waitcnt lgkmcnt(0)
	v_cmp_eq_f32_e64 s[4:5], s26, 0
	v_cmp_eq_f32_e64 s[6:7], s27, 0
	s_and_b64 s[4:5], s[4:5], s[6:7]
	v_cmp_eq_f32_e64 s[6:7], s24, 1.0
	v_cmp_eq_f32_e64 s[8:9], s25, 0
	s_and_b64 s[6:7], s[6:7], s[8:9]
	s_and_b64 s[4:5], s[4:5], s[6:7]
	s_and_b64 vcc, exec, s[4:5]
	s_cbranch_vccnz .LBB145_21
; %bb.1:
	s_load_dwordx8 s[16:23], s[0:1], 0x68
	v_cmp_eq_u32_e32 vcc, 0, v0
	s_waitcnt lgkmcnt(0)
	s_mul_i32 s5, s3, s23
	s_mul_hi_u32 s6, s3, s22
	s_mul_i32 s4, s3, s22
	s_add_i32 s5, s6, s5
	s_lshl_b64 s[4:5], s[4:5], 3
	s_add_u32 s6, s16, s4
	s_addc_u32 s7, s17, s5
	s_lshl_b64 s[4:5], s[18:19], 3
	s_add_u32 s22, s6, s4
	s_addc_u32 s23, s7, s5
	s_or_b32 s4, s26, s27
	s_bitset0_b32 s4, 31
	s_cmp_lg_u32 s4, 0
	s_mov_b64 s[4:5], -1
	s_cbranch_scc1 .LBB145_7
; %bb.2:
	s_and_saveexec_b64 s[4:5], vcc
	s_cbranch_execz .LBB145_6
; %bb.3:
	v_cmp_neq_f32_e64 s[8:9], s24, 0
	v_cmp_neq_f32_e64 s[10:11], s25, 0
	s_ashr_i32 s6, s2, 31
	s_mul_i32 s7, s2, s21
	s_mul_hi_u32 s12, s2, s20
	s_add_i32 s7, s12, s7
	s_mul_i32 s6, s6, s20
	s_or_b64 s[8:9], s[8:9], s[10:11]
	s_add_i32 s7, s7, s6
	s_mul_i32 s6, s2, s20
	v_mov_b32_e32 v1, 0
	s_andn2_b64 vcc, exec, s[8:9]
	v_mov_b32_e32 v2, 0
	v_mov_b32_e32 v3, 0
	s_cbranch_vccnz .LBB145_5
; %bb.4:
	s_lshl_b64 s[8:9], s[6:7], 3
	s_add_u32 s8, s22, s8
	s_addc_u32 s9, s23, s9
	s_load_dwordx2 s[8:9], s[8:9], 0x0
	s_waitcnt lgkmcnt(0)
	v_mov_b64_e32 v[4:5], s[8:9]
	v_pk_mul_f32 v[6:7], s[24:25], v[4:5] op_sel:[0,1]
	s_nop 0
	v_pk_fma_f32 v[2:3], s[24:25], v[4:5], v[6:7] op_sel:[0,0,1] op_sel_hi:[1,1,0] neg_lo:[0,0,1] neg_hi:[0,0,1]
	v_pk_fma_f32 v[4:5], s[24:25], v[4:5], v[6:7] op_sel:[0,0,1] op_sel_hi:[1,0,0]
	s_nop 0
	v_mov_b32_e32 v3, v5
.LBB145_5:
	s_lshl_b64 s[6:7], s[6:7], 3
	s_add_u32 s6, s22, s6
	s_addc_u32 s7, s23, s7
	global_store_dwordx2 v1, v[2:3], s[6:7]
.LBB145_6:
	s_or_b64 exec, exec, s[4:5]
	s_mov_b64 s[4:5], 0
.LBB145_7:
	s_andn2_b64 vcc, exec, s[4:5]
	s_cbranch_vccnz .LBB145_21
; %bb.8:
	s_load_dwordx16 s[4:19], s[0:1], 0x18
	s_load_dword s28, s[0:1], 0x0
	v_mov_b32_e32 v4, 0
	v_mov_b32_e32 v3, v4
	s_waitcnt lgkmcnt(0)
	s_mul_i32 s1, s3, s19
	s_mul_hi_u32 s19, s3, s18
	s_mul_i32 s0, s3, s18
	s_mul_i32 s11, s3, s11
	s_mul_hi_u32 s18, s3, s10
	s_add_i32 s11, s18, s11
	s_mul_i32 s10, s3, s10
	s_add_i32 s1, s19, s1
	s_lshl_b64 s[10:11], s[10:11], 3
	s_add_u32 s3, s4, s10
	s_addc_u32 s10, s5, s11
	s_lshl_b64 s[4:5], s[6:7], 3
	s_add_u32 s7, s3, s4
	s_addc_u32 s10, s10, s5
	s_ashr_i32 s3, s2, 31
	s_mul_i32 s4, s2, s9
	s_mul_hi_u32 s5, s2, s8
	s_add_i32 s4, s5, s4
	s_mul_i32 s5, s3, s8
	s_add_i32 s5, s4, s5
	s_mul_i32 s4, s2, s8
	v_cmp_gt_i32_e32 vcc, s28, v0
	s_lshl_b64 s[4:5], s[4:5], 3
	s_add_u32 s4, s4, s7
	v_cndmask_b32_e32 v1, 0, v0, vcc
	v_lshlrev_b32_e32 v2, 3, v1
	s_addc_u32 s5, s5, s10
	v_lshl_add_u64 v[2:3], s[4:5], 0, v[2:3]
	s_ashr_i32 s4, s28, 31
	s_lshr_b32 s4, s4, 22
	s_mov_b32 s6, 0
	s_add_i32 s4, s28, s4
	s_and_b32 s4, s4, 0xfffffc00
	s_mov_b32 s7, s6
	v_cmp_gt_i32_e32 vcc, s4, v0
	v_mov_b64_e32 v[6:7], s[6:7]
	s_and_saveexec_b64 s[6:7], vcc
	s_cbranch_execz .LBB145_12
; %bb.9:
	v_mad_u64_u32 v[6:7], s[10:11], s16, v0, 0
	v_mov_b32_e32 v8, v7
	v_mad_u64_u32 v[8:9], s[10:11], s17, v0, v[8:9]
	s_lshl_b64 s[8:9], s[0:1], 3
	s_lshl_b64 s[10:11], s[14:15], 3
	s_add_u32 s5, s12, s10
	s_addc_u32 s10, s13, s11
	s_add_u32 s8, s5, s8
	v_mov_b32_e32 v7, v8
	s_addc_u32 s9, s10, s9
	v_lshl_add_u64 v[6:7], v[6:7], 3, s[8:9]
	s_lshl_b64 s[10:11], s[16:17], 13
	s_mov_b64 s[8:9], 0
	s_mov_b64 s[18:19], 0x2000
	v_mov_b64_e32 v[8:9], v[2:3]
	v_mov_b32_e32 v1, v0
	v_mov_b32_e32 v5, v4
.LBB145_10:                             ; =>This Inner Loop Header: Depth=1
	global_load_dwordx2 v[10:11], v[8:9], off
	global_load_dwordx2 v[12:13], v[6:7], off
	v_add_u32_e32 v1, 0x400, v1
	v_cmp_le_i32_e32 vcc, s4, v1
	v_lshl_add_u64 v[8:9], v[8:9], 0, s[18:19]
	v_lshl_add_u64 v[6:7], v[6:7], 0, s[10:11]
	s_or_b64 s[8:9], vcc, s[8:9]
	s_waitcnt vmcnt(1)
	v_mov_b32_e32 v14, v11
	s_waitcnt vmcnt(0)
	v_pk_mul_f32 v[16:17], v[10:11], v[12:13] op_sel:[0,1] op_sel_hi:[1,0]
	v_pk_mul_f32 v[14:15], v[14:15], v[12:13] op_sel:[0,1] op_sel_hi:[1,0]
	v_mov_b32_e32 v17, v16
	v_pk_fma_f32 v[14:15], v[10:11], v[12:13], v[14:15]
	v_pk_fma_f32 v[10:11], v[10:11], v[12:13], v[16:17] op_sel:[0,1,0] op_sel_hi:[1,0,1] neg_lo:[1,0,0] neg_hi:[1,0,0]
	s_nop 0
	v_mov_b32_e32 v15, v11
	v_pk_add_f32 v[4:5], v[4:5], v[14:15]
	s_andn2_b64 exec, exec, s[8:9]
	s_cbranch_execnz .LBB145_10
; %bb.11:
	s_or_b64 exec, exec, s[8:9]
	v_mov_b64_e32 v[6:7], v[4:5]
.LBB145_12:
	s_or_b64 exec, exec, s[6:7]
	v_or_b32_e32 v1, s4, v0
	v_cmp_gt_i32_e32 vcc, s28, v1
	s_and_saveexec_b64 s[6:7], vcc
	s_cbranch_execz .LBB145_14
; %bb.13:
	s_lshl_b64 s[0:1], s[0:1], 3
	s_add_u32 s5, s12, s0
	s_addc_u32 s8, s13, s1
	s_lshl_b64 s[0:1], s[14:15], 3
	s_add_u32 s0, s5, s0
	s_addc_u32 s1, s8, s1
	s_ashr_i32 s5, s4, 31
	v_ashrrev_i32_e32 v4, 31, v1
	v_lshl_add_u64 v[2:3], s[4:5], 3, v[2:3]
	v_mul_lo_u32 v8, v1, s17
	v_mul_lo_u32 v9, v4, s16
	v_mad_u64_u32 v[4:5], s[4:5], v1, s16, 0
	v_add3_u32 v5, v5, v8, v9
	v_lshl_add_u64 v[4:5], v[4:5], 3, s[0:1]
	global_load_dwordx2 v[2:3], v[2:3], off
	s_nop 0
	global_load_dwordx2 v[4:5], v[4:5], off
	s_waitcnt vmcnt(0)
	v_pk_mul_f32 v[8:9], v[2:3], v[4:5] op_sel:[1,0]
	s_nop 0
	v_pk_fma_f32 v[10:11], v[2:3], v[4:5], v[8:9] op_sel:[0,0,1] op_sel_hi:[1,1,0]
	v_pk_fma_f32 v[2:3], v[2:3], v[4:5], v[8:9] op_sel:[0,0,1] op_sel_hi:[0,1,0] neg_lo:[0,0,1] neg_hi:[0,0,1]
	v_mov_b32_e32 v11, v3
	v_pk_add_f32 v[6:7], v[6:7], v[10:11]
.LBB145_14:
	s_or_b64 exec, exec, s[6:7]
	v_and_b32_e32 v8, 63, v0
	v_cmp_gt_u32_e32 vcc, 64, v0
	v_lshlrev_b32_e32 v1, 3, v8
	s_and_saveexec_b64 s[0:1], vcc
	s_cbranch_execz .LBB145_16
; %bb.15:
	v_mov_b32_e32 v2, 0
	v_mov_b32_e32 v3, v2
	ds_write_b64 v1, v[2:3]
.LBB145_16:
	s_or_b64 exec, exec, s[0:1]
	v_mbcnt_lo_u32_b32 v2, -1, 0
	v_mbcnt_hi_u32_b32 v10, -1, v2
	v_and_b32_e32 v11, 63, v10
	v_cmp_gt_u32_e64 s[0:1], 32, v11
	s_mov_b32 s4, 0
	s_waitcnt lgkmcnt(0)
	v_cndmask_b32_e64 v2, 0, 1, s[0:1]
	v_lshlrev_b32_e32 v2, 5, v2
	v_add_lshl_u32 v3, v2, v10, 2
	ds_bpermute_b32 v2, v3, v6
	ds_bpermute_b32 v3, v3, v7
	v_cmp_gt_u32_e64 s[0:1], 48, v11
	s_barrier
	s_waitcnt lgkmcnt(0)
	v_cndmask_b32_e64 v4, 0, 1, s[0:1]
	v_lshlrev_b32_e32 v4, 4, v4
	v_add_lshl_u32 v5, v4, v10, 2
	v_pk_add_f32 v[2:3], v[6:7], v[2:3]
	ds_bpermute_b32 v4, v5, v2
	ds_bpermute_b32 v5, v5, v3
	v_cmp_gt_u32_e64 s[0:1], 56, v11
	s_waitcnt lgkmcnt(0)
	v_pk_add_f32 v[2:3], v[2:3], v[4:5]
	v_cndmask_b32_e64 v6, 0, 1, s[0:1]
	v_lshlrev_b32_e32 v6, 3, v6
	v_add_lshl_u32 v6, v6, v10, 2
	ds_bpermute_b32 v4, v6, v2
	ds_bpermute_b32 v5, v6, v3
	v_cmp_gt_u32_e64 s[0:1], 60, v11
	s_waitcnt lgkmcnt(0)
	v_pk_add_f32 v[2:3], v[2:3], v[4:5]
	v_cndmask_b32_e64 v7, 0, 1, s[0:1]
	v_lshlrev_b32_e32 v7, 2, v7
	v_add_lshl_u32 v7, v7, v10, 2
	;; [unrolled: 8-line block ×3, first 2 shown]
	ds_bpermute_b32 v4, v9, v2
	ds_bpermute_b32 v5, v9, v3
	v_cmp_ne_u32_e64 s[0:1], 63, v11
	s_waitcnt lgkmcnt(0)
	v_pk_add_f32 v[2:3], v[2:3], v[4:5]
	v_addc_co_u32_e64 v4, s[0:1], 0, v10, s[0:1]
	v_lshlrev_b32_e32 v10, 2, v4
	ds_bpermute_b32 v4, v10, v2
	ds_bpermute_b32 v5, v10, v3
	v_cmp_eq_u32_e64 s[0:1], 0, v8
	s_and_saveexec_b64 s[6:7], s[0:1]
	s_cbranch_execz .LBB145_18
; %bb.17:
	v_lshrrev_b32_e32 v8, 3, v0
	v_and_b32_e32 v8, 0x78, v8
	s_waitcnt lgkmcnt(0)
	v_pk_add_f32 v[2:3], v[2:3], v[4:5]
	ds_write_b64 v8, v[2:3]
.LBB145_18:
	s_or_b64 exec, exec, s[6:7]
	s_mov_b32 s5, s4
	v_cmp_gt_u32_e64 s[0:1], 16, v0
	v_mov_b64_e32 v[2:3], s[4:5]
	s_waitcnt lgkmcnt(0)
	s_barrier
	s_and_saveexec_b64 s[4:5], s[0:1]
	s_cbranch_execnz .LBB145_22
; %bb.19:
	s_or_b64 exec, exec, s[4:5]
	s_and_saveexec_b64 s[0:1], vcc
	s_cbranch_execnz .LBB145_23
.LBB145_20:
	s_or_b64 exec, exec, s[0:1]
	v_cmp_eq_u32_e32 vcc, 0, v0
	s_and_saveexec_b64 s[0:1], vcc
	s_cbranch_execnz .LBB145_24
.LBB145_21:
	s_endpgm
.LBB145_22:
	ds_read_b64 v[2:3], v1
	s_or_b64 exec, exec, s[4:5]
	s_and_saveexec_b64 s[0:1], vcc
	s_cbranch_execz .LBB145_20
.LBB145_23:
	s_waitcnt lgkmcnt(0)
	ds_bpermute_b32 v4, v6, v2
	ds_bpermute_b32 v5, v6, v3
	s_waitcnt lgkmcnt(0)
	v_pk_add_f32 v[2:3], v[2:3], v[4:5]
	ds_bpermute_b32 v4, v7, v2
	ds_bpermute_b32 v5, v7, v3
	s_waitcnt lgkmcnt(0)
	v_pk_add_f32 v[2:3], v[2:3], v[4:5]
	;; [unrolled: 4-line block ×4, first 2 shown]
	s_or_b64 exec, exec, s[0:1]
	v_cmp_eq_u32_e32 vcc, 0, v0
	s_and_saveexec_b64 s[0:1], vcc
	s_cbranch_execz .LBB145_21
.LBB145_24:
	v_cmp_neq_f32_e64 s[4:5], s24, 0
	v_cmp_neq_f32_e64 s[6:7], s25, 0
	s_mul_i32 s0, s2, s21
	s_mul_hi_u32 s1, s2, s20
	s_waitcnt lgkmcnt(0)
	v_pk_mul_f32 v[4:5], v[2:3], s[26:27] op_sel:[1,0]
	s_add_i32 s0, s1, s0
	s_mul_i32 s1, s3, s20
	s_or_b64 s[4:5], s[4:5], s[6:7]
	v_pk_fma_f32 v[0:1], v[2:3], s[26:27], v[4:5] op_sel:[0,0,1] op_sel_hi:[0,1,0] neg_lo:[0,0,1] neg_hi:[0,0,1]
	v_pk_fma_f32 v[2:3], v[2:3], s[26:27], v[4:5] op_sel:[0,0,1] op_sel_hi:[0,1,0]
	s_add_i32 s1, s0, s1
	s_andn2_b64 vcc, exec, s[4:5]
	s_mul_i32 s0, s2, s20
	s_cbranch_vccnz .LBB145_26
; %bb.25:
	s_lshl_b64 s[2:3], s[0:1], 3
	s_add_u32 s2, s22, s2
	s_addc_u32 s3, s23, s3
	v_mov_b32_e32 v1, 0
	global_load_dwordx2 v[4:5], v1, s[2:3]
	v_mov_b32_e32 v1, v3
	s_waitcnt vmcnt(0)
	v_pk_mul_f32 v[2:3], s[24:25], v[4:5] op_sel:[0,1]
	s_nop 0
	v_pk_fma_f32 v[6:7], s[24:25], v[4:5], v[2:3] op_sel:[0,0,1] op_sel_hi:[1,1,0] neg_lo:[0,0,1] neg_hi:[0,0,1]
	v_pk_fma_f32 v[2:3], s[24:25], v[4:5], v[2:3] op_sel:[0,0,1] op_sel_hi:[1,0,0]
	s_nop 0
	v_mov_b32_e32 v7, v3
	v_pk_add_f32 v[0:1], v[0:1], v[6:7]
	s_nop 0
	v_mov_b32_e32 v3, v1
.LBB145_26:
	s_lshl_b64 s[0:1], s[0:1], 3
	s_add_u32 s0, s22, s0
	s_addc_u32 s1, s23, s1
	v_mov_b32_e32 v2, 0
	v_mov_b32_e32 v1, v3
	global_store_dwordx2 v2, v[0:1], s[0:1]
	s_endpgm
	.section	.rodata,"a",@progbits
	.p2align	6, 0x0
	.amdhsa_kernel _ZL32rocblas_gemvt_warp_reduce_kernelILb1ELi1024El19rocblas_complex_numIfES1_S1_EviiT3_lPKT2_lT1_lS5_lS6_lS2_lPT4_lS6_li
		.amdhsa_group_segment_fixed_size 512
		.amdhsa_private_segment_fixed_size 0
		.amdhsa_kernarg_size 140
		.amdhsa_user_sgpr_count 2
		.amdhsa_user_sgpr_dispatch_ptr 0
		.amdhsa_user_sgpr_queue_ptr 0
		.amdhsa_user_sgpr_kernarg_segment_ptr 1
		.amdhsa_user_sgpr_dispatch_id 0
		.amdhsa_user_sgpr_kernarg_preload_length 0
		.amdhsa_user_sgpr_kernarg_preload_offset 0
		.amdhsa_user_sgpr_private_segment_size 0
		.amdhsa_uses_dynamic_stack 0
		.amdhsa_enable_private_segment 0
		.amdhsa_system_sgpr_workgroup_id_x 1
		.amdhsa_system_sgpr_workgroup_id_y 0
		.amdhsa_system_sgpr_workgroup_id_z 1
		.amdhsa_system_sgpr_workgroup_info 0
		.amdhsa_system_vgpr_workitem_id 0
		.amdhsa_next_free_vgpr 18
		.amdhsa_next_free_sgpr 29
		.amdhsa_accum_offset 20
		.amdhsa_reserve_vcc 1
		.amdhsa_float_round_mode_32 0
		.amdhsa_float_round_mode_16_64 0
		.amdhsa_float_denorm_mode_32 3
		.amdhsa_float_denorm_mode_16_64 3
		.amdhsa_dx10_clamp 1
		.amdhsa_ieee_mode 1
		.amdhsa_fp16_overflow 0
		.amdhsa_tg_split 0
		.amdhsa_exception_fp_ieee_invalid_op 0
		.amdhsa_exception_fp_denorm_src 0
		.amdhsa_exception_fp_ieee_div_zero 0
		.amdhsa_exception_fp_ieee_overflow 0
		.amdhsa_exception_fp_ieee_underflow 0
		.amdhsa_exception_fp_ieee_inexact 0
		.amdhsa_exception_int_div_zero 0
	.end_amdhsa_kernel
	.section	.text._ZL32rocblas_gemvt_warp_reduce_kernelILb1ELi1024El19rocblas_complex_numIfES1_S1_EviiT3_lPKT2_lT1_lS5_lS6_lS2_lPT4_lS6_li,"axG",@progbits,_ZL32rocblas_gemvt_warp_reduce_kernelILb1ELi1024El19rocblas_complex_numIfES1_S1_EviiT3_lPKT2_lT1_lS5_lS6_lS2_lPT4_lS6_li,comdat
.Lfunc_end145:
	.size	_ZL32rocblas_gemvt_warp_reduce_kernelILb1ELi1024El19rocblas_complex_numIfES1_S1_EviiT3_lPKT2_lT1_lS5_lS6_lS2_lPT4_lS6_li, .Lfunc_end145-_ZL32rocblas_gemvt_warp_reduce_kernelILb1ELi1024El19rocblas_complex_numIfES1_S1_EviiT3_lPKT2_lT1_lS5_lS6_lS2_lPT4_lS6_li
                                        ; -- End function
	.section	.AMDGPU.csdata,"",@progbits
; Kernel info:
; codeLenInByte = 1744
; NumSgprs: 35
; NumVgprs: 18
; NumAgprs: 0
; TotalNumVgprs: 18
; ScratchSize: 0
; MemoryBound: 0
; FloatMode: 240
; IeeeMode: 1
; LDSByteSize: 512 bytes/workgroup (compile time only)
; SGPRBlocks: 4
; VGPRBlocks: 2
; NumSGPRsForWavesPerEU: 35
; NumVGPRsForWavesPerEU: 18
; AccumOffset: 20
; Occupancy: 8
; WaveLimiterHint : 1
; COMPUTE_PGM_RSRC2:SCRATCH_EN: 0
; COMPUTE_PGM_RSRC2:USER_SGPR: 2
; COMPUTE_PGM_RSRC2:TRAP_HANDLER: 0
; COMPUTE_PGM_RSRC2:TGID_X_EN: 1
; COMPUTE_PGM_RSRC2:TGID_Y_EN: 0
; COMPUTE_PGM_RSRC2:TGID_Z_EN: 1
; COMPUTE_PGM_RSRC2:TIDIG_COMP_CNT: 0
; COMPUTE_PGM_RSRC3_GFX90A:ACCUM_OFFSET: 4
; COMPUTE_PGM_RSRC3_GFX90A:TG_SPLIT: 0
	.section	.text._ZL34rocblas_gemvn_sm_mn_batched_kernelILi32ELi24E19rocblas_complex_numIdEPKS1_S1_EviiT2_lPKT1_lilS7_lilS4_lPT3_lili,"axG",@progbits,_ZL34rocblas_gemvn_sm_mn_batched_kernelILi32ELi24E19rocblas_complex_numIdEPKS1_S1_EviiT2_lPKT1_lilS7_lilS4_lPT3_lili,comdat
	.globl	_ZL34rocblas_gemvn_sm_mn_batched_kernelILi32ELi24E19rocblas_complex_numIdEPKS1_S1_EviiT2_lPKT1_lilS7_lilS4_lPT3_lili ; -- Begin function _ZL34rocblas_gemvn_sm_mn_batched_kernelILi32ELi24E19rocblas_complex_numIdEPKS1_S1_EviiT2_lPKT1_lilS7_lilS4_lPT3_lili
	.p2align	8
	.type	_ZL34rocblas_gemvn_sm_mn_batched_kernelILi32ELi24E19rocblas_complex_numIdEPKS1_S1_EviiT2_lPKT1_lilS7_lilS4_lPT3_lili,@function
_ZL34rocblas_gemvn_sm_mn_batched_kernelILi32ELi24E19rocblas_complex_numIdEPKS1_S1_EviiT2_lPKT1_lilS7_lilS4_lPT3_lili: ; @_ZL34rocblas_gemvn_sm_mn_batched_kernelILi32ELi24E19rocblas_complex_numIdEPKS1_S1_EviiT2_lPKT1_lilS7_lilS4_lPT3_lili
; %bb.0:
	s_load_dword s3, s[0:1], 0x9c
	s_load_dword s4, s[0:1], 0x88
	v_bfe_u32 v1, v0, 10, 10
	s_waitcnt lgkmcnt(0)
	s_lshr_b32 s3, s3, 16
	s_mul_i32 s2, s2, s3
	v_add_u32_e32 v10, s2, v1
	v_cmp_gt_i32_e32 vcc, s4, v10
	s_and_saveexec_b64 s[2:3], vcc
	s_cbranch_execz .LBB146_147
; %bb.1:
	s_load_dwordx8 s[4:11], s[0:1], 0x8
	s_load_dwordx8 s[12:19], s[0:1], 0x50
	s_waitcnt lgkmcnt(0)
	v_mad_u64_u32 v[6:7], s[2:3], v10, s6, 0
	v_mov_b32_e32 v8, v7
	v_mad_u64_u32 v[8:9], s[2:3], v10, s7, v[8:9]
	v_mov_b32_e32 v2, s4
	v_mov_b32_e32 v3, s5
	v_mov_b32_e32 v7, v8
	v_lshl_add_u64 v[2:3], v[6:7], 4, v[2:3]
	global_load_dwordx4 v[6:9], v[2:3], off
	v_mad_u64_u32 v[2:3], s[2:3], v10, s16, 0
	v_mov_b32_e32 v12, v3
	v_mad_u64_u32 v[12:13], s[2:3], v10, s17, v[12:13]
	v_mov_b32_e32 v4, s14
	v_mov_b32_e32 v5, s15
	v_mov_b32_e32 v3, v12
	v_lshl_add_u64 v[2:3], v[2:3], 4, v[4:5]
	global_load_dwordx4 v[2:5], v[2:3], off
	s_waitcnt vmcnt(1)
	v_cmp_eq_f64_e32 vcc, 0, v[6:7]
	v_cmp_eq_f64_e64 s[2:3], 0, v[8:9]
	s_and_b64 s[4:5], vcc, s[2:3]
	s_mov_b64 s[2:3], -1
	s_and_saveexec_b64 s[6:7], s[4:5]
	s_cbranch_execz .LBB146_3
; %bb.2:
	s_waitcnt vmcnt(0)
	v_cmp_neq_f64_e32 vcc, 1.0, v[2:3]
	v_cmp_neq_f64_e64 s[2:3], 0, v[4:5]
	s_or_b64 s[2:3], vcc, s[2:3]
	s_orn2_b64 s[2:3], s[2:3], exec
.LBB146_3:
	s_or_b64 exec, exec, s[6:7]
	s_and_b64 exec, exec, s[2:3]
	s_cbranch_execz .LBB146_147
; %bb.4:
	s_load_dwordx2 s[2:3], s[0:1], 0x80
	s_load_dword s33, s[0:1], 0x78
	s_load_dwordx2 s[6:7], s[0:1], 0x70
	s_load_dwordx2 s[14:15], s[0:1], 0x0
	v_and_b32_e32 v140, 0x3ff, v0
	s_waitcnt lgkmcnt(0)
	v_mad_u64_u32 v[12:13], s[16:17], v10, s2, 0
	v_mov_b32_e32 v14, v13
	v_mad_u64_u32 v[14:15], s[2:3], v10, s3, v[14:15]
	s_lshl_b64 s[2:3], s[6:7], 4
	s_add_u32 s2, s2, s18
	v_mov_b32_e32 v13, v14
	s_addc_u32 s3, s3, s19
	v_lshl_add_u64 v[128:129], v[12:13], 4, s[2:3]
	s_and_saveexec_b64 s[2:3], s[4:5]
	s_xor_b64 s[4:5], exec, s[2:3]
	s_cbranch_execz .LBB146_14
; %bb.5:
	s_waitcnt vmcnt(0)
	v_cmp_eq_f64_e32 vcc, 0, v[2:3]
	v_cmp_eq_f64_e64 s[2:3], 0, v[4:5]
	s_and_b64 s[2:3], vcc, s[2:3]
	v_cmp_gt_i32_e32 vcc, s14, v140
	s_and_saveexec_b64 s[6:7], s[2:3]
	s_xor_b64 s[2:3], exec, s[6:7]
	s_cbranch_execz .LBB146_9
; %bb.6:
	s_and_saveexec_b64 s[6:7], vcc
	s_cbranch_execz .LBB146_8
; %bb.7:
	v_mad_i64_i32 v[0:1], s[16:17], s33, v140, 0
	v_lshl_add_u64 v[4:5], v[0:1], 4, v[128:129]
	v_mov_b32_e32 v0, 0
	v_mov_b32_e32 v1, v0
	;; [unrolled: 1-line block ×4, first 2 shown]
	global_store_dwordx4 v[4:5], v[0:3], off
.LBB146_8:
	s_or_b64 exec, exec, s[6:7]
                                        ; implicit-def: $vgpr140
                                        ; implicit-def: $vgpr128_vgpr129
                                        ; implicit-def: $vgpr4_vgpr5
.LBB146_9:
	s_andn2_saveexec_b64 s[2:3], s[2:3]
	s_cbranch_execz .LBB146_13
; %bb.10:
	s_and_saveexec_b64 s[6:7], vcc
	s_cbranch_execz .LBB146_12
; %bb.11:
	v_mad_i64_i32 v[0:1], s[16:17], s33, v140, 0
	v_lshl_add_u64 v[0:1], v[0:1], 4, v[128:129]
	global_load_dwordx4 v[6:9], v[0:1], off
	s_waitcnt vmcnt(0)
	v_mul_f64 v[12:13], v[4:5], v[8:9]
	v_mul_f64 v[10:11], v[2:3], v[8:9]
	v_fma_f64 v[8:9], v[2:3], v[6:7], -v[12:13]
	v_fmac_f64_e32 v[10:11], v[4:5], v[6:7]
	global_store_dwordx4 v[0:1], v[8:11], off
.LBB146_12:
	s_or_b64 exec, exec, s[6:7]
.LBB146_13:
	s_or_b64 exec, exec, s[2:3]
                                        ; implicit-def: $vgpr140
                                        ; implicit-def: $vgpr128_vgpr129
                                        ; implicit-def: $vgpr1
                                        ; implicit-def: $vgpr10
                                        ; implicit-def: $vgpr8_vgpr9
                                        ; implicit-def: $vgpr2_vgpr3
.LBB146_14:
	s_andn2_saveexec_b64 s[2:3], s[4:5]
	s_cbranch_execz .LBB146_147
; %bb.15:
	s_load_dwordx4 s[4:7], s[0:1], 0x30
	s_load_dwordx2 s[16:17], s[0:1], 0x40
	v_lshlrev_b32_e32 v141, 9, v1
	v_cmp_gt_i32_e32 vcc, s15, v140
	s_and_saveexec_b64 s[2:3], vcc
	s_cbranch_execz .LBB146_17
; %bb.16:
	v_mad_u64_u32 v[0:1], s[18:19], v10, s12, 0
	v_mov_b32_e32 v12, v1
	v_mad_u64_u32 v[12:13], s[12:13], v10, s13, v[12:13]
	s_waitcnt lgkmcnt(0)
	s_lshl_b64 s[12:13], s[16:17], 4
	s_load_dword s16, s[0:1], 0x48
	s_add_u32 s6, s12, s6
	v_mov_b32_e32 v1, v12
	s_addc_u32 s7, s13, s7
	v_lshl_add_u64 v[0:1], v[0:1], 4, s[6:7]
	s_waitcnt lgkmcnt(0)
	v_mad_i64_i32 v[12:13], s[6:7], s16, v140, 0
	v_lshl_add_u64 v[0:1], v[12:13], 4, v[0:1]
	global_load_dwordx4 v[12:15], v[0:1], off
	s_waitcnt vmcnt(0)
	v_mul_f64 v[0:1], v[8:9], v[14:15]
	v_mul_f64 v[16:17], v[6:7], v[14:15]
	v_fma_f64 v[14:15], v[6:7], v[12:13], -v[0:1]
	v_fmac_f64_e32 v[16:17], v[8:9], v[12:13]
	v_lshl_add_u32 v0, v140, 4, v141
	ds_write_b128 v0, v[14:17]
.LBB146_17:
	s_or_b64 exec, exec, s[2:3]
	v_cmp_gt_i32_e32 vcc, s14, v140
	s_waitcnt lgkmcnt(0)
	s_barrier
	s_and_saveexec_b64 s[2:3], vcc
	s_cbranch_execz .LBB146_147
; %bb.18:
	s_waitcnt vmcnt(0)
	v_cmp_neq_f64_e32 vcc, 0, v[2:3]
	v_cmp_neq_f64_e64 s[2:3], 0, v[4:5]
	v_mov_b64_e32 v[26:27], 0
	s_or_b64 s[6:7], vcc, s[2:3]
	v_mov_b32_e32 v1, 0
	v_mov_b64_e32 v[130:131], v[26:27]
	v_mov_b64_e32 v[132:133], v[26:27]
	s_and_saveexec_b64 s[2:3], s[6:7]
	s_cbranch_execz .LBB146_20
; %bb.19:
	v_mad_i64_i32 v[6:7], s[6:7], s33, v140, 0
	v_lshl_add_u64 v[6:7], v[6:7], 4, v[128:129]
	global_load_dwordx4 v[6:9], v[6:7], off
	s_waitcnt vmcnt(0)
	v_mul_f64 v[12:13], v[4:5], v[8:9]
	v_mul_f64 v[130:131], v[2:3], v[8:9]
	v_fma_f64 v[132:133], v[2:3], v[6:7], -v[12:13]
	v_fmac_f64_e32 v[130:131], v[4:5], v[6:7]
.LBB146_20:
	s_or_b64 exec, exec, s[2:3]
	v_mad_u64_u32 v[2:3], s[2:3], v10, s4, 0
	v_mov_b32_e32 v0, v3
	v_mad_u64_u32 v[4:5], s[2:3], v10, s5, v[0:1]
	s_lshl_b64 s[2:3], s[10:11], 4
	s_add_u32 s2, s2, s8
	v_mov_b32_e32 v3, v4
	s_addc_u32 s3, s3, s9
	v_lshl_add_u64 v[2:3], v[2:3], 4, s[2:3]
	v_lshlrev_b32_e32 v0, 4, v140
	s_cmp_gt_i32 s15, 0
	v_lshl_add_u64 v[136:137], v[2:3], 0, v[0:1]
	s_cselect_b64 s[62:63], -1, 0
	s_cmp_lt_i32 s15, 1
	v_mov_b64_e32 v[24:25], v[26:27]
	s_cbranch_scc1 .LBB146_22
; %bb.21:
	global_load_dwordx4 v[24:27], v[136:137], off
.LBB146_22:
	s_load_dword s68, s[0:1], 0x28
	v_mov_b64_e32 v[94:95], 0
	v_mov_b64_e32 v[126:127], v[94:95]
	;; [unrolled: 1-line block ×3, first 2 shown]
	s_waitcnt lgkmcnt(0)
	s_ashr_i32 s69, s68, 31
	s_cmp_gt_i32 s15, 1
	s_cselect_b64 s[66:67], -1, 0
	s_cmp_lt_i32 s15, 2
	s_cbranch_scc1 .LBB146_24
; %bb.23:
	v_lshl_add_u64 v[0:1], s[68:69], 4, v[136:137]
	global_load_dwordx4 v[124:127], v[0:1], off
.LBB146_24:
	s_cmp_gt_i32 s15, 2
	s_cselect_b64 s[64:65], -1, 0
	s_cmp_lt_i32 s15, 3
	v_mov_b64_e32 v[92:93], v[94:95]
	s_cbranch_scc1 .LBB146_26
; %bb.25:
	s_lshl_b64 s[0:1], s[68:69], 5
	v_lshl_add_u64 v[0:1], v[136:137], 0, s[0:1]
	global_load_dwordx4 v[92:95], v[0:1], off
.LBB146_26:
	s_cmp_gt_i32 s15, 3
	v_mov_b64_e32 v[86:87], 0
	s_cselect_b64 s[60:61], -1, 0
	s_cmp_lt_i32 s15, 4
	v_mov_b64_e32 v[122:123], v[86:87]
	v_mov_b64_e32 v[120:121], v[86:87]
	s_cbranch_scc1 .LBB146_28
; %bb.27:
	v_mad_i64_i32 v[0:1], s[0:1], s68, 48, v[136:137]
	global_load_dwordx4 v[120:123], v[0:1], off
.LBB146_28:
	s_cmp_gt_i32 s15, 4
	s_cselect_b64 s[58:59], -1, 0
	s_cmp_lt_i32 s15, 5
	v_mov_b64_e32 v[84:85], v[86:87]
	s_cbranch_scc1 .LBB146_30
; %bb.29:
	s_lshl_b64 s[0:1], s[68:69], 6
	v_lshl_add_u64 v[0:1], v[136:137], 0, s[0:1]
	global_load_dwordx4 v[84:87], v[0:1], off
.LBB146_30:
	s_cmp_gt_i32 s15, 5
	v_mov_b64_e32 v[78:79], 0
	s_cselect_b64 s[56:57], -1, 0
	s_cmp_lt_i32 s15, 6
	v_mov_b64_e32 v[118:119], v[78:79]
	v_mov_b64_e32 v[116:117], v[78:79]
	s_cbranch_scc1 .LBB146_32
; %bb.31:
	v_mov_b32_e32 v0, 0x50
	v_mad_i64_i32 v[0:1], s[0:1], s68, v0, v[136:137]
	global_load_dwordx4 v[116:119], v[0:1], off
.LBB146_32:
	s_cmp_gt_i32 s15, 6
	s_cselect_b64 s[54:55], -1, 0
	s_cmp_lt_i32 s15, 7
	v_mov_b64_e32 v[76:77], v[78:79]
	s_cbranch_scc1 .LBB146_34
; %bb.33:
	v_mov_b32_e32 v0, 0x60
	v_mad_i64_i32 v[0:1], s[0:1], s68, v0, v[136:137]
	global_load_dwordx4 v[76:79], v[0:1], off
.LBB146_34:
	s_cmp_gt_i32 s15, 7
	v_mov_b64_e32 v[70:71], 0
	s_cselect_b64 s[52:53], -1, 0
	s_cmp_lt_i32 s15, 8
	v_mov_b64_e32 v[114:115], v[70:71]
	v_mov_b64_e32 v[112:113], v[70:71]
	s_cbranch_scc1 .LBB146_36
; %bb.35:
	v_mov_b32_e32 v0, 0x70
	v_mad_i64_i32 v[0:1], s[0:1], s68, v0, v[136:137]
	global_load_dwordx4 v[112:115], v[0:1], off
.LBB146_36:
	s_cmp_gt_i32 s15, 8
	s_cselect_b64 s[50:51], -1, 0
	s_cmp_lt_i32 s15, 9
	v_mov_b64_e32 v[68:69], v[70:71]
	s_cbranch_scc1 .LBB146_38
; %bb.37:
	s_lshl_b64 s[0:1], s[68:69], 7
	v_lshl_add_u64 v[0:1], v[136:137], 0, s[0:1]
	global_load_dwordx4 v[68:71], v[0:1], off
.LBB146_38:
	s_cmp_gt_i32 s15, 9
	v_mov_b64_e32 v[62:63], 0
	s_cselect_b64 s[48:49], -1, 0
	s_cmp_lt_i32 s15, 10
	v_mov_b64_e32 v[110:111], v[62:63]
	v_mov_b64_e32 v[108:109], v[62:63]
	s_cbranch_scc1 .LBB146_40
; %bb.39:
	v_mov_b32_e32 v0, 0x90
	v_mad_i64_i32 v[0:1], s[0:1], s68, v0, v[136:137]
	global_load_dwordx4 v[108:111], v[0:1], off
.LBB146_40:
	s_cmp_gt_i32 s15, 10
	s_cselect_b64 s[46:47], -1, 0
	s_cmp_lt_i32 s15, 11
	v_mov_b64_e32 v[60:61], v[62:63]
	s_cbranch_scc1 .LBB146_42
; %bb.41:
	v_mov_b32_e32 v0, 0xa0
	v_mad_i64_i32 v[0:1], s[0:1], s68, v0, v[136:137]
	global_load_dwordx4 v[60:63], v[0:1], off
.LBB146_42:
	s_cmp_gt_i32 s15, 11
	v_mov_b64_e32 v[54:55], 0
	s_cselect_b64 s[44:45], -1, 0
	s_cmp_lt_i32 s15, 12
	v_mov_b64_e32 v[106:107], v[54:55]
	v_mov_b64_e32 v[104:105], v[54:55]
	s_cbranch_scc1 .LBB146_44
; %bb.43:
	v_mov_b32_e32 v0, 0xb0
	v_mad_i64_i32 v[0:1], s[0:1], s68, v0, v[136:137]
	global_load_dwordx4 v[104:107], v[0:1], off
.LBB146_44:
	s_cmp_gt_i32 s15, 12
	s_cselect_b64 s[42:43], -1, 0
	s_cmp_lt_i32 s15, 13
	v_mov_b64_e32 v[52:53], v[54:55]
	s_cbranch_scc1 .LBB146_46
; %bb.45:
	v_mov_b32_e32 v0, 0xc0
	v_mad_i64_i32 v[0:1], s[0:1], s68, v0, v[136:137]
	global_load_dwordx4 v[52:55], v[0:1], off
.LBB146_46:
	;; [unrolled: 22-line block ×3, first 2 shown]
	s_cmp_gt_i32 s15, 15
	v_mov_b64_e32 v[38:39], 0
	s_cselect_b64 s[36:37], -1, 0
	s_cmp_lt_i32 s15, 16
	v_mov_b64_e32 v[98:99], v[38:39]
	v_mov_b64_e32 v[96:97], v[38:39]
	s_cbranch_scc1 .LBB146_52
; %bb.51:
	v_mov_b32_e32 v0, 0xf0
	v_mad_i64_i32 v[0:1], s[0:1], s68, v0, v[136:137]
	global_load_dwordx4 v[96:99], v[0:1], off
.LBB146_52:
	s_cmp_gt_i32 s15, 16
	s_cselect_b64 s[34:35], -1, 0
	s_cmp_lt_i32 s15, 17
	v_mov_b64_e32 v[36:37], v[38:39]
	s_cbranch_scc1 .LBB146_54
; %bb.53:
	s_lshl_b64 s[0:1], s[68:69], 8
	v_lshl_add_u64 v[0:1], v[136:137], 0, s[0:1]
	global_load_dwordx4 v[36:39], v[0:1], off
.LBB146_54:
	s_cmp_gt_i32 s15, 17
	v_mov_b64_e32 v[30:31], 0
	s_cselect_b64 s[30:31], -1, 0
	s_cmp_lt_i32 s15, 18
	v_mov_b64_e32 v[90:91], v[30:31]
	v_mov_b64_e32 v[88:89], v[30:31]
	s_cbranch_scc1 .LBB146_56
; %bb.55:
	v_mov_b32_e32 v0, 0x110
	v_mad_i64_i32 v[0:1], s[0:1], s68, v0, v[136:137]
	global_load_dwordx4 v[88:91], v[0:1], off
.LBB146_56:
	s_cmp_gt_i32 s15, 18
	s_cselect_b64 s[28:29], -1, 0
	s_cmp_lt_i32 s15, 19
	v_mov_b64_e32 v[28:29], v[30:31]
	s_cbranch_scc1 .LBB146_58
; %bb.57:
	v_mov_b32_e32 v0, 0x120
	v_mad_i64_i32 v[0:1], s[0:1], s68, v0, v[136:137]
	global_load_dwordx4 v[28:31], v[0:1], off
.LBB146_58:
	s_cmp_gt_i32 s15, 19
	v_mov_b64_e32 v[22:23], 0
	s_cselect_b64 s[26:27], -1, 0
	s_cmp_lt_i32 s15, 20
	v_mov_b64_e32 v[82:83], v[22:23]
	v_mov_b64_e32 v[80:81], v[22:23]
	s_cbranch_scc1 .LBB146_60
; %bb.59:
	v_mov_b32_e32 v0, 0x130
	v_mad_i64_i32 v[0:1], s[0:1], s68, v0, v[136:137]
	global_load_dwordx4 v[80:83], v[0:1], off
.LBB146_60:
	s_cmp_gt_i32 s15, 20
	s_cselect_b64 s[24:25], -1, 0
	s_cmp_lt_i32 s15, 21
	v_mov_b64_e32 v[20:21], v[22:23]
	s_cbranch_scc1 .LBB146_62
; %bb.61:
	v_mov_b32_e32 v0, 0x140
	v_mad_i64_i32 v[0:1], s[0:1], s68, v0, v[136:137]
	global_load_dwordx4 v[20:23], v[0:1], off
.LBB146_62:
	;; [unrolled: 22-line block ×7, first 2 shown]
	s_cmp_gt_i32 s15, 31
	v_mov_b64_e32 v[134:135], 0
	s_cselect_b64 s[0:1], -1, 0
	s_cmp_lt_i32 s15, 32
	v_mov_b64_e32 v[34:35], v[134:135]
	v_mov_b64_e32 v[32:33], v[134:135]
	s_cbranch_scc1 .LBB146_84
; %bb.83:
	v_mov_b32_e32 v32, 0x1f0
	v_mad_i64_i32 v[32:33], s[14:15], s68, v32, v[136:137]
	global_load_dwordx4 v[32:35], v[32:33], off
.LBB146_84:
	s_andn2_b64 vcc, exec, s[62:63]
	v_mov_b64_e32 v[136:137], v[134:135]
	s_cbranch_vccnz .LBB146_86
; %bb.85:
	ds_read_b128 v[142:145], v141
	s_waitcnt vmcnt(0) lgkmcnt(0)
	v_mul_f64 v[136:137], v[26:27], v[144:145]
	v_mul_f64 v[134:135], v[24:25], v[144:145]
	v_fma_f64 v[136:137], v[24:25], v[142:143], -v[136:137]
	v_fmac_f64_e32 v[134:135], v[26:27], v[142:143]
.LBB146_86:
	s_waitcnt vmcnt(0)
	v_mov_b64_e32 v[24:25], 0
	s_andn2_b64 vcc, exec, s[66:67]
	v_mov_b64_e32 v[26:27], v[24:25]
	v_mov_b64_e32 v[138:139], v[24:25]
	s_cbranch_vccnz .LBB146_88
; %bb.87:
	ds_read_b128 v[142:145], v141 offset:16
	s_waitcnt lgkmcnt(0)
	v_mul_f64 v[138:139], v[126:127], v[144:145]
	v_mul_f64 v[26:27], v[124:125], v[144:145]
	v_fma_f64 v[138:139], v[124:125], v[142:143], -v[138:139]
	v_fmac_f64_e32 v[26:27], v[126:127], v[142:143]
.LBB146_88:
	s_andn2_b64 vcc, exec, s[64:65]
	v_mov_b64_e32 v[124:125], v[24:25]
	s_cbranch_vccnz .LBB146_90
; %bb.89:
	ds_read_b128 v[142:145], v141 offset:32
	s_waitcnt lgkmcnt(0)
	v_mul_f64 v[124:125], v[94:95], v[144:145]
	v_mul_f64 v[24:25], v[92:93], v[144:145]
	v_fma_f64 v[124:125], v[92:93], v[142:143], -v[124:125]
	v_fmac_f64_e32 v[24:25], v[94:95], v[142:143]
.LBB146_90:
	v_mov_b64_e32 v[92:93], 0
	s_andn2_b64 vcc, exec, s[60:61]
	v_mov_b64_e32 v[94:95], v[92:93]
	v_mov_b64_e32 v[126:127], v[92:93]
	s_cbranch_vccnz .LBB146_92
; %bb.91:
	ds_read_b128 v[142:145], v141 offset:48
	s_waitcnt lgkmcnt(0)
	v_mul_f64 v[126:127], v[122:123], v[144:145]
	v_mul_f64 v[94:95], v[120:121], v[144:145]
	v_fma_f64 v[126:127], v[120:121], v[142:143], -v[126:127]
	v_fmac_f64_e32 v[94:95], v[122:123], v[142:143]
.LBB146_92:
	s_andn2_b64 vcc, exec, s[58:59]
	v_mov_b64_e32 v[120:121], v[92:93]
	s_cbranch_vccnz .LBB146_94
; %bb.93:
	ds_read_b128 v[142:145], v141 offset:64
	s_waitcnt lgkmcnt(0)
	v_mul_f64 v[120:121], v[86:87], v[144:145]
	v_mul_f64 v[92:93], v[84:85], v[144:145]
	v_fma_f64 v[120:121], v[84:85], v[142:143], -v[120:121]
	v_fmac_f64_e32 v[92:93], v[86:87], v[142:143]
.LBB146_94:
	;; [unrolled: 24-line block ×14, first 2 shown]
	v_mov_b64_e32 v[4:5], 0
	s_andn2_b64 vcc, exec, s[4:5]
	v_mov_b64_e32 v[6:7], v[4:5]
	v_mov_b64_e32 v[50:51], v[4:5]
	s_cbranch_vccz .LBB146_148
; %bb.143:
	s_andn2_b64 vcc, exec, s[2:3]
	v_mov_b64_e32 v[40:41], v[4:5]
	s_cbranch_vccz .LBB146_149
.LBB146_144:
	v_mov_b64_e32 v[0:1], 0
	s_andn2_b64 vcc, exec, s[0:1]
	v_mov_b64_e32 v[2:3], v[0:1]
	s_cbranch_vccnz .LBB146_146
.LBB146_145:
	ds_read_b128 v[142:145], v141 offset:496
	s_waitcnt lgkmcnt(0)
	v_mul_f64 v[2:3], v[34:35], v[144:145]
	v_mul_f64 v[0:1], v[32:33], v[144:145]
	v_fma_f64 v[2:3], v[32:33], v[142:143], -v[2:3]
	v_fmac_f64_e32 v[0:1], v[34:35], v[142:143]
.LBB146_146:
	v_add_f64 v[34:35], v[130:131], v[134:135]
	v_add_f64 v[32:33], v[132:133], v[136:137]
	;; [unrolled: 1-line block ×63, first 2 shown]
	v_mad_i64_i32 v[0:1], s[0:1], s33, v140, 0
	v_add_f64 v[2:3], v[8:9], v[2:3]
	v_lshl_add_u64 v[0:1], v[0:1], 4, v[128:129]
	global_store_dwordx4 v[0:1], v[2:5], off
.LBB146_147:
	s_endpgm
.LBB146_148:
	ds_read_b128 v[142:145], v141 offset:464
	s_waitcnt lgkmcnt(0)
	v_mul_f64 v[50:51], v[42:43], v[144:145]
	v_mul_f64 v[6:7], v[40:41], v[144:145]
	v_fma_f64 v[50:51], v[40:41], v[142:143], -v[50:51]
	v_fmac_f64_e32 v[6:7], v[42:43], v[142:143]
	s_andn2_b64 vcc, exec, s[2:3]
	v_mov_b64_e32 v[40:41], v[4:5]
	s_cbranch_vccnz .LBB146_144
.LBB146_149:
	ds_read_b128 v[142:145], v141 offset:480
	s_waitcnt lgkmcnt(0)
	v_mul_f64 v[40:41], v[2:3], v[144:145]
	v_mul_f64 v[4:5], v[0:1], v[144:145]
	v_fma_f64 v[40:41], v[0:1], v[142:143], -v[40:41]
	v_fmac_f64_e32 v[4:5], v[2:3], v[142:143]
	v_mov_b64_e32 v[0:1], 0
	s_andn2_b64 vcc, exec, s[0:1]
	v_mov_b64_e32 v[2:3], v[0:1]
	s_cbranch_vccz .LBB146_145
	s_branch .LBB146_146
	.section	.rodata,"a",@progbits
	.p2align	6, 0x0
	.amdhsa_kernel _ZL34rocblas_gemvn_sm_mn_batched_kernelILi32ELi24E19rocblas_complex_numIdEPKS1_S1_EviiT2_lPKT1_lilS7_lilS4_lPT3_lili
		.amdhsa_group_segment_fixed_size 12288
		.amdhsa_private_segment_fixed_size 0
		.amdhsa_kernarg_size 400
		.amdhsa_user_sgpr_count 2
		.amdhsa_user_sgpr_dispatch_ptr 0
		.amdhsa_user_sgpr_queue_ptr 0
		.amdhsa_user_sgpr_kernarg_segment_ptr 1
		.amdhsa_user_sgpr_dispatch_id 0
		.amdhsa_user_sgpr_kernarg_preload_length 0
		.amdhsa_user_sgpr_kernarg_preload_offset 0
		.amdhsa_user_sgpr_private_segment_size 0
		.amdhsa_uses_dynamic_stack 0
		.amdhsa_enable_private_segment 0
		.amdhsa_system_sgpr_workgroup_id_x 1
		.amdhsa_system_sgpr_workgroup_id_y 0
		.amdhsa_system_sgpr_workgroup_id_z 0
		.amdhsa_system_sgpr_workgroup_info 0
		.amdhsa_system_vgpr_workitem_id 1
		.amdhsa_next_free_vgpr 146
		.amdhsa_next_free_sgpr 70
		.amdhsa_accum_offset 148
		.amdhsa_reserve_vcc 1
		.amdhsa_float_round_mode_32 0
		.amdhsa_float_round_mode_16_64 0
		.amdhsa_float_denorm_mode_32 3
		.amdhsa_float_denorm_mode_16_64 3
		.amdhsa_dx10_clamp 1
		.amdhsa_ieee_mode 1
		.amdhsa_fp16_overflow 0
		.amdhsa_tg_split 0
		.amdhsa_exception_fp_ieee_invalid_op 0
		.amdhsa_exception_fp_denorm_src 0
		.amdhsa_exception_fp_ieee_div_zero 0
		.amdhsa_exception_fp_ieee_overflow 0
		.amdhsa_exception_fp_ieee_underflow 0
		.amdhsa_exception_fp_ieee_inexact 0
		.amdhsa_exception_int_div_zero 0
	.end_amdhsa_kernel
	.section	.text._ZL34rocblas_gemvn_sm_mn_batched_kernelILi32ELi24E19rocblas_complex_numIdEPKS1_S1_EviiT2_lPKT1_lilS7_lilS4_lPT3_lili,"axG",@progbits,_ZL34rocblas_gemvn_sm_mn_batched_kernelILi32ELi24E19rocblas_complex_numIdEPKS1_S1_EviiT2_lPKT1_lilS7_lilS4_lPT3_lili,comdat
.Lfunc_end146:
	.size	_ZL34rocblas_gemvn_sm_mn_batched_kernelILi32ELi24E19rocblas_complex_numIdEPKS1_S1_EviiT2_lPKT1_lilS7_lilS4_lPT3_lili, .Lfunc_end146-_ZL34rocblas_gemvn_sm_mn_batched_kernelILi32ELi24E19rocblas_complex_numIdEPKS1_S1_EviiT2_lPKT1_lilS7_lilS4_lPT3_lili
                                        ; -- End function
	.section	.AMDGPU.csdata,"",@progbits
; Kernel info:
; codeLenInByte = 4736
; NumSgprs: 76
; NumVgprs: 146
; NumAgprs: 0
; TotalNumVgprs: 146
; ScratchSize: 0
; MemoryBound: 1
; FloatMode: 240
; IeeeMode: 1
; LDSByteSize: 12288 bytes/workgroup (compile time only)
; SGPRBlocks: 9
; VGPRBlocks: 18
; NumSGPRsForWavesPerEU: 76
; NumVGPRsForWavesPerEU: 146
; AccumOffset: 148
; Occupancy: 3
; WaveLimiterHint : 1
; COMPUTE_PGM_RSRC2:SCRATCH_EN: 0
; COMPUTE_PGM_RSRC2:USER_SGPR: 2
; COMPUTE_PGM_RSRC2:TRAP_HANDLER: 0
; COMPUTE_PGM_RSRC2:TGID_X_EN: 1
; COMPUTE_PGM_RSRC2:TGID_Y_EN: 0
; COMPUTE_PGM_RSRC2:TGID_Z_EN: 0
; COMPUTE_PGM_RSRC2:TIDIG_COMP_CNT: 1
; COMPUTE_PGM_RSRC3_GFX90A:ACCUM_OFFSET: 36
; COMPUTE_PGM_RSRC3_GFX90A:TG_SPLIT: 0
	.section	.text._ZL34rocblas_gemvn_sm_mn_batched_kernelILi32ELi24E19rocblas_complex_numIdES1_S1_EviiT2_lPKT1_lilS5_lilS2_lPT3_lili,"axG",@progbits,_ZL34rocblas_gemvn_sm_mn_batched_kernelILi32ELi24E19rocblas_complex_numIdES1_S1_EviiT2_lPKT1_lilS5_lilS2_lPT3_lili,comdat
	.globl	_ZL34rocblas_gemvn_sm_mn_batched_kernelILi32ELi24E19rocblas_complex_numIdES1_S1_EviiT2_lPKT1_lilS5_lilS2_lPT3_lili ; -- Begin function _ZL34rocblas_gemvn_sm_mn_batched_kernelILi32ELi24E19rocblas_complex_numIdES1_S1_EviiT2_lPKT1_lilS5_lilS2_lPT3_lili
	.p2align	8
	.type	_ZL34rocblas_gemvn_sm_mn_batched_kernelILi32ELi24E19rocblas_complex_numIdES1_S1_EviiT2_lPKT1_lilS5_lilS2_lPT3_lili,@function
_ZL34rocblas_gemvn_sm_mn_batched_kernelILi32ELi24E19rocblas_complex_numIdES1_S1_EviiT2_lPKT1_lilS5_lilS2_lPT3_lili: ; @_ZL34rocblas_gemvn_sm_mn_batched_kernelILi32ELi24E19rocblas_complex_numIdES1_S1_EviiT2_lPKT1_lilS5_lilS2_lPT3_lili
; %bb.0:
	s_load_dword s3, s[0:1], 0xac
	s_load_dword s4, s[0:1], 0x98
	v_bfe_u32 v1, v0, 10, 10
	s_waitcnt lgkmcnt(0)
	s_lshr_b32 s3, s3, 16
	s_mul_i32 s2, s2, s3
	v_add_u32_e32 v2, s2, v1
	v_cmp_gt_i32_e32 vcc, s4, v2
	s_and_saveexec_b64 s[2:3], vcc
	s_cbranch_execz .LBB147_147
; %bb.1:
	s_load_dwordx4 s[8:11], s[0:1], 0x8
	s_load_dwordx4 s[4:7], s[0:1], 0x58
	s_load_dwordx2 s[18:19], s[0:1], 0x68
	s_waitcnt lgkmcnt(0)
	v_cmp_neq_f64_e64 s[2:3], s[8:9], 0
	v_cmp_neq_f64_e64 s[12:13], s[10:11], 0
	s_or_b64 s[2:3], s[2:3], s[12:13]
	s_mov_b64 s[12:13], -1
	s_and_b64 vcc, exec, s[2:3]
	s_cbranch_vccnz .LBB147_3
; %bb.2:
	v_cmp_neq_f64_e64 s[12:13], s[6:7], 1.0
	v_cmp_neq_f64_e64 s[14:15], s[18:19], 0
	s_or_b64 s[12:13], s[12:13], s[14:15]
.LBB147_3:
	s_andn2_b64 vcc, exec, s[12:13]
	s_cbranch_vccnz .LBB147_147
; %bb.4:
	s_load_dwordx2 s[20:21], s[0:1], 0x90
	s_load_dword s33, s[0:1], 0x88
	s_load_dwordx2 s[16:17], s[0:1], 0x0
	s_load_dwordx4 s[12:15], s[0:1], 0x78
	s_xor_b64 s[2:3], s[2:3], -1
	s_waitcnt lgkmcnt(0)
	v_mad_u64_u32 v[4:5], s[22:23], v2, s20, 0
	v_mov_b32_e32 v6, v5
	s_lshl_b64 s[14:15], s[14:15], 4
	v_mad_u64_u32 v[6:7], s[20:21], v2, s21, v[6:7]
	s_add_u32 s12, s14, s12
	v_mov_b32_e32 v5, v6
	s_addc_u32 s13, s15, s13
	v_and_b32_e32 v140, 0x3ff, v0
	v_lshl_add_u64 v[128:129], v[4:5], 4, s[12:13]
	s_mov_b64 s[12:13], -1
	s_andn2_b64 vcc, exec, s[2:3]
	v_cmp_gt_i32_e64 s[2:3], s16, v140
	s_cbranch_vccnz .LBB147_14
; %bb.5:
	v_cmp_neq_f64_e64 s[12:13], s[6:7], 0
	v_cmp_neq_f64_e64 s[14:15], s[18:19], 0
	s_or_b64 s[12:13], s[12:13], s[14:15]
	s_andn2_b64 vcc, exec, s[12:13]
	s_mov_b64 s[12:13], -1
	s_cbranch_vccz .LBB147_9
; %bb.6:
	s_and_saveexec_b64 s[12:13], s[2:3]
	s_cbranch_execz .LBB147_8
; %bb.7:
	v_mad_i64_i32 v[4:5], s[14:15], s33, v140, 0
	v_lshl_add_u64 v[8:9], v[4:5], 4, v[128:129]
	v_mov_b32_e32 v4, 0
	v_mov_b32_e32 v5, v4
	;; [unrolled: 1-line block ×4, first 2 shown]
	global_store_dwordx4 v[8:9], v[4:7], off
.LBB147_8:
	s_or_b64 exec, exec, s[12:13]
	s_mov_b64 s[12:13], 0
.LBB147_9:
	s_andn2_b64 vcc, exec, s[12:13]
	s_cbranch_vccnz .LBB147_13
; %bb.10:
	s_and_saveexec_b64 s[12:13], s[2:3]
	s_cbranch_execz .LBB147_12
; %bb.11:
	v_mad_i64_i32 v[4:5], s[2:3], s33, v140, 0
	v_lshl_add_u64 v[10:11], v[4:5], 4, v[128:129]
	global_load_dwordx4 v[4:7], v[10:11], off
	s_waitcnt vmcnt(0)
	v_mul_f64 v[12:13], s[18:19], v[6:7]
	v_mul_f64 v[8:9], s[6:7], v[6:7]
	v_fma_f64 v[6:7], s[6:7], v[4:5], -v[12:13]
	v_fmac_f64_e32 v[8:9], s[18:19], v[4:5]
	global_store_dwordx4 v[10:11], v[6:9], off
.LBB147_12:
	s_or_b64 exec, exec, s[12:13]
.LBB147_13:
	s_mov_b64 s[12:13], 0
.LBB147_14:
	s_andn2_b64 vcc, exec, s[12:13]
	s_cbranch_vccnz .LBB147_147
; %bb.15:
	s_load_dwordx4 s[12:15], s[0:1], 0x38
	s_load_dwordx2 s[20:21], s[0:1], 0x48
	v_lshlrev_b32_e32 v141, 9, v1
	v_cmp_gt_i32_e32 vcc, s17, v140
	s_and_saveexec_b64 s[2:3], vcc
	s_cbranch_execz .LBB147_17
; %bb.16:
	v_mad_u64_u32 v[0:1], s[22:23], v2, s4, 0
	v_mov_b32_e32 v4, v1
	v_mad_u64_u32 v[4:5], s[4:5], v2, s5, v[4:5]
	s_waitcnt lgkmcnt(0)
	s_lshl_b64 s[4:5], s[20:21], 4
	s_load_dword s20, s[0:1], 0x50
	s_add_u32 s4, s4, s14
	v_mov_b32_e32 v1, v4
	s_addc_u32 s5, s5, s15
	v_lshl_add_u64 v[0:1], v[0:1], 4, s[4:5]
	s_waitcnt lgkmcnt(0)
	v_mad_i64_i32 v[4:5], s[4:5], s20, v140, 0
	v_lshl_add_u64 v[0:1], v[4:5], 4, v[0:1]
	global_load_dwordx4 v[4:7], v[0:1], off
	s_waitcnt vmcnt(0)
	v_mul_f64 v[0:1], s[10:11], v[6:7]
	v_mul_f64 v[8:9], s[8:9], v[6:7]
	v_fma_f64 v[6:7], s[8:9], v[4:5], -v[0:1]
	v_fmac_f64_e32 v[8:9], s[10:11], v[4:5]
	v_lshl_add_u32 v0, v140, 4, v141
	ds_write_b128 v0, v[6:9]
.LBB147_17:
	s_or_b64 exec, exec, s[2:3]
	v_cmp_gt_i32_e32 vcc, s16, v140
	s_waitcnt lgkmcnt(0)
	s_barrier
	s_and_b64 exec, exec, vcc
	s_cbranch_execz .LBB147_147
; %bb.18:
	v_cmp_neq_f64_e64 s[2:3], s[6:7], 0
	v_cmp_neq_f64_e64 s[4:5], s[18:19], 0
	v_mov_b64_e32 v[22:23], 0
	s_or_b64 s[2:3], s[2:3], s[4:5]
	v_mov_b32_e32 v1, 0
	s_andn2_b64 vcc, exec, s[2:3]
	v_mov_b64_e32 v[130:131], v[22:23]
	v_mov_b64_e32 v[132:133], v[22:23]
	s_cbranch_vccnz .LBB147_20
; %bb.19:
	v_mad_i64_i32 v[4:5], s[2:3], s33, v140, 0
	v_lshl_add_u64 v[4:5], v[4:5], 4, v[128:129]
	global_load_dwordx4 v[4:7], v[4:5], off
	s_waitcnt vmcnt(0)
	v_mul_f64 v[8:9], s[18:19], v[6:7]
	v_mul_f64 v[130:131], s[6:7], v[6:7]
	v_fma_f64 v[132:133], s[6:7], v[4:5], -v[8:9]
	v_fmac_f64_e32 v[130:131], s[18:19], v[4:5]
.LBB147_20:
	s_load_dwordx4 s[4:7], s[0:1], 0x20
	v_mad_u64_u32 v[4:5], s[2:3], v2, s12, 0
	v_mov_b32_e32 v0, v5
	v_mad_u64_u32 v[2:3], s[2:3], v2, s13, v[0:1]
	s_waitcnt lgkmcnt(0)
	s_lshl_b64 s[2:3], s[6:7], 4
	s_add_u32 s2, s2, s4
	v_mov_b32_e32 v5, v2
	s_addc_u32 s3, s3, s5
	v_lshl_add_u64 v[2:3], v[4:5], 4, s[2:3]
	v_lshlrev_b32_e32 v0, 4, v140
	s_cmp_gt_i32 s17, 0
	v_lshl_add_u64 v[136:137], v[2:3], 0, v[0:1]
	s_cselect_b64 s[62:63], -1, 0
	s_cmp_lt_i32 s17, 1
	v_mov_b64_e32 v[20:21], v[22:23]
	s_cbranch_scc1 .LBB147_22
; %bb.21:
	global_load_dwordx4 v[20:23], v[136:137], off
.LBB147_22:
	s_load_dword s68, s[0:1], 0x30
	v_mov_b64_e32 v[94:95], 0
	v_mov_b64_e32 v[126:127], v[94:95]
	;; [unrolled: 1-line block ×3, first 2 shown]
	s_waitcnt lgkmcnt(0)
	s_ashr_i32 s69, s68, 31
	s_cmp_gt_i32 s17, 1
	s_cselect_b64 s[66:67], -1, 0
	s_cmp_lt_i32 s17, 2
	s_cbranch_scc1 .LBB147_24
; %bb.23:
	v_lshl_add_u64 v[0:1], s[68:69], 4, v[136:137]
	global_load_dwordx4 v[124:127], v[0:1], off
.LBB147_24:
	s_cmp_gt_i32 s17, 2
	s_cselect_b64 s[64:65], -1, 0
	s_cmp_lt_i32 s17, 3
	v_mov_b64_e32 v[92:93], v[94:95]
	s_cbranch_scc1 .LBB147_26
; %bb.25:
	s_lshl_b64 s[0:1], s[68:69], 5
	v_lshl_add_u64 v[0:1], v[136:137], 0, s[0:1]
	global_load_dwordx4 v[92:95], v[0:1], off
.LBB147_26:
	s_cmp_gt_i32 s17, 3
	v_mov_b64_e32 v[86:87], 0
	s_cselect_b64 s[60:61], -1, 0
	s_cmp_lt_i32 s17, 4
	v_mov_b64_e32 v[122:123], v[86:87]
	v_mov_b64_e32 v[120:121], v[86:87]
	s_cbranch_scc1 .LBB147_28
; %bb.27:
	v_mad_i64_i32 v[0:1], s[0:1], s68, 48, v[136:137]
	global_load_dwordx4 v[120:123], v[0:1], off
.LBB147_28:
	s_cmp_gt_i32 s17, 4
	s_cselect_b64 s[58:59], -1, 0
	s_cmp_lt_i32 s17, 5
	v_mov_b64_e32 v[84:85], v[86:87]
	s_cbranch_scc1 .LBB147_30
; %bb.29:
	s_lshl_b64 s[0:1], s[68:69], 6
	v_lshl_add_u64 v[0:1], v[136:137], 0, s[0:1]
	global_load_dwordx4 v[84:87], v[0:1], off
.LBB147_30:
	s_cmp_gt_i32 s17, 5
	v_mov_b64_e32 v[78:79], 0
	s_cselect_b64 s[56:57], -1, 0
	s_cmp_lt_i32 s17, 6
	v_mov_b64_e32 v[118:119], v[78:79]
	v_mov_b64_e32 v[116:117], v[78:79]
	s_cbranch_scc1 .LBB147_32
; %bb.31:
	v_mov_b32_e32 v0, 0x50
	v_mad_i64_i32 v[0:1], s[0:1], s68, v0, v[136:137]
	global_load_dwordx4 v[116:119], v[0:1], off
.LBB147_32:
	s_cmp_gt_i32 s17, 6
	s_cselect_b64 s[54:55], -1, 0
	s_cmp_lt_i32 s17, 7
	v_mov_b64_e32 v[76:77], v[78:79]
	s_cbranch_scc1 .LBB147_34
; %bb.33:
	v_mov_b32_e32 v0, 0x60
	v_mad_i64_i32 v[0:1], s[0:1], s68, v0, v[136:137]
	global_load_dwordx4 v[76:79], v[0:1], off
.LBB147_34:
	s_cmp_gt_i32 s17, 7
	v_mov_b64_e32 v[70:71], 0
	s_cselect_b64 s[52:53], -1, 0
	s_cmp_lt_i32 s17, 8
	v_mov_b64_e32 v[114:115], v[70:71]
	v_mov_b64_e32 v[112:113], v[70:71]
	s_cbranch_scc1 .LBB147_36
; %bb.35:
	v_mov_b32_e32 v0, 0x70
	v_mad_i64_i32 v[0:1], s[0:1], s68, v0, v[136:137]
	global_load_dwordx4 v[112:115], v[0:1], off
.LBB147_36:
	s_cmp_gt_i32 s17, 8
	s_cselect_b64 s[50:51], -1, 0
	s_cmp_lt_i32 s17, 9
	v_mov_b64_e32 v[68:69], v[70:71]
	s_cbranch_scc1 .LBB147_38
; %bb.37:
	s_lshl_b64 s[0:1], s[68:69], 7
	v_lshl_add_u64 v[0:1], v[136:137], 0, s[0:1]
	global_load_dwordx4 v[68:71], v[0:1], off
.LBB147_38:
	s_cmp_gt_i32 s17, 9
	v_mov_b64_e32 v[62:63], 0
	s_cselect_b64 s[48:49], -1, 0
	s_cmp_lt_i32 s17, 10
	v_mov_b64_e32 v[110:111], v[62:63]
	v_mov_b64_e32 v[108:109], v[62:63]
	s_cbranch_scc1 .LBB147_40
; %bb.39:
	v_mov_b32_e32 v0, 0x90
	v_mad_i64_i32 v[0:1], s[0:1], s68, v0, v[136:137]
	global_load_dwordx4 v[108:111], v[0:1], off
.LBB147_40:
	s_cmp_gt_i32 s17, 10
	s_cselect_b64 s[46:47], -1, 0
	s_cmp_lt_i32 s17, 11
	v_mov_b64_e32 v[60:61], v[62:63]
	s_cbranch_scc1 .LBB147_42
; %bb.41:
	v_mov_b32_e32 v0, 0xa0
	v_mad_i64_i32 v[0:1], s[0:1], s68, v0, v[136:137]
	global_load_dwordx4 v[60:63], v[0:1], off
.LBB147_42:
	s_cmp_gt_i32 s17, 11
	v_mov_b64_e32 v[54:55], 0
	s_cselect_b64 s[44:45], -1, 0
	s_cmp_lt_i32 s17, 12
	v_mov_b64_e32 v[106:107], v[54:55]
	v_mov_b64_e32 v[104:105], v[54:55]
	s_cbranch_scc1 .LBB147_44
; %bb.43:
	v_mov_b32_e32 v0, 0xb0
	v_mad_i64_i32 v[0:1], s[0:1], s68, v0, v[136:137]
	global_load_dwordx4 v[104:107], v[0:1], off
.LBB147_44:
	s_cmp_gt_i32 s17, 12
	s_cselect_b64 s[42:43], -1, 0
	s_cmp_lt_i32 s17, 13
	v_mov_b64_e32 v[52:53], v[54:55]
	s_cbranch_scc1 .LBB147_46
; %bb.45:
	v_mov_b32_e32 v0, 0xc0
	v_mad_i64_i32 v[0:1], s[0:1], s68, v0, v[136:137]
	global_load_dwordx4 v[52:55], v[0:1], off
.LBB147_46:
	;; [unrolled: 22-line block ×3, first 2 shown]
	s_cmp_gt_i32 s17, 15
	v_mov_b64_e32 v[38:39], 0
	s_cselect_b64 s[36:37], -1, 0
	s_cmp_lt_i32 s17, 16
	v_mov_b64_e32 v[98:99], v[38:39]
	v_mov_b64_e32 v[96:97], v[38:39]
	s_cbranch_scc1 .LBB147_52
; %bb.51:
	v_mov_b32_e32 v0, 0xf0
	v_mad_i64_i32 v[0:1], s[0:1], s68, v0, v[136:137]
	global_load_dwordx4 v[96:99], v[0:1], off
.LBB147_52:
	s_cmp_gt_i32 s17, 16
	s_cselect_b64 s[34:35], -1, 0
	s_cmp_lt_i32 s17, 17
	v_mov_b64_e32 v[36:37], v[38:39]
	s_cbranch_scc1 .LBB147_54
; %bb.53:
	s_lshl_b64 s[0:1], s[68:69], 8
	v_lshl_add_u64 v[0:1], v[136:137], 0, s[0:1]
	global_load_dwordx4 v[36:39], v[0:1], off
.LBB147_54:
	s_cmp_gt_i32 s17, 17
	v_mov_b64_e32 v[30:31], 0
	s_cselect_b64 s[30:31], -1, 0
	s_cmp_lt_i32 s17, 18
	v_mov_b64_e32 v[90:91], v[30:31]
	v_mov_b64_e32 v[88:89], v[30:31]
	s_cbranch_scc1 .LBB147_56
; %bb.55:
	v_mov_b32_e32 v0, 0x110
	v_mad_i64_i32 v[0:1], s[0:1], s68, v0, v[136:137]
	global_load_dwordx4 v[88:91], v[0:1], off
.LBB147_56:
	s_cmp_gt_i32 s17, 18
	s_cselect_b64 s[28:29], -1, 0
	s_cmp_lt_i32 s17, 19
	v_mov_b64_e32 v[28:29], v[30:31]
	s_cbranch_scc1 .LBB147_58
; %bb.57:
	v_mov_b32_e32 v0, 0x120
	v_mad_i64_i32 v[0:1], s[0:1], s68, v0, v[136:137]
	global_load_dwordx4 v[28:31], v[0:1], off
.LBB147_58:
	s_cmp_gt_i32 s17, 19
	v_mov_b64_e32 v[26:27], 0
	s_cselect_b64 s[26:27], -1, 0
	s_cmp_lt_i32 s17, 20
	v_mov_b64_e32 v[82:83], v[26:27]
	v_mov_b64_e32 v[80:81], v[26:27]
	s_cbranch_scc1 .LBB147_60
; %bb.59:
	v_mov_b32_e32 v0, 0x130
	v_mad_i64_i32 v[0:1], s[0:1], s68, v0, v[136:137]
	global_load_dwordx4 v[80:83], v[0:1], off
.LBB147_60:
	s_cmp_gt_i32 s17, 20
	s_cselect_b64 s[24:25], -1, 0
	s_cmp_lt_i32 s17, 21
	v_mov_b64_e32 v[24:25], v[26:27]
	s_cbranch_scc1 .LBB147_62
; %bb.61:
	v_mov_b32_e32 v0, 0x140
	v_mad_i64_i32 v[0:1], s[0:1], s68, v0, v[136:137]
	global_load_dwordx4 v[24:27], v[0:1], off
.LBB147_62:
	;; [unrolled: 22-line block ×7, first 2 shown]
	s_cmp_gt_i32 s17, 31
	v_mov_b64_e32 v[134:135], 0
	s_cselect_b64 s[0:1], -1, 0
	s_cmp_lt_i32 s17, 32
	v_mov_b64_e32 v[34:35], v[134:135]
	v_mov_b64_e32 v[32:33], v[134:135]
	s_cbranch_scc1 .LBB147_84
; %bb.83:
	v_mov_b32_e32 v32, 0x1f0
	v_mad_i64_i32 v[32:33], s[16:17], s68, v32, v[136:137]
	global_load_dwordx4 v[32:35], v[32:33], off
.LBB147_84:
	s_andn2_b64 vcc, exec, s[62:63]
	v_mov_b64_e32 v[136:137], v[134:135]
	s_cbranch_vccnz .LBB147_86
; %bb.85:
	ds_read_b128 v[142:145], v141
	s_waitcnt vmcnt(0) lgkmcnt(0)
	v_mul_f64 v[136:137], v[22:23], v[144:145]
	v_mul_f64 v[134:135], v[20:21], v[144:145]
	v_fma_f64 v[136:137], v[20:21], v[142:143], -v[136:137]
	v_fmac_f64_e32 v[134:135], v[22:23], v[142:143]
.LBB147_86:
	s_waitcnt vmcnt(0)
	v_mov_b64_e32 v[20:21], 0
	s_andn2_b64 vcc, exec, s[66:67]
	v_mov_b64_e32 v[22:23], v[20:21]
	v_mov_b64_e32 v[138:139], v[20:21]
	s_cbranch_vccnz .LBB147_88
; %bb.87:
	ds_read_b128 v[142:145], v141 offset:16
	s_waitcnt lgkmcnt(0)
	v_mul_f64 v[138:139], v[126:127], v[144:145]
	v_mul_f64 v[22:23], v[124:125], v[144:145]
	v_fma_f64 v[138:139], v[124:125], v[142:143], -v[138:139]
	v_fmac_f64_e32 v[22:23], v[126:127], v[142:143]
.LBB147_88:
	s_andn2_b64 vcc, exec, s[64:65]
	v_mov_b64_e32 v[124:125], v[20:21]
	s_cbranch_vccnz .LBB147_90
; %bb.89:
	ds_read_b128 v[142:145], v141 offset:32
	s_waitcnt lgkmcnt(0)
	v_mul_f64 v[124:125], v[94:95], v[144:145]
	v_mul_f64 v[20:21], v[92:93], v[144:145]
	v_fma_f64 v[124:125], v[92:93], v[142:143], -v[124:125]
	v_fmac_f64_e32 v[20:21], v[94:95], v[142:143]
.LBB147_90:
	v_mov_b64_e32 v[92:93], 0
	s_andn2_b64 vcc, exec, s[60:61]
	v_mov_b64_e32 v[94:95], v[92:93]
	v_mov_b64_e32 v[126:127], v[92:93]
	s_cbranch_vccnz .LBB147_92
; %bb.91:
	ds_read_b128 v[142:145], v141 offset:48
	s_waitcnt lgkmcnt(0)
	v_mul_f64 v[126:127], v[122:123], v[144:145]
	v_mul_f64 v[94:95], v[120:121], v[144:145]
	v_fma_f64 v[126:127], v[120:121], v[142:143], -v[126:127]
	v_fmac_f64_e32 v[94:95], v[122:123], v[142:143]
.LBB147_92:
	s_andn2_b64 vcc, exec, s[58:59]
	v_mov_b64_e32 v[120:121], v[92:93]
	s_cbranch_vccnz .LBB147_94
; %bb.93:
	ds_read_b128 v[142:145], v141 offset:64
	s_waitcnt lgkmcnt(0)
	v_mul_f64 v[120:121], v[86:87], v[144:145]
	v_mul_f64 v[92:93], v[84:85], v[144:145]
	v_fma_f64 v[120:121], v[84:85], v[142:143], -v[120:121]
	v_fmac_f64_e32 v[92:93], v[86:87], v[142:143]
.LBB147_94:
	;; [unrolled: 24-line block ×14, first 2 shown]
	v_mov_b64_e32 v[4:5], 0
	s_andn2_b64 vcc, exec, s[4:5]
	v_mov_b64_e32 v[6:7], v[4:5]
	v_mov_b64_e32 v[50:51], v[4:5]
	s_cbranch_vccz .LBB147_148
; %bb.143:
	s_andn2_b64 vcc, exec, s[2:3]
	v_mov_b64_e32 v[40:41], v[4:5]
	s_cbranch_vccz .LBB147_149
.LBB147_144:
	v_mov_b64_e32 v[0:1], 0
	s_andn2_b64 vcc, exec, s[0:1]
	v_mov_b64_e32 v[2:3], v[0:1]
	s_cbranch_vccnz .LBB147_146
.LBB147_145:
	ds_read_b128 v[142:145], v141 offset:496
	s_waitcnt lgkmcnt(0)
	v_mul_f64 v[2:3], v[34:35], v[144:145]
	v_mul_f64 v[0:1], v[32:33], v[144:145]
	v_fma_f64 v[2:3], v[32:33], v[142:143], -v[2:3]
	v_fmac_f64_e32 v[0:1], v[34:35], v[142:143]
.LBB147_146:
	v_add_f64 v[34:35], v[130:131], v[134:135]
	v_add_f64 v[32:33], v[132:133], v[136:137]
	;; [unrolled: 1-line block ×63, first 2 shown]
	v_mad_i64_i32 v[0:1], s[0:1], s33, v140, 0
	v_add_f64 v[2:3], v[8:9], v[2:3]
	v_lshl_add_u64 v[0:1], v[0:1], 4, v[128:129]
	global_store_dwordx4 v[0:1], v[2:5], off
.LBB147_147:
	s_endpgm
.LBB147_148:
	ds_read_b128 v[142:145], v141 offset:464
	s_waitcnt lgkmcnt(0)
	v_mul_f64 v[50:51], v[42:43], v[144:145]
	v_mul_f64 v[6:7], v[40:41], v[144:145]
	v_fma_f64 v[50:51], v[40:41], v[142:143], -v[50:51]
	v_fmac_f64_e32 v[6:7], v[42:43], v[142:143]
	s_andn2_b64 vcc, exec, s[2:3]
	v_mov_b64_e32 v[40:41], v[4:5]
	s_cbranch_vccnz .LBB147_144
.LBB147_149:
	ds_read_b128 v[142:145], v141 offset:480
	s_waitcnt lgkmcnt(0)
	v_mul_f64 v[40:41], v[2:3], v[144:145]
	v_mul_f64 v[4:5], v[0:1], v[144:145]
	v_fma_f64 v[40:41], v[0:1], v[142:143], -v[40:41]
	v_fmac_f64_e32 v[4:5], v[2:3], v[142:143]
	v_mov_b64_e32 v[0:1], 0
	s_andn2_b64 vcc, exec, s[0:1]
	v_mov_b64_e32 v[2:3], v[0:1]
	s_cbranch_vccz .LBB147_145
	s_branch .LBB147_146
	.section	.rodata,"a",@progbits
	.p2align	6, 0x0
	.amdhsa_kernel _ZL34rocblas_gemvn_sm_mn_batched_kernelILi32ELi24E19rocblas_complex_numIdES1_S1_EviiT2_lPKT1_lilS5_lilS2_lPT3_lili
		.amdhsa_group_segment_fixed_size 12288
		.amdhsa_private_segment_fixed_size 0
		.amdhsa_kernarg_size 416
		.amdhsa_user_sgpr_count 2
		.amdhsa_user_sgpr_dispatch_ptr 0
		.amdhsa_user_sgpr_queue_ptr 0
		.amdhsa_user_sgpr_kernarg_segment_ptr 1
		.amdhsa_user_sgpr_dispatch_id 0
		.amdhsa_user_sgpr_kernarg_preload_length 0
		.amdhsa_user_sgpr_kernarg_preload_offset 0
		.amdhsa_user_sgpr_private_segment_size 0
		.amdhsa_uses_dynamic_stack 0
		.amdhsa_enable_private_segment 0
		.amdhsa_system_sgpr_workgroup_id_x 1
		.amdhsa_system_sgpr_workgroup_id_y 0
		.amdhsa_system_sgpr_workgroup_id_z 0
		.amdhsa_system_sgpr_workgroup_info 0
		.amdhsa_system_vgpr_workitem_id 1
		.amdhsa_next_free_vgpr 146
		.amdhsa_next_free_sgpr 70
		.amdhsa_accum_offset 148
		.amdhsa_reserve_vcc 1
		.amdhsa_float_round_mode_32 0
		.amdhsa_float_round_mode_16_64 0
		.amdhsa_float_denorm_mode_32 3
		.amdhsa_float_denorm_mode_16_64 3
		.amdhsa_dx10_clamp 1
		.amdhsa_ieee_mode 1
		.amdhsa_fp16_overflow 0
		.amdhsa_tg_split 0
		.amdhsa_exception_fp_ieee_invalid_op 0
		.amdhsa_exception_fp_denorm_src 0
		.amdhsa_exception_fp_ieee_div_zero 0
		.amdhsa_exception_fp_ieee_overflow 0
		.amdhsa_exception_fp_ieee_underflow 0
		.amdhsa_exception_fp_ieee_inexact 0
		.amdhsa_exception_int_div_zero 0
	.end_amdhsa_kernel
	.section	.text._ZL34rocblas_gemvn_sm_mn_batched_kernelILi32ELi24E19rocblas_complex_numIdES1_S1_EviiT2_lPKT1_lilS5_lilS2_lPT3_lili,"axG",@progbits,_ZL34rocblas_gemvn_sm_mn_batched_kernelILi32ELi24E19rocblas_complex_numIdES1_S1_EviiT2_lPKT1_lilS5_lilS2_lPT3_lili,comdat
.Lfunc_end147:
	.size	_ZL34rocblas_gemvn_sm_mn_batched_kernelILi32ELi24E19rocblas_complex_numIdES1_S1_EviiT2_lPKT1_lilS5_lilS2_lPT3_lili, .Lfunc_end147-_ZL34rocblas_gemvn_sm_mn_batched_kernelILi32ELi24E19rocblas_complex_numIdES1_S1_EviiT2_lPKT1_lilS5_lilS2_lPT3_lili
                                        ; -- End function
	.section	.AMDGPU.csdata,"",@progbits
; Kernel info:
; codeLenInByte = 4660
; NumSgprs: 76
; NumVgprs: 146
; NumAgprs: 0
; TotalNumVgprs: 146
; ScratchSize: 0
; MemoryBound: 1
; FloatMode: 240
; IeeeMode: 1
; LDSByteSize: 12288 bytes/workgroup (compile time only)
; SGPRBlocks: 9
; VGPRBlocks: 18
; NumSGPRsForWavesPerEU: 76
; NumVGPRsForWavesPerEU: 146
; AccumOffset: 148
; Occupancy: 3
; WaveLimiterHint : 1
; COMPUTE_PGM_RSRC2:SCRATCH_EN: 0
; COMPUTE_PGM_RSRC2:USER_SGPR: 2
; COMPUTE_PGM_RSRC2:TRAP_HANDLER: 0
; COMPUTE_PGM_RSRC2:TGID_X_EN: 1
; COMPUTE_PGM_RSRC2:TGID_Y_EN: 0
; COMPUTE_PGM_RSRC2:TGID_Z_EN: 0
; COMPUTE_PGM_RSRC2:TIDIG_COMP_CNT: 1
; COMPUTE_PGM_RSRC3_GFX90A:ACCUM_OFFSET: 36
; COMPUTE_PGM_RSRC3_GFX90A:TG_SPLIT: 0
	.section	.text._ZL20rocblas_gemvn_kernelILi64ELi4Ei19rocblas_complex_numIdEPKS1_S1_EviiT3_lPKT2_lT1_lS7_lS8_lS4_lPT4_lS8_li,"axG",@progbits,_ZL20rocblas_gemvn_kernelILi64ELi4Ei19rocblas_complex_numIdEPKS1_S1_EviiT3_lPKT2_lT1_lS7_lS8_lS4_lPT4_lS8_li,comdat
	.globl	_ZL20rocblas_gemvn_kernelILi64ELi4Ei19rocblas_complex_numIdEPKS1_S1_EviiT3_lPKT2_lT1_lS7_lS8_lS4_lPT4_lS8_li ; -- Begin function _ZL20rocblas_gemvn_kernelILi64ELi4Ei19rocblas_complex_numIdEPKS1_S1_EviiT3_lPKT2_lT1_lS7_lS8_lS4_lPT4_lS8_li
	.p2align	8
	.type	_ZL20rocblas_gemvn_kernelILi64ELi4Ei19rocblas_complex_numIdEPKS1_S1_EviiT3_lPKT2_lT1_lS7_lS8_lS4_lPT4_lS8_li,@function
_ZL20rocblas_gemvn_kernelILi64ELi4Ei19rocblas_complex_numIdEPKS1_S1_EviiT3_lPKT2_lT1_lS7_lS8_lS4_lPT4_lS8_li: ; @_ZL20rocblas_gemvn_kernelILi64ELi4Ei19rocblas_complex_numIdEPKS1_S1_EviiT3_lPKT2_lT1_lS7_lS8_lS4_lPT4_lS8_li
; %bb.0:
	s_load_dwordx2 s[4:5], s[0:1], 0x9c
	s_waitcnt lgkmcnt(0)
	s_lshr_b32 s6, s4, 16
	s_and_b32 s28, s4, 0xffff
	s_and_b32 s5, s5, 0xffff
	s_mul_i32 s4, s6, s28
	s_mul_i32 s4, s4, s5
	s_cmpk_lg_i32 s4, 0x100
	s_cbranch_scc1 .LBB148_34
; %bb.1:
	s_load_dwordx8 s[16:23], s[0:1], 0x8
	s_load_dwordx8 s[8:15], s[0:1], 0x50
	s_waitcnt lgkmcnt(0)
	s_mul_i32 s5, s3, s19
	s_mul_hi_u32 s6, s3, s18
	s_mul_i32 s4, s3, s18
	s_add_i32 s5, s6, s5
	s_lshl_b64 s[4:5], s[4:5], 4
	s_add_u32 s4, s16, s4
	s_addc_u32 s5, s17, s5
	s_mul_i32 s7, s3, s13
	s_load_dwordx4 s[24:27], s[4:5], 0x0
	s_mul_hi_u32 s4, s3, s12
	s_add_i32 s5, s4, s7
	s_mul_i32 s4, s3, s12
	s_lshl_b64 s[4:5], s[4:5], 4
	s_add_u32 s4, s10, s4
	s_addc_u32 s5, s11, s5
	s_load_dwordx4 s[16:19], s[4:5], 0x0
	s_waitcnt lgkmcnt(0)
	v_cmp_neq_f64_e64 s[4:5], s[24:25], 0
	v_cmp_neq_f64_e64 s[6:7], s[26:27], 0
	s_or_b64 s[4:5], s[4:5], s[6:7]
	s_mov_b64 s[6:7], -1
	s_and_b64 vcc, exec, s[4:5]
	s_cbranch_vccnz .LBB148_3
; %bb.2:
	v_cmp_neq_f64_e64 s[6:7], s[16:17], 1.0
	v_cmp_neq_f64_e64 s[10:11], s[18:19], 0
	s_or_b64 s[6:7], s[6:7], s[10:11]
.LBB148_3:
	s_andn2_b64 vcc, exec, s[6:7]
	s_cbranch_vccnz .LBB148_34
; %bb.4:
	s_load_dwordx2 s[6:7], s[0:1], 0x80
	s_load_dword s30, s[0:1], 0x78
	s_load_dwordx2 s[12:13], s[0:1], 0x70
	s_load_dwordx2 s[10:11], s[0:1], 0x0
	s_xor_b64 s[4:5], s[4:5], -1
	s_waitcnt lgkmcnt(0)
	s_mul_i32 s7, s3, s7
	s_mul_hi_u32 s29, s3, s6
	s_add_i32 s7, s29, s7
	s_mul_i32 s6, s3, s6
	s_lshl_b64 s[6:7], s[6:7], 4
	s_add_u32 s14, s14, s6
	s_addc_u32 s15, s15, s7
	s_lshl_b64 s[6:7], s[12:13], 4
	v_and_b32_e32 v1, 0x3ff, v0
	v_bfe_u32 v0, v0, 10, 10
	s_add_u32 s6, s14, s6
	v_mad_u32_u24 v10, v0, s28, v1
	s_addc_u32 s7, s15, s7
	s_andn2_b64 vcc, exec, s[4:5]
	v_cmp_gt_u32_e64 s[4:5], 64, v10
	s_cbranch_vccnz .LBB148_11
; %bb.5:
	s_mov_b64 s[14:15], 0
	s_mov_b64 s[12:13], 0
                                        ; implicit-def: $vgpr2_vgpr3
                                        ; implicit-def: $vgpr8_vgpr9
	s_and_saveexec_b64 s[28:29], s[4:5]
	s_cbranch_execz .LBB148_12
; %bb.6:
	v_lshl_or_b32 v0, s2, 6, v10
	v_mov_b32_e32 v1, 0
	s_ashr_i32 s5, s10, 31
	s_mov_b32 s4, s10
	v_cmp_gt_i64_e32 vcc, s[4:5], v[0:1]
                                        ; implicit-def: $vgpr2_vgpr3
                                        ; implicit-def: $vgpr8_vgpr9
	s_and_saveexec_b64 s[4:5], vcc
	s_cbranch_execz .LBB148_10
; %bb.7:
	v_mad_u64_u32 v[8:9], s[36:37], v0, s30, 0
	v_cmp_neq_f64_e64 s[12:13], s[16:17], 0
	v_cmp_neq_f64_e64 s[34:35], s[18:19], 0
	s_ashr_i32 s31, s30, 31
	v_mov_b32_e32 v4, v9
	v_mov_b64_e32 v[2:3], 0
	v_mad_u64_u32 v[0:1], s[36:37], v0, s31, v[4:5]
	s_or_b64 s[12:13], s[12:13], s[34:35]
	v_mov_b32_e32 v9, v0
	s_andn2_b64 vcc, exec, s[12:13]
	v_mov_b64_e32 v[0:1], v[2:3]
	s_cbranch_vccnz .LBB148_9
; %bb.8:
	v_lshl_add_u64 v[0:1], v[8:9], 4, s[6:7]
	global_load_dwordx4 v[4:7], v[0:1], off
	s_waitcnt vmcnt(0)
	v_mul_f64 v[0:1], s[18:19], v[6:7]
	v_mul_f64 v[2:3], s[16:17], v[6:7]
	v_fma_f64 v[0:1], s[16:17], v[4:5], -v[0:1]
	v_fmac_f64_e32 v[2:3], s[18:19], v[4:5]
.LBB148_9:
	s_mov_b64 s[12:13], exec
.LBB148_10:
	s_or_b64 exec, exec, s[4:5]
	s_and_b64 s[12:13], s[12:13], exec
	s_or_b64 exec, exec, s[28:29]
	s_and_b64 vcc, exec, s[14:15]
	s_cbranch_vccnz .LBB148_13
	s_branch .LBB148_32
.LBB148_11:
	s_mov_b64 s[12:13], 0
                                        ; implicit-def: $vgpr2_vgpr3
                                        ; implicit-def: $vgpr8_vgpr9
	s_cbranch_execnz .LBB148_13
	s_branch .LBB148_32
.LBB148_12:
	s_or_b64 exec, exec, s[28:29]
	s_and_b64 vcc, exec, s[14:15]
	s_cbranch_vccz .LBB148_32
.LBB148_13:
	s_load_dwordx4 s[36:39], s[0:1], 0x30
	s_load_dword s28, s[0:1], 0x28
	s_load_dwordx2 s[14:15], s[0:1], 0x40
	s_load_dword s29, s[0:1], 0x48
	v_and_b32_e32 v5, 63, v10
	s_waitcnt lgkmcnt(0)
	s_mul_i32 s0, s3, s37
	s_mul_hi_u32 s1, s3, s36
	s_add_i32 s1, s1, s0
	s_mul_i32 s0, s3, s36
	s_lshl_b64 s[0:1], s[0:1], 4
	s_add_u32 s4, s20, s0
	s_addc_u32 s5, s21, s1
	s_lshl_b64 s[0:1], s[22:23], 4
	s_add_u32 s4, s4, s0
	s_addc_u32 s5, s5, s1
	s_mul_i32 s0, s3, s9
	s_mul_hi_u32 s1, s3, s8
	s_add_i32 s1, s1, s0
	s_mul_i32 s0, s3, s8
	s_lshl_b64 s[0:1], s[0:1], 4
	s_add_u32 s3, s38, s0
	s_addc_u32 s9, s39, s1
	s_lshl_b64 s[0:1], s[14:15], 4
	s_add_u32 s8, s3, s0
	s_addc_u32 s9, s9, s1
	s_ashr_i32 s0, s11, 31
	s_lshr_b32 s0, s0, 30
	s_add_i32 s0, s11, s0
	v_lshrrev_b32_e32 v9, 6, v10
	s_lshl_b32 s20, s2, 6
	s_and_b32 s21, s0, -4
	v_mov_b64_e32 v[2:3], 0
	v_or_b32_e32 v8, s20, v5
	v_cmp_gt_i32_e32 vcc, s21, v9
	v_mov_b64_e32 v[0:1], v[2:3]
	s_and_saveexec_b64 s[2:3], vcc
	s_cbranch_execz .LBB148_19
; %bb.14:
	v_mul_lo_u32 v0, s28, v9
	v_mov_b64_e32 v[2:3], 0
	v_cmp_gt_i32_e32 vcc, s10, v8
	v_mul_lo_u32 v4, s29, v9
	s_lshl_b32 s22, s29, 2
	v_add3_u32 v6, v0, s20, v5
	s_lshl_b32 s23, s28, 2
	s_mov_b64 s[14:15], 0
	v_mov_b64_e32 v[0:1], v[2:3]
	s_branch .LBB148_16
.LBB148_15:                             ;   in Loop: Header=BB148_16 Depth=1
	s_or_b64 exec, exec, s[0:1]
	v_add_u32_e32 v9, 4, v9
	v_cmp_le_i32_e64 s[0:1], s21, v9
	v_add_u32_e32 v4, s22, v4
	s_or_b64 s[14:15], s[0:1], s[14:15]
	v_add_u32_e32 v6, s23, v6
	s_andn2_b64 exec, exec, s[14:15]
	s_cbranch_execz .LBB148_18
.LBB148_16:                             ; =>This Inner Loop Header: Depth=1
	s_and_saveexec_b64 s[0:1], vcc
	s_cbranch_execz .LBB148_15
; %bb.17:                               ;   in Loop: Header=BB148_16 Depth=1
	v_ashrrev_i32_e32 v5, 31, v4
	v_ashrrev_i32_e32 v7, 31, v6
	v_lshl_add_u64 v[22:23], v[4:5], 4, s[8:9]
	v_lshl_add_u64 v[20:21], v[6:7], 4, s[4:5]
	global_load_dwordx4 v[12:15], v[22:23], off
	global_load_dwordx4 v[16:19], v[20:21], off
	s_waitcnt vmcnt(0)
	v_mul_f64 v[20:21], v[14:15], v[18:19]
	v_mul_f64 v[18:19], v[12:13], v[18:19]
	v_fma_f64 v[12:13], v[12:13], v[16:17], -v[20:21]
	v_fmac_f64_e32 v[18:19], v[14:15], v[16:17]
	v_add_f64 v[0:1], v[0:1], v[12:13]
	v_add_f64 v[2:3], v[2:3], v[18:19]
	s_branch .LBB148_15
.LBB148_18:
	s_or_b64 exec, exec, s[14:15]
.LBB148_19:
	s_or_b64 exec, exec, s[2:3]
	s_sub_i32 s0, s11, s21
	s_cmp_lt_i32 s0, 1
	s_cbranch_scc1 .LBB148_25
; %bb.20:
	v_mov_b64_e32 v[4:5], 0
	v_cmp_gt_i32_e32 vcc, s11, v9
	v_mov_b64_e32 v[6:7], v[4:5]
	s_and_saveexec_b64 s[0:1], vcc
	s_cbranch_execz .LBB148_22
; %bb.21:
	v_mul_lo_u32 v4, v9, s29
	v_ashrrev_i32_e32 v5, 31, v4
	v_lshl_add_u64 v[4:5], v[4:5], 4, s[8:9]
	global_load_dwordx4 v[4:7], v[4:5], off
.LBB148_22:
	s_or_b64 exec, exec, s[0:1]
	v_cmp_gt_i32_e64 s[0:1], s10, v8
	s_and_saveexec_b64 s[2:3], s[0:1]
	s_cbranch_execz .LBB148_24
; %bb.23:
	v_mul_lo_u32 v9, v9, s28
	v_cndmask_b32_e32 v9, 0, v9, vcc
	v_add_u32_e32 v8, v9, v8
	v_ashrrev_i32_e32 v9, 31, v8
	v_lshl_add_u64 v[8:9], v[8:9], 4, s[4:5]
	global_load_dwordx4 v[12:15], v[8:9], off
	s_waitcnt vmcnt(0)
	v_mul_f64 v[8:9], v[6:7], v[14:15]
	v_mul_f64 v[14:15], v[4:5], v[14:15]
	v_fma_f64 v[4:5], v[4:5], v[12:13], -v[8:9]
	v_fmac_f64_e32 v[14:15], v[6:7], v[12:13]
	v_add_f64 v[0:1], v[0:1], v[4:5]
	v_add_f64 v[2:3], v[2:3], v[14:15]
.LBB148_24:
	s_or_b64 exec, exec, s[2:3]
.LBB148_25:
	v_lshlrev_b32_e32 v11, 4, v10
	v_cmp_gt_u32_e32 vcc, 64, v10
	ds_write_b128 v11, v[0:3]
	s_waitcnt lgkmcnt(0)
	s_barrier
	s_waitcnt lgkmcnt(0)
                                        ; implicit-def: $vgpr2_vgpr3
                                        ; implicit-def: $vgpr8_vgpr9
	s_and_saveexec_b64 s[0:1], vcc
	s_cbranch_execz .LBB148_31
; %bb.26:
	ds_read_b128 v[0:3], v11
	s_waitcnt vmcnt(0)
	ds_read_b128 v[4:7], v11 offset:1024
	ds_read_b128 v[12:15], v11 offset:2048
	;; [unrolled: 1-line block ×3, first 2 shown]
	v_or_b32_e32 v10, s20, v10
	v_cmp_gt_i32_e32 vcc, s10, v10
	s_waitcnt lgkmcnt(2)
	v_add_f64 v[0:1], v[0:1], v[4:5]
	v_add_f64 v[2:3], v[2:3], v[6:7]
	s_waitcnt lgkmcnt(1)
	v_add_f64 v[0:1], v[0:1], v[12:13]
	v_add_f64 v[2:3], v[2:3], v[14:15]
	;; [unrolled: 3-line block ×3, first 2 shown]
	s_mov_b64 s[4:5], s[12:13]
	ds_write_b128 v11, v[4:7]
                                        ; implicit-def: $vgpr2_vgpr3
                                        ; implicit-def: $vgpr8_vgpr9
	s_and_saveexec_b64 s[2:3], vcc
	s_cbranch_execz .LBB148_30
; %bb.27:
	v_cmp_neq_f64_e64 s[4:5], s[16:17], 0
	v_cmp_neq_f64_e64 s[8:9], s[18:19], 0
	v_mul_f64 v[0:1], s[26:27], v[6:7]
	v_mul_f64 v[2:3], s[24:25], v[6:7]
	v_mul_lo_u32 v8, v10, s30
	s_or_b64 s[4:5], s[4:5], s[8:9]
	v_fma_f64 v[0:1], s[24:25], v[4:5], -v[0:1]
	v_fmac_f64_e32 v[2:3], s[26:27], v[4:5]
	s_andn2_b64 vcc, exec, s[4:5]
	v_ashrrev_i32_e32 v9, 31, v8
	s_cbranch_vccnz .LBB148_29
; %bb.28:
	v_lshl_add_u64 v[4:5], v[8:9], 4, s[6:7]
	global_load_dwordx4 v[4:7], v[4:5], off
	s_waitcnt vmcnt(0)
	v_mul_f64 v[10:11], s[18:19], v[6:7]
	v_mul_f64 v[6:7], s[16:17], v[6:7]
	v_fma_f64 v[10:11], s[16:17], v[4:5], -v[10:11]
	v_fmac_f64_e32 v[6:7], s[18:19], v[4:5]
	v_add_f64 v[0:1], v[0:1], v[10:11]
	v_add_f64 v[2:3], v[2:3], v[6:7]
.LBB148_29:
	s_or_b64 s[4:5], s[12:13], exec
.LBB148_30:
	s_or_b64 exec, exec, s[2:3]
	s_andn2_b64 s[2:3], s[12:13], exec
	s_and_b64 s[4:5], s[4:5], exec
	s_or_b64 s[12:13], s[2:3], s[4:5]
.LBB148_31:
	s_or_b64 exec, exec, s[0:1]
.LBB148_32:
	s_and_saveexec_b64 s[0:1], s[12:13]
	s_cbranch_execz .LBB148_34
; %bb.33:
	s_waitcnt vmcnt(0)
	v_lshl_add_u64 v[4:5], v[8:9], 4, s[6:7]
	global_store_dwordx4 v[4:5], v[0:3], off
.LBB148_34:
	s_endpgm
	.section	.rodata,"a",@progbits
	.p2align	6, 0x0
	.amdhsa_kernel _ZL20rocblas_gemvn_kernelILi64ELi4Ei19rocblas_complex_numIdEPKS1_S1_EviiT3_lPKT2_lT1_lS7_lS8_lS4_lPT4_lS8_li
		.amdhsa_group_segment_fixed_size 4096
		.amdhsa_private_segment_fixed_size 0
		.amdhsa_kernarg_size 400
		.amdhsa_user_sgpr_count 2
		.amdhsa_user_sgpr_dispatch_ptr 0
		.amdhsa_user_sgpr_queue_ptr 0
		.amdhsa_user_sgpr_kernarg_segment_ptr 1
		.amdhsa_user_sgpr_dispatch_id 0
		.amdhsa_user_sgpr_kernarg_preload_length 0
		.amdhsa_user_sgpr_kernarg_preload_offset 0
		.amdhsa_user_sgpr_private_segment_size 0
		.amdhsa_uses_dynamic_stack 0
		.amdhsa_enable_private_segment 0
		.amdhsa_system_sgpr_workgroup_id_x 1
		.amdhsa_system_sgpr_workgroup_id_y 0
		.amdhsa_system_sgpr_workgroup_id_z 1
		.amdhsa_system_sgpr_workgroup_info 0
		.amdhsa_system_vgpr_workitem_id 1
		.amdhsa_next_free_vgpr 24
		.amdhsa_next_free_sgpr 40
		.amdhsa_accum_offset 24
		.amdhsa_reserve_vcc 1
		.amdhsa_float_round_mode_32 0
		.amdhsa_float_round_mode_16_64 0
		.amdhsa_float_denorm_mode_32 3
		.amdhsa_float_denorm_mode_16_64 3
		.amdhsa_dx10_clamp 1
		.amdhsa_ieee_mode 1
		.amdhsa_fp16_overflow 0
		.amdhsa_tg_split 0
		.amdhsa_exception_fp_ieee_invalid_op 0
		.amdhsa_exception_fp_denorm_src 0
		.amdhsa_exception_fp_ieee_div_zero 0
		.amdhsa_exception_fp_ieee_overflow 0
		.amdhsa_exception_fp_ieee_underflow 0
		.amdhsa_exception_fp_ieee_inexact 0
		.amdhsa_exception_int_div_zero 0
	.end_amdhsa_kernel
	.section	.text._ZL20rocblas_gemvn_kernelILi64ELi4Ei19rocblas_complex_numIdEPKS1_S1_EviiT3_lPKT2_lT1_lS7_lS8_lS4_lPT4_lS8_li,"axG",@progbits,_ZL20rocblas_gemvn_kernelILi64ELi4Ei19rocblas_complex_numIdEPKS1_S1_EviiT3_lPKT2_lT1_lS7_lS8_lS4_lPT4_lS8_li,comdat
.Lfunc_end148:
	.size	_ZL20rocblas_gemvn_kernelILi64ELi4Ei19rocblas_complex_numIdEPKS1_S1_EviiT3_lPKT2_lT1_lS7_lS8_lS4_lPT4_lS8_li, .Lfunc_end148-_ZL20rocblas_gemvn_kernelILi64ELi4Ei19rocblas_complex_numIdEPKS1_S1_EviiT3_lPKT2_lT1_lS7_lS8_lS4_lPT4_lS8_li
                                        ; -- End function
	.section	.AMDGPU.csdata,"",@progbits
; Kernel info:
; codeLenInByte = 1416
; NumSgprs: 46
; NumVgprs: 24
; NumAgprs: 0
; TotalNumVgprs: 24
; ScratchSize: 0
; MemoryBound: 1
; FloatMode: 240
; IeeeMode: 1
; LDSByteSize: 4096 bytes/workgroup (compile time only)
; SGPRBlocks: 5
; VGPRBlocks: 2
; NumSGPRsForWavesPerEU: 46
; NumVGPRsForWavesPerEU: 24
; AccumOffset: 24
; Occupancy: 8
; WaveLimiterHint : 1
; COMPUTE_PGM_RSRC2:SCRATCH_EN: 0
; COMPUTE_PGM_RSRC2:USER_SGPR: 2
; COMPUTE_PGM_RSRC2:TRAP_HANDLER: 0
; COMPUTE_PGM_RSRC2:TGID_X_EN: 1
; COMPUTE_PGM_RSRC2:TGID_Y_EN: 0
; COMPUTE_PGM_RSRC2:TGID_Z_EN: 1
; COMPUTE_PGM_RSRC2:TIDIG_COMP_CNT: 1
; COMPUTE_PGM_RSRC3_GFX90A:ACCUM_OFFSET: 5
; COMPUTE_PGM_RSRC3_GFX90A:TG_SPLIT: 0
	.section	.text._ZL20rocblas_gemvn_kernelILi64ELi4El19rocblas_complex_numIdEPKS1_S1_EviiT3_lPKT2_lT1_lS7_lS8_lS4_lPT4_lS8_li,"axG",@progbits,_ZL20rocblas_gemvn_kernelILi64ELi4El19rocblas_complex_numIdEPKS1_S1_EviiT3_lPKT2_lT1_lS7_lS8_lS4_lPT4_lS8_li,comdat
	.globl	_ZL20rocblas_gemvn_kernelILi64ELi4El19rocblas_complex_numIdEPKS1_S1_EviiT3_lPKT2_lT1_lS7_lS8_lS4_lPT4_lS8_li ; -- Begin function _ZL20rocblas_gemvn_kernelILi64ELi4El19rocblas_complex_numIdEPKS1_S1_EviiT3_lPKT2_lT1_lS7_lS8_lS4_lPT4_lS8_li
	.p2align	8
	.type	_ZL20rocblas_gemvn_kernelILi64ELi4El19rocblas_complex_numIdEPKS1_S1_EviiT3_lPKT2_lT1_lS7_lS8_lS4_lPT4_lS8_li,@function
_ZL20rocblas_gemvn_kernelILi64ELi4El19rocblas_complex_numIdEPKS1_S1_EviiT3_lPKT2_lT1_lS7_lS8_lS4_lPT4_lS8_li: ; @_ZL20rocblas_gemvn_kernelILi64ELi4El19rocblas_complex_numIdEPKS1_S1_EviiT3_lPKT2_lT1_lS7_lS8_lS4_lPT4_lS8_li
; %bb.0:
	s_load_dwordx2 s[4:5], s[0:1], 0x9c
	s_waitcnt lgkmcnt(0)
	s_lshr_b32 s6, s4, 16
	s_and_b32 s28, s4, 0xffff
	s_and_b32 s5, s5, 0xffff
	s_mul_i32 s4, s6, s28
	s_mul_i32 s4, s4, s5
	s_cmpk_lg_i32 s4, 0x100
	s_cbranch_scc1 .LBB149_34
; %bb.1:
	s_load_dwordx16 s[36:51], s[0:1], 0x8
	s_load_dwordx16 s[4:19], s[0:1], 0x48
	s_waitcnt lgkmcnt(0)
	s_mul_i32 s21, s3, s39
	s_mul_hi_u32 s22, s3, s38
	s_mul_i32 s20, s3, s38
	s_add_i32 s21, s22, s21
	s_lshl_b64 s[20:21], s[20:21], 4
	s_mul_i32 s11, s3, s11
	s_add_u32 s20, s36, s20
	s_mul_hi_u32 s24, s3, s10
	s_addc_u32 s21, s37, s21
	s_add_i32 s11, s24, s11
	s_mul_i32 s10, s3, s10
	s_load_dwordx4 s[20:23], s[20:21], 0x0
	s_lshl_b64 s[10:11], s[10:11], 4
	s_add_u32 s8, s8, s10
	s_addc_u32 s9, s9, s11
	s_load_dwordx4 s[8:11], s[8:9], 0x0
	s_waitcnt lgkmcnt(0)
	v_cmp_neq_f64_e64 s[24:25], s[20:21], 0
	v_cmp_neq_f64_e64 s[26:27], s[22:23], 0
	s_or_b64 s[26:27], s[24:25], s[26:27]
	s_mov_b64 s[24:25], -1
	s_and_b64 vcc, exec, s[26:27]
	s_cbranch_vccnz .LBB149_3
; %bb.2:
	v_cmp_neq_f64_e64 s[24:25], s[8:9], 1.0
	v_cmp_neq_f64_e64 s[30:31], s[10:11], 0
	s_or_b64 s[24:25], s[24:25], s[30:31]
.LBB149_3:
	s_andn2_b64 vcc, exec, s[24:25]
	s_cbranch_vccnz .LBB149_34
; %bb.4:
	s_load_dwordx2 s[24:25], s[0:1], 0x0
	s_mul_i32 s0, s3, s19
	s_mul_hi_u32 s1, s3, s18
	s_add_i32 s1, s1, s0
	s_mul_i32 s0, s3, s18
	s_lshl_b64 s[0:1], s[0:1], 4
	s_xor_b64 s[18:19], s[26:27], -1
	s_add_u32 s12, s12, s0
	s_addc_u32 s13, s13, s1
	s_lshl_b64 s[0:1], s[14:15], 4
	v_and_b32_e32 v1, 0x3ff, v0
	v_bfe_u32 v0, v0, 10, 10
	s_add_u32 s12, s12, s0
	v_mad_u32_u24 v10, v0, s28, v1
	s_addc_u32 s13, s13, s1
	s_andn2_b64 vcc, exec, s[18:19]
	v_cmp_gt_u32_e64 s[0:1], 64, v10
	s_cbranch_vccnz .LBB149_11
; %bb.5:
	s_mov_b64 s[18:19], 0
	s_mov_b64 s[14:15], 0
                                        ; implicit-def: $vgpr2_vgpr3
                                        ; implicit-def: $vgpr8_vgpr9
	s_and_saveexec_b64 s[26:27], s[0:1]
	s_cbranch_execz .LBB149_12
; %bb.6:
	v_lshl_or_b32 v0, s2, 6, v10
	v_mov_b32_e32 v1, 0
	s_waitcnt lgkmcnt(0)
	s_ashr_i32 s1, s24, 31
	s_mov_b32 s0, s24
	v_cmp_gt_i64_e32 vcc, s[0:1], v[0:1]
                                        ; implicit-def: $vgpr2_vgpr3
                                        ; implicit-def: $vgpr8_vgpr9
	s_and_saveexec_b64 s[0:1], vcc
	s_cbranch_execz .LBB149_10
; %bb.7:
	v_mad_u64_u32 v[8:9], s[30:31], v0, s16, 0
	v_cmp_neq_f64_e64 s[14:15], s[8:9], 0
	v_cmp_neq_f64_e64 s[28:29], s[10:11], 0
	v_mov_b32_e32 v4, v9
	v_mov_b64_e32 v[2:3], 0
	v_mad_u64_u32 v[0:1], s[30:31], v0, s17, v[4:5]
	s_or_b64 s[14:15], s[14:15], s[28:29]
	v_mov_b32_e32 v9, v0
	s_andn2_b64 vcc, exec, s[14:15]
	v_mov_b64_e32 v[0:1], v[2:3]
	s_cbranch_vccnz .LBB149_9
; %bb.8:
	v_lshl_add_u64 v[0:1], v[8:9], 4, s[12:13]
	global_load_dwordx4 v[4:7], v[0:1], off
	s_waitcnt vmcnt(0)
	v_mul_f64 v[0:1], s[10:11], v[6:7]
	v_mul_f64 v[2:3], s[8:9], v[6:7]
	v_fma_f64 v[0:1], s[8:9], v[4:5], -v[0:1]
	v_fmac_f64_e32 v[2:3], s[10:11], v[4:5]
.LBB149_9:
	s_mov_b64 s[14:15], exec
.LBB149_10:
	s_or_b64 exec, exec, s[0:1]
	s_and_b64 s[14:15], s[14:15], exec
	s_or_b64 exec, exec, s[26:27]
	s_and_b64 vcc, exec, s[18:19]
	s_cbranch_vccnz .LBB149_13
	s_branch .LBB149_32
.LBB149_11:
	s_mov_b64 s[14:15], 0
                                        ; implicit-def: $vgpr2_vgpr3
                                        ; implicit-def: $vgpr8_vgpr9
	s_cbranch_execnz .LBB149_13
	s_branch .LBB149_32
.LBB149_12:
	s_or_b64 exec, exec, s[26:27]
	s_and_b64 vcc, exec, s[18:19]
	s_cbranch_vccz .LBB149_32
.LBB149_13:
	s_mul_i32 s0, s3, s47
	s_mul_hi_u32 s1, s3, s46
	s_add_i32 s19, s1, s0
	s_mul_i32 s0, s3, s7
	s_mul_hi_u32 s1, s3, s6
	s_add_i32 s7, s1, s0
	s_waitcnt lgkmcnt(0)
	s_ashr_i32 s0, s25, 31
	s_lshr_b32 s0, s0, 30
	s_add_i32 s0, s25, s0
	v_and_b32_e32 v6, 63, v10
	v_lshrrev_b32_e32 v11, 6, v10
	s_lshl_b32 s33, s2, 6
	s_and_b32 s34, s0, -4
	v_mov_b64_e32 v[2:3], 0
	s_mul_i32 s18, s3, s46
	s_mul_i32 s6, s3, s6
	v_or_b32_e32 v8, s33, v6
	v_cmp_gt_i32_e32 vcc, s34, v11
	v_mov_b64_e32 v[0:1], v[2:3]
	s_and_saveexec_b64 s[2:3], vcc
	s_cbranch_execz .LBB149_19
; %bb.14:
	v_lshrrev_b32_e32 v7, 6, v10
	v_mad_u64_u32 v[0:1], s[0:1], s4, v7, 0
	v_mov_b32_e32 v2, v1
	v_mad_u64_u32 v[2:3], s[0:1], s5, v7, v[2:3]
	s_lshl_b64 s[0:1], s[6:7], 4
	s_lshl_b64 s[26:27], s[50:51], 4
	s_add_u32 s26, s48, s26
	s_addc_u32 s27, s49, s27
	s_add_u32 s0, s26, s0
	v_mov_b32_e32 v1, v2
	s_addc_u32 s1, s27, s1
	v_lshl_add_u64 v[0:1], v[0:1], 4, s[0:1]
	v_lshl_add_u64 v[4:5], v[0:1], 0, 8
	v_mad_u64_u32 v[0:1], s[0:1], s44, v7, 0
	v_mov_b32_e32 v2, v1
	v_mad_u64_u32 v[2:3], s[0:1], s45, v7, v[2:3]
	s_lshl_b64 s[26:27], s[4:5], 6
	s_lshl_b64 s[0:1], s[18:19], 4
	;; [unrolled: 1-line block ×3, first 2 shown]
	s_add_u32 s0, s28, s0
	v_mov_b32_e32 v1, v2
	s_addc_u32 s1, s29, s1
	v_add_u32_e32 v2, s33, v6
	v_lshl_add_u64 v[0:1], v[0:1], 4, s[0:1]
	v_ashrrev_i32_e32 v3, 31, v2
	v_lshl_add_u64 v[0:1], v[2:3], 4, v[0:1]
	v_lshl_add_u64 v[0:1], v[0:1], 0, s[40:41]
	v_mov_b64_e32 v[2:3], 0
	v_cmp_gt_i32_e32 vcc, s24, v8
	v_lshl_add_u64 v[6:7], v[0:1], 0, 8
	s_lshl_b64 s[30:31], s[44:45], 6
	s_mov_b64 s[28:29], 0
	v_mov_b64_e32 v[0:1], v[2:3]
	s_branch .LBB149_16
.LBB149_15:                             ;   in Loop: Header=BB149_16 Depth=1
	s_or_b64 exec, exec, s[0:1]
	v_add_u32_e32 v11, 4, v11
	v_cmp_le_i32_e64 s[0:1], s34, v11
	v_lshl_add_u64 v[4:5], v[4:5], 0, s[26:27]
	s_or_b64 s[28:29], s[0:1], s[28:29]
	v_lshl_add_u64 v[6:7], v[6:7], 0, s[30:31]
	s_andn2_b64 exec, exec, s[28:29]
	s_cbranch_execz .LBB149_18
.LBB149_16:                             ; =>This Inner Loop Header: Depth=1
	s_and_saveexec_b64 s[0:1], vcc
	s_cbranch_execz .LBB149_15
; %bb.17:                               ;   in Loop: Header=BB149_16 Depth=1
	global_load_dwordx4 v[12:15], v[4:5], off offset:-8
	global_load_dwordx4 v[16:19], v[6:7], off offset:-8
	s_waitcnt vmcnt(0)
	v_mul_f64 v[20:21], v[14:15], v[18:19]
	v_mul_f64 v[18:19], v[12:13], v[18:19]
	v_fma_f64 v[12:13], v[12:13], v[16:17], -v[20:21]
	v_fmac_f64_e32 v[18:19], v[14:15], v[16:17]
	v_add_f64 v[0:1], v[0:1], v[12:13]
	v_add_f64 v[2:3], v[2:3], v[18:19]
	s_branch .LBB149_15
.LBB149_18:
	s_or_b64 exec, exec, s[28:29]
.LBB149_19:
	s_or_b64 exec, exec, s[2:3]
	s_sub_i32 s0, s25, s34
	s_cmp_lt_i32 s0, 1
	s_cbranch_scc1 .LBB149_25
; %bb.20:
	v_mov_b64_e32 v[4:5], 0
	v_cmp_gt_i32_e32 vcc, s25, v11
	v_mov_b64_e32 v[6:7], v[4:5]
	s_and_saveexec_b64 s[0:1], vcc
	s_cbranch_execz .LBB149_22
; %bb.21:
	s_lshl_b64 s[2:3], s[6:7], 4
	s_add_u32 s6, s48, s2
	s_addc_u32 s7, s49, s3
	s_lshl_b64 s[2:3], s[50:51], 4
	s_add_u32 s2, s6, s2
	s_addc_u32 s3, s7, s3
	v_mad_u64_u32 v[4:5], s[6:7], v11, s4, 0
	v_mov_b32_e32 v6, v5
	v_mad_u64_u32 v[6:7], s[4:5], v11, s5, v[6:7]
	v_mov_b32_e32 v5, v6
	v_lshl_add_u64 v[4:5], v[4:5], 4, s[2:3]
	global_load_dwordx4 v[4:7], v[4:5], off
.LBB149_22:
	s_or_b64 exec, exec, s[0:1]
	v_cmp_gt_i32_e64 s[0:1], s24, v8
	s_and_saveexec_b64 s[2:3], s[0:1]
	s_cbranch_execz .LBB149_24
; %bb.23:
	s_lshl_b64 s[0:1], s[18:19], 4
	s_add_u32 s4, s40, s0
	s_addc_u32 s5, s41, s1
	s_lshl_b64 s[0:1], s[42:43], 4
	s_add_u32 s0, s4, s0
	s_addc_u32 s1, s5, s1
	v_mad_u64_u32 v[12:13], s[4:5], v11, s44, 0
	v_mov_b32_e32 v14, v13
	v_mad_u64_u32 v[14:15], s[4:5], v11, s45, v[14:15]
	v_cndmask_b32_e32 v12, 0, v12, vcc
	v_cndmask_b32_e32 v13, 0, v14, vcc
	v_ashrrev_i32_e32 v9, 31, v8
	v_lshl_add_u64 v[12:13], v[12:13], 4, s[0:1]
	v_lshl_add_u64 v[8:9], v[8:9], 4, v[12:13]
	global_load_dwordx4 v[12:15], v[8:9], off
	s_waitcnt vmcnt(0)
	v_mul_f64 v[8:9], v[6:7], v[14:15]
	v_mul_f64 v[14:15], v[4:5], v[14:15]
	v_fma_f64 v[4:5], v[4:5], v[12:13], -v[8:9]
	v_fmac_f64_e32 v[14:15], v[6:7], v[12:13]
	v_add_f64 v[0:1], v[0:1], v[4:5]
	v_add_f64 v[2:3], v[2:3], v[14:15]
.LBB149_24:
	s_or_b64 exec, exec, s[2:3]
.LBB149_25:
	v_lshlrev_b32_e32 v11, 4, v10
	v_cmp_gt_u32_e32 vcc, 64, v10
	ds_write_b128 v11, v[0:3]
	s_waitcnt lgkmcnt(0)
	s_barrier
	s_waitcnt lgkmcnt(0)
                                        ; implicit-def: $vgpr2_vgpr3
                                        ; implicit-def: $vgpr8_vgpr9
	s_and_saveexec_b64 s[0:1], vcc
	s_cbranch_execz .LBB149_31
; %bb.26:
	ds_read_b128 v[0:3], v11
	s_waitcnt vmcnt(0)
	ds_read_b128 v[4:7], v11 offset:1024
	ds_read_b128 v[12:15], v11 offset:2048
	;; [unrolled: 1-line block ×3, first 2 shown]
	v_or_b32_e32 v10, s33, v10
	v_cmp_gt_i32_e32 vcc, s24, v10
	s_waitcnt lgkmcnt(2)
	v_add_f64 v[0:1], v[0:1], v[4:5]
	v_add_f64 v[2:3], v[2:3], v[6:7]
	s_waitcnt lgkmcnt(1)
	v_add_f64 v[0:1], v[0:1], v[12:13]
	v_add_f64 v[2:3], v[2:3], v[14:15]
	;; [unrolled: 3-line block ×3, first 2 shown]
	s_mov_b64 s[4:5], s[14:15]
	ds_write_b128 v11, v[4:7]
                                        ; implicit-def: $vgpr2_vgpr3
                                        ; implicit-def: $vgpr8_vgpr9
	s_and_saveexec_b64 s[2:3], vcc
	s_cbranch_execz .LBB149_30
; %bb.27:
	v_mul_f64 v[0:1], s[22:23], v[6:7]
	v_mul_f64 v[2:3], s[20:21], v[6:7]
	v_cmp_neq_f64_e64 s[4:5], s[8:9], 0
	v_cmp_neq_f64_e64 s[6:7], s[10:11], 0
	v_fma_f64 v[0:1], s[20:21], v[4:5], -v[0:1]
	v_fmac_f64_e32 v[2:3], s[22:23], v[4:5]
	v_ashrrev_i32_e32 v4, 31, v10
	v_mul_lo_u32 v5, v10, s17
	v_mul_lo_u32 v4, v4, s16
	v_mad_u64_u32 v[8:9], s[16:17], v10, s16, 0
	s_or_b64 s[4:5], s[4:5], s[6:7]
	s_andn2_b64 vcc, exec, s[4:5]
	v_add3_u32 v9, v9, v5, v4
	s_cbranch_vccnz .LBB149_29
; %bb.28:
	v_lshl_add_u64 v[4:5], v[8:9], 4, s[12:13]
	global_load_dwordx4 v[4:7], v[4:5], off
	s_waitcnt vmcnt(0)
	v_mul_f64 v[10:11], s[10:11], v[6:7]
	v_mul_f64 v[6:7], s[8:9], v[6:7]
	v_fma_f64 v[10:11], s[8:9], v[4:5], -v[10:11]
	v_fmac_f64_e32 v[6:7], s[10:11], v[4:5]
	v_add_f64 v[0:1], v[0:1], v[10:11]
	v_add_f64 v[2:3], v[2:3], v[6:7]
.LBB149_29:
	s_or_b64 s[4:5], s[14:15], exec
.LBB149_30:
	s_or_b64 exec, exec, s[2:3]
	s_andn2_b64 s[2:3], s[14:15], exec
	s_and_b64 s[4:5], s[4:5], exec
	s_or_b64 s[14:15], s[2:3], s[4:5]
.LBB149_31:
	s_or_b64 exec, exec, s[0:1]
.LBB149_32:
	s_and_saveexec_b64 s[0:1], s[14:15]
	s_cbranch_execz .LBB149_34
; %bb.33:
	s_waitcnt vmcnt(0)
	v_lshl_add_u64 v[4:5], v[8:9], 4, s[12:13]
	global_store_dwordx4 v[4:5], v[0:3], off
.LBB149_34:
	s_endpgm
	.section	.rodata,"a",@progbits
	.p2align	6, 0x0
	.amdhsa_kernel _ZL20rocblas_gemvn_kernelILi64ELi4El19rocblas_complex_numIdEPKS1_S1_EviiT3_lPKT2_lT1_lS7_lS8_lS4_lPT4_lS8_li
		.amdhsa_group_segment_fixed_size 4096
		.amdhsa_private_segment_fixed_size 0
		.amdhsa_kernarg_size 400
		.amdhsa_user_sgpr_count 2
		.amdhsa_user_sgpr_dispatch_ptr 0
		.amdhsa_user_sgpr_queue_ptr 0
		.amdhsa_user_sgpr_kernarg_segment_ptr 1
		.amdhsa_user_sgpr_dispatch_id 0
		.amdhsa_user_sgpr_kernarg_preload_length 0
		.amdhsa_user_sgpr_kernarg_preload_offset 0
		.amdhsa_user_sgpr_private_segment_size 0
		.amdhsa_uses_dynamic_stack 0
		.amdhsa_enable_private_segment 0
		.amdhsa_system_sgpr_workgroup_id_x 1
		.amdhsa_system_sgpr_workgroup_id_y 0
		.amdhsa_system_sgpr_workgroup_id_z 1
		.amdhsa_system_sgpr_workgroup_info 0
		.amdhsa_system_vgpr_workitem_id 1
		.amdhsa_next_free_vgpr 22
		.amdhsa_next_free_sgpr 52
		.amdhsa_accum_offset 24
		.amdhsa_reserve_vcc 1
		.amdhsa_float_round_mode_32 0
		.amdhsa_float_round_mode_16_64 0
		.amdhsa_float_denorm_mode_32 3
		.amdhsa_float_denorm_mode_16_64 3
		.amdhsa_dx10_clamp 1
		.amdhsa_ieee_mode 1
		.amdhsa_fp16_overflow 0
		.amdhsa_tg_split 0
		.amdhsa_exception_fp_ieee_invalid_op 0
		.amdhsa_exception_fp_denorm_src 0
		.amdhsa_exception_fp_ieee_div_zero 0
		.amdhsa_exception_fp_ieee_overflow 0
		.amdhsa_exception_fp_ieee_underflow 0
		.amdhsa_exception_fp_ieee_inexact 0
		.amdhsa_exception_int_div_zero 0
	.end_amdhsa_kernel
	.section	.text._ZL20rocblas_gemvn_kernelILi64ELi4El19rocblas_complex_numIdEPKS1_S1_EviiT3_lPKT2_lT1_lS7_lS8_lS4_lPT4_lS8_li,"axG",@progbits,_ZL20rocblas_gemvn_kernelILi64ELi4El19rocblas_complex_numIdEPKS1_S1_EviiT3_lPKT2_lT1_lS7_lS8_lS4_lPT4_lS8_li,comdat
.Lfunc_end149:
	.size	_ZL20rocblas_gemvn_kernelILi64ELi4El19rocblas_complex_numIdEPKS1_S1_EviiT3_lPKT2_lT1_lS7_lS8_lS4_lPT4_lS8_li, .Lfunc_end149-_ZL20rocblas_gemvn_kernelILi64ELi4El19rocblas_complex_numIdEPKS1_S1_EviiT3_lPKT2_lT1_lS7_lS8_lS4_lPT4_lS8_li
                                        ; -- End function
	.section	.AMDGPU.csdata,"",@progbits
; Kernel info:
; codeLenInByte = 1520
; NumSgprs: 58
; NumVgprs: 22
; NumAgprs: 0
; TotalNumVgprs: 22
; ScratchSize: 0
; MemoryBound: 0
; FloatMode: 240
; IeeeMode: 1
; LDSByteSize: 4096 bytes/workgroup (compile time only)
; SGPRBlocks: 7
; VGPRBlocks: 2
; NumSGPRsForWavesPerEU: 58
; NumVGPRsForWavesPerEU: 22
; AccumOffset: 24
; Occupancy: 8
; WaveLimiterHint : 0
; COMPUTE_PGM_RSRC2:SCRATCH_EN: 0
; COMPUTE_PGM_RSRC2:USER_SGPR: 2
; COMPUTE_PGM_RSRC2:TRAP_HANDLER: 0
; COMPUTE_PGM_RSRC2:TGID_X_EN: 1
; COMPUTE_PGM_RSRC2:TGID_Y_EN: 0
; COMPUTE_PGM_RSRC2:TGID_Z_EN: 1
; COMPUTE_PGM_RSRC2:TIDIG_COMP_CNT: 1
; COMPUTE_PGM_RSRC3_GFX90A:ACCUM_OFFSET: 5
; COMPUTE_PGM_RSRC3_GFX90A:TG_SPLIT: 0
	.section	.text._ZL20rocblas_gemvn_kernelILi64ELi4Ei19rocblas_complex_numIdES1_S1_EviiT3_lPKT2_lT1_lS5_lS6_lS2_lPT4_lS6_li,"axG",@progbits,_ZL20rocblas_gemvn_kernelILi64ELi4Ei19rocblas_complex_numIdES1_S1_EviiT3_lPKT2_lT1_lS5_lS6_lS2_lPT4_lS6_li,comdat
	.globl	_ZL20rocblas_gemvn_kernelILi64ELi4Ei19rocblas_complex_numIdES1_S1_EviiT3_lPKT2_lT1_lS5_lS6_lS2_lPT4_lS6_li ; -- Begin function _ZL20rocblas_gemvn_kernelILi64ELi4Ei19rocblas_complex_numIdES1_S1_EviiT3_lPKT2_lT1_lS5_lS6_lS2_lPT4_lS6_li
	.p2align	8
	.type	_ZL20rocblas_gemvn_kernelILi64ELi4Ei19rocblas_complex_numIdES1_S1_EviiT3_lPKT2_lT1_lS5_lS6_lS2_lPT4_lS6_li,@function
_ZL20rocblas_gemvn_kernelILi64ELi4Ei19rocblas_complex_numIdES1_S1_EviiT3_lPKT2_lT1_lS5_lS6_lS2_lPT4_lS6_li: ; @_ZL20rocblas_gemvn_kernelILi64ELi4Ei19rocblas_complex_numIdES1_S1_EviiT3_lPKT2_lT1_lS5_lS6_lS2_lPT4_lS6_li
; %bb.0:
	s_load_dwordx2 s[4:5], s[0:1], 0xac
	s_waitcnt lgkmcnt(0)
	s_lshr_b32 s6, s4, 16
	s_and_b32 s20, s4, 0xffff
	s_and_b32 s5, s5, 0xffff
	s_mul_i32 s4, s6, s20
	s_mul_i32 s4, s4, s5
	s_cmpk_lg_i32 s4, 0x100
	s_cbranch_scc1 .LBB150_34
; %bb.1:
	s_load_dwordx4 s[12:15], s[0:1], 0x8
	s_load_dwordx4 s[8:11], s[0:1], 0x58
	s_load_dwordx2 s[16:17], s[0:1], 0x68
	s_waitcnt lgkmcnt(0)
	v_cmp_neq_f64_e64 s[4:5], s[12:13], 0
	v_cmp_neq_f64_e64 s[6:7], s[14:15], 0
	s_or_b64 s[4:5], s[4:5], s[6:7]
	s_mov_b64 s[6:7], -1
	s_and_b64 vcc, exec, s[4:5]
	s_cbranch_vccnz .LBB150_3
; %bb.2:
	v_cmp_neq_f64_e64 s[6:7], s[10:11], 1.0
	v_cmp_neq_f64_e64 s[18:19], s[16:17], 0
	s_or_b64 s[6:7], s[6:7], s[18:19]
.LBB150_3:
	s_andn2_b64 vcc, exec, s[6:7]
	s_cbranch_vccnz .LBB150_34
; %bb.4:
	s_load_dwordx2 s[6:7], s[0:1], 0x90
	s_load_dword s26, s[0:1], 0x88
	s_load_dwordx2 s[18:19], s[0:1], 0x0
	s_load_dwordx4 s[28:31], s[0:1], 0x78
	s_xor_b64 s[4:5], s[4:5], -1
	s_waitcnt lgkmcnt(0)
	s_mul_i32 s7, s3, s7
	s_mul_hi_u32 s21, s3, s6
	s_add_i32 s7, s21, s7
	s_mul_i32 s6, s3, s6
	s_lshl_b64 s[6:7], s[6:7], 4
	s_add_u32 s21, s28, s6
	s_addc_u32 s22, s29, s7
	s_lshl_b64 s[6:7], s[30:31], 4
	v_and_b32_e32 v1, 0x3ff, v0
	v_bfe_u32 v0, v0, 10, 10
	s_add_u32 s6, s21, s6
	v_mad_u32_u24 v10, v0, s20, v1
	s_addc_u32 s7, s22, s7
	s_andn2_b64 vcc, exec, s[4:5]
	v_cmp_gt_u32_e64 s[4:5], 64, v10
	s_cbranch_vccnz .LBB150_11
; %bb.5:
	s_mov_b64 s[22:23], 0
	s_mov_b64 s[20:21], 0
                                        ; implicit-def: $vgpr2_vgpr3
                                        ; implicit-def: $vgpr8_vgpr9
	s_and_saveexec_b64 s[24:25], s[4:5]
	s_cbranch_execz .LBB150_12
; %bb.6:
	v_lshl_or_b32 v0, s2, 6, v10
	v_mov_b32_e32 v1, 0
	s_ashr_i32 s5, s18, 31
	s_mov_b32 s4, s18
	v_cmp_gt_i64_e32 vcc, s[4:5], v[0:1]
                                        ; implicit-def: $vgpr2_vgpr3
                                        ; implicit-def: $vgpr8_vgpr9
	s_and_saveexec_b64 s[4:5], vcc
	s_cbranch_execz .LBB150_10
; %bb.7:
	v_mad_u64_u32 v[8:9], s[30:31], v0, s26, 0
	v_cmp_neq_f64_e64 s[20:21], s[10:11], 0
	v_cmp_neq_f64_e64 s[28:29], s[16:17], 0
	s_ashr_i32 s27, s26, 31
	v_mov_b32_e32 v4, v9
	v_mov_b64_e32 v[2:3], 0
	v_mad_u64_u32 v[0:1], s[30:31], v0, s27, v[4:5]
	s_or_b64 s[20:21], s[20:21], s[28:29]
	v_mov_b32_e32 v9, v0
	s_andn2_b64 vcc, exec, s[20:21]
	v_mov_b64_e32 v[0:1], v[2:3]
	s_cbranch_vccnz .LBB150_9
; %bb.8:
	v_lshl_add_u64 v[0:1], v[8:9], 4, s[6:7]
	global_load_dwordx4 v[4:7], v[0:1], off
	s_waitcnt vmcnt(0)
	v_mul_f64 v[0:1], s[16:17], v[6:7]
	v_mul_f64 v[2:3], s[10:11], v[6:7]
	v_fma_f64 v[0:1], s[10:11], v[4:5], -v[0:1]
	v_fmac_f64_e32 v[2:3], s[16:17], v[4:5]
.LBB150_9:
	s_mov_b64 s[20:21], exec
.LBB150_10:
	s_or_b64 exec, exec, s[4:5]
	s_and_b64 s[20:21], s[20:21], exec
	s_or_b64 exec, exec, s[24:25]
	s_and_b64 vcc, exec, s[22:23]
	s_cbranch_vccnz .LBB150_13
	s_branch .LBB150_32
.LBB150_11:
	s_mov_b64 s[20:21], 0
                                        ; implicit-def: $vgpr2_vgpr3
                                        ; implicit-def: $vgpr8_vgpr9
	s_cbranch_execnz .LBB150_13
	s_branch .LBB150_32
.LBB150_12:
	s_or_b64 exec, exec, s[24:25]
	s_and_b64 vcc, exec, s[22:23]
	s_cbranch_vccz .LBB150_32
.LBB150_13:
	s_load_dwordx4 s[28:31], s[0:1], 0x38
	s_load_dwordx4 s[36:39], s[0:1], 0x20
	s_load_dword s25, s[0:1], 0x30
	s_load_dwordx2 s[22:23], s[0:1], 0x48
	s_load_dword s27, s[0:1], 0x50
	s_waitcnt lgkmcnt(0)
	s_mul_i32 s0, s3, s29
	s_mul_hi_u32 s1, s3, s28
	s_add_i32 s1, s1, s0
	s_mul_i32 s0, s3, s28
	s_lshl_b64 s[0:1], s[0:1], 4
	s_add_u32 s4, s36, s0
	s_addc_u32 s5, s37, s1
	s_lshl_b64 s[0:1], s[38:39], 4
	s_add_u32 s4, s4, s0
	s_addc_u32 s5, s5, s1
	s_mul_i32 s0, s3, s9
	s_mul_hi_u32 s1, s3, s8
	s_add_i32 s1, s1, s0
	s_mul_i32 s0, s3, s8
	s_lshl_b64 s[0:1], s[0:1], 4
	s_add_u32 s3, s30, s0
	s_addc_u32 s9, s31, s1
	s_lshl_b64 s[0:1], s[22:23], 4
	s_add_u32 s8, s3, s0
	s_addc_u32 s9, s9, s1
	s_ashr_i32 s0, s19, 31
	s_lshr_b32 s0, s0, 30
	s_add_i32 s0, s19, s0
	v_and_b32_e32 v5, 63, v10
	v_lshrrev_b32_e32 v9, 6, v10
	s_lshl_b32 s24, s2, 6
	s_and_b32 s28, s0, -4
	v_mov_b64_e32 v[2:3], 0
	v_or_b32_e32 v8, s24, v5
	v_cmp_gt_i32_e32 vcc, s28, v9
	v_mov_b64_e32 v[0:1], v[2:3]
	s_and_saveexec_b64 s[2:3], vcc
	s_cbranch_execz .LBB150_19
; %bb.14:
	v_mul_lo_u32 v0, s25, v9
	v_mov_b64_e32 v[2:3], 0
	v_cmp_gt_i32_e32 vcc, s18, v8
	v_mul_lo_u32 v4, s27, v9
	s_lshl_b32 s29, s27, 2
	v_add3_u32 v6, v0, s24, v5
	s_lshl_b32 s30, s25, 2
	s_mov_b64 s[22:23], 0
	v_mov_b64_e32 v[0:1], v[2:3]
	s_branch .LBB150_16
.LBB150_15:                             ;   in Loop: Header=BB150_16 Depth=1
	s_or_b64 exec, exec, s[0:1]
	v_add_u32_e32 v9, 4, v9
	v_cmp_le_i32_e64 s[0:1], s28, v9
	v_add_u32_e32 v4, s29, v4
	s_or_b64 s[22:23], s[0:1], s[22:23]
	v_add_u32_e32 v6, s30, v6
	s_andn2_b64 exec, exec, s[22:23]
	s_cbranch_execz .LBB150_18
.LBB150_16:                             ; =>This Inner Loop Header: Depth=1
	s_and_saveexec_b64 s[0:1], vcc
	s_cbranch_execz .LBB150_15
; %bb.17:                               ;   in Loop: Header=BB150_16 Depth=1
	v_ashrrev_i32_e32 v5, 31, v4
	v_ashrrev_i32_e32 v7, 31, v6
	v_lshl_add_u64 v[22:23], v[4:5], 4, s[8:9]
	v_lshl_add_u64 v[20:21], v[6:7], 4, s[4:5]
	global_load_dwordx4 v[12:15], v[22:23], off
	global_load_dwordx4 v[16:19], v[20:21], off
	s_waitcnt vmcnt(0)
	v_mul_f64 v[20:21], v[14:15], v[18:19]
	v_mul_f64 v[18:19], v[12:13], v[18:19]
	v_fma_f64 v[12:13], v[12:13], v[16:17], -v[20:21]
	v_fmac_f64_e32 v[18:19], v[14:15], v[16:17]
	v_add_f64 v[0:1], v[0:1], v[12:13]
	v_add_f64 v[2:3], v[2:3], v[18:19]
	s_branch .LBB150_15
.LBB150_18:
	s_or_b64 exec, exec, s[22:23]
.LBB150_19:
	s_or_b64 exec, exec, s[2:3]
	s_sub_i32 s0, s19, s28
	s_cmp_lt_i32 s0, 1
	s_cbranch_scc1 .LBB150_25
; %bb.20:
	v_mov_b64_e32 v[4:5], 0
	v_cmp_gt_i32_e32 vcc, s19, v9
	v_mov_b64_e32 v[6:7], v[4:5]
	s_and_saveexec_b64 s[0:1], vcc
	s_cbranch_execz .LBB150_22
; %bb.21:
	v_mul_lo_u32 v4, v9, s27
	v_ashrrev_i32_e32 v5, 31, v4
	v_lshl_add_u64 v[4:5], v[4:5], 4, s[8:9]
	global_load_dwordx4 v[4:7], v[4:5], off
.LBB150_22:
	s_or_b64 exec, exec, s[0:1]
	v_cmp_gt_i32_e64 s[0:1], s18, v8
	s_and_saveexec_b64 s[2:3], s[0:1]
	s_cbranch_execz .LBB150_24
; %bb.23:
	v_mul_lo_u32 v9, v9, s25
	v_cndmask_b32_e32 v9, 0, v9, vcc
	v_add_u32_e32 v8, v9, v8
	v_ashrrev_i32_e32 v9, 31, v8
	v_lshl_add_u64 v[8:9], v[8:9], 4, s[4:5]
	global_load_dwordx4 v[12:15], v[8:9], off
	s_waitcnt vmcnt(0)
	v_mul_f64 v[8:9], v[6:7], v[14:15]
	v_mul_f64 v[14:15], v[4:5], v[14:15]
	v_fma_f64 v[4:5], v[4:5], v[12:13], -v[8:9]
	v_fmac_f64_e32 v[14:15], v[6:7], v[12:13]
	v_add_f64 v[0:1], v[0:1], v[4:5]
	v_add_f64 v[2:3], v[2:3], v[14:15]
.LBB150_24:
	s_or_b64 exec, exec, s[2:3]
.LBB150_25:
	v_lshlrev_b32_e32 v11, 4, v10
	v_cmp_gt_u32_e32 vcc, 64, v10
	ds_write_b128 v11, v[0:3]
	s_waitcnt lgkmcnt(0)
	s_barrier
	s_waitcnt lgkmcnt(0)
                                        ; implicit-def: $vgpr2_vgpr3
                                        ; implicit-def: $vgpr8_vgpr9
	s_and_saveexec_b64 s[0:1], vcc
	s_cbranch_execz .LBB150_31
; %bb.26:
	ds_read_b128 v[0:3], v11
	s_waitcnt vmcnt(0)
	ds_read_b128 v[4:7], v11 offset:1024
	ds_read_b128 v[12:15], v11 offset:2048
	;; [unrolled: 1-line block ×3, first 2 shown]
	v_or_b32_e32 v10, s24, v10
	v_cmp_gt_i32_e32 vcc, s18, v10
	s_waitcnt lgkmcnt(2)
	v_add_f64 v[0:1], v[0:1], v[4:5]
	v_add_f64 v[2:3], v[2:3], v[6:7]
	s_waitcnt lgkmcnt(1)
	v_add_f64 v[0:1], v[0:1], v[12:13]
	v_add_f64 v[2:3], v[2:3], v[14:15]
	;; [unrolled: 3-line block ×3, first 2 shown]
	s_mov_b64 s[4:5], s[20:21]
	ds_write_b128 v11, v[4:7]
                                        ; implicit-def: $vgpr2_vgpr3
                                        ; implicit-def: $vgpr8_vgpr9
	s_and_saveexec_b64 s[2:3], vcc
	s_cbranch_execz .LBB150_30
; %bb.27:
	v_cmp_neq_f64_e64 s[4:5], s[10:11], 0
	v_cmp_neq_f64_e64 s[8:9], s[16:17], 0
	v_mul_f64 v[0:1], s[14:15], v[6:7]
	v_mul_f64 v[2:3], s[12:13], v[6:7]
	v_mul_lo_u32 v8, v10, s26
	s_or_b64 s[4:5], s[4:5], s[8:9]
	v_fma_f64 v[0:1], s[12:13], v[4:5], -v[0:1]
	v_fmac_f64_e32 v[2:3], s[14:15], v[4:5]
	s_andn2_b64 vcc, exec, s[4:5]
	v_ashrrev_i32_e32 v9, 31, v8
	s_cbranch_vccnz .LBB150_29
; %bb.28:
	v_lshl_add_u64 v[4:5], v[8:9], 4, s[6:7]
	global_load_dwordx4 v[4:7], v[4:5], off
	s_waitcnt vmcnt(0)
	v_mul_f64 v[10:11], s[16:17], v[6:7]
	v_mul_f64 v[6:7], s[10:11], v[6:7]
	v_fma_f64 v[10:11], s[10:11], v[4:5], -v[10:11]
	v_fmac_f64_e32 v[6:7], s[16:17], v[4:5]
	v_add_f64 v[0:1], v[0:1], v[10:11]
	v_add_f64 v[2:3], v[2:3], v[6:7]
.LBB150_29:
	s_or_b64 s[4:5], s[20:21], exec
.LBB150_30:
	s_or_b64 exec, exec, s[2:3]
	s_andn2_b64 s[2:3], s[20:21], exec
	s_and_b64 s[4:5], s[4:5], exec
	s_or_b64 s[20:21], s[2:3], s[4:5]
.LBB150_31:
	s_or_b64 exec, exec, s[0:1]
.LBB150_32:
	s_and_saveexec_b64 s[0:1], s[20:21]
	s_cbranch_execz .LBB150_34
; %bb.33:
	s_waitcnt vmcnt(0)
	v_lshl_add_u64 v[4:5], v[8:9], 4, s[6:7]
	global_store_dwordx4 v[4:5], v[0:3], off
.LBB150_34:
	s_endpgm
	.section	.rodata,"a",@progbits
	.p2align	6, 0x0
	.amdhsa_kernel _ZL20rocblas_gemvn_kernelILi64ELi4Ei19rocblas_complex_numIdES1_S1_EviiT3_lPKT2_lT1_lS5_lS6_lS2_lPT4_lS6_li
		.amdhsa_group_segment_fixed_size 4096
		.amdhsa_private_segment_fixed_size 0
		.amdhsa_kernarg_size 416
		.amdhsa_user_sgpr_count 2
		.amdhsa_user_sgpr_dispatch_ptr 0
		.amdhsa_user_sgpr_queue_ptr 0
		.amdhsa_user_sgpr_kernarg_segment_ptr 1
		.amdhsa_user_sgpr_dispatch_id 0
		.amdhsa_user_sgpr_kernarg_preload_length 0
		.amdhsa_user_sgpr_kernarg_preload_offset 0
		.amdhsa_user_sgpr_private_segment_size 0
		.amdhsa_uses_dynamic_stack 0
		.amdhsa_enable_private_segment 0
		.amdhsa_system_sgpr_workgroup_id_x 1
		.amdhsa_system_sgpr_workgroup_id_y 0
		.amdhsa_system_sgpr_workgroup_id_z 1
		.amdhsa_system_sgpr_workgroup_info 0
		.amdhsa_system_vgpr_workitem_id 1
		.amdhsa_next_free_vgpr 24
		.amdhsa_next_free_sgpr 40
		.amdhsa_accum_offset 24
		.amdhsa_reserve_vcc 1
		.amdhsa_float_round_mode_32 0
		.amdhsa_float_round_mode_16_64 0
		.amdhsa_float_denorm_mode_32 3
		.amdhsa_float_denorm_mode_16_64 3
		.amdhsa_dx10_clamp 1
		.amdhsa_ieee_mode 1
		.amdhsa_fp16_overflow 0
		.amdhsa_tg_split 0
		.amdhsa_exception_fp_ieee_invalid_op 0
		.amdhsa_exception_fp_denorm_src 0
		.amdhsa_exception_fp_ieee_div_zero 0
		.amdhsa_exception_fp_ieee_overflow 0
		.amdhsa_exception_fp_ieee_underflow 0
		.amdhsa_exception_fp_ieee_inexact 0
		.amdhsa_exception_int_div_zero 0
	.end_amdhsa_kernel
	.section	.text._ZL20rocblas_gemvn_kernelILi64ELi4Ei19rocblas_complex_numIdES1_S1_EviiT3_lPKT2_lT1_lS5_lS6_lS2_lPT4_lS6_li,"axG",@progbits,_ZL20rocblas_gemvn_kernelILi64ELi4Ei19rocblas_complex_numIdES1_S1_EviiT3_lPKT2_lT1_lS5_lS6_lS2_lPT4_lS6_li,comdat
.Lfunc_end150:
	.size	_ZL20rocblas_gemvn_kernelILi64ELi4Ei19rocblas_complex_numIdES1_S1_EviiT3_lPKT2_lT1_lS5_lS6_lS2_lPT4_lS6_li, .Lfunc_end150-_ZL20rocblas_gemvn_kernelILi64ELi4Ei19rocblas_complex_numIdES1_S1_EviiT3_lPKT2_lT1_lS5_lS6_lS2_lPT4_lS6_li
                                        ; -- End function
	.section	.AMDGPU.csdata,"",@progbits
; Kernel info:
; codeLenInByte = 1356
; NumSgprs: 46
; NumVgprs: 24
; NumAgprs: 0
; TotalNumVgprs: 24
; ScratchSize: 0
; MemoryBound: 1
; FloatMode: 240
; IeeeMode: 1
; LDSByteSize: 4096 bytes/workgroup (compile time only)
; SGPRBlocks: 5
; VGPRBlocks: 2
; NumSGPRsForWavesPerEU: 46
; NumVGPRsForWavesPerEU: 24
; AccumOffset: 24
; Occupancy: 8
; WaveLimiterHint : 1
; COMPUTE_PGM_RSRC2:SCRATCH_EN: 0
; COMPUTE_PGM_RSRC2:USER_SGPR: 2
; COMPUTE_PGM_RSRC2:TRAP_HANDLER: 0
; COMPUTE_PGM_RSRC2:TGID_X_EN: 1
; COMPUTE_PGM_RSRC2:TGID_Y_EN: 0
; COMPUTE_PGM_RSRC2:TGID_Z_EN: 1
; COMPUTE_PGM_RSRC2:TIDIG_COMP_CNT: 1
; COMPUTE_PGM_RSRC3_GFX90A:ACCUM_OFFSET: 5
; COMPUTE_PGM_RSRC3_GFX90A:TG_SPLIT: 0
	.section	.text._ZL20rocblas_gemvn_kernelILi64ELi4El19rocblas_complex_numIdES1_S1_EviiT3_lPKT2_lT1_lS5_lS6_lS2_lPT4_lS6_li,"axG",@progbits,_ZL20rocblas_gemvn_kernelILi64ELi4El19rocblas_complex_numIdES1_S1_EviiT3_lPKT2_lT1_lS5_lS6_lS2_lPT4_lS6_li,comdat
	.globl	_ZL20rocblas_gemvn_kernelILi64ELi4El19rocblas_complex_numIdES1_S1_EviiT3_lPKT2_lT1_lS5_lS6_lS2_lPT4_lS6_li ; -- Begin function _ZL20rocblas_gemvn_kernelILi64ELi4El19rocblas_complex_numIdES1_S1_EviiT3_lPKT2_lT1_lS5_lS6_lS2_lPT4_lS6_li
	.p2align	8
	.type	_ZL20rocblas_gemvn_kernelILi64ELi4El19rocblas_complex_numIdES1_S1_EviiT3_lPKT2_lT1_lS5_lS6_lS2_lPT4_lS6_li,@function
_ZL20rocblas_gemvn_kernelILi64ELi4El19rocblas_complex_numIdES1_S1_EviiT3_lPKT2_lT1_lS5_lS6_lS2_lPT4_lS6_li: ; @_ZL20rocblas_gemvn_kernelILi64ELi4El19rocblas_complex_numIdES1_S1_EviiT3_lPKT2_lT1_lS5_lS6_lS2_lPT4_lS6_li
; %bb.0:
	s_load_dwordx2 s[4:5], s[0:1], 0xac
	s_waitcnt lgkmcnt(0)
	s_lshr_b32 s6, s4, 16
	s_and_b32 s8, s4, 0xffff
	s_and_b32 s5, s5, 0xffff
	s_mul_i32 s4, s6, s8
	s_mul_i32 s4, s4, s5
	s_cmpk_lg_i32 s4, 0x100
	s_cbranch_scc1 .LBB151_34
; %bb.1:
	s_load_dwordx4 s[28:31], s[0:1], 0x8
	s_load_dwordx4 s[24:27], s[0:1], 0x60
	s_waitcnt lgkmcnt(0)
	v_cmp_neq_f64_e64 s[4:5], s[28:29], 0
	v_cmp_neq_f64_e64 s[6:7], s[30:31], 0
	s_or_b64 s[4:5], s[4:5], s[6:7]
	s_mov_b64 s[6:7], -1
	s_and_b64 vcc, exec, s[4:5]
	s_cbranch_vccnz .LBB151_3
; %bb.2:
	v_cmp_neq_f64_e64 s[6:7], s[24:25], 1.0
	v_cmp_neq_f64_e64 s[10:11], s[26:27], 0
	s_or_b64 s[6:7], s[6:7], s[10:11]
.LBB151_3:
	s_andn2_b64 vcc, exec, s[6:7]
	s_cbranch_vccnz .LBB151_34
; %bb.4:
	s_load_dwordx8 s[16:23], s[0:1], 0x78
	s_load_dwordx2 s[34:35], s[0:1], 0x0
	s_xor_b64 s[4:5], s[4:5], -1
	v_and_b32_e32 v1, 0x3ff, v0
	v_bfe_u32 v0, v0, 10, 10
	s_waitcnt lgkmcnt(0)
	s_mul_i32 s7, s3, s23
	s_mul_hi_u32 s9, s3, s22
	s_mul_i32 s6, s3, s22
	s_add_i32 s7, s9, s7
	s_lshl_b64 s[6:7], s[6:7], 4
	s_add_u32 s9, s16, s6
	s_addc_u32 s10, s17, s7
	s_lshl_b64 s[6:7], s[18:19], 4
	s_add_u32 s22, s9, s6
	v_mad_u32_u24 v10, v0, s8, v1
	s_addc_u32 s23, s10, s7
	s_andn2_b64 vcc, exec, s[4:5]
	v_cmp_gt_u32_e64 s[4:5], 64, v10
	s_cbranch_vccnz .LBB151_11
; %bb.5:
	s_mov_b64 s[6:7], 0
	s_mov_b64 s[36:37], 0
                                        ; implicit-def: $vgpr2_vgpr3
                                        ; implicit-def: $vgpr8_vgpr9
	s_and_saveexec_b64 s[8:9], s[4:5]
	s_cbranch_execz .LBB151_12
; %bb.6:
	v_lshl_or_b32 v0, s2, 6, v10
	v_mov_b32_e32 v1, 0
	s_ashr_i32 s5, s34, 31
	s_mov_b32 s4, s34
	v_cmp_gt_i64_e32 vcc, s[4:5], v[0:1]
	s_mov_b64 s[10:11], 0
                                        ; implicit-def: $vgpr2_vgpr3
                                        ; implicit-def: $vgpr8_vgpr9
	s_and_saveexec_b64 s[4:5], vcc
	s_cbranch_execz .LBB151_10
; %bb.7:
	v_mad_u64_u32 v[8:9], s[14:15], v0, s20, 0
	v_cmp_neq_f64_e64 s[10:11], s[24:25], 0
	v_cmp_neq_f64_e64 s[12:13], s[26:27], 0
	v_mov_b32_e32 v4, v9
	v_mov_b64_e32 v[2:3], 0
	v_mad_u64_u32 v[0:1], s[14:15], v0, s21, v[4:5]
	s_or_b64 s[10:11], s[10:11], s[12:13]
	v_mov_b32_e32 v9, v0
	s_andn2_b64 vcc, exec, s[10:11]
	v_mov_b64_e32 v[0:1], v[2:3]
	s_cbranch_vccnz .LBB151_9
; %bb.8:
	v_lshl_add_u64 v[0:1], v[8:9], 4, s[22:23]
	global_load_dwordx4 v[4:7], v[0:1], off
	s_waitcnt vmcnt(0)
	v_mul_f64 v[0:1], s[26:27], v[6:7]
	v_mul_f64 v[2:3], s[24:25], v[6:7]
	v_fma_f64 v[0:1], s[24:25], v[4:5], -v[0:1]
	v_fmac_f64_e32 v[2:3], s[26:27], v[4:5]
.LBB151_9:
	s_mov_b64 s[10:11], exec
.LBB151_10:
	s_or_b64 exec, exec, s[4:5]
	s_and_b64 s[36:37], s[10:11], exec
	s_or_b64 exec, exec, s[8:9]
	s_and_b64 vcc, exec, s[6:7]
	s_cbranch_vccnz .LBB151_13
	s_branch .LBB151_32
.LBB151_11:
	s_mov_b64 s[36:37], 0
                                        ; implicit-def: $vgpr2_vgpr3
                                        ; implicit-def: $vgpr8_vgpr9
	s_cbranch_execnz .LBB151_13
	s_branch .LBB151_32
.LBB151_12:
	s_or_b64 exec, exec, s[8:9]
	s_and_b64 vcc, exec, s[6:7]
	s_cbranch_vccz .LBB151_32
.LBB151_13:
	s_load_dwordx16 s[4:19], s[0:1], 0x20
	v_and_b32_e32 v6, 63, v10
	v_lshrrev_b32_e32 v11, 6, v10
	v_mov_b64_e32 v[2:3], 0
	v_mov_b64_e32 v[0:1], v[2:3]
	s_waitcnt lgkmcnt(0)
	s_mul_i32 s0, s3, s11
	s_mul_hi_u32 s1, s3, s10
	s_add_i32 s11, s1, s0
	s_ashr_i32 s0, s35, 31
	s_lshr_b32 s0, s0, 30
	s_mul_i32 s19, s3, s19
	s_mul_hi_u32 s33, s3, s18
	s_add_i32 s0, s35, s0
	s_add_i32 s19, s33, s19
	s_lshl_b32 s33, s2, 6
	s_and_b32 s44, s0, -4
	s_mul_i32 s10, s3, s10
	s_mul_i32 s18, s3, s18
	v_or_b32_e32 v8, s33, v6
	v_cmp_gt_i32_e32 vcc, s44, v11
	s_and_saveexec_b64 s[2:3], vcc
	s_cbranch_execz .LBB151_19
; %bb.14:
	v_lshrrev_b32_e32 v7, 6, v10
	v_mad_u64_u32 v[0:1], s[0:1], s16, v7, 0
	v_mov_b32_e32 v2, v1
	v_mad_u64_u32 v[2:3], s[0:1], s17, v7, v[2:3]
	s_lshl_b64 s[0:1], s[18:19], 4
	s_lshl_b64 s[38:39], s[14:15], 4
	s_add_u32 s38, s12, s38
	s_addc_u32 s39, s13, s39
	s_add_u32 s0, s38, s0
	v_mov_b32_e32 v1, v2
	s_addc_u32 s1, s39, s1
	v_lshl_add_u64 v[0:1], v[0:1], 4, s[0:1]
	v_lshl_add_u64 v[4:5], v[0:1], 0, 8
	v_mad_u64_u32 v[0:1], s[0:1], s8, v7, 0
	v_mov_b32_e32 v2, v1
	v_mad_u64_u32 v[2:3], s[0:1], s9, v7, v[2:3]
	s_lshl_b64 s[38:39], s[16:17], 6
	s_lshl_b64 s[0:1], s[10:11], 4
	;; [unrolled: 1-line block ×3, first 2 shown]
	s_add_u32 s0, s40, s0
	v_mov_b32_e32 v1, v2
	s_addc_u32 s1, s41, s1
	v_add_u32_e32 v2, s33, v6
	v_lshl_add_u64 v[0:1], v[0:1], 4, s[0:1]
	v_ashrrev_i32_e32 v3, 31, v2
	v_lshl_add_u64 v[0:1], v[2:3], 4, v[0:1]
	v_lshl_add_u64 v[0:1], v[0:1], 0, s[4:5]
	v_mov_b64_e32 v[2:3], 0
	v_cmp_gt_i32_e32 vcc, s34, v8
	v_lshl_add_u64 v[6:7], v[0:1], 0, 8
	s_lshl_b64 s[42:43], s[8:9], 6
	s_mov_b64 s[40:41], 0
	v_mov_b64_e32 v[0:1], v[2:3]
	s_branch .LBB151_16
.LBB151_15:                             ;   in Loop: Header=BB151_16 Depth=1
	s_or_b64 exec, exec, s[0:1]
	v_add_u32_e32 v11, 4, v11
	v_cmp_le_i32_e64 s[0:1], s44, v11
	v_lshl_add_u64 v[4:5], v[4:5], 0, s[38:39]
	s_or_b64 s[40:41], s[0:1], s[40:41]
	v_lshl_add_u64 v[6:7], v[6:7], 0, s[42:43]
	s_andn2_b64 exec, exec, s[40:41]
	s_cbranch_execz .LBB151_18
.LBB151_16:                             ; =>This Inner Loop Header: Depth=1
	s_and_saveexec_b64 s[0:1], vcc
	s_cbranch_execz .LBB151_15
; %bb.17:                               ;   in Loop: Header=BB151_16 Depth=1
	global_load_dwordx4 v[12:15], v[4:5], off offset:-8
	global_load_dwordx4 v[16:19], v[6:7], off offset:-8
	s_waitcnt vmcnt(0)
	v_mul_f64 v[20:21], v[14:15], v[18:19]
	v_mul_f64 v[18:19], v[12:13], v[18:19]
	v_fma_f64 v[12:13], v[12:13], v[16:17], -v[20:21]
	v_fmac_f64_e32 v[18:19], v[14:15], v[16:17]
	v_add_f64 v[0:1], v[0:1], v[12:13]
	v_add_f64 v[2:3], v[2:3], v[18:19]
	s_branch .LBB151_15
.LBB151_18:
	s_or_b64 exec, exec, s[40:41]
.LBB151_19:
	s_or_b64 exec, exec, s[2:3]
	s_sub_i32 s0, s35, s44
	s_cmp_lt_i32 s0, 1
	s_cbranch_scc1 .LBB151_25
; %bb.20:
	v_mov_b64_e32 v[4:5], 0
	v_cmp_gt_i32_e32 vcc, s35, v11
	v_mov_b64_e32 v[6:7], v[4:5]
	s_and_saveexec_b64 s[0:1], vcc
	s_cbranch_execz .LBB151_22
; %bb.21:
	s_lshl_b64 s[2:3], s[18:19], 4
	s_add_u32 s12, s12, s2
	s_addc_u32 s13, s13, s3
	s_lshl_b64 s[2:3], s[14:15], 4
	s_add_u32 s2, s12, s2
	s_addc_u32 s3, s13, s3
	v_mad_u64_u32 v[4:5], s[12:13], v11, s16, 0
	v_mov_b32_e32 v6, v5
	v_mad_u64_u32 v[6:7], s[12:13], v11, s17, v[6:7]
	v_mov_b32_e32 v5, v6
	v_lshl_add_u64 v[4:5], v[4:5], 4, s[2:3]
	global_load_dwordx4 v[4:7], v[4:5], off
.LBB151_22:
	s_or_b64 exec, exec, s[0:1]
	v_cmp_gt_i32_e64 s[0:1], s34, v8
	s_and_saveexec_b64 s[2:3], s[0:1]
	s_cbranch_execz .LBB151_24
; %bb.23:
	s_lshl_b64 s[0:1], s[10:11], 4
	s_add_u32 s4, s4, s0
	s_addc_u32 s5, s5, s1
	s_lshl_b64 s[0:1], s[6:7], 4
	s_add_u32 s0, s4, s0
	s_addc_u32 s1, s5, s1
	v_mad_u64_u32 v[12:13], s[4:5], v11, s8, 0
	v_mov_b32_e32 v14, v13
	v_mad_u64_u32 v[14:15], s[4:5], v11, s9, v[14:15]
	v_cndmask_b32_e32 v12, 0, v12, vcc
	v_cndmask_b32_e32 v13, 0, v14, vcc
	v_ashrrev_i32_e32 v9, 31, v8
	v_lshl_add_u64 v[12:13], v[12:13], 4, s[0:1]
	v_lshl_add_u64 v[8:9], v[8:9], 4, v[12:13]
	global_load_dwordx4 v[12:15], v[8:9], off
	s_waitcnt vmcnt(0)
	v_mul_f64 v[8:9], v[6:7], v[14:15]
	v_mul_f64 v[14:15], v[4:5], v[14:15]
	v_fma_f64 v[4:5], v[4:5], v[12:13], -v[8:9]
	v_fmac_f64_e32 v[14:15], v[6:7], v[12:13]
	v_add_f64 v[0:1], v[0:1], v[4:5]
	v_add_f64 v[2:3], v[2:3], v[14:15]
.LBB151_24:
	s_or_b64 exec, exec, s[2:3]
.LBB151_25:
	v_lshlrev_b32_e32 v11, 4, v10
	v_cmp_gt_u32_e32 vcc, 64, v10
	ds_write_b128 v11, v[0:3]
	s_waitcnt lgkmcnt(0)
	s_barrier
	s_waitcnt lgkmcnt(0)
                                        ; implicit-def: $vgpr2_vgpr3
                                        ; implicit-def: $vgpr8_vgpr9
	s_and_saveexec_b64 s[0:1], vcc
	s_cbranch_execz .LBB151_31
; %bb.26:
	ds_read_b128 v[0:3], v11
	s_waitcnt vmcnt(0)
	ds_read_b128 v[4:7], v11 offset:1024
	ds_read_b128 v[12:15], v11 offset:2048
	;; [unrolled: 1-line block ×3, first 2 shown]
	v_or_b32_e32 v10, s33, v10
	v_cmp_gt_i32_e32 vcc, s34, v10
	s_waitcnt lgkmcnt(2)
	v_add_f64 v[0:1], v[0:1], v[4:5]
	v_add_f64 v[2:3], v[2:3], v[6:7]
	s_waitcnt lgkmcnt(1)
	v_add_f64 v[0:1], v[0:1], v[12:13]
	v_add_f64 v[2:3], v[2:3], v[14:15]
	;; [unrolled: 3-line block ×3, first 2 shown]
	s_mov_b64 s[4:5], s[36:37]
	ds_write_b128 v11, v[4:7]
                                        ; implicit-def: $vgpr2_vgpr3
                                        ; implicit-def: $vgpr8_vgpr9
	s_and_saveexec_b64 s[2:3], vcc
	s_cbranch_execz .LBB151_30
; %bb.27:
	v_mul_f64 v[0:1], s[30:31], v[6:7]
	v_mul_f64 v[2:3], s[28:29], v[6:7]
	v_cmp_neq_f64_e64 s[4:5], s[24:25], 0
	v_cmp_neq_f64_e64 s[6:7], s[26:27], 0
	v_fma_f64 v[0:1], s[28:29], v[4:5], -v[0:1]
	v_fmac_f64_e32 v[2:3], s[30:31], v[4:5]
	v_ashrrev_i32_e32 v4, 31, v10
	v_mul_lo_u32 v5, v10, s21
	v_mul_lo_u32 v4, v4, s20
	v_mad_u64_u32 v[8:9], s[8:9], v10, s20, 0
	s_or_b64 s[4:5], s[4:5], s[6:7]
	s_andn2_b64 vcc, exec, s[4:5]
	v_add3_u32 v9, v9, v5, v4
	s_cbranch_vccnz .LBB151_29
; %bb.28:
	v_lshl_add_u64 v[4:5], v[8:9], 4, s[22:23]
	global_load_dwordx4 v[4:7], v[4:5], off
	s_waitcnt vmcnt(0)
	v_mul_f64 v[10:11], s[26:27], v[6:7]
	v_mul_f64 v[6:7], s[24:25], v[6:7]
	v_fma_f64 v[10:11], s[24:25], v[4:5], -v[10:11]
	v_fmac_f64_e32 v[6:7], s[26:27], v[4:5]
	v_add_f64 v[0:1], v[0:1], v[10:11]
	v_add_f64 v[2:3], v[2:3], v[6:7]
.LBB151_29:
	s_or_b64 s[4:5], s[36:37], exec
.LBB151_30:
	s_or_b64 exec, exec, s[2:3]
	s_andn2_b64 s[2:3], s[36:37], exec
	s_and_b64 s[4:5], s[4:5], exec
	s_or_b64 s[36:37], s[2:3], s[4:5]
.LBB151_31:
	s_or_b64 exec, exec, s[0:1]
.LBB151_32:
	s_and_saveexec_b64 s[0:1], s[36:37]
	s_cbranch_execz .LBB151_34
; %bb.33:
	s_waitcnt vmcnt(0)
	v_lshl_add_u64 v[4:5], v[8:9], 4, s[22:23]
	global_store_dwordx4 v[4:5], v[0:3], off
.LBB151_34:
	s_endpgm
	.section	.rodata,"a",@progbits
	.p2align	6, 0x0
	.amdhsa_kernel _ZL20rocblas_gemvn_kernelILi64ELi4El19rocblas_complex_numIdES1_S1_EviiT3_lPKT2_lT1_lS5_lS6_lS2_lPT4_lS6_li
		.amdhsa_group_segment_fixed_size 4096
		.amdhsa_private_segment_fixed_size 0
		.amdhsa_kernarg_size 416
		.amdhsa_user_sgpr_count 2
		.amdhsa_user_sgpr_dispatch_ptr 0
		.amdhsa_user_sgpr_queue_ptr 0
		.amdhsa_user_sgpr_kernarg_segment_ptr 1
		.amdhsa_user_sgpr_dispatch_id 0
		.amdhsa_user_sgpr_kernarg_preload_length 0
		.amdhsa_user_sgpr_kernarg_preload_offset 0
		.amdhsa_user_sgpr_private_segment_size 0
		.amdhsa_uses_dynamic_stack 0
		.amdhsa_enable_private_segment 0
		.amdhsa_system_sgpr_workgroup_id_x 1
		.amdhsa_system_sgpr_workgroup_id_y 0
		.amdhsa_system_sgpr_workgroup_id_z 1
		.amdhsa_system_sgpr_workgroup_info 0
		.amdhsa_system_vgpr_workitem_id 1
		.amdhsa_next_free_vgpr 22
		.amdhsa_next_free_sgpr 45
		.amdhsa_accum_offset 24
		.amdhsa_reserve_vcc 1
		.amdhsa_float_round_mode_32 0
		.amdhsa_float_round_mode_16_64 0
		.amdhsa_float_denorm_mode_32 3
		.amdhsa_float_denorm_mode_16_64 3
		.amdhsa_dx10_clamp 1
		.amdhsa_ieee_mode 1
		.amdhsa_fp16_overflow 0
		.amdhsa_tg_split 0
		.amdhsa_exception_fp_ieee_invalid_op 0
		.amdhsa_exception_fp_denorm_src 0
		.amdhsa_exception_fp_ieee_div_zero 0
		.amdhsa_exception_fp_ieee_overflow 0
		.amdhsa_exception_fp_ieee_underflow 0
		.amdhsa_exception_fp_ieee_inexact 0
		.amdhsa_exception_int_div_zero 0
	.end_amdhsa_kernel
	.section	.text._ZL20rocblas_gemvn_kernelILi64ELi4El19rocblas_complex_numIdES1_S1_EviiT3_lPKT2_lT1_lS5_lS6_lS2_lPT4_lS6_li,"axG",@progbits,_ZL20rocblas_gemvn_kernelILi64ELi4El19rocblas_complex_numIdES1_S1_EviiT3_lPKT2_lT1_lS5_lS6_lS2_lPT4_lS6_li,comdat
.Lfunc_end151:
	.size	_ZL20rocblas_gemvn_kernelILi64ELi4El19rocblas_complex_numIdES1_S1_EviiT3_lPKT2_lT1_lS5_lS6_lS2_lPT4_lS6_li, .Lfunc_end151-_ZL20rocblas_gemvn_kernelILi64ELi4El19rocblas_complex_numIdES1_S1_EviiT3_lPKT2_lT1_lS5_lS6_lS2_lPT4_lS6_li
                                        ; -- End function
	.section	.AMDGPU.csdata,"",@progbits
; Kernel info:
; codeLenInByte = 1464
; NumSgprs: 51
; NumVgprs: 22
; NumAgprs: 0
; TotalNumVgprs: 22
; ScratchSize: 0
; MemoryBound: 0
; FloatMode: 240
; IeeeMode: 1
; LDSByteSize: 4096 bytes/workgroup (compile time only)
; SGPRBlocks: 6
; VGPRBlocks: 2
; NumSGPRsForWavesPerEU: 51
; NumVGPRsForWavesPerEU: 22
; AccumOffset: 24
; Occupancy: 8
; WaveLimiterHint : 1
; COMPUTE_PGM_RSRC2:SCRATCH_EN: 0
; COMPUTE_PGM_RSRC2:USER_SGPR: 2
; COMPUTE_PGM_RSRC2:TRAP_HANDLER: 0
; COMPUTE_PGM_RSRC2:TGID_X_EN: 1
; COMPUTE_PGM_RSRC2:TGID_Y_EN: 0
; COMPUTE_PGM_RSRC2:TGID_Z_EN: 1
; COMPUTE_PGM_RSRC2:TIDIG_COMP_CNT: 1
; COMPUTE_PGM_RSRC3_GFX90A:ACCUM_OFFSET: 5
; COMPUTE_PGM_RSRC3_GFX90A:TG_SPLIT: 0
	.section	.text._ZL20rocblas_gemvn_kernelILi32ELi16Ei19rocblas_complex_numIdEPKS1_S1_EviiT3_lPKT2_lT1_lS7_lS8_lS4_lPT4_lS8_li,"axG",@progbits,_ZL20rocblas_gemvn_kernelILi32ELi16Ei19rocblas_complex_numIdEPKS1_S1_EviiT3_lPKT2_lT1_lS7_lS8_lS4_lPT4_lS8_li,comdat
	.globl	_ZL20rocblas_gemvn_kernelILi32ELi16Ei19rocblas_complex_numIdEPKS1_S1_EviiT3_lPKT2_lT1_lS7_lS8_lS4_lPT4_lS8_li ; -- Begin function _ZL20rocblas_gemvn_kernelILi32ELi16Ei19rocblas_complex_numIdEPKS1_S1_EviiT3_lPKT2_lT1_lS7_lS8_lS4_lPT4_lS8_li
	.p2align	8
	.type	_ZL20rocblas_gemvn_kernelILi32ELi16Ei19rocblas_complex_numIdEPKS1_S1_EviiT3_lPKT2_lT1_lS7_lS8_lS4_lPT4_lS8_li,@function
_ZL20rocblas_gemvn_kernelILi32ELi16Ei19rocblas_complex_numIdEPKS1_S1_EviiT3_lPKT2_lT1_lS7_lS8_lS4_lPT4_lS8_li: ; @_ZL20rocblas_gemvn_kernelILi32ELi16Ei19rocblas_complex_numIdEPKS1_S1_EviiT3_lPKT2_lT1_lS7_lS8_lS4_lPT4_lS8_li
; %bb.0:
	s_load_dwordx2 s[4:5], s[0:1], 0x9c
	s_waitcnt lgkmcnt(0)
	s_lshr_b32 s6, s4, 16
	s_and_b32 s28, s4, 0xffff
	s_and_b32 s5, s5, 0xffff
	s_mul_i32 s4, s6, s28
	s_mul_i32 s4, s4, s5
	s_cmpk_lg_i32 s4, 0x200
	s_cbranch_scc1 .LBB152_34
; %bb.1:
	s_load_dwordx8 s[16:23], s[0:1], 0x8
	s_load_dwordx8 s[8:15], s[0:1], 0x50
	s_waitcnt lgkmcnt(0)
	s_mul_i32 s5, s3, s19
	s_mul_hi_u32 s6, s3, s18
	s_mul_i32 s4, s3, s18
	s_add_i32 s5, s6, s5
	s_lshl_b64 s[4:5], s[4:5], 4
	s_add_u32 s4, s16, s4
	s_addc_u32 s5, s17, s5
	s_mul_i32 s7, s3, s13
	s_load_dwordx4 s[24:27], s[4:5], 0x0
	s_mul_hi_u32 s4, s3, s12
	s_add_i32 s5, s4, s7
	s_mul_i32 s4, s3, s12
	s_lshl_b64 s[4:5], s[4:5], 4
	s_add_u32 s4, s10, s4
	s_addc_u32 s5, s11, s5
	s_load_dwordx4 s[16:19], s[4:5], 0x0
	s_waitcnt lgkmcnt(0)
	v_cmp_neq_f64_e64 s[4:5], s[24:25], 0
	v_cmp_neq_f64_e64 s[6:7], s[26:27], 0
	s_or_b64 s[4:5], s[4:5], s[6:7]
	s_mov_b64 s[6:7], -1
	s_and_b64 vcc, exec, s[4:5]
	s_cbranch_vccnz .LBB152_3
; %bb.2:
	v_cmp_neq_f64_e64 s[6:7], s[16:17], 1.0
	v_cmp_neq_f64_e64 s[10:11], s[18:19], 0
	s_or_b64 s[6:7], s[6:7], s[10:11]
.LBB152_3:
	s_andn2_b64 vcc, exec, s[6:7]
	s_cbranch_vccnz .LBB152_34
; %bb.4:
	s_load_dwordx2 s[6:7], s[0:1], 0x80
	s_load_dword s30, s[0:1], 0x78
	s_load_dwordx2 s[12:13], s[0:1], 0x70
	s_load_dwordx2 s[10:11], s[0:1], 0x0
	s_xor_b64 s[4:5], s[4:5], -1
	s_waitcnt lgkmcnt(0)
	s_mul_i32 s7, s3, s7
	s_mul_hi_u32 s29, s3, s6
	s_add_i32 s7, s29, s7
	s_mul_i32 s6, s3, s6
	s_lshl_b64 s[6:7], s[6:7], 4
	s_add_u32 s14, s14, s6
	s_addc_u32 s15, s15, s7
	s_lshl_b64 s[6:7], s[12:13], 4
	v_and_b32_e32 v1, 0x3ff, v0
	v_bfe_u32 v0, v0, 10, 10
	s_add_u32 s6, s14, s6
	v_mad_u32_u24 v10, v0, s28, v1
	s_addc_u32 s7, s15, s7
	s_andn2_b64 vcc, exec, s[4:5]
	v_cmp_gt_u32_e64 s[4:5], 32, v10
	s_cbranch_vccnz .LBB152_11
; %bb.5:
	s_mov_b64 s[14:15], 0
	s_mov_b64 s[12:13], 0
                                        ; implicit-def: $vgpr2_vgpr3
                                        ; implicit-def: $vgpr8_vgpr9
	s_and_saveexec_b64 s[28:29], s[4:5]
	s_cbranch_execz .LBB152_12
; %bb.6:
	v_lshl_or_b32 v0, s2, 5, v10
	v_mov_b32_e32 v1, 0
	s_ashr_i32 s5, s10, 31
	s_mov_b32 s4, s10
	v_cmp_gt_i64_e32 vcc, s[4:5], v[0:1]
                                        ; implicit-def: $vgpr2_vgpr3
                                        ; implicit-def: $vgpr8_vgpr9
	s_and_saveexec_b64 s[4:5], vcc
	s_cbranch_execz .LBB152_10
; %bb.7:
	v_mad_u64_u32 v[8:9], s[36:37], v0, s30, 0
	v_cmp_neq_f64_e64 s[12:13], s[16:17], 0
	v_cmp_neq_f64_e64 s[34:35], s[18:19], 0
	s_ashr_i32 s31, s30, 31
	v_mov_b32_e32 v4, v9
	v_mov_b64_e32 v[2:3], 0
	v_mad_u64_u32 v[0:1], s[36:37], v0, s31, v[4:5]
	s_or_b64 s[12:13], s[12:13], s[34:35]
	v_mov_b32_e32 v9, v0
	s_andn2_b64 vcc, exec, s[12:13]
	v_mov_b64_e32 v[0:1], v[2:3]
	s_cbranch_vccnz .LBB152_9
; %bb.8:
	v_lshl_add_u64 v[0:1], v[8:9], 4, s[6:7]
	global_load_dwordx4 v[4:7], v[0:1], off
	s_waitcnt vmcnt(0)
	v_mul_f64 v[0:1], s[18:19], v[6:7]
	v_mul_f64 v[2:3], s[16:17], v[6:7]
	v_fma_f64 v[0:1], s[16:17], v[4:5], -v[0:1]
	v_fmac_f64_e32 v[2:3], s[18:19], v[4:5]
.LBB152_9:
	s_mov_b64 s[12:13], exec
.LBB152_10:
	s_or_b64 exec, exec, s[4:5]
	s_and_b64 s[12:13], s[12:13], exec
	s_or_b64 exec, exec, s[28:29]
	s_and_b64 vcc, exec, s[14:15]
	s_cbranch_vccnz .LBB152_13
	s_branch .LBB152_32
.LBB152_11:
	s_mov_b64 s[12:13], 0
                                        ; implicit-def: $vgpr2_vgpr3
                                        ; implicit-def: $vgpr8_vgpr9
	s_cbranch_execnz .LBB152_13
	s_branch .LBB152_32
.LBB152_12:
	s_or_b64 exec, exec, s[28:29]
	s_and_b64 vcc, exec, s[14:15]
	s_cbranch_vccz .LBB152_32
.LBB152_13:
	s_load_dwordx4 s[36:39], s[0:1], 0x30
	s_load_dword s28, s[0:1], 0x28
	s_load_dwordx2 s[14:15], s[0:1], 0x40
	s_load_dword s29, s[0:1], 0x48
	v_and_b32_e32 v5, 31, v10
	s_waitcnt lgkmcnt(0)
	s_mul_i32 s0, s3, s37
	s_mul_hi_u32 s1, s3, s36
	s_add_i32 s1, s1, s0
	s_mul_i32 s0, s3, s36
	s_lshl_b64 s[0:1], s[0:1], 4
	s_add_u32 s4, s20, s0
	s_addc_u32 s5, s21, s1
	s_lshl_b64 s[0:1], s[22:23], 4
	s_add_u32 s4, s4, s0
	s_addc_u32 s5, s5, s1
	s_mul_i32 s0, s3, s9
	s_mul_hi_u32 s1, s3, s8
	s_add_i32 s1, s1, s0
	s_mul_i32 s0, s3, s8
	s_lshl_b64 s[0:1], s[0:1], 4
	s_add_u32 s3, s38, s0
	s_addc_u32 s9, s39, s1
	s_lshl_b64 s[0:1], s[14:15], 4
	s_add_u32 s8, s3, s0
	s_addc_u32 s9, s9, s1
	s_ashr_i32 s0, s11, 31
	s_lshr_b32 s0, s0, 28
	s_add_i32 s0, s11, s0
	v_lshrrev_b32_e32 v9, 5, v10
	s_lshl_b32 s20, s2, 5
	s_and_b32 s21, s0, -16
	v_mov_b64_e32 v[2:3], 0
	v_or_b32_e32 v8, s20, v5
	v_cmp_gt_i32_e32 vcc, s21, v9
	v_mov_b64_e32 v[0:1], v[2:3]
	s_and_saveexec_b64 s[2:3], vcc
	s_cbranch_execz .LBB152_19
; %bb.14:
	v_mul_lo_u32 v0, s28, v9
	v_mov_b64_e32 v[2:3], 0
	v_cmp_gt_i32_e32 vcc, s10, v8
	v_mul_lo_u32 v4, s29, v9
	s_lshl_b32 s22, s29, 4
	v_add3_u32 v6, v0, s20, v5
	s_lshl_b32 s23, s28, 4
	s_mov_b64 s[14:15], 0
	v_mov_b64_e32 v[0:1], v[2:3]
	s_branch .LBB152_16
.LBB152_15:                             ;   in Loop: Header=BB152_16 Depth=1
	s_or_b64 exec, exec, s[0:1]
	v_add_u32_e32 v9, 16, v9
	v_cmp_le_i32_e64 s[0:1], s21, v9
	v_add_u32_e32 v4, s22, v4
	s_or_b64 s[14:15], s[0:1], s[14:15]
	v_add_u32_e32 v6, s23, v6
	s_andn2_b64 exec, exec, s[14:15]
	s_cbranch_execz .LBB152_18
.LBB152_16:                             ; =>This Inner Loop Header: Depth=1
	s_and_saveexec_b64 s[0:1], vcc
	s_cbranch_execz .LBB152_15
; %bb.17:                               ;   in Loop: Header=BB152_16 Depth=1
	v_ashrrev_i32_e32 v5, 31, v4
	v_ashrrev_i32_e32 v7, 31, v6
	v_lshl_add_u64 v[22:23], v[4:5], 4, s[8:9]
	v_lshl_add_u64 v[20:21], v[6:7], 4, s[4:5]
	global_load_dwordx4 v[12:15], v[22:23], off
	global_load_dwordx4 v[16:19], v[20:21], off
	s_waitcnt vmcnt(0)
	v_mul_f64 v[20:21], v[14:15], v[18:19]
	v_mul_f64 v[18:19], v[12:13], v[18:19]
	v_fma_f64 v[12:13], v[12:13], v[16:17], -v[20:21]
	v_fmac_f64_e32 v[18:19], v[14:15], v[16:17]
	v_add_f64 v[0:1], v[0:1], v[12:13]
	v_add_f64 v[2:3], v[2:3], v[18:19]
	s_branch .LBB152_15
.LBB152_18:
	s_or_b64 exec, exec, s[14:15]
.LBB152_19:
	s_or_b64 exec, exec, s[2:3]
	s_sub_i32 s0, s11, s21
	s_cmp_lt_i32 s0, 1
	s_cbranch_scc1 .LBB152_25
; %bb.20:
	v_mov_b64_e32 v[4:5], 0
	v_cmp_gt_i32_e32 vcc, s11, v9
	v_mov_b64_e32 v[6:7], v[4:5]
	s_and_saveexec_b64 s[0:1], vcc
	s_cbranch_execz .LBB152_22
; %bb.21:
	v_mul_lo_u32 v4, v9, s29
	v_ashrrev_i32_e32 v5, 31, v4
	v_lshl_add_u64 v[4:5], v[4:5], 4, s[8:9]
	global_load_dwordx4 v[4:7], v[4:5], off
.LBB152_22:
	s_or_b64 exec, exec, s[0:1]
	v_cmp_gt_i32_e64 s[0:1], s10, v8
	s_and_saveexec_b64 s[2:3], s[0:1]
	s_cbranch_execz .LBB152_24
; %bb.23:
	v_mul_lo_u32 v9, v9, s28
	v_cndmask_b32_e32 v9, 0, v9, vcc
	v_add_u32_e32 v8, v9, v8
	v_ashrrev_i32_e32 v9, 31, v8
	v_lshl_add_u64 v[8:9], v[8:9], 4, s[4:5]
	global_load_dwordx4 v[12:15], v[8:9], off
	s_waitcnt vmcnt(0)
	v_mul_f64 v[8:9], v[6:7], v[14:15]
	v_mul_f64 v[14:15], v[4:5], v[14:15]
	v_fma_f64 v[4:5], v[4:5], v[12:13], -v[8:9]
	v_fmac_f64_e32 v[14:15], v[6:7], v[12:13]
	v_add_f64 v[0:1], v[0:1], v[4:5]
	v_add_f64 v[2:3], v[2:3], v[14:15]
.LBB152_24:
	s_or_b64 exec, exec, s[2:3]
.LBB152_25:
	v_lshlrev_b32_e32 v11, 4, v10
	v_cmp_gt_u32_e32 vcc, 32, v10
	ds_write_b128 v11, v[0:3]
	s_waitcnt lgkmcnt(0)
	s_barrier
	s_waitcnt lgkmcnt(0)
                                        ; implicit-def: $vgpr2_vgpr3
                                        ; implicit-def: $vgpr8_vgpr9
	s_and_saveexec_b64 s[0:1], vcc
	s_cbranch_execz .LBB152_31
; %bb.26:
	ds_read_b128 v[0:3], v11
	s_waitcnt vmcnt(0)
	ds_read_b128 v[4:7], v11 offset:512
	ds_read_b128 v[12:15], v11 offset:1024
	;; [unrolled: 1-line block ×3, first 2 shown]
	v_or_b32_e32 v10, s20, v10
	v_cmp_gt_i32_e32 vcc, s10, v10
	s_waitcnt lgkmcnt(2)
	v_add_f64 v[0:1], v[0:1], v[4:5]
	v_add_f64 v[4:5], v[2:3], v[6:7]
	s_waitcnt lgkmcnt(1)
	v_add_f64 v[6:7], v[0:1], v[12:13]
	ds_read_b128 v[0:3], v11 offset:2048
	v_add_f64 v[8:9], v[4:5], v[14:15]
	s_waitcnt lgkmcnt(1)
	v_add_f64 v[12:13], v[6:7], v[16:17]
	ds_read_b128 v[4:7], v11 offset:2560
	;; [unrolled: 4-line block ×9, first 2 shown]
	v_add_f64 v[2:3], v[8:9], v[2:3]
	s_waitcnt lgkmcnt(1)
	v_add_f64 v[4:5], v[0:1], v[4:5]
	v_add_f64 v[8:9], v[2:3], v[6:7]
	ds_read_b128 v[0:3], v11 offset:6656
	s_waitcnt lgkmcnt(1)
	v_add_f64 v[16:17], v[4:5], v[12:13]
	ds_read_b128 v[4:7], v11 offset:7168
	v_add_f64 v[8:9], v[8:9], v[14:15]
	ds_read_b128 v[12:15], v11 offset:7680
	s_waitcnt lgkmcnt(2)
	v_add_f64 v[0:1], v[16:17], v[0:1]
	v_add_f64 v[2:3], v[8:9], v[2:3]
	s_waitcnt lgkmcnt(1)
	v_add_f64 v[0:1], v[0:1], v[4:5]
	v_add_f64 v[2:3], v[2:3], v[6:7]
	;; [unrolled: 3-line block ×3, first 2 shown]
	s_mov_b64 s[4:5], s[12:13]
	ds_write_b128 v11, v[4:7]
                                        ; implicit-def: $vgpr2_vgpr3
                                        ; implicit-def: $vgpr8_vgpr9
	s_and_saveexec_b64 s[2:3], vcc
	s_cbranch_execz .LBB152_30
; %bb.27:
	v_cmp_neq_f64_e64 s[4:5], s[16:17], 0
	v_cmp_neq_f64_e64 s[8:9], s[18:19], 0
	v_mul_f64 v[0:1], s[26:27], v[6:7]
	v_mul_f64 v[2:3], s[24:25], v[6:7]
	v_mul_lo_u32 v8, v10, s30
	s_or_b64 s[4:5], s[4:5], s[8:9]
	v_fma_f64 v[0:1], s[24:25], v[4:5], -v[0:1]
	v_fmac_f64_e32 v[2:3], s[26:27], v[4:5]
	s_andn2_b64 vcc, exec, s[4:5]
	v_ashrrev_i32_e32 v9, 31, v8
	s_cbranch_vccnz .LBB152_29
; %bb.28:
	v_lshl_add_u64 v[4:5], v[8:9], 4, s[6:7]
	global_load_dwordx4 v[4:7], v[4:5], off
	s_waitcnt vmcnt(0)
	v_mul_f64 v[10:11], s[18:19], v[6:7]
	v_mul_f64 v[6:7], s[16:17], v[6:7]
	v_fma_f64 v[10:11], s[16:17], v[4:5], -v[10:11]
	v_fmac_f64_e32 v[6:7], s[18:19], v[4:5]
	v_add_f64 v[0:1], v[0:1], v[10:11]
	v_add_f64 v[2:3], v[2:3], v[6:7]
.LBB152_29:
	s_or_b64 s[4:5], s[12:13], exec
.LBB152_30:
	s_or_b64 exec, exec, s[2:3]
	s_andn2_b64 s[2:3], s[12:13], exec
	s_and_b64 s[4:5], s[4:5], exec
	s_or_b64 s[12:13], s[2:3], s[4:5]
.LBB152_31:
	s_or_b64 exec, exec, s[0:1]
.LBB152_32:
	s_and_saveexec_b64 s[0:1], s[12:13]
	s_cbranch_execz .LBB152_34
; %bb.33:
	s_waitcnt vmcnt(0)
	v_lshl_add_u64 v[4:5], v[8:9], 4, s[6:7]
	global_store_dwordx4 v[4:5], v[0:3], off
.LBB152_34:
	s_endpgm
	.section	.rodata,"a",@progbits
	.p2align	6, 0x0
	.amdhsa_kernel _ZL20rocblas_gemvn_kernelILi32ELi16Ei19rocblas_complex_numIdEPKS1_S1_EviiT3_lPKT2_lT1_lS7_lS8_lS4_lPT4_lS8_li
		.amdhsa_group_segment_fixed_size 8192
		.amdhsa_private_segment_fixed_size 0
		.amdhsa_kernarg_size 400
		.amdhsa_user_sgpr_count 2
		.amdhsa_user_sgpr_dispatch_ptr 0
		.amdhsa_user_sgpr_queue_ptr 0
		.amdhsa_user_sgpr_kernarg_segment_ptr 1
		.amdhsa_user_sgpr_dispatch_id 0
		.amdhsa_user_sgpr_kernarg_preload_length 0
		.amdhsa_user_sgpr_kernarg_preload_offset 0
		.amdhsa_user_sgpr_private_segment_size 0
		.amdhsa_uses_dynamic_stack 0
		.amdhsa_enable_private_segment 0
		.amdhsa_system_sgpr_workgroup_id_x 1
		.amdhsa_system_sgpr_workgroup_id_y 0
		.amdhsa_system_sgpr_workgroup_id_z 1
		.amdhsa_system_sgpr_workgroup_info 0
		.amdhsa_system_vgpr_workitem_id 1
		.amdhsa_next_free_vgpr 24
		.amdhsa_next_free_sgpr 40
		.amdhsa_accum_offset 24
		.amdhsa_reserve_vcc 1
		.amdhsa_float_round_mode_32 0
		.amdhsa_float_round_mode_16_64 0
		.amdhsa_float_denorm_mode_32 3
		.amdhsa_float_denorm_mode_16_64 3
		.amdhsa_dx10_clamp 1
		.amdhsa_ieee_mode 1
		.amdhsa_fp16_overflow 0
		.amdhsa_tg_split 0
		.amdhsa_exception_fp_ieee_invalid_op 0
		.amdhsa_exception_fp_denorm_src 0
		.amdhsa_exception_fp_ieee_div_zero 0
		.amdhsa_exception_fp_ieee_overflow 0
		.amdhsa_exception_fp_ieee_underflow 0
		.amdhsa_exception_fp_ieee_inexact 0
		.amdhsa_exception_int_div_zero 0
	.end_amdhsa_kernel
	.section	.text._ZL20rocblas_gemvn_kernelILi32ELi16Ei19rocblas_complex_numIdEPKS1_S1_EviiT3_lPKT2_lT1_lS7_lS8_lS4_lPT4_lS8_li,"axG",@progbits,_ZL20rocblas_gemvn_kernelILi32ELi16Ei19rocblas_complex_numIdEPKS1_S1_EviiT3_lPKT2_lT1_lS7_lS8_lS4_lPT4_lS8_li,comdat
.Lfunc_end152:
	.size	_ZL20rocblas_gemvn_kernelILi32ELi16Ei19rocblas_complex_numIdEPKS1_S1_EviiT3_lPKT2_lT1_lS7_lS8_lS4_lPT4_lS8_li, .Lfunc_end152-_ZL20rocblas_gemvn_kernelILi32ELi16Ei19rocblas_complex_numIdEPKS1_S1_EviiT3_lPKT2_lT1_lS7_lS8_lS4_lPT4_lS8_li
                                        ; -- End function
	.section	.AMDGPU.csdata,"",@progbits
; Kernel info:
; codeLenInByte = 1752
; NumSgprs: 46
; NumVgprs: 24
; NumAgprs: 0
; TotalNumVgprs: 24
; ScratchSize: 0
; MemoryBound: 1
; FloatMode: 240
; IeeeMode: 1
; LDSByteSize: 8192 bytes/workgroup (compile time only)
; SGPRBlocks: 5
; VGPRBlocks: 2
; NumSGPRsForWavesPerEU: 46
; NumVGPRsForWavesPerEU: 24
; AccumOffset: 24
; Occupancy: 8
; WaveLimiterHint : 1
; COMPUTE_PGM_RSRC2:SCRATCH_EN: 0
; COMPUTE_PGM_RSRC2:USER_SGPR: 2
; COMPUTE_PGM_RSRC2:TRAP_HANDLER: 0
; COMPUTE_PGM_RSRC2:TGID_X_EN: 1
; COMPUTE_PGM_RSRC2:TGID_Y_EN: 0
; COMPUTE_PGM_RSRC2:TGID_Z_EN: 1
; COMPUTE_PGM_RSRC2:TIDIG_COMP_CNT: 1
; COMPUTE_PGM_RSRC3_GFX90A:ACCUM_OFFSET: 5
; COMPUTE_PGM_RSRC3_GFX90A:TG_SPLIT: 0
	.section	.text._ZL20rocblas_gemvn_kernelILi32ELi16El19rocblas_complex_numIdEPKS1_S1_EviiT3_lPKT2_lT1_lS7_lS8_lS4_lPT4_lS8_li,"axG",@progbits,_ZL20rocblas_gemvn_kernelILi32ELi16El19rocblas_complex_numIdEPKS1_S1_EviiT3_lPKT2_lT1_lS7_lS8_lS4_lPT4_lS8_li,comdat
	.globl	_ZL20rocblas_gemvn_kernelILi32ELi16El19rocblas_complex_numIdEPKS1_S1_EviiT3_lPKT2_lT1_lS7_lS8_lS4_lPT4_lS8_li ; -- Begin function _ZL20rocblas_gemvn_kernelILi32ELi16El19rocblas_complex_numIdEPKS1_S1_EviiT3_lPKT2_lT1_lS7_lS8_lS4_lPT4_lS8_li
	.p2align	8
	.type	_ZL20rocblas_gemvn_kernelILi32ELi16El19rocblas_complex_numIdEPKS1_S1_EviiT3_lPKT2_lT1_lS7_lS8_lS4_lPT4_lS8_li,@function
_ZL20rocblas_gemvn_kernelILi32ELi16El19rocblas_complex_numIdEPKS1_S1_EviiT3_lPKT2_lT1_lS7_lS8_lS4_lPT4_lS8_li: ; @_ZL20rocblas_gemvn_kernelILi32ELi16El19rocblas_complex_numIdEPKS1_S1_EviiT3_lPKT2_lT1_lS7_lS8_lS4_lPT4_lS8_li
; %bb.0:
	s_load_dwordx2 s[4:5], s[0:1], 0x9c
	s_waitcnt lgkmcnt(0)
	s_lshr_b32 s6, s4, 16
	s_and_b32 s28, s4, 0xffff
	s_and_b32 s5, s5, 0xffff
	s_mul_i32 s4, s6, s28
	s_mul_i32 s4, s4, s5
	s_cmpk_lg_i32 s4, 0x200
	s_cbranch_scc1 .LBB153_34
; %bb.1:
	s_load_dwordx16 s[36:51], s[0:1], 0x8
	s_load_dwordx16 s[4:19], s[0:1], 0x48
	s_waitcnt lgkmcnt(0)
	s_mul_i32 s21, s3, s39
	s_mul_hi_u32 s22, s3, s38
	s_mul_i32 s20, s3, s38
	s_add_i32 s21, s22, s21
	s_lshl_b64 s[20:21], s[20:21], 4
	s_mul_i32 s11, s3, s11
	s_add_u32 s20, s36, s20
	s_mul_hi_u32 s24, s3, s10
	s_addc_u32 s21, s37, s21
	s_add_i32 s11, s24, s11
	s_mul_i32 s10, s3, s10
	s_load_dwordx4 s[20:23], s[20:21], 0x0
	s_lshl_b64 s[10:11], s[10:11], 4
	s_add_u32 s8, s8, s10
	s_addc_u32 s9, s9, s11
	s_load_dwordx4 s[8:11], s[8:9], 0x0
	s_waitcnt lgkmcnt(0)
	v_cmp_neq_f64_e64 s[24:25], s[20:21], 0
	v_cmp_neq_f64_e64 s[26:27], s[22:23], 0
	s_or_b64 s[26:27], s[24:25], s[26:27]
	s_mov_b64 s[24:25], -1
	s_and_b64 vcc, exec, s[26:27]
	s_cbranch_vccnz .LBB153_3
; %bb.2:
	v_cmp_neq_f64_e64 s[24:25], s[8:9], 1.0
	v_cmp_neq_f64_e64 s[30:31], s[10:11], 0
	s_or_b64 s[24:25], s[24:25], s[30:31]
.LBB153_3:
	s_andn2_b64 vcc, exec, s[24:25]
	s_cbranch_vccnz .LBB153_34
; %bb.4:
	s_load_dwordx2 s[24:25], s[0:1], 0x0
	s_mul_i32 s0, s3, s19
	s_mul_hi_u32 s1, s3, s18
	s_add_i32 s1, s1, s0
	s_mul_i32 s0, s3, s18
	s_lshl_b64 s[0:1], s[0:1], 4
	s_xor_b64 s[18:19], s[26:27], -1
	s_add_u32 s12, s12, s0
	s_addc_u32 s13, s13, s1
	s_lshl_b64 s[0:1], s[14:15], 4
	v_and_b32_e32 v1, 0x3ff, v0
	v_bfe_u32 v0, v0, 10, 10
	s_add_u32 s12, s12, s0
	v_mad_u32_u24 v10, v0, s28, v1
	s_addc_u32 s13, s13, s1
	s_andn2_b64 vcc, exec, s[18:19]
	v_cmp_gt_u32_e64 s[0:1], 32, v10
	s_cbranch_vccnz .LBB153_11
; %bb.5:
	s_mov_b64 s[18:19], 0
	s_mov_b64 s[14:15], 0
                                        ; implicit-def: $vgpr2_vgpr3
                                        ; implicit-def: $vgpr8_vgpr9
	s_and_saveexec_b64 s[26:27], s[0:1]
	s_cbranch_execz .LBB153_12
; %bb.6:
	v_lshl_or_b32 v0, s2, 5, v10
	v_mov_b32_e32 v1, 0
	s_waitcnt lgkmcnt(0)
	s_ashr_i32 s1, s24, 31
	s_mov_b32 s0, s24
	v_cmp_gt_i64_e32 vcc, s[0:1], v[0:1]
                                        ; implicit-def: $vgpr2_vgpr3
                                        ; implicit-def: $vgpr8_vgpr9
	s_and_saveexec_b64 s[0:1], vcc
	s_cbranch_execz .LBB153_10
; %bb.7:
	v_mad_u64_u32 v[8:9], s[30:31], v0, s16, 0
	v_cmp_neq_f64_e64 s[14:15], s[8:9], 0
	v_cmp_neq_f64_e64 s[28:29], s[10:11], 0
	v_mov_b32_e32 v4, v9
	v_mov_b64_e32 v[2:3], 0
	v_mad_u64_u32 v[0:1], s[30:31], v0, s17, v[4:5]
	s_or_b64 s[14:15], s[14:15], s[28:29]
	v_mov_b32_e32 v9, v0
	s_andn2_b64 vcc, exec, s[14:15]
	v_mov_b64_e32 v[0:1], v[2:3]
	s_cbranch_vccnz .LBB153_9
; %bb.8:
	v_lshl_add_u64 v[0:1], v[8:9], 4, s[12:13]
	global_load_dwordx4 v[4:7], v[0:1], off
	s_waitcnt vmcnt(0)
	v_mul_f64 v[0:1], s[10:11], v[6:7]
	v_mul_f64 v[2:3], s[8:9], v[6:7]
	v_fma_f64 v[0:1], s[8:9], v[4:5], -v[0:1]
	v_fmac_f64_e32 v[2:3], s[10:11], v[4:5]
.LBB153_9:
	s_mov_b64 s[14:15], exec
.LBB153_10:
	s_or_b64 exec, exec, s[0:1]
	s_and_b64 s[14:15], s[14:15], exec
	s_or_b64 exec, exec, s[26:27]
	s_and_b64 vcc, exec, s[18:19]
	s_cbranch_vccnz .LBB153_13
	s_branch .LBB153_32
.LBB153_11:
	s_mov_b64 s[14:15], 0
                                        ; implicit-def: $vgpr2_vgpr3
                                        ; implicit-def: $vgpr8_vgpr9
	s_cbranch_execnz .LBB153_13
	s_branch .LBB153_32
.LBB153_12:
	s_or_b64 exec, exec, s[26:27]
	s_and_b64 vcc, exec, s[18:19]
	s_cbranch_vccz .LBB153_32
.LBB153_13:
	s_mul_i32 s0, s3, s47
	s_mul_hi_u32 s1, s3, s46
	s_add_i32 s19, s1, s0
	s_mul_i32 s0, s3, s7
	s_mul_hi_u32 s1, s3, s6
	s_add_i32 s7, s1, s0
	s_waitcnt lgkmcnt(0)
	s_ashr_i32 s0, s25, 31
	s_lshr_b32 s0, s0, 28
	s_add_i32 s0, s25, s0
	v_and_b32_e32 v6, 31, v10
	v_lshrrev_b32_e32 v11, 5, v10
	s_lshl_b32 s33, s2, 5
	s_and_b32 s34, s0, -16
	v_mov_b64_e32 v[2:3], 0
	s_mul_i32 s18, s3, s46
	s_mul_i32 s6, s3, s6
	v_or_b32_e32 v8, s33, v6
	v_cmp_gt_i32_e32 vcc, s34, v11
	v_mov_b64_e32 v[0:1], v[2:3]
	s_and_saveexec_b64 s[2:3], vcc
	s_cbranch_execz .LBB153_19
; %bb.14:
	v_lshrrev_b32_e32 v7, 5, v10
	v_mad_u64_u32 v[0:1], s[0:1], s4, v7, 0
	v_mov_b32_e32 v2, v1
	v_mad_u64_u32 v[2:3], s[0:1], s5, v7, v[2:3]
	s_lshl_b64 s[0:1], s[6:7], 4
	s_lshl_b64 s[26:27], s[50:51], 4
	s_add_u32 s26, s48, s26
	s_addc_u32 s27, s49, s27
	s_add_u32 s0, s26, s0
	v_mov_b32_e32 v1, v2
	s_addc_u32 s1, s27, s1
	v_lshl_add_u64 v[0:1], v[0:1], 4, s[0:1]
	v_lshl_add_u64 v[4:5], v[0:1], 0, 8
	v_mad_u64_u32 v[0:1], s[0:1], s44, v7, 0
	v_mov_b32_e32 v2, v1
	v_mad_u64_u32 v[2:3], s[0:1], s45, v7, v[2:3]
	s_lshl_b64 s[26:27], s[4:5], 8
	s_lshl_b64 s[0:1], s[18:19], 4
	;; [unrolled: 1-line block ×3, first 2 shown]
	s_add_u32 s0, s28, s0
	v_mov_b32_e32 v1, v2
	s_addc_u32 s1, s29, s1
	v_add_u32_e32 v2, s33, v6
	v_lshl_add_u64 v[0:1], v[0:1], 4, s[0:1]
	v_ashrrev_i32_e32 v3, 31, v2
	v_lshl_add_u64 v[0:1], v[2:3], 4, v[0:1]
	v_lshl_add_u64 v[0:1], v[0:1], 0, s[40:41]
	v_mov_b64_e32 v[2:3], 0
	v_cmp_gt_i32_e32 vcc, s24, v8
	v_lshl_add_u64 v[6:7], v[0:1], 0, 8
	s_lshl_b64 s[30:31], s[44:45], 8
	s_mov_b64 s[28:29], 0
	v_mov_b64_e32 v[0:1], v[2:3]
	s_branch .LBB153_16
.LBB153_15:                             ;   in Loop: Header=BB153_16 Depth=1
	s_or_b64 exec, exec, s[0:1]
	v_add_u32_e32 v11, 16, v11
	v_cmp_le_i32_e64 s[0:1], s34, v11
	v_lshl_add_u64 v[4:5], v[4:5], 0, s[26:27]
	s_or_b64 s[28:29], s[0:1], s[28:29]
	v_lshl_add_u64 v[6:7], v[6:7], 0, s[30:31]
	s_andn2_b64 exec, exec, s[28:29]
	s_cbranch_execz .LBB153_18
.LBB153_16:                             ; =>This Inner Loop Header: Depth=1
	s_and_saveexec_b64 s[0:1], vcc
	s_cbranch_execz .LBB153_15
; %bb.17:                               ;   in Loop: Header=BB153_16 Depth=1
	global_load_dwordx4 v[12:15], v[4:5], off offset:-8
	global_load_dwordx4 v[16:19], v[6:7], off offset:-8
	s_waitcnt vmcnt(0)
	v_mul_f64 v[20:21], v[14:15], v[18:19]
	v_mul_f64 v[18:19], v[12:13], v[18:19]
	v_fma_f64 v[12:13], v[12:13], v[16:17], -v[20:21]
	v_fmac_f64_e32 v[18:19], v[14:15], v[16:17]
	v_add_f64 v[0:1], v[0:1], v[12:13]
	v_add_f64 v[2:3], v[2:3], v[18:19]
	s_branch .LBB153_15
.LBB153_18:
	s_or_b64 exec, exec, s[28:29]
.LBB153_19:
	s_or_b64 exec, exec, s[2:3]
	s_sub_i32 s0, s25, s34
	s_cmp_lt_i32 s0, 1
	s_cbranch_scc1 .LBB153_25
; %bb.20:
	v_mov_b64_e32 v[4:5], 0
	v_cmp_gt_i32_e32 vcc, s25, v11
	v_mov_b64_e32 v[6:7], v[4:5]
	s_and_saveexec_b64 s[0:1], vcc
	s_cbranch_execz .LBB153_22
; %bb.21:
	s_lshl_b64 s[2:3], s[6:7], 4
	s_add_u32 s6, s48, s2
	s_addc_u32 s7, s49, s3
	s_lshl_b64 s[2:3], s[50:51], 4
	s_add_u32 s2, s6, s2
	s_addc_u32 s3, s7, s3
	v_mad_u64_u32 v[4:5], s[6:7], v11, s4, 0
	v_mov_b32_e32 v6, v5
	v_mad_u64_u32 v[6:7], s[4:5], v11, s5, v[6:7]
	v_mov_b32_e32 v5, v6
	v_lshl_add_u64 v[4:5], v[4:5], 4, s[2:3]
	global_load_dwordx4 v[4:7], v[4:5], off
.LBB153_22:
	s_or_b64 exec, exec, s[0:1]
	v_cmp_gt_i32_e64 s[0:1], s24, v8
	s_and_saveexec_b64 s[2:3], s[0:1]
	s_cbranch_execz .LBB153_24
; %bb.23:
	s_lshl_b64 s[0:1], s[18:19], 4
	s_add_u32 s4, s40, s0
	s_addc_u32 s5, s41, s1
	s_lshl_b64 s[0:1], s[42:43], 4
	s_add_u32 s0, s4, s0
	s_addc_u32 s1, s5, s1
	v_mad_u64_u32 v[12:13], s[4:5], v11, s44, 0
	v_mov_b32_e32 v14, v13
	v_mad_u64_u32 v[14:15], s[4:5], v11, s45, v[14:15]
	v_cndmask_b32_e32 v12, 0, v12, vcc
	v_cndmask_b32_e32 v13, 0, v14, vcc
	v_ashrrev_i32_e32 v9, 31, v8
	v_lshl_add_u64 v[12:13], v[12:13], 4, s[0:1]
	v_lshl_add_u64 v[8:9], v[8:9], 4, v[12:13]
	global_load_dwordx4 v[12:15], v[8:9], off
	s_waitcnt vmcnt(0)
	v_mul_f64 v[8:9], v[6:7], v[14:15]
	v_mul_f64 v[14:15], v[4:5], v[14:15]
	v_fma_f64 v[4:5], v[4:5], v[12:13], -v[8:9]
	v_fmac_f64_e32 v[14:15], v[6:7], v[12:13]
	v_add_f64 v[0:1], v[0:1], v[4:5]
	v_add_f64 v[2:3], v[2:3], v[14:15]
.LBB153_24:
	s_or_b64 exec, exec, s[2:3]
.LBB153_25:
	v_lshlrev_b32_e32 v11, 4, v10
	v_cmp_gt_u32_e32 vcc, 32, v10
	ds_write_b128 v11, v[0:3]
	s_waitcnt lgkmcnt(0)
	s_barrier
	s_waitcnt lgkmcnt(0)
                                        ; implicit-def: $vgpr2_vgpr3
                                        ; implicit-def: $vgpr8_vgpr9
	s_and_saveexec_b64 s[0:1], vcc
	s_cbranch_execz .LBB153_31
; %bb.26:
	ds_read_b128 v[0:3], v11
	s_waitcnt vmcnt(0)
	ds_read_b128 v[4:7], v11 offset:512
	ds_read_b128 v[12:15], v11 offset:1024
	;; [unrolled: 1-line block ×3, first 2 shown]
	v_or_b32_e32 v10, s33, v10
	v_cmp_gt_i32_e32 vcc, s24, v10
	s_waitcnt lgkmcnt(2)
	v_add_f64 v[0:1], v[0:1], v[4:5]
	v_add_f64 v[4:5], v[2:3], v[6:7]
	s_waitcnt lgkmcnt(1)
	v_add_f64 v[6:7], v[0:1], v[12:13]
	ds_read_b128 v[0:3], v11 offset:2048
	v_add_f64 v[8:9], v[4:5], v[14:15]
	s_waitcnt lgkmcnt(1)
	v_add_f64 v[12:13], v[6:7], v[16:17]
	ds_read_b128 v[4:7], v11 offset:2560
	;; [unrolled: 4-line block ×9, first 2 shown]
	v_add_f64 v[2:3], v[8:9], v[2:3]
	s_waitcnt lgkmcnt(1)
	v_add_f64 v[4:5], v[0:1], v[4:5]
	v_add_f64 v[8:9], v[2:3], v[6:7]
	ds_read_b128 v[0:3], v11 offset:6656
	s_waitcnt lgkmcnt(1)
	v_add_f64 v[16:17], v[4:5], v[12:13]
	ds_read_b128 v[4:7], v11 offset:7168
	v_add_f64 v[8:9], v[8:9], v[14:15]
	ds_read_b128 v[12:15], v11 offset:7680
	s_waitcnt lgkmcnt(2)
	v_add_f64 v[0:1], v[16:17], v[0:1]
	v_add_f64 v[2:3], v[8:9], v[2:3]
	s_waitcnt lgkmcnt(1)
	v_add_f64 v[0:1], v[0:1], v[4:5]
	v_add_f64 v[2:3], v[2:3], v[6:7]
	;; [unrolled: 3-line block ×3, first 2 shown]
	s_mov_b64 s[4:5], s[14:15]
	ds_write_b128 v11, v[4:7]
                                        ; implicit-def: $vgpr2_vgpr3
                                        ; implicit-def: $vgpr8_vgpr9
	s_and_saveexec_b64 s[2:3], vcc
	s_cbranch_execz .LBB153_30
; %bb.27:
	v_mul_f64 v[0:1], s[22:23], v[6:7]
	v_mul_f64 v[2:3], s[20:21], v[6:7]
	v_cmp_neq_f64_e64 s[4:5], s[8:9], 0
	v_cmp_neq_f64_e64 s[6:7], s[10:11], 0
	v_fma_f64 v[0:1], s[20:21], v[4:5], -v[0:1]
	v_fmac_f64_e32 v[2:3], s[22:23], v[4:5]
	v_ashrrev_i32_e32 v4, 31, v10
	v_mul_lo_u32 v5, v10, s17
	v_mul_lo_u32 v4, v4, s16
	v_mad_u64_u32 v[8:9], s[16:17], v10, s16, 0
	s_or_b64 s[4:5], s[4:5], s[6:7]
	s_andn2_b64 vcc, exec, s[4:5]
	v_add3_u32 v9, v9, v5, v4
	s_cbranch_vccnz .LBB153_29
; %bb.28:
	v_lshl_add_u64 v[4:5], v[8:9], 4, s[12:13]
	global_load_dwordx4 v[4:7], v[4:5], off
	s_waitcnt vmcnt(0)
	v_mul_f64 v[10:11], s[10:11], v[6:7]
	v_mul_f64 v[6:7], s[8:9], v[6:7]
	v_fma_f64 v[10:11], s[8:9], v[4:5], -v[10:11]
	v_fmac_f64_e32 v[6:7], s[10:11], v[4:5]
	v_add_f64 v[0:1], v[0:1], v[10:11]
	v_add_f64 v[2:3], v[2:3], v[6:7]
.LBB153_29:
	s_or_b64 s[4:5], s[14:15], exec
.LBB153_30:
	s_or_b64 exec, exec, s[2:3]
	s_andn2_b64 s[2:3], s[14:15], exec
	s_and_b64 s[4:5], s[4:5], exec
	s_or_b64 s[14:15], s[2:3], s[4:5]
.LBB153_31:
	s_or_b64 exec, exec, s[0:1]
.LBB153_32:
	s_and_saveexec_b64 s[0:1], s[14:15]
	s_cbranch_execz .LBB153_34
; %bb.33:
	s_waitcnt vmcnt(0)
	v_lshl_add_u64 v[4:5], v[8:9], 4, s[12:13]
	global_store_dwordx4 v[4:5], v[0:3], off
.LBB153_34:
	s_endpgm
	.section	.rodata,"a",@progbits
	.p2align	6, 0x0
	.amdhsa_kernel _ZL20rocblas_gemvn_kernelILi32ELi16El19rocblas_complex_numIdEPKS1_S1_EviiT3_lPKT2_lT1_lS7_lS8_lS4_lPT4_lS8_li
		.amdhsa_group_segment_fixed_size 8192
		.amdhsa_private_segment_fixed_size 0
		.amdhsa_kernarg_size 400
		.amdhsa_user_sgpr_count 2
		.amdhsa_user_sgpr_dispatch_ptr 0
		.amdhsa_user_sgpr_queue_ptr 0
		.amdhsa_user_sgpr_kernarg_segment_ptr 1
		.amdhsa_user_sgpr_dispatch_id 0
		.amdhsa_user_sgpr_kernarg_preload_length 0
		.amdhsa_user_sgpr_kernarg_preload_offset 0
		.amdhsa_user_sgpr_private_segment_size 0
		.amdhsa_uses_dynamic_stack 0
		.amdhsa_enable_private_segment 0
		.amdhsa_system_sgpr_workgroup_id_x 1
		.amdhsa_system_sgpr_workgroup_id_y 0
		.amdhsa_system_sgpr_workgroup_id_z 1
		.amdhsa_system_sgpr_workgroup_info 0
		.amdhsa_system_vgpr_workitem_id 1
		.amdhsa_next_free_vgpr 22
		.amdhsa_next_free_sgpr 52
		.amdhsa_accum_offset 24
		.amdhsa_reserve_vcc 1
		.amdhsa_float_round_mode_32 0
		.amdhsa_float_round_mode_16_64 0
		.amdhsa_float_denorm_mode_32 3
		.amdhsa_float_denorm_mode_16_64 3
		.amdhsa_dx10_clamp 1
		.amdhsa_ieee_mode 1
		.amdhsa_fp16_overflow 0
		.amdhsa_tg_split 0
		.amdhsa_exception_fp_ieee_invalid_op 0
		.amdhsa_exception_fp_denorm_src 0
		.amdhsa_exception_fp_ieee_div_zero 0
		.amdhsa_exception_fp_ieee_overflow 0
		.amdhsa_exception_fp_ieee_underflow 0
		.amdhsa_exception_fp_ieee_inexact 0
		.amdhsa_exception_int_div_zero 0
	.end_amdhsa_kernel
	.section	.text._ZL20rocblas_gemvn_kernelILi32ELi16El19rocblas_complex_numIdEPKS1_S1_EviiT3_lPKT2_lT1_lS7_lS8_lS4_lPT4_lS8_li,"axG",@progbits,_ZL20rocblas_gemvn_kernelILi32ELi16El19rocblas_complex_numIdEPKS1_S1_EviiT3_lPKT2_lT1_lS7_lS8_lS4_lPT4_lS8_li,comdat
.Lfunc_end153:
	.size	_ZL20rocblas_gemvn_kernelILi32ELi16El19rocblas_complex_numIdEPKS1_S1_EviiT3_lPKT2_lT1_lS7_lS8_lS4_lPT4_lS8_li, .Lfunc_end153-_ZL20rocblas_gemvn_kernelILi32ELi16El19rocblas_complex_numIdEPKS1_S1_EviiT3_lPKT2_lT1_lS7_lS8_lS4_lPT4_lS8_li
                                        ; -- End function
	.section	.AMDGPU.csdata,"",@progbits
; Kernel info:
; codeLenInByte = 1856
; NumSgprs: 58
; NumVgprs: 22
; NumAgprs: 0
; TotalNumVgprs: 22
; ScratchSize: 0
; MemoryBound: 0
; FloatMode: 240
; IeeeMode: 1
; LDSByteSize: 8192 bytes/workgroup (compile time only)
; SGPRBlocks: 7
; VGPRBlocks: 2
; NumSGPRsForWavesPerEU: 58
; NumVGPRsForWavesPerEU: 22
; AccumOffset: 24
; Occupancy: 8
; WaveLimiterHint : 0
; COMPUTE_PGM_RSRC2:SCRATCH_EN: 0
; COMPUTE_PGM_RSRC2:USER_SGPR: 2
; COMPUTE_PGM_RSRC2:TRAP_HANDLER: 0
; COMPUTE_PGM_RSRC2:TGID_X_EN: 1
; COMPUTE_PGM_RSRC2:TGID_Y_EN: 0
; COMPUTE_PGM_RSRC2:TGID_Z_EN: 1
; COMPUTE_PGM_RSRC2:TIDIG_COMP_CNT: 1
; COMPUTE_PGM_RSRC3_GFX90A:ACCUM_OFFSET: 5
; COMPUTE_PGM_RSRC3_GFX90A:TG_SPLIT: 0
	.section	.text._ZL20rocblas_gemvn_kernelILi32ELi16Ei19rocblas_complex_numIdES1_S1_EviiT3_lPKT2_lT1_lS5_lS6_lS2_lPT4_lS6_li,"axG",@progbits,_ZL20rocblas_gemvn_kernelILi32ELi16Ei19rocblas_complex_numIdES1_S1_EviiT3_lPKT2_lT1_lS5_lS6_lS2_lPT4_lS6_li,comdat
	.globl	_ZL20rocblas_gemvn_kernelILi32ELi16Ei19rocblas_complex_numIdES1_S1_EviiT3_lPKT2_lT1_lS5_lS6_lS2_lPT4_lS6_li ; -- Begin function _ZL20rocblas_gemvn_kernelILi32ELi16Ei19rocblas_complex_numIdES1_S1_EviiT3_lPKT2_lT1_lS5_lS6_lS2_lPT4_lS6_li
	.p2align	8
	.type	_ZL20rocblas_gemvn_kernelILi32ELi16Ei19rocblas_complex_numIdES1_S1_EviiT3_lPKT2_lT1_lS5_lS6_lS2_lPT4_lS6_li,@function
_ZL20rocblas_gemvn_kernelILi32ELi16Ei19rocblas_complex_numIdES1_S1_EviiT3_lPKT2_lT1_lS5_lS6_lS2_lPT4_lS6_li: ; @_ZL20rocblas_gemvn_kernelILi32ELi16Ei19rocblas_complex_numIdES1_S1_EviiT3_lPKT2_lT1_lS5_lS6_lS2_lPT4_lS6_li
; %bb.0:
	s_load_dwordx2 s[4:5], s[0:1], 0xac
	s_waitcnt lgkmcnt(0)
	s_lshr_b32 s6, s4, 16
	s_and_b32 s20, s4, 0xffff
	s_and_b32 s5, s5, 0xffff
	s_mul_i32 s4, s6, s20
	s_mul_i32 s4, s4, s5
	s_cmpk_lg_i32 s4, 0x200
	s_cbranch_scc1 .LBB154_34
; %bb.1:
	s_load_dwordx4 s[12:15], s[0:1], 0x8
	s_load_dwordx4 s[8:11], s[0:1], 0x58
	s_load_dwordx2 s[16:17], s[0:1], 0x68
	s_waitcnt lgkmcnt(0)
	v_cmp_neq_f64_e64 s[4:5], s[12:13], 0
	v_cmp_neq_f64_e64 s[6:7], s[14:15], 0
	s_or_b64 s[4:5], s[4:5], s[6:7]
	s_mov_b64 s[6:7], -1
	s_and_b64 vcc, exec, s[4:5]
	s_cbranch_vccnz .LBB154_3
; %bb.2:
	v_cmp_neq_f64_e64 s[6:7], s[10:11], 1.0
	v_cmp_neq_f64_e64 s[18:19], s[16:17], 0
	s_or_b64 s[6:7], s[6:7], s[18:19]
.LBB154_3:
	s_andn2_b64 vcc, exec, s[6:7]
	s_cbranch_vccnz .LBB154_34
; %bb.4:
	s_load_dwordx2 s[6:7], s[0:1], 0x90
	s_load_dword s26, s[0:1], 0x88
	s_load_dwordx2 s[18:19], s[0:1], 0x0
	s_load_dwordx4 s[28:31], s[0:1], 0x78
	s_xor_b64 s[4:5], s[4:5], -1
	s_waitcnt lgkmcnt(0)
	s_mul_i32 s7, s3, s7
	s_mul_hi_u32 s21, s3, s6
	s_add_i32 s7, s21, s7
	s_mul_i32 s6, s3, s6
	s_lshl_b64 s[6:7], s[6:7], 4
	s_add_u32 s21, s28, s6
	s_addc_u32 s22, s29, s7
	s_lshl_b64 s[6:7], s[30:31], 4
	v_and_b32_e32 v1, 0x3ff, v0
	v_bfe_u32 v0, v0, 10, 10
	s_add_u32 s6, s21, s6
	v_mad_u32_u24 v10, v0, s20, v1
	s_addc_u32 s7, s22, s7
	s_andn2_b64 vcc, exec, s[4:5]
	v_cmp_gt_u32_e64 s[4:5], 32, v10
	s_cbranch_vccnz .LBB154_11
; %bb.5:
	s_mov_b64 s[22:23], 0
	s_mov_b64 s[20:21], 0
                                        ; implicit-def: $vgpr2_vgpr3
                                        ; implicit-def: $vgpr8_vgpr9
	s_and_saveexec_b64 s[24:25], s[4:5]
	s_cbranch_execz .LBB154_12
; %bb.6:
	v_lshl_or_b32 v0, s2, 5, v10
	v_mov_b32_e32 v1, 0
	s_ashr_i32 s5, s18, 31
	s_mov_b32 s4, s18
	v_cmp_gt_i64_e32 vcc, s[4:5], v[0:1]
                                        ; implicit-def: $vgpr2_vgpr3
                                        ; implicit-def: $vgpr8_vgpr9
	s_and_saveexec_b64 s[4:5], vcc
	s_cbranch_execz .LBB154_10
; %bb.7:
	v_mad_u64_u32 v[8:9], s[30:31], v0, s26, 0
	v_cmp_neq_f64_e64 s[20:21], s[10:11], 0
	v_cmp_neq_f64_e64 s[28:29], s[16:17], 0
	s_ashr_i32 s27, s26, 31
	v_mov_b32_e32 v4, v9
	v_mov_b64_e32 v[2:3], 0
	v_mad_u64_u32 v[0:1], s[30:31], v0, s27, v[4:5]
	s_or_b64 s[20:21], s[20:21], s[28:29]
	v_mov_b32_e32 v9, v0
	s_andn2_b64 vcc, exec, s[20:21]
	v_mov_b64_e32 v[0:1], v[2:3]
	s_cbranch_vccnz .LBB154_9
; %bb.8:
	v_lshl_add_u64 v[0:1], v[8:9], 4, s[6:7]
	global_load_dwordx4 v[4:7], v[0:1], off
	s_waitcnt vmcnt(0)
	v_mul_f64 v[0:1], s[16:17], v[6:7]
	v_mul_f64 v[2:3], s[10:11], v[6:7]
	v_fma_f64 v[0:1], s[10:11], v[4:5], -v[0:1]
	v_fmac_f64_e32 v[2:3], s[16:17], v[4:5]
.LBB154_9:
	s_mov_b64 s[20:21], exec
.LBB154_10:
	s_or_b64 exec, exec, s[4:5]
	s_and_b64 s[20:21], s[20:21], exec
	s_or_b64 exec, exec, s[24:25]
	s_and_b64 vcc, exec, s[22:23]
	s_cbranch_vccnz .LBB154_13
	s_branch .LBB154_32
.LBB154_11:
	s_mov_b64 s[20:21], 0
                                        ; implicit-def: $vgpr2_vgpr3
                                        ; implicit-def: $vgpr8_vgpr9
	s_cbranch_execnz .LBB154_13
	s_branch .LBB154_32
.LBB154_12:
	s_or_b64 exec, exec, s[24:25]
	s_and_b64 vcc, exec, s[22:23]
	s_cbranch_vccz .LBB154_32
.LBB154_13:
	s_load_dwordx4 s[28:31], s[0:1], 0x38
	s_load_dwordx4 s[36:39], s[0:1], 0x20
	s_load_dword s25, s[0:1], 0x30
	s_load_dwordx2 s[22:23], s[0:1], 0x48
	s_load_dword s27, s[0:1], 0x50
	s_waitcnt lgkmcnt(0)
	s_mul_i32 s0, s3, s29
	s_mul_hi_u32 s1, s3, s28
	s_add_i32 s1, s1, s0
	s_mul_i32 s0, s3, s28
	s_lshl_b64 s[0:1], s[0:1], 4
	s_add_u32 s4, s36, s0
	s_addc_u32 s5, s37, s1
	s_lshl_b64 s[0:1], s[38:39], 4
	s_add_u32 s4, s4, s0
	s_addc_u32 s5, s5, s1
	s_mul_i32 s0, s3, s9
	s_mul_hi_u32 s1, s3, s8
	s_add_i32 s1, s1, s0
	s_mul_i32 s0, s3, s8
	s_lshl_b64 s[0:1], s[0:1], 4
	s_add_u32 s3, s30, s0
	s_addc_u32 s9, s31, s1
	s_lshl_b64 s[0:1], s[22:23], 4
	s_add_u32 s8, s3, s0
	s_addc_u32 s9, s9, s1
	s_ashr_i32 s0, s19, 31
	s_lshr_b32 s0, s0, 28
	s_add_i32 s0, s19, s0
	v_and_b32_e32 v5, 31, v10
	v_lshrrev_b32_e32 v9, 5, v10
	s_lshl_b32 s24, s2, 5
	s_and_b32 s28, s0, -16
	v_mov_b64_e32 v[2:3], 0
	v_or_b32_e32 v8, s24, v5
	v_cmp_gt_i32_e32 vcc, s28, v9
	v_mov_b64_e32 v[0:1], v[2:3]
	s_and_saveexec_b64 s[2:3], vcc
	s_cbranch_execz .LBB154_19
; %bb.14:
	v_mul_lo_u32 v0, s25, v9
	v_mov_b64_e32 v[2:3], 0
	v_cmp_gt_i32_e32 vcc, s18, v8
	v_mul_lo_u32 v4, s27, v9
	s_lshl_b32 s29, s27, 4
	v_add3_u32 v6, v0, s24, v5
	s_lshl_b32 s30, s25, 4
	s_mov_b64 s[22:23], 0
	v_mov_b64_e32 v[0:1], v[2:3]
	s_branch .LBB154_16
.LBB154_15:                             ;   in Loop: Header=BB154_16 Depth=1
	s_or_b64 exec, exec, s[0:1]
	v_add_u32_e32 v9, 16, v9
	v_cmp_le_i32_e64 s[0:1], s28, v9
	v_add_u32_e32 v4, s29, v4
	s_or_b64 s[22:23], s[0:1], s[22:23]
	v_add_u32_e32 v6, s30, v6
	s_andn2_b64 exec, exec, s[22:23]
	s_cbranch_execz .LBB154_18
.LBB154_16:                             ; =>This Inner Loop Header: Depth=1
	s_and_saveexec_b64 s[0:1], vcc
	s_cbranch_execz .LBB154_15
; %bb.17:                               ;   in Loop: Header=BB154_16 Depth=1
	v_ashrrev_i32_e32 v5, 31, v4
	v_ashrrev_i32_e32 v7, 31, v6
	v_lshl_add_u64 v[22:23], v[4:5], 4, s[8:9]
	v_lshl_add_u64 v[20:21], v[6:7], 4, s[4:5]
	global_load_dwordx4 v[12:15], v[22:23], off
	global_load_dwordx4 v[16:19], v[20:21], off
	s_waitcnt vmcnt(0)
	v_mul_f64 v[20:21], v[14:15], v[18:19]
	v_mul_f64 v[18:19], v[12:13], v[18:19]
	v_fma_f64 v[12:13], v[12:13], v[16:17], -v[20:21]
	v_fmac_f64_e32 v[18:19], v[14:15], v[16:17]
	v_add_f64 v[0:1], v[0:1], v[12:13]
	v_add_f64 v[2:3], v[2:3], v[18:19]
	s_branch .LBB154_15
.LBB154_18:
	s_or_b64 exec, exec, s[22:23]
.LBB154_19:
	s_or_b64 exec, exec, s[2:3]
	s_sub_i32 s0, s19, s28
	s_cmp_lt_i32 s0, 1
	s_cbranch_scc1 .LBB154_25
; %bb.20:
	v_mov_b64_e32 v[4:5], 0
	v_cmp_gt_i32_e32 vcc, s19, v9
	v_mov_b64_e32 v[6:7], v[4:5]
	s_and_saveexec_b64 s[0:1], vcc
	s_cbranch_execz .LBB154_22
; %bb.21:
	v_mul_lo_u32 v4, v9, s27
	v_ashrrev_i32_e32 v5, 31, v4
	v_lshl_add_u64 v[4:5], v[4:5], 4, s[8:9]
	global_load_dwordx4 v[4:7], v[4:5], off
.LBB154_22:
	s_or_b64 exec, exec, s[0:1]
	v_cmp_gt_i32_e64 s[0:1], s18, v8
	s_and_saveexec_b64 s[2:3], s[0:1]
	s_cbranch_execz .LBB154_24
; %bb.23:
	v_mul_lo_u32 v9, v9, s25
	v_cndmask_b32_e32 v9, 0, v9, vcc
	v_add_u32_e32 v8, v9, v8
	v_ashrrev_i32_e32 v9, 31, v8
	v_lshl_add_u64 v[8:9], v[8:9], 4, s[4:5]
	global_load_dwordx4 v[12:15], v[8:9], off
	s_waitcnt vmcnt(0)
	v_mul_f64 v[8:9], v[6:7], v[14:15]
	v_mul_f64 v[14:15], v[4:5], v[14:15]
	v_fma_f64 v[4:5], v[4:5], v[12:13], -v[8:9]
	v_fmac_f64_e32 v[14:15], v[6:7], v[12:13]
	v_add_f64 v[0:1], v[0:1], v[4:5]
	v_add_f64 v[2:3], v[2:3], v[14:15]
.LBB154_24:
	s_or_b64 exec, exec, s[2:3]
.LBB154_25:
	v_lshlrev_b32_e32 v11, 4, v10
	v_cmp_gt_u32_e32 vcc, 32, v10
	ds_write_b128 v11, v[0:3]
	s_waitcnt lgkmcnt(0)
	s_barrier
	s_waitcnt lgkmcnt(0)
                                        ; implicit-def: $vgpr2_vgpr3
                                        ; implicit-def: $vgpr8_vgpr9
	s_and_saveexec_b64 s[0:1], vcc
	s_cbranch_execz .LBB154_31
; %bb.26:
	ds_read_b128 v[0:3], v11
	s_waitcnt vmcnt(0)
	ds_read_b128 v[4:7], v11 offset:512
	ds_read_b128 v[12:15], v11 offset:1024
	;; [unrolled: 1-line block ×3, first 2 shown]
	v_or_b32_e32 v10, s24, v10
	v_cmp_gt_i32_e32 vcc, s18, v10
	s_waitcnt lgkmcnt(2)
	v_add_f64 v[0:1], v[0:1], v[4:5]
	v_add_f64 v[4:5], v[2:3], v[6:7]
	s_waitcnt lgkmcnt(1)
	v_add_f64 v[6:7], v[0:1], v[12:13]
	ds_read_b128 v[0:3], v11 offset:2048
	v_add_f64 v[8:9], v[4:5], v[14:15]
	s_waitcnt lgkmcnt(1)
	v_add_f64 v[12:13], v[6:7], v[16:17]
	ds_read_b128 v[4:7], v11 offset:2560
	;; [unrolled: 4-line block ×9, first 2 shown]
	v_add_f64 v[2:3], v[8:9], v[2:3]
	s_waitcnt lgkmcnt(1)
	v_add_f64 v[4:5], v[0:1], v[4:5]
	v_add_f64 v[8:9], v[2:3], v[6:7]
	ds_read_b128 v[0:3], v11 offset:6656
	s_waitcnt lgkmcnt(1)
	v_add_f64 v[16:17], v[4:5], v[12:13]
	ds_read_b128 v[4:7], v11 offset:7168
	v_add_f64 v[8:9], v[8:9], v[14:15]
	ds_read_b128 v[12:15], v11 offset:7680
	s_waitcnt lgkmcnt(2)
	v_add_f64 v[0:1], v[16:17], v[0:1]
	v_add_f64 v[2:3], v[8:9], v[2:3]
	s_waitcnt lgkmcnt(1)
	v_add_f64 v[0:1], v[0:1], v[4:5]
	v_add_f64 v[2:3], v[2:3], v[6:7]
	;; [unrolled: 3-line block ×3, first 2 shown]
	s_mov_b64 s[4:5], s[20:21]
	ds_write_b128 v11, v[4:7]
                                        ; implicit-def: $vgpr2_vgpr3
                                        ; implicit-def: $vgpr8_vgpr9
	s_and_saveexec_b64 s[2:3], vcc
	s_cbranch_execz .LBB154_30
; %bb.27:
	v_cmp_neq_f64_e64 s[4:5], s[10:11], 0
	v_cmp_neq_f64_e64 s[8:9], s[16:17], 0
	v_mul_f64 v[0:1], s[14:15], v[6:7]
	v_mul_f64 v[2:3], s[12:13], v[6:7]
	v_mul_lo_u32 v8, v10, s26
	s_or_b64 s[4:5], s[4:5], s[8:9]
	v_fma_f64 v[0:1], s[12:13], v[4:5], -v[0:1]
	v_fmac_f64_e32 v[2:3], s[14:15], v[4:5]
	s_andn2_b64 vcc, exec, s[4:5]
	v_ashrrev_i32_e32 v9, 31, v8
	s_cbranch_vccnz .LBB154_29
; %bb.28:
	v_lshl_add_u64 v[4:5], v[8:9], 4, s[6:7]
	global_load_dwordx4 v[4:7], v[4:5], off
	s_waitcnt vmcnt(0)
	v_mul_f64 v[10:11], s[16:17], v[6:7]
	v_mul_f64 v[6:7], s[10:11], v[6:7]
	v_fma_f64 v[10:11], s[10:11], v[4:5], -v[10:11]
	v_fmac_f64_e32 v[6:7], s[16:17], v[4:5]
	v_add_f64 v[0:1], v[0:1], v[10:11]
	v_add_f64 v[2:3], v[2:3], v[6:7]
.LBB154_29:
	s_or_b64 s[4:5], s[20:21], exec
.LBB154_30:
	s_or_b64 exec, exec, s[2:3]
	s_andn2_b64 s[2:3], s[20:21], exec
	s_and_b64 s[4:5], s[4:5], exec
	s_or_b64 s[20:21], s[2:3], s[4:5]
.LBB154_31:
	s_or_b64 exec, exec, s[0:1]
.LBB154_32:
	s_and_saveexec_b64 s[0:1], s[20:21]
	s_cbranch_execz .LBB154_34
; %bb.33:
	s_waitcnt vmcnt(0)
	v_lshl_add_u64 v[4:5], v[8:9], 4, s[6:7]
	global_store_dwordx4 v[4:5], v[0:3], off
.LBB154_34:
	s_endpgm
	.section	.rodata,"a",@progbits
	.p2align	6, 0x0
	.amdhsa_kernel _ZL20rocblas_gemvn_kernelILi32ELi16Ei19rocblas_complex_numIdES1_S1_EviiT3_lPKT2_lT1_lS5_lS6_lS2_lPT4_lS6_li
		.amdhsa_group_segment_fixed_size 8192
		.amdhsa_private_segment_fixed_size 0
		.amdhsa_kernarg_size 416
		.amdhsa_user_sgpr_count 2
		.amdhsa_user_sgpr_dispatch_ptr 0
		.amdhsa_user_sgpr_queue_ptr 0
		.amdhsa_user_sgpr_kernarg_segment_ptr 1
		.amdhsa_user_sgpr_dispatch_id 0
		.amdhsa_user_sgpr_kernarg_preload_length 0
		.amdhsa_user_sgpr_kernarg_preload_offset 0
		.amdhsa_user_sgpr_private_segment_size 0
		.amdhsa_uses_dynamic_stack 0
		.amdhsa_enable_private_segment 0
		.amdhsa_system_sgpr_workgroup_id_x 1
		.amdhsa_system_sgpr_workgroup_id_y 0
		.amdhsa_system_sgpr_workgroup_id_z 1
		.amdhsa_system_sgpr_workgroup_info 0
		.amdhsa_system_vgpr_workitem_id 1
		.amdhsa_next_free_vgpr 24
		.amdhsa_next_free_sgpr 40
		.amdhsa_accum_offset 24
		.amdhsa_reserve_vcc 1
		.amdhsa_float_round_mode_32 0
		.amdhsa_float_round_mode_16_64 0
		.amdhsa_float_denorm_mode_32 3
		.amdhsa_float_denorm_mode_16_64 3
		.amdhsa_dx10_clamp 1
		.amdhsa_ieee_mode 1
		.amdhsa_fp16_overflow 0
		.amdhsa_tg_split 0
		.amdhsa_exception_fp_ieee_invalid_op 0
		.amdhsa_exception_fp_denorm_src 0
		.amdhsa_exception_fp_ieee_div_zero 0
		.amdhsa_exception_fp_ieee_overflow 0
		.amdhsa_exception_fp_ieee_underflow 0
		.amdhsa_exception_fp_ieee_inexact 0
		.amdhsa_exception_int_div_zero 0
	.end_amdhsa_kernel
	.section	.text._ZL20rocblas_gemvn_kernelILi32ELi16Ei19rocblas_complex_numIdES1_S1_EviiT3_lPKT2_lT1_lS5_lS6_lS2_lPT4_lS6_li,"axG",@progbits,_ZL20rocblas_gemvn_kernelILi32ELi16Ei19rocblas_complex_numIdES1_S1_EviiT3_lPKT2_lT1_lS5_lS6_lS2_lPT4_lS6_li,comdat
.Lfunc_end154:
	.size	_ZL20rocblas_gemvn_kernelILi32ELi16Ei19rocblas_complex_numIdES1_S1_EviiT3_lPKT2_lT1_lS5_lS6_lS2_lPT4_lS6_li, .Lfunc_end154-_ZL20rocblas_gemvn_kernelILi32ELi16Ei19rocblas_complex_numIdES1_S1_EviiT3_lPKT2_lT1_lS5_lS6_lS2_lPT4_lS6_li
                                        ; -- End function
	.section	.AMDGPU.csdata,"",@progbits
; Kernel info:
; codeLenInByte = 1692
; NumSgprs: 46
; NumVgprs: 24
; NumAgprs: 0
; TotalNumVgprs: 24
; ScratchSize: 0
; MemoryBound: 1
; FloatMode: 240
; IeeeMode: 1
; LDSByteSize: 8192 bytes/workgroup (compile time only)
; SGPRBlocks: 5
; VGPRBlocks: 2
; NumSGPRsForWavesPerEU: 46
; NumVGPRsForWavesPerEU: 24
; AccumOffset: 24
; Occupancy: 8
; WaveLimiterHint : 1
; COMPUTE_PGM_RSRC2:SCRATCH_EN: 0
; COMPUTE_PGM_RSRC2:USER_SGPR: 2
; COMPUTE_PGM_RSRC2:TRAP_HANDLER: 0
; COMPUTE_PGM_RSRC2:TGID_X_EN: 1
; COMPUTE_PGM_RSRC2:TGID_Y_EN: 0
; COMPUTE_PGM_RSRC2:TGID_Z_EN: 1
; COMPUTE_PGM_RSRC2:TIDIG_COMP_CNT: 1
; COMPUTE_PGM_RSRC3_GFX90A:ACCUM_OFFSET: 5
; COMPUTE_PGM_RSRC3_GFX90A:TG_SPLIT: 0
	.section	.text._ZL20rocblas_gemvn_kernelILi32ELi16El19rocblas_complex_numIdES1_S1_EviiT3_lPKT2_lT1_lS5_lS6_lS2_lPT4_lS6_li,"axG",@progbits,_ZL20rocblas_gemvn_kernelILi32ELi16El19rocblas_complex_numIdES1_S1_EviiT3_lPKT2_lT1_lS5_lS6_lS2_lPT4_lS6_li,comdat
	.globl	_ZL20rocblas_gemvn_kernelILi32ELi16El19rocblas_complex_numIdES1_S1_EviiT3_lPKT2_lT1_lS5_lS6_lS2_lPT4_lS6_li ; -- Begin function _ZL20rocblas_gemvn_kernelILi32ELi16El19rocblas_complex_numIdES1_S1_EviiT3_lPKT2_lT1_lS5_lS6_lS2_lPT4_lS6_li
	.p2align	8
	.type	_ZL20rocblas_gemvn_kernelILi32ELi16El19rocblas_complex_numIdES1_S1_EviiT3_lPKT2_lT1_lS5_lS6_lS2_lPT4_lS6_li,@function
_ZL20rocblas_gemvn_kernelILi32ELi16El19rocblas_complex_numIdES1_S1_EviiT3_lPKT2_lT1_lS5_lS6_lS2_lPT4_lS6_li: ; @_ZL20rocblas_gemvn_kernelILi32ELi16El19rocblas_complex_numIdES1_S1_EviiT3_lPKT2_lT1_lS5_lS6_lS2_lPT4_lS6_li
; %bb.0:
	s_load_dwordx2 s[4:5], s[0:1], 0xac
	s_waitcnt lgkmcnt(0)
	s_lshr_b32 s6, s4, 16
	s_and_b32 s8, s4, 0xffff
	s_and_b32 s5, s5, 0xffff
	s_mul_i32 s4, s6, s8
	s_mul_i32 s4, s4, s5
	s_cmpk_lg_i32 s4, 0x200
	s_cbranch_scc1 .LBB155_34
; %bb.1:
	s_load_dwordx4 s[28:31], s[0:1], 0x8
	s_load_dwordx4 s[24:27], s[0:1], 0x60
	s_waitcnt lgkmcnt(0)
	v_cmp_neq_f64_e64 s[4:5], s[28:29], 0
	v_cmp_neq_f64_e64 s[6:7], s[30:31], 0
	s_or_b64 s[4:5], s[4:5], s[6:7]
	s_mov_b64 s[6:7], -1
	s_and_b64 vcc, exec, s[4:5]
	s_cbranch_vccnz .LBB155_3
; %bb.2:
	v_cmp_neq_f64_e64 s[6:7], s[24:25], 1.0
	v_cmp_neq_f64_e64 s[10:11], s[26:27], 0
	s_or_b64 s[6:7], s[6:7], s[10:11]
.LBB155_3:
	s_andn2_b64 vcc, exec, s[6:7]
	s_cbranch_vccnz .LBB155_34
; %bb.4:
	s_load_dwordx8 s[16:23], s[0:1], 0x78
	s_load_dwordx2 s[34:35], s[0:1], 0x0
	s_xor_b64 s[4:5], s[4:5], -1
	v_and_b32_e32 v1, 0x3ff, v0
	v_bfe_u32 v0, v0, 10, 10
	s_waitcnt lgkmcnt(0)
	s_mul_i32 s7, s3, s23
	s_mul_hi_u32 s9, s3, s22
	s_mul_i32 s6, s3, s22
	s_add_i32 s7, s9, s7
	s_lshl_b64 s[6:7], s[6:7], 4
	s_add_u32 s9, s16, s6
	s_addc_u32 s10, s17, s7
	s_lshl_b64 s[6:7], s[18:19], 4
	s_add_u32 s22, s9, s6
	v_mad_u32_u24 v10, v0, s8, v1
	s_addc_u32 s23, s10, s7
	s_andn2_b64 vcc, exec, s[4:5]
	v_cmp_gt_u32_e64 s[4:5], 32, v10
	s_cbranch_vccnz .LBB155_11
; %bb.5:
	s_mov_b64 s[6:7], 0
	s_mov_b64 s[36:37], 0
                                        ; implicit-def: $vgpr2_vgpr3
                                        ; implicit-def: $vgpr8_vgpr9
	s_and_saveexec_b64 s[8:9], s[4:5]
	s_cbranch_execz .LBB155_12
; %bb.6:
	v_lshl_or_b32 v0, s2, 5, v10
	v_mov_b32_e32 v1, 0
	s_ashr_i32 s5, s34, 31
	s_mov_b32 s4, s34
	v_cmp_gt_i64_e32 vcc, s[4:5], v[0:1]
	s_mov_b64 s[10:11], 0
                                        ; implicit-def: $vgpr2_vgpr3
                                        ; implicit-def: $vgpr8_vgpr9
	s_and_saveexec_b64 s[4:5], vcc
	s_cbranch_execz .LBB155_10
; %bb.7:
	v_mad_u64_u32 v[8:9], s[14:15], v0, s20, 0
	v_cmp_neq_f64_e64 s[10:11], s[24:25], 0
	v_cmp_neq_f64_e64 s[12:13], s[26:27], 0
	v_mov_b32_e32 v4, v9
	v_mov_b64_e32 v[2:3], 0
	v_mad_u64_u32 v[0:1], s[14:15], v0, s21, v[4:5]
	s_or_b64 s[10:11], s[10:11], s[12:13]
	v_mov_b32_e32 v9, v0
	s_andn2_b64 vcc, exec, s[10:11]
	v_mov_b64_e32 v[0:1], v[2:3]
	s_cbranch_vccnz .LBB155_9
; %bb.8:
	v_lshl_add_u64 v[0:1], v[8:9], 4, s[22:23]
	global_load_dwordx4 v[4:7], v[0:1], off
	s_waitcnt vmcnt(0)
	v_mul_f64 v[0:1], s[26:27], v[6:7]
	v_mul_f64 v[2:3], s[24:25], v[6:7]
	v_fma_f64 v[0:1], s[24:25], v[4:5], -v[0:1]
	v_fmac_f64_e32 v[2:3], s[26:27], v[4:5]
.LBB155_9:
	s_mov_b64 s[10:11], exec
.LBB155_10:
	s_or_b64 exec, exec, s[4:5]
	s_and_b64 s[36:37], s[10:11], exec
	s_or_b64 exec, exec, s[8:9]
	s_and_b64 vcc, exec, s[6:7]
	s_cbranch_vccnz .LBB155_13
	s_branch .LBB155_32
.LBB155_11:
	s_mov_b64 s[36:37], 0
                                        ; implicit-def: $vgpr2_vgpr3
                                        ; implicit-def: $vgpr8_vgpr9
	s_cbranch_execnz .LBB155_13
	s_branch .LBB155_32
.LBB155_12:
	s_or_b64 exec, exec, s[8:9]
	s_and_b64 vcc, exec, s[6:7]
	s_cbranch_vccz .LBB155_32
.LBB155_13:
	s_load_dwordx16 s[4:19], s[0:1], 0x20
	v_and_b32_e32 v6, 31, v10
	v_lshrrev_b32_e32 v11, 5, v10
	v_mov_b64_e32 v[2:3], 0
	v_mov_b64_e32 v[0:1], v[2:3]
	s_waitcnt lgkmcnt(0)
	s_mul_i32 s0, s3, s11
	s_mul_hi_u32 s1, s3, s10
	s_add_i32 s11, s1, s0
	s_ashr_i32 s0, s35, 31
	s_lshr_b32 s0, s0, 28
	s_mul_i32 s19, s3, s19
	s_mul_hi_u32 s33, s3, s18
	s_add_i32 s0, s35, s0
	s_add_i32 s19, s33, s19
	s_lshl_b32 s33, s2, 5
	s_and_b32 s44, s0, -16
	s_mul_i32 s10, s3, s10
	s_mul_i32 s18, s3, s18
	v_or_b32_e32 v8, s33, v6
	v_cmp_gt_i32_e32 vcc, s44, v11
	s_and_saveexec_b64 s[2:3], vcc
	s_cbranch_execz .LBB155_19
; %bb.14:
	v_lshrrev_b32_e32 v7, 5, v10
	v_mad_u64_u32 v[0:1], s[0:1], s16, v7, 0
	v_mov_b32_e32 v2, v1
	v_mad_u64_u32 v[2:3], s[0:1], s17, v7, v[2:3]
	s_lshl_b64 s[0:1], s[18:19], 4
	s_lshl_b64 s[38:39], s[14:15], 4
	s_add_u32 s38, s12, s38
	s_addc_u32 s39, s13, s39
	s_add_u32 s0, s38, s0
	v_mov_b32_e32 v1, v2
	s_addc_u32 s1, s39, s1
	v_lshl_add_u64 v[0:1], v[0:1], 4, s[0:1]
	v_lshl_add_u64 v[4:5], v[0:1], 0, 8
	v_mad_u64_u32 v[0:1], s[0:1], s8, v7, 0
	v_mov_b32_e32 v2, v1
	v_mad_u64_u32 v[2:3], s[0:1], s9, v7, v[2:3]
	s_lshl_b64 s[38:39], s[16:17], 8
	s_lshl_b64 s[0:1], s[10:11], 4
	;; [unrolled: 1-line block ×3, first 2 shown]
	s_add_u32 s0, s40, s0
	v_mov_b32_e32 v1, v2
	s_addc_u32 s1, s41, s1
	v_add_u32_e32 v2, s33, v6
	v_lshl_add_u64 v[0:1], v[0:1], 4, s[0:1]
	v_ashrrev_i32_e32 v3, 31, v2
	v_lshl_add_u64 v[0:1], v[2:3], 4, v[0:1]
	v_lshl_add_u64 v[0:1], v[0:1], 0, s[4:5]
	v_mov_b64_e32 v[2:3], 0
	v_cmp_gt_i32_e32 vcc, s34, v8
	v_lshl_add_u64 v[6:7], v[0:1], 0, 8
	s_lshl_b64 s[42:43], s[8:9], 8
	s_mov_b64 s[40:41], 0
	v_mov_b64_e32 v[0:1], v[2:3]
	s_branch .LBB155_16
.LBB155_15:                             ;   in Loop: Header=BB155_16 Depth=1
	s_or_b64 exec, exec, s[0:1]
	v_add_u32_e32 v11, 16, v11
	v_cmp_le_i32_e64 s[0:1], s44, v11
	v_lshl_add_u64 v[4:5], v[4:5], 0, s[38:39]
	s_or_b64 s[40:41], s[0:1], s[40:41]
	v_lshl_add_u64 v[6:7], v[6:7], 0, s[42:43]
	s_andn2_b64 exec, exec, s[40:41]
	s_cbranch_execz .LBB155_18
.LBB155_16:                             ; =>This Inner Loop Header: Depth=1
	s_and_saveexec_b64 s[0:1], vcc
	s_cbranch_execz .LBB155_15
; %bb.17:                               ;   in Loop: Header=BB155_16 Depth=1
	global_load_dwordx4 v[12:15], v[4:5], off offset:-8
	global_load_dwordx4 v[16:19], v[6:7], off offset:-8
	s_waitcnt vmcnt(0)
	v_mul_f64 v[20:21], v[14:15], v[18:19]
	v_mul_f64 v[18:19], v[12:13], v[18:19]
	v_fma_f64 v[12:13], v[12:13], v[16:17], -v[20:21]
	v_fmac_f64_e32 v[18:19], v[14:15], v[16:17]
	v_add_f64 v[0:1], v[0:1], v[12:13]
	v_add_f64 v[2:3], v[2:3], v[18:19]
	s_branch .LBB155_15
.LBB155_18:
	s_or_b64 exec, exec, s[40:41]
.LBB155_19:
	s_or_b64 exec, exec, s[2:3]
	s_sub_i32 s0, s35, s44
	s_cmp_lt_i32 s0, 1
	s_cbranch_scc1 .LBB155_25
; %bb.20:
	v_mov_b64_e32 v[4:5], 0
	v_cmp_gt_i32_e32 vcc, s35, v11
	v_mov_b64_e32 v[6:7], v[4:5]
	s_and_saveexec_b64 s[0:1], vcc
	s_cbranch_execz .LBB155_22
; %bb.21:
	s_lshl_b64 s[2:3], s[18:19], 4
	s_add_u32 s12, s12, s2
	s_addc_u32 s13, s13, s3
	s_lshl_b64 s[2:3], s[14:15], 4
	s_add_u32 s2, s12, s2
	s_addc_u32 s3, s13, s3
	v_mad_u64_u32 v[4:5], s[12:13], v11, s16, 0
	v_mov_b32_e32 v6, v5
	v_mad_u64_u32 v[6:7], s[12:13], v11, s17, v[6:7]
	v_mov_b32_e32 v5, v6
	v_lshl_add_u64 v[4:5], v[4:5], 4, s[2:3]
	global_load_dwordx4 v[4:7], v[4:5], off
.LBB155_22:
	s_or_b64 exec, exec, s[0:1]
	v_cmp_gt_i32_e64 s[0:1], s34, v8
	s_and_saveexec_b64 s[2:3], s[0:1]
	s_cbranch_execz .LBB155_24
; %bb.23:
	s_lshl_b64 s[0:1], s[10:11], 4
	s_add_u32 s4, s4, s0
	s_addc_u32 s5, s5, s1
	s_lshl_b64 s[0:1], s[6:7], 4
	s_add_u32 s0, s4, s0
	s_addc_u32 s1, s5, s1
	v_mad_u64_u32 v[12:13], s[4:5], v11, s8, 0
	v_mov_b32_e32 v14, v13
	v_mad_u64_u32 v[14:15], s[4:5], v11, s9, v[14:15]
	v_cndmask_b32_e32 v12, 0, v12, vcc
	v_cndmask_b32_e32 v13, 0, v14, vcc
	v_ashrrev_i32_e32 v9, 31, v8
	v_lshl_add_u64 v[12:13], v[12:13], 4, s[0:1]
	v_lshl_add_u64 v[8:9], v[8:9], 4, v[12:13]
	global_load_dwordx4 v[12:15], v[8:9], off
	s_waitcnt vmcnt(0)
	v_mul_f64 v[8:9], v[6:7], v[14:15]
	v_mul_f64 v[14:15], v[4:5], v[14:15]
	v_fma_f64 v[4:5], v[4:5], v[12:13], -v[8:9]
	v_fmac_f64_e32 v[14:15], v[6:7], v[12:13]
	v_add_f64 v[0:1], v[0:1], v[4:5]
	v_add_f64 v[2:3], v[2:3], v[14:15]
.LBB155_24:
	s_or_b64 exec, exec, s[2:3]
.LBB155_25:
	v_lshlrev_b32_e32 v11, 4, v10
	v_cmp_gt_u32_e32 vcc, 32, v10
	ds_write_b128 v11, v[0:3]
	s_waitcnt lgkmcnt(0)
	s_barrier
	s_waitcnt lgkmcnt(0)
                                        ; implicit-def: $vgpr2_vgpr3
                                        ; implicit-def: $vgpr8_vgpr9
	s_and_saveexec_b64 s[0:1], vcc
	s_cbranch_execz .LBB155_31
; %bb.26:
	ds_read_b128 v[0:3], v11
	s_waitcnt vmcnt(0)
	ds_read_b128 v[4:7], v11 offset:512
	ds_read_b128 v[12:15], v11 offset:1024
	;; [unrolled: 1-line block ×3, first 2 shown]
	v_or_b32_e32 v10, s33, v10
	v_cmp_gt_i32_e32 vcc, s34, v10
	s_waitcnt lgkmcnt(2)
	v_add_f64 v[0:1], v[0:1], v[4:5]
	v_add_f64 v[4:5], v[2:3], v[6:7]
	s_waitcnt lgkmcnt(1)
	v_add_f64 v[6:7], v[0:1], v[12:13]
	ds_read_b128 v[0:3], v11 offset:2048
	v_add_f64 v[8:9], v[4:5], v[14:15]
	s_waitcnt lgkmcnt(1)
	v_add_f64 v[12:13], v[6:7], v[16:17]
	ds_read_b128 v[4:7], v11 offset:2560
	;; [unrolled: 4-line block ×9, first 2 shown]
	v_add_f64 v[2:3], v[8:9], v[2:3]
	s_waitcnt lgkmcnt(1)
	v_add_f64 v[4:5], v[0:1], v[4:5]
	v_add_f64 v[8:9], v[2:3], v[6:7]
	ds_read_b128 v[0:3], v11 offset:6656
	s_waitcnt lgkmcnt(1)
	v_add_f64 v[16:17], v[4:5], v[12:13]
	ds_read_b128 v[4:7], v11 offset:7168
	v_add_f64 v[8:9], v[8:9], v[14:15]
	ds_read_b128 v[12:15], v11 offset:7680
	s_waitcnt lgkmcnt(2)
	v_add_f64 v[0:1], v[16:17], v[0:1]
	v_add_f64 v[2:3], v[8:9], v[2:3]
	s_waitcnt lgkmcnt(1)
	v_add_f64 v[0:1], v[0:1], v[4:5]
	v_add_f64 v[2:3], v[2:3], v[6:7]
	;; [unrolled: 3-line block ×3, first 2 shown]
	s_mov_b64 s[4:5], s[36:37]
	ds_write_b128 v11, v[4:7]
                                        ; implicit-def: $vgpr2_vgpr3
                                        ; implicit-def: $vgpr8_vgpr9
	s_and_saveexec_b64 s[2:3], vcc
	s_cbranch_execz .LBB155_30
; %bb.27:
	v_mul_f64 v[0:1], s[30:31], v[6:7]
	v_mul_f64 v[2:3], s[28:29], v[6:7]
	v_cmp_neq_f64_e64 s[4:5], s[24:25], 0
	v_cmp_neq_f64_e64 s[6:7], s[26:27], 0
	v_fma_f64 v[0:1], s[28:29], v[4:5], -v[0:1]
	v_fmac_f64_e32 v[2:3], s[30:31], v[4:5]
	v_ashrrev_i32_e32 v4, 31, v10
	v_mul_lo_u32 v5, v10, s21
	v_mul_lo_u32 v4, v4, s20
	v_mad_u64_u32 v[8:9], s[8:9], v10, s20, 0
	s_or_b64 s[4:5], s[4:5], s[6:7]
	s_andn2_b64 vcc, exec, s[4:5]
	v_add3_u32 v9, v9, v5, v4
	s_cbranch_vccnz .LBB155_29
; %bb.28:
	v_lshl_add_u64 v[4:5], v[8:9], 4, s[22:23]
	global_load_dwordx4 v[4:7], v[4:5], off
	s_waitcnt vmcnt(0)
	v_mul_f64 v[10:11], s[26:27], v[6:7]
	v_mul_f64 v[6:7], s[24:25], v[6:7]
	v_fma_f64 v[10:11], s[24:25], v[4:5], -v[10:11]
	v_fmac_f64_e32 v[6:7], s[26:27], v[4:5]
	v_add_f64 v[0:1], v[0:1], v[10:11]
	v_add_f64 v[2:3], v[2:3], v[6:7]
.LBB155_29:
	s_or_b64 s[4:5], s[36:37], exec
.LBB155_30:
	s_or_b64 exec, exec, s[2:3]
	s_andn2_b64 s[2:3], s[36:37], exec
	s_and_b64 s[4:5], s[4:5], exec
	s_or_b64 s[36:37], s[2:3], s[4:5]
.LBB155_31:
	s_or_b64 exec, exec, s[0:1]
.LBB155_32:
	s_and_saveexec_b64 s[0:1], s[36:37]
	s_cbranch_execz .LBB155_34
; %bb.33:
	s_waitcnt vmcnt(0)
	v_lshl_add_u64 v[4:5], v[8:9], 4, s[22:23]
	global_store_dwordx4 v[4:5], v[0:3], off
.LBB155_34:
	s_endpgm
	.section	.rodata,"a",@progbits
	.p2align	6, 0x0
	.amdhsa_kernel _ZL20rocblas_gemvn_kernelILi32ELi16El19rocblas_complex_numIdES1_S1_EviiT3_lPKT2_lT1_lS5_lS6_lS2_lPT4_lS6_li
		.amdhsa_group_segment_fixed_size 8192
		.amdhsa_private_segment_fixed_size 0
		.amdhsa_kernarg_size 416
		.amdhsa_user_sgpr_count 2
		.amdhsa_user_sgpr_dispatch_ptr 0
		.amdhsa_user_sgpr_queue_ptr 0
		.amdhsa_user_sgpr_kernarg_segment_ptr 1
		.amdhsa_user_sgpr_dispatch_id 0
		.amdhsa_user_sgpr_kernarg_preload_length 0
		.amdhsa_user_sgpr_kernarg_preload_offset 0
		.amdhsa_user_sgpr_private_segment_size 0
		.amdhsa_uses_dynamic_stack 0
		.amdhsa_enable_private_segment 0
		.amdhsa_system_sgpr_workgroup_id_x 1
		.amdhsa_system_sgpr_workgroup_id_y 0
		.amdhsa_system_sgpr_workgroup_id_z 1
		.amdhsa_system_sgpr_workgroup_info 0
		.amdhsa_system_vgpr_workitem_id 1
		.amdhsa_next_free_vgpr 22
		.amdhsa_next_free_sgpr 45
		.amdhsa_accum_offset 24
		.amdhsa_reserve_vcc 1
		.amdhsa_float_round_mode_32 0
		.amdhsa_float_round_mode_16_64 0
		.amdhsa_float_denorm_mode_32 3
		.amdhsa_float_denorm_mode_16_64 3
		.amdhsa_dx10_clamp 1
		.amdhsa_ieee_mode 1
		.amdhsa_fp16_overflow 0
		.amdhsa_tg_split 0
		.amdhsa_exception_fp_ieee_invalid_op 0
		.amdhsa_exception_fp_denorm_src 0
		.amdhsa_exception_fp_ieee_div_zero 0
		.amdhsa_exception_fp_ieee_overflow 0
		.amdhsa_exception_fp_ieee_underflow 0
		.amdhsa_exception_fp_ieee_inexact 0
		.amdhsa_exception_int_div_zero 0
	.end_amdhsa_kernel
	.section	.text._ZL20rocblas_gemvn_kernelILi32ELi16El19rocblas_complex_numIdES1_S1_EviiT3_lPKT2_lT1_lS5_lS6_lS2_lPT4_lS6_li,"axG",@progbits,_ZL20rocblas_gemvn_kernelILi32ELi16El19rocblas_complex_numIdES1_S1_EviiT3_lPKT2_lT1_lS5_lS6_lS2_lPT4_lS6_li,comdat
.Lfunc_end155:
	.size	_ZL20rocblas_gemvn_kernelILi32ELi16El19rocblas_complex_numIdES1_S1_EviiT3_lPKT2_lT1_lS5_lS6_lS2_lPT4_lS6_li, .Lfunc_end155-_ZL20rocblas_gemvn_kernelILi32ELi16El19rocblas_complex_numIdES1_S1_EviiT3_lPKT2_lT1_lS5_lS6_lS2_lPT4_lS6_li
                                        ; -- End function
	.section	.AMDGPU.csdata,"",@progbits
; Kernel info:
; codeLenInByte = 1800
; NumSgprs: 51
; NumVgprs: 22
; NumAgprs: 0
; TotalNumVgprs: 22
; ScratchSize: 0
; MemoryBound: 0
; FloatMode: 240
; IeeeMode: 1
; LDSByteSize: 8192 bytes/workgroup (compile time only)
; SGPRBlocks: 6
; VGPRBlocks: 2
; NumSGPRsForWavesPerEU: 51
; NumVGPRsForWavesPerEU: 22
; AccumOffset: 24
; Occupancy: 8
; WaveLimiterHint : 1
; COMPUTE_PGM_RSRC2:SCRATCH_EN: 0
; COMPUTE_PGM_RSRC2:USER_SGPR: 2
; COMPUTE_PGM_RSRC2:TRAP_HANDLER: 0
; COMPUTE_PGM_RSRC2:TGID_X_EN: 1
; COMPUTE_PGM_RSRC2:TGID_Y_EN: 0
; COMPUTE_PGM_RSRC2:TGID_Z_EN: 1
; COMPUTE_PGM_RSRC2:TIDIG_COMP_CNT: 1
; COMPUTE_PGM_RSRC3_GFX90A:ACCUM_OFFSET: 5
; COMPUTE_PGM_RSRC3_GFX90A:TG_SPLIT: 0
	.section	.text._ZL20rocblas_gemvn_kernelILi64ELi16Ei19rocblas_complex_numIdEPKS1_S1_EviiT3_lPKT2_lT1_lS7_lS8_lS4_lPT4_lS8_li,"axG",@progbits,_ZL20rocblas_gemvn_kernelILi64ELi16Ei19rocblas_complex_numIdEPKS1_S1_EviiT3_lPKT2_lT1_lS7_lS8_lS4_lPT4_lS8_li,comdat
	.globl	_ZL20rocblas_gemvn_kernelILi64ELi16Ei19rocblas_complex_numIdEPKS1_S1_EviiT3_lPKT2_lT1_lS7_lS8_lS4_lPT4_lS8_li ; -- Begin function _ZL20rocblas_gemvn_kernelILi64ELi16Ei19rocblas_complex_numIdEPKS1_S1_EviiT3_lPKT2_lT1_lS7_lS8_lS4_lPT4_lS8_li
	.p2align	8
	.type	_ZL20rocblas_gemvn_kernelILi64ELi16Ei19rocblas_complex_numIdEPKS1_S1_EviiT3_lPKT2_lT1_lS7_lS8_lS4_lPT4_lS8_li,@function
_ZL20rocblas_gemvn_kernelILi64ELi16Ei19rocblas_complex_numIdEPKS1_S1_EviiT3_lPKT2_lT1_lS7_lS8_lS4_lPT4_lS8_li: ; @_ZL20rocblas_gemvn_kernelILi64ELi16Ei19rocblas_complex_numIdEPKS1_S1_EviiT3_lPKT2_lT1_lS7_lS8_lS4_lPT4_lS8_li
; %bb.0:
	s_load_dwordx2 s[4:5], s[0:1], 0x9c
	s_waitcnt lgkmcnt(0)
	s_lshr_b32 s6, s4, 16
	s_and_b32 s28, s4, 0xffff
	s_and_b32 s5, s5, 0xffff
	s_mul_i32 s4, s6, s28
	s_mul_i32 s4, s4, s5
	s_cmpk_lg_i32 s4, 0x400
	s_cbranch_scc1 .LBB156_34
; %bb.1:
	s_load_dwordx8 s[16:23], s[0:1], 0x8
	s_load_dwordx8 s[8:15], s[0:1], 0x50
	s_waitcnt lgkmcnt(0)
	s_mul_i32 s5, s3, s19
	s_mul_hi_u32 s6, s3, s18
	s_mul_i32 s4, s3, s18
	s_add_i32 s5, s6, s5
	s_lshl_b64 s[4:5], s[4:5], 4
	s_add_u32 s4, s16, s4
	s_addc_u32 s5, s17, s5
	s_mul_i32 s7, s3, s13
	s_load_dwordx4 s[24:27], s[4:5], 0x0
	s_mul_hi_u32 s4, s3, s12
	s_add_i32 s5, s4, s7
	s_mul_i32 s4, s3, s12
	s_lshl_b64 s[4:5], s[4:5], 4
	s_add_u32 s4, s10, s4
	s_addc_u32 s5, s11, s5
	s_load_dwordx4 s[16:19], s[4:5], 0x0
	s_waitcnt lgkmcnt(0)
	v_cmp_neq_f64_e64 s[4:5], s[24:25], 0
	v_cmp_neq_f64_e64 s[6:7], s[26:27], 0
	s_or_b64 s[4:5], s[4:5], s[6:7]
	s_mov_b64 s[6:7], -1
	s_and_b64 vcc, exec, s[4:5]
	s_cbranch_vccnz .LBB156_3
; %bb.2:
	v_cmp_neq_f64_e64 s[6:7], s[16:17], 1.0
	v_cmp_neq_f64_e64 s[10:11], s[18:19], 0
	s_or_b64 s[6:7], s[6:7], s[10:11]
.LBB156_3:
	s_andn2_b64 vcc, exec, s[6:7]
	s_cbranch_vccnz .LBB156_34
; %bb.4:
	s_load_dwordx2 s[6:7], s[0:1], 0x80
	s_load_dword s30, s[0:1], 0x78
	s_load_dwordx2 s[12:13], s[0:1], 0x70
	s_load_dwordx2 s[10:11], s[0:1], 0x0
	s_xor_b64 s[4:5], s[4:5], -1
	s_waitcnt lgkmcnt(0)
	s_mul_i32 s7, s3, s7
	s_mul_hi_u32 s29, s3, s6
	s_add_i32 s7, s29, s7
	s_mul_i32 s6, s3, s6
	s_lshl_b64 s[6:7], s[6:7], 4
	s_add_u32 s14, s14, s6
	s_addc_u32 s15, s15, s7
	s_lshl_b64 s[6:7], s[12:13], 4
	v_and_b32_e32 v1, 0x3ff, v0
	v_bfe_u32 v0, v0, 10, 10
	s_add_u32 s6, s14, s6
	v_mad_u32_u24 v10, v0, s28, v1
	s_addc_u32 s7, s15, s7
	s_andn2_b64 vcc, exec, s[4:5]
	v_cmp_gt_u32_e64 s[4:5], 64, v10
	s_cbranch_vccnz .LBB156_11
; %bb.5:
	s_mov_b64 s[14:15], 0
	s_mov_b64 s[12:13], 0
                                        ; implicit-def: $vgpr2_vgpr3
                                        ; implicit-def: $vgpr8_vgpr9
	s_and_saveexec_b64 s[28:29], s[4:5]
	s_cbranch_execz .LBB156_12
; %bb.6:
	v_lshl_or_b32 v0, s2, 6, v10
	v_mov_b32_e32 v1, 0
	s_ashr_i32 s5, s10, 31
	s_mov_b32 s4, s10
	v_cmp_gt_i64_e32 vcc, s[4:5], v[0:1]
                                        ; implicit-def: $vgpr2_vgpr3
                                        ; implicit-def: $vgpr8_vgpr9
	s_and_saveexec_b64 s[4:5], vcc
	s_cbranch_execz .LBB156_10
; %bb.7:
	v_mad_u64_u32 v[8:9], s[36:37], v0, s30, 0
	v_cmp_neq_f64_e64 s[12:13], s[16:17], 0
	v_cmp_neq_f64_e64 s[34:35], s[18:19], 0
	s_ashr_i32 s31, s30, 31
	v_mov_b32_e32 v4, v9
	v_mov_b64_e32 v[2:3], 0
	v_mad_u64_u32 v[0:1], s[36:37], v0, s31, v[4:5]
	s_or_b64 s[12:13], s[12:13], s[34:35]
	v_mov_b32_e32 v9, v0
	s_andn2_b64 vcc, exec, s[12:13]
	v_mov_b64_e32 v[0:1], v[2:3]
	s_cbranch_vccnz .LBB156_9
; %bb.8:
	v_lshl_add_u64 v[0:1], v[8:9], 4, s[6:7]
	global_load_dwordx4 v[4:7], v[0:1], off
	s_waitcnt vmcnt(0)
	v_mul_f64 v[0:1], s[18:19], v[6:7]
	v_mul_f64 v[2:3], s[16:17], v[6:7]
	v_fma_f64 v[0:1], s[16:17], v[4:5], -v[0:1]
	v_fmac_f64_e32 v[2:3], s[18:19], v[4:5]
.LBB156_9:
	s_mov_b64 s[12:13], exec
.LBB156_10:
	s_or_b64 exec, exec, s[4:5]
	s_and_b64 s[12:13], s[12:13], exec
	s_or_b64 exec, exec, s[28:29]
	s_and_b64 vcc, exec, s[14:15]
	s_cbranch_vccnz .LBB156_13
	s_branch .LBB156_32
.LBB156_11:
	s_mov_b64 s[12:13], 0
                                        ; implicit-def: $vgpr2_vgpr3
                                        ; implicit-def: $vgpr8_vgpr9
	s_cbranch_execnz .LBB156_13
	s_branch .LBB156_32
.LBB156_12:
	s_or_b64 exec, exec, s[28:29]
	s_and_b64 vcc, exec, s[14:15]
	s_cbranch_vccz .LBB156_32
.LBB156_13:
	s_load_dwordx4 s[36:39], s[0:1], 0x30
	s_load_dword s28, s[0:1], 0x28
	s_load_dwordx2 s[14:15], s[0:1], 0x40
	s_load_dword s29, s[0:1], 0x48
	v_and_b32_e32 v5, 63, v10
	s_waitcnt lgkmcnt(0)
	s_mul_i32 s0, s3, s37
	s_mul_hi_u32 s1, s3, s36
	s_add_i32 s1, s1, s0
	s_mul_i32 s0, s3, s36
	s_lshl_b64 s[0:1], s[0:1], 4
	s_add_u32 s4, s20, s0
	s_addc_u32 s5, s21, s1
	s_lshl_b64 s[0:1], s[22:23], 4
	s_add_u32 s4, s4, s0
	s_addc_u32 s5, s5, s1
	s_mul_i32 s0, s3, s9
	s_mul_hi_u32 s1, s3, s8
	s_add_i32 s1, s1, s0
	s_mul_i32 s0, s3, s8
	s_lshl_b64 s[0:1], s[0:1], 4
	s_add_u32 s3, s38, s0
	s_addc_u32 s9, s39, s1
	s_lshl_b64 s[0:1], s[14:15], 4
	s_add_u32 s8, s3, s0
	s_addc_u32 s9, s9, s1
	s_ashr_i32 s0, s11, 31
	s_lshr_b32 s0, s0, 28
	s_add_i32 s0, s11, s0
	v_lshrrev_b32_e32 v9, 6, v10
	s_lshl_b32 s20, s2, 6
	s_and_b32 s21, s0, -16
	v_mov_b64_e32 v[2:3], 0
	v_or_b32_e32 v8, s20, v5
	v_cmp_gt_i32_e32 vcc, s21, v9
	v_mov_b64_e32 v[0:1], v[2:3]
	s_and_saveexec_b64 s[2:3], vcc
	s_cbranch_execz .LBB156_19
; %bb.14:
	v_mul_lo_u32 v0, s28, v9
	v_mov_b64_e32 v[2:3], 0
	v_cmp_gt_i32_e32 vcc, s10, v8
	v_mul_lo_u32 v4, s29, v9
	s_lshl_b32 s22, s29, 4
	v_add3_u32 v6, v0, s20, v5
	s_lshl_b32 s23, s28, 4
	s_mov_b64 s[14:15], 0
	v_mov_b64_e32 v[0:1], v[2:3]
	s_branch .LBB156_16
.LBB156_15:                             ;   in Loop: Header=BB156_16 Depth=1
	s_or_b64 exec, exec, s[0:1]
	v_add_u32_e32 v9, 16, v9
	v_cmp_le_i32_e64 s[0:1], s21, v9
	v_add_u32_e32 v4, s22, v4
	s_or_b64 s[14:15], s[0:1], s[14:15]
	v_add_u32_e32 v6, s23, v6
	s_andn2_b64 exec, exec, s[14:15]
	s_cbranch_execz .LBB156_18
.LBB156_16:                             ; =>This Inner Loop Header: Depth=1
	s_and_saveexec_b64 s[0:1], vcc
	s_cbranch_execz .LBB156_15
; %bb.17:                               ;   in Loop: Header=BB156_16 Depth=1
	v_ashrrev_i32_e32 v5, 31, v4
	v_ashrrev_i32_e32 v7, 31, v6
	v_lshl_add_u64 v[22:23], v[4:5], 4, s[8:9]
	v_lshl_add_u64 v[20:21], v[6:7], 4, s[4:5]
	global_load_dwordx4 v[12:15], v[22:23], off
	global_load_dwordx4 v[16:19], v[20:21], off
	s_waitcnt vmcnt(0)
	v_mul_f64 v[20:21], v[14:15], v[18:19]
	v_mul_f64 v[18:19], v[12:13], v[18:19]
	v_fma_f64 v[12:13], v[12:13], v[16:17], -v[20:21]
	v_fmac_f64_e32 v[18:19], v[14:15], v[16:17]
	v_add_f64 v[0:1], v[0:1], v[12:13]
	v_add_f64 v[2:3], v[2:3], v[18:19]
	s_branch .LBB156_15
.LBB156_18:
	s_or_b64 exec, exec, s[14:15]
.LBB156_19:
	s_or_b64 exec, exec, s[2:3]
	s_sub_i32 s0, s11, s21
	s_cmp_lt_i32 s0, 1
	s_cbranch_scc1 .LBB156_25
; %bb.20:
	v_mov_b64_e32 v[4:5], 0
	v_cmp_gt_i32_e32 vcc, s11, v9
	v_mov_b64_e32 v[6:7], v[4:5]
	s_and_saveexec_b64 s[0:1], vcc
	s_cbranch_execz .LBB156_22
; %bb.21:
	v_mul_lo_u32 v4, v9, s29
	v_ashrrev_i32_e32 v5, 31, v4
	v_lshl_add_u64 v[4:5], v[4:5], 4, s[8:9]
	global_load_dwordx4 v[4:7], v[4:5], off
.LBB156_22:
	s_or_b64 exec, exec, s[0:1]
	v_cmp_gt_i32_e64 s[0:1], s10, v8
	s_and_saveexec_b64 s[2:3], s[0:1]
	s_cbranch_execz .LBB156_24
; %bb.23:
	v_mul_lo_u32 v9, v9, s28
	v_cndmask_b32_e32 v9, 0, v9, vcc
	v_add_u32_e32 v8, v9, v8
	v_ashrrev_i32_e32 v9, 31, v8
	v_lshl_add_u64 v[8:9], v[8:9], 4, s[4:5]
	global_load_dwordx4 v[12:15], v[8:9], off
	s_waitcnt vmcnt(0)
	v_mul_f64 v[8:9], v[6:7], v[14:15]
	v_mul_f64 v[14:15], v[4:5], v[14:15]
	v_fma_f64 v[4:5], v[4:5], v[12:13], -v[8:9]
	v_fmac_f64_e32 v[14:15], v[6:7], v[12:13]
	v_add_f64 v[0:1], v[0:1], v[4:5]
	v_add_f64 v[2:3], v[2:3], v[14:15]
.LBB156_24:
	s_or_b64 exec, exec, s[2:3]
.LBB156_25:
	v_lshlrev_b32_e32 v11, 4, v10
	v_cmp_gt_u32_e32 vcc, 64, v10
	ds_write_b128 v11, v[0:3]
	s_waitcnt lgkmcnt(0)
	s_barrier
	s_waitcnt lgkmcnt(0)
                                        ; implicit-def: $vgpr2_vgpr3
                                        ; implicit-def: $vgpr8_vgpr9
	s_and_saveexec_b64 s[0:1], vcc
	s_cbranch_execz .LBB156_31
; %bb.26:
	ds_read_b128 v[0:3], v11
	s_waitcnt vmcnt(0)
	ds_read_b128 v[4:7], v11 offset:1024
	ds_read_b128 v[12:15], v11 offset:2048
	;; [unrolled: 1-line block ×3, first 2 shown]
	v_or_b32_e32 v10, s20, v10
	v_cmp_gt_i32_e32 vcc, s10, v10
	s_waitcnt lgkmcnt(2)
	v_add_f64 v[0:1], v[0:1], v[4:5]
	v_add_f64 v[4:5], v[2:3], v[6:7]
	s_waitcnt lgkmcnt(1)
	v_add_f64 v[6:7], v[0:1], v[12:13]
	ds_read_b128 v[0:3], v11 offset:4096
	v_add_f64 v[8:9], v[4:5], v[14:15]
	s_waitcnt lgkmcnt(1)
	v_add_f64 v[12:13], v[6:7], v[16:17]
	ds_read_b128 v[4:7], v11 offset:5120
	;; [unrolled: 4-line block ×9, first 2 shown]
	v_add_f64 v[2:3], v[8:9], v[2:3]
	s_waitcnt lgkmcnt(1)
	v_add_f64 v[4:5], v[0:1], v[4:5]
	v_add_f64 v[8:9], v[2:3], v[6:7]
	ds_read_b128 v[0:3], v11 offset:13312
	s_waitcnt lgkmcnt(1)
	v_add_f64 v[16:17], v[4:5], v[12:13]
	ds_read_b128 v[4:7], v11 offset:14336
	v_add_f64 v[8:9], v[8:9], v[14:15]
	ds_read_b128 v[12:15], v11 offset:15360
	s_waitcnt lgkmcnt(2)
	v_add_f64 v[0:1], v[16:17], v[0:1]
	v_add_f64 v[2:3], v[8:9], v[2:3]
	s_waitcnt lgkmcnt(1)
	v_add_f64 v[0:1], v[0:1], v[4:5]
	v_add_f64 v[2:3], v[2:3], v[6:7]
	;; [unrolled: 3-line block ×3, first 2 shown]
	s_mov_b64 s[4:5], s[12:13]
	ds_write_b128 v11, v[4:7]
                                        ; implicit-def: $vgpr2_vgpr3
                                        ; implicit-def: $vgpr8_vgpr9
	s_and_saveexec_b64 s[2:3], vcc
	s_cbranch_execz .LBB156_30
; %bb.27:
	v_cmp_neq_f64_e64 s[4:5], s[16:17], 0
	v_cmp_neq_f64_e64 s[8:9], s[18:19], 0
	v_mul_f64 v[0:1], s[26:27], v[6:7]
	v_mul_f64 v[2:3], s[24:25], v[6:7]
	v_mul_lo_u32 v8, v10, s30
	s_or_b64 s[4:5], s[4:5], s[8:9]
	v_fma_f64 v[0:1], s[24:25], v[4:5], -v[0:1]
	v_fmac_f64_e32 v[2:3], s[26:27], v[4:5]
	s_andn2_b64 vcc, exec, s[4:5]
	v_ashrrev_i32_e32 v9, 31, v8
	s_cbranch_vccnz .LBB156_29
; %bb.28:
	v_lshl_add_u64 v[4:5], v[8:9], 4, s[6:7]
	global_load_dwordx4 v[4:7], v[4:5], off
	s_waitcnt vmcnt(0)
	v_mul_f64 v[10:11], s[18:19], v[6:7]
	v_mul_f64 v[6:7], s[16:17], v[6:7]
	v_fma_f64 v[10:11], s[16:17], v[4:5], -v[10:11]
	v_fmac_f64_e32 v[6:7], s[18:19], v[4:5]
	v_add_f64 v[0:1], v[0:1], v[10:11]
	v_add_f64 v[2:3], v[2:3], v[6:7]
.LBB156_29:
	s_or_b64 s[4:5], s[12:13], exec
.LBB156_30:
	s_or_b64 exec, exec, s[2:3]
	s_andn2_b64 s[2:3], s[12:13], exec
	s_and_b64 s[4:5], s[4:5], exec
	s_or_b64 s[12:13], s[2:3], s[4:5]
.LBB156_31:
	s_or_b64 exec, exec, s[0:1]
.LBB156_32:
	s_and_saveexec_b64 s[0:1], s[12:13]
	s_cbranch_execz .LBB156_34
; %bb.33:
	s_waitcnt vmcnt(0)
	v_lshl_add_u64 v[4:5], v[8:9], 4, s[6:7]
	global_store_dwordx4 v[4:5], v[0:3], off
.LBB156_34:
	s_endpgm
	.section	.rodata,"a",@progbits
	.p2align	6, 0x0
	.amdhsa_kernel _ZL20rocblas_gemvn_kernelILi64ELi16Ei19rocblas_complex_numIdEPKS1_S1_EviiT3_lPKT2_lT1_lS7_lS8_lS4_lPT4_lS8_li
		.amdhsa_group_segment_fixed_size 16384
		.amdhsa_private_segment_fixed_size 0
		.amdhsa_kernarg_size 400
		.amdhsa_user_sgpr_count 2
		.amdhsa_user_sgpr_dispatch_ptr 0
		.amdhsa_user_sgpr_queue_ptr 0
		.amdhsa_user_sgpr_kernarg_segment_ptr 1
		.amdhsa_user_sgpr_dispatch_id 0
		.amdhsa_user_sgpr_kernarg_preload_length 0
		.amdhsa_user_sgpr_kernarg_preload_offset 0
		.amdhsa_user_sgpr_private_segment_size 0
		.amdhsa_uses_dynamic_stack 0
		.amdhsa_enable_private_segment 0
		.amdhsa_system_sgpr_workgroup_id_x 1
		.amdhsa_system_sgpr_workgroup_id_y 0
		.amdhsa_system_sgpr_workgroup_id_z 1
		.amdhsa_system_sgpr_workgroup_info 0
		.amdhsa_system_vgpr_workitem_id 1
		.amdhsa_next_free_vgpr 24
		.amdhsa_next_free_sgpr 40
		.amdhsa_accum_offset 24
		.amdhsa_reserve_vcc 1
		.amdhsa_float_round_mode_32 0
		.amdhsa_float_round_mode_16_64 0
		.amdhsa_float_denorm_mode_32 3
		.amdhsa_float_denorm_mode_16_64 3
		.amdhsa_dx10_clamp 1
		.amdhsa_ieee_mode 1
		.amdhsa_fp16_overflow 0
		.amdhsa_tg_split 0
		.amdhsa_exception_fp_ieee_invalid_op 0
		.amdhsa_exception_fp_denorm_src 0
		.amdhsa_exception_fp_ieee_div_zero 0
		.amdhsa_exception_fp_ieee_overflow 0
		.amdhsa_exception_fp_ieee_underflow 0
		.amdhsa_exception_fp_ieee_inexact 0
		.amdhsa_exception_int_div_zero 0
	.end_amdhsa_kernel
	.section	.text._ZL20rocblas_gemvn_kernelILi64ELi16Ei19rocblas_complex_numIdEPKS1_S1_EviiT3_lPKT2_lT1_lS7_lS8_lS4_lPT4_lS8_li,"axG",@progbits,_ZL20rocblas_gemvn_kernelILi64ELi16Ei19rocblas_complex_numIdEPKS1_S1_EviiT3_lPKT2_lT1_lS7_lS8_lS4_lPT4_lS8_li,comdat
.Lfunc_end156:
	.size	_ZL20rocblas_gemvn_kernelILi64ELi16Ei19rocblas_complex_numIdEPKS1_S1_EviiT3_lPKT2_lT1_lS7_lS8_lS4_lPT4_lS8_li, .Lfunc_end156-_ZL20rocblas_gemvn_kernelILi64ELi16Ei19rocblas_complex_numIdEPKS1_S1_EviiT3_lPKT2_lT1_lS7_lS8_lS4_lPT4_lS8_li
                                        ; -- End function
	.section	.AMDGPU.csdata,"",@progbits
; Kernel info:
; codeLenInByte = 1752
; NumSgprs: 46
; NumVgprs: 24
; NumAgprs: 0
; TotalNumVgprs: 24
; ScratchSize: 0
; MemoryBound: 1
; FloatMode: 240
; IeeeMode: 1
; LDSByteSize: 16384 bytes/workgroup (compile time only)
; SGPRBlocks: 5
; VGPRBlocks: 2
; NumSGPRsForWavesPerEU: 46
; NumVGPRsForWavesPerEU: 24
; AccumOffset: 24
; Occupancy: 8
; WaveLimiterHint : 1
; COMPUTE_PGM_RSRC2:SCRATCH_EN: 0
; COMPUTE_PGM_RSRC2:USER_SGPR: 2
; COMPUTE_PGM_RSRC2:TRAP_HANDLER: 0
; COMPUTE_PGM_RSRC2:TGID_X_EN: 1
; COMPUTE_PGM_RSRC2:TGID_Y_EN: 0
; COMPUTE_PGM_RSRC2:TGID_Z_EN: 1
; COMPUTE_PGM_RSRC2:TIDIG_COMP_CNT: 1
; COMPUTE_PGM_RSRC3_GFX90A:ACCUM_OFFSET: 5
; COMPUTE_PGM_RSRC3_GFX90A:TG_SPLIT: 0
	.section	.text._ZL20rocblas_gemvn_kernelILi64ELi16El19rocblas_complex_numIdEPKS1_S1_EviiT3_lPKT2_lT1_lS7_lS8_lS4_lPT4_lS8_li,"axG",@progbits,_ZL20rocblas_gemvn_kernelILi64ELi16El19rocblas_complex_numIdEPKS1_S1_EviiT3_lPKT2_lT1_lS7_lS8_lS4_lPT4_lS8_li,comdat
	.globl	_ZL20rocblas_gemvn_kernelILi64ELi16El19rocblas_complex_numIdEPKS1_S1_EviiT3_lPKT2_lT1_lS7_lS8_lS4_lPT4_lS8_li ; -- Begin function _ZL20rocblas_gemvn_kernelILi64ELi16El19rocblas_complex_numIdEPKS1_S1_EviiT3_lPKT2_lT1_lS7_lS8_lS4_lPT4_lS8_li
	.p2align	8
	.type	_ZL20rocblas_gemvn_kernelILi64ELi16El19rocblas_complex_numIdEPKS1_S1_EviiT3_lPKT2_lT1_lS7_lS8_lS4_lPT4_lS8_li,@function
_ZL20rocblas_gemvn_kernelILi64ELi16El19rocblas_complex_numIdEPKS1_S1_EviiT3_lPKT2_lT1_lS7_lS8_lS4_lPT4_lS8_li: ; @_ZL20rocblas_gemvn_kernelILi64ELi16El19rocblas_complex_numIdEPKS1_S1_EviiT3_lPKT2_lT1_lS7_lS8_lS4_lPT4_lS8_li
; %bb.0:
	s_load_dwordx2 s[4:5], s[0:1], 0x9c
	s_waitcnt lgkmcnt(0)
	s_lshr_b32 s6, s4, 16
	s_and_b32 s28, s4, 0xffff
	s_and_b32 s5, s5, 0xffff
	s_mul_i32 s4, s6, s28
	s_mul_i32 s4, s4, s5
	s_cmpk_lg_i32 s4, 0x400
	s_cbranch_scc1 .LBB157_34
; %bb.1:
	s_load_dwordx16 s[36:51], s[0:1], 0x8
	s_load_dwordx16 s[4:19], s[0:1], 0x48
	s_waitcnt lgkmcnt(0)
	s_mul_i32 s21, s3, s39
	s_mul_hi_u32 s22, s3, s38
	s_mul_i32 s20, s3, s38
	s_add_i32 s21, s22, s21
	s_lshl_b64 s[20:21], s[20:21], 4
	s_mul_i32 s11, s3, s11
	s_add_u32 s20, s36, s20
	s_mul_hi_u32 s24, s3, s10
	s_addc_u32 s21, s37, s21
	s_add_i32 s11, s24, s11
	s_mul_i32 s10, s3, s10
	s_load_dwordx4 s[20:23], s[20:21], 0x0
	s_lshl_b64 s[10:11], s[10:11], 4
	s_add_u32 s8, s8, s10
	s_addc_u32 s9, s9, s11
	s_load_dwordx4 s[8:11], s[8:9], 0x0
	s_waitcnt lgkmcnt(0)
	v_cmp_neq_f64_e64 s[24:25], s[20:21], 0
	v_cmp_neq_f64_e64 s[26:27], s[22:23], 0
	s_or_b64 s[26:27], s[24:25], s[26:27]
	s_mov_b64 s[24:25], -1
	s_and_b64 vcc, exec, s[26:27]
	s_cbranch_vccnz .LBB157_3
; %bb.2:
	v_cmp_neq_f64_e64 s[24:25], s[8:9], 1.0
	v_cmp_neq_f64_e64 s[30:31], s[10:11], 0
	s_or_b64 s[24:25], s[24:25], s[30:31]
.LBB157_3:
	s_andn2_b64 vcc, exec, s[24:25]
	s_cbranch_vccnz .LBB157_34
; %bb.4:
	s_load_dwordx2 s[24:25], s[0:1], 0x0
	s_mul_i32 s0, s3, s19
	s_mul_hi_u32 s1, s3, s18
	s_add_i32 s1, s1, s0
	s_mul_i32 s0, s3, s18
	s_lshl_b64 s[0:1], s[0:1], 4
	s_xor_b64 s[18:19], s[26:27], -1
	s_add_u32 s12, s12, s0
	s_addc_u32 s13, s13, s1
	s_lshl_b64 s[0:1], s[14:15], 4
	v_and_b32_e32 v1, 0x3ff, v0
	v_bfe_u32 v0, v0, 10, 10
	s_add_u32 s12, s12, s0
	v_mad_u32_u24 v10, v0, s28, v1
	s_addc_u32 s13, s13, s1
	s_andn2_b64 vcc, exec, s[18:19]
	v_cmp_gt_u32_e64 s[0:1], 64, v10
	s_cbranch_vccnz .LBB157_11
; %bb.5:
	s_mov_b64 s[18:19], 0
	s_mov_b64 s[14:15], 0
                                        ; implicit-def: $vgpr2_vgpr3
                                        ; implicit-def: $vgpr8_vgpr9
	s_and_saveexec_b64 s[26:27], s[0:1]
	s_cbranch_execz .LBB157_12
; %bb.6:
	v_lshl_or_b32 v0, s2, 6, v10
	v_mov_b32_e32 v1, 0
	s_waitcnt lgkmcnt(0)
	s_ashr_i32 s1, s24, 31
	s_mov_b32 s0, s24
	v_cmp_gt_i64_e32 vcc, s[0:1], v[0:1]
                                        ; implicit-def: $vgpr2_vgpr3
                                        ; implicit-def: $vgpr8_vgpr9
	s_and_saveexec_b64 s[0:1], vcc
	s_cbranch_execz .LBB157_10
; %bb.7:
	v_mad_u64_u32 v[8:9], s[30:31], v0, s16, 0
	v_cmp_neq_f64_e64 s[14:15], s[8:9], 0
	v_cmp_neq_f64_e64 s[28:29], s[10:11], 0
	v_mov_b32_e32 v4, v9
	v_mov_b64_e32 v[2:3], 0
	v_mad_u64_u32 v[0:1], s[30:31], v0, s17, v[4:5]
	s_or_b64 s[14:15], s[14:15], s[28:29]
	v_mov_b32_e32 v9, v0
	s_andn2_b64 vcc, exec, s[14:15]
	v_mov_b64_e32 v[0:1], v[2:3]
	s_cbranch_vccnz .LBB157_9
; %bb.8:
	v_lshl_add_u64 v[0:1], v[8:9], 4, s[12:13]
	global_load_dwordx4 v[4:7], v[0:1], off
	s_waitcnt vmcnt(0)
	v_mul_f64 v[0:1], s[10:11], v[6:7]
	v_mul_f64 v[2:3], s[8:9], v[6:7]
	v_fma_f64 v[0:1], s[8:9], v[4:5], -v[0:1]
	v_fmac_f64_e32 v[2:3], s[10:11], v[4:5]
.LBB157_9:
	s_mov_b64 s[14:15], exec
.LBB157_10:
	s_or_b64 exec, exec, s[0:1]
	s_and_b64 s[14:15], s[14:15], exec
	s_or_b64 exec, exec, s[26:27]
	s_and_b64 vcc, exec, s[18:19]
	s_cbranch_vccnz .LBB157_13
	s_branch .LBB157_32
.LBB157_11:
	s_mov_b64 s[14:15], 0
                                        ; implicit-def: $vgpr2_vgpr3
                                        ; implicit-def: $vgpr8_vgpr9
	s_cbranch_execnz .LBB157_13
	s_branch .LBB157_32
.LBB157_12:
	s_or_b64 exec, exec, s[26:27]
	s_and_b64 vcc, exec, s[18:19]
	s_cbranch_vccz .LBB157_32
.LBB157_13:
	s_mul_i32 s0, s3, s47
	s_mul_hi_u32 s1, s3, s46
	s_add_i32 s19, s1, s0
	s_mul_i32 s0, s3, s7
	s_mul_hi_u32 s1, s3, s6
	s_add_i32 s7, s1, s0
	s_waitcnt lgkmcnt(0)
	s_ashr_i32 s0, s25, 31
	s_lshr_b32 s0, s0, 28
	s_add_i32 s0, s25, s0
	v_and_b32_e32 v6, 63, v10
	v_lshrrev_b32_e32 v11, 6, v10
	s_lshl_b32 s33, s2, 6
	s_and_b32 s34, s0, -16
	v_mov_b64_e32 v[2:3], 0
	s_mul_i32 s18, s3, s46
	s_mul_i32 s6, s3, s6
	v_or_b32_e32 v8, s33, v6
	v_cmp_gt_i32_e32 vcc, s34, v11
	v_mov_b64_e32 v[0:1], v[2:3]
	s_and_saveexec_b64 s[2:3], vcc
	s_cbranch_execz .LBB157_19
; %bb.14:
	v_lshrrev_b32_e32 v7, 6, v10
	v_mad_u64_u32 v[0:1], s[0:1], s4, v7, 0
	v_mov_b32_e32 v2, v1
	v_mad_u64_u32 v[2:3], s[0:1], s5, v7, v[2:3]
	s_lshl_b64 s[0:1], s[6:7], 4
	s_lshl_b64 s[26:27], s[50:51], 4
	s_add_u32 s26, s48, s26
	s_addc_u32 s27, s49, s27
	s_add_u32 s0, s26, s0
	v_mov_b32_e32 v1, v2
	s_addc_u32 s1, s27, s1
	v_lshl_add_u64 v[0:1], v[0:1], 4, s[0:1]
	v_lshl_add_u64 v[4:5], v[0:1], 0, 8
	v_mad_u64_u32 v[0:1], s[0:1], s44, v7, 0
	v_mov_b32_e32 v2, v1
	v_mad_u64_u32 v[2:3], s[0:1], s45, v7, v[2:3]
	s_lshl_b64 s[26:27], s[4:5], 8
	s_lshl_b64 s[0:1], s[18:19], 4
	;; [unrolled: 1-line block ×3, first 2 shown]
	s_add_u32 s0, s28, s0
	v_mov_b32_e32 v1, v2
	s_addc_u32 s1, s29, s1
	v_add_u32_e32 v2, s33, v6
	v_lshl_add_u64 v[0:1], v[0:1], 4, s[0:1]
	v_ashrrev_i32_e32 v3, 31, v2
	v_lshl_add_u64 v[0:1], v[2:3], 4, v[0:1]
	v_lshl_add_u64 v[0:1], v[0:1], 0, s[40:41]
	v_mov_b64_e32 v[2:3], 0
	v_cmp_gt_i32_e32 vcc, s24, v8
	v_lshl_add_u64 v[6:7], v[0:1], 0, 8
	s_lshl_b64 s[30:31], s[44:45], 8
	s_mov_b64 s[28:29], 0
	v_mov_b64_e32 v[0:1], v[2:3]
	s_branch .LBB157_16
.LBB157_15:                             ;   in Loop: Header=BB157_16 Depth=1
	s_or_b64 exec, exec, s[0:1]
	v_add_u32_e32 v11, 16, v11
	v_cmp_le_i32_e64 s[0:1], s34, v11
	v_lshl_add_u64 v[4:5], v[4:5], 0, s[26:27]
	s_or_b64 s[28:29], s[0:1], s[28:29]
	v_lshl_add_u64 v[6:7], v[6:7], 0, s[30:31]
	s_andn2_b64 exec, exec, s[28:29]
	s_cbranch_execz .LBB157_18
.LBB157_16:                             ; =>This Inner Loop Header: Depth=1
	s_and_saveexec_b64 s[0:1], vcc
	s_cbranch_execz .LBB157_15
; %bb.17:                               ;   in Loop: Header=BB157_16 Depth=1
	global_load_dwordx4 v[12:15], v[4:5], off offset:-8
	global_load_dwordx4 v[16:19], v[6:7], off offset:-8
	s_waitcnt vmcnt(0)
	v_mul_f64 v[20:21], v[14:15], v[18:19]
	v_mul_f64 v[18:19], v[12:13], v[18:19]
	v_fma_f64 v[12:13], v[12:13], v[16:17], -v[20:21]
	v_fmac_f64_e32 v[18:19], v[14:15], v[16:17]
	v_add_f64 v[0:1], v[0:1], v[12:13]
	v_add_f64 v[2:3], v[2:3], v[18:19]
	s_branch .LBB157_15
.LBB157_18:
	s_or_b64 exec, exec, s[28:29]
.LBB157_19:
	s_or_b64 exec, exec, s[2:3]
	s_sub_i32 s0, s25, s34
	s_cmp_lt_i32 s0, 1
	s_cbranch_scc1 .LBB157_25
; %bb.20:
	v_mov_b64_e32 v[4:5], 0
	v_cmp_gt_i32_e32 vcc, s25, v11
	v_mov_b64_e32 v[6:7], v[4:5]
	s_and_saveexec_b64 s[0:1], vcc
	s_cbranch_execz .LBB157_22
; %bb.21:
	s_lshl_b64 s[2:3], s[6:7], 4
	s_add_u32 s6, s48, s2
	s_addc_u32 s7, s49, s3
	s_lshl_b64 s[2:3], s[50:51], 4
	s_add_u32 s2, s6, s2
	s_addc_u32 s3, s7, s3
	v_mad_u64_u32 v[4:5], s[6:7], v11, s4, 0
	v_mov_b32_e32 v6, v5
	v_mad_u64_u32 v[6:7], s[4:5], v11, s5, v[6:7]
	v_mov_b32_e32 v5, v6
	v_lshl_add_u64 v[4:5], v[4:5], 4, s[2:3]
	global_load_dwordx4 v[4:7], v[4:5], off
.LBB157_22:
	s_or_b64 exec, exec, s[0:1]
	v_cmp_gt_i32_e64 s[0:1], s24, v8
	s_and_saveexec_b64 s[2:3], s[0:1]
	s_cbranch_execz .LBB157_24
; %bb.23:
	s_lshl_b64 s[0:1], s[18:19], 4
	s_add_u32 s4, s40, s0
	s_addc_u32 s5, s41, s1
	s_lshl_b64 s[0:1], s[42:43], 4
	s_add_u32 s0, s4, s0
	s_addc_u32 s1, s5, s1
	v_mad_u64_u32 v[12:13], s[4:5], v11, s44, 0
	v_mov_b32_e32 v14, v13
	v_mad_u64_u32 v[14:15], s[4:5], v11, s45, v[14:15]
	v_cndmask_b32_e32 v12, 0, v12, vcc
	v_cndmask_b32_e32 v13, 0, v14, vcc
	v_ashrrev_i32_e32 v9, 31, v8
	v_lshl_add_u64 v[12:13], v[12:13], 4, s[0:1]
	v_lshl_add_u64 v[8:9], v[8:9], 4, v[12:13]
	global_load_dwordx4 v[12:15], v[8:9], off
	s_waitcnt vmcnt(0)
	v_mul_f64 v[8:9], v[6:7], v[14:15]
	v_mul_f64 v[14:15], v[4:5], v[14:15]
	v_fma_f64 v[4:5], v[4:5], v[12:13], -v[8:9]
	v_fmac_f64_e32 v[14:15], v[6:7], v[12:13]
	v_add_f64 v[0:1], v[0:1], v[4:5]
	v_add_f64 v[2:3], v[2:3], v[14:15]
.LBB157_24:
	s_or_b64 exec, exec, s[2:3]
.LBB157_25:
	v_lshlrev_b32_e32 v11, 4, v10
	v_cmp_gt_u32_e32 vcc, 64, v10
	ds_write_b128 v11, v[0:3]
	s_waitcnt lgkmcnt(0)
	s_barrier
	s_waitcnt lgkmcnt(0)
                                        ; implicit-def: $vgpr2_vgpr3
                                        ; implicit-def: $vgpr8_vgpr9
	s_and_saveexec_b64 s[0:1], vcc
	s_cbranch_execz .LBB157_31
; %bb.26:
	ds_read_b128 v[0:3], v11
	s_waitcnt vmcnt(0)
	ds_read_b128 v[4:7], v11 offset:1024
	ds_read_b128 v[12:15], v11 offset:2048
	;; [unrolled: 1-line block ×3, first 2 shown]
	v_or_b32_e32 v10, s33, v10
	v_cmp_gt_i32_e32 vcc, s24, v10
	s_waitcnt lgkmcnt(2)
	v_add_f64 v[0:1], v[0:1], v[4:5]
	v_add_f64 v[4:5], v[2:3], v[6:7]
	s_waitcnt lgkmcnt(1)
	v_add_f64 v[6:7], v[0:1], v[12:13]
	ds_read_b128 v[0:3], v11 offset:4096
	v_add_f64 v[8:9], v[4:5], v[14:15]
	s_waitcnt lgkmcnt(1)
	v_add_f64 v[12:13], v[6:7], v[16:17]
	ds_read_b128 v[4:7], v11 offset:5120
	;; [unrolled: 4-line block ×9, first 2 shown]
	v_add_f64 v[2:3], v[8:9], v[2:3]
	s_waitcnt lgkmcnt(1)
	v_add_f64 v[4:5], v[0:1], v[4:5]
	v_add_f64 v[8:9], v[2:3], v[6:7]
	ds_read_b128 v[0:3], v11 offset:13312
	s_waitcnt lgkmcnt(1)
	v_add_f64 v[16:17], v[4:5], v[12:13]
	ds_read_b128 v[4:7], v11 offset:14336
	v_add_f64 v[8:9], v[8:9], v[14:15]
	ds_read_b128 v[12:15], v11 offset:15360
	s_waitcnt lgkmcnt(2)
	v_add_f64 v[0:1], v[16:17], v[0:1]
	v_add_f64 v[2:3], v[8:9], v[2:3]
	s_waitcnt lgkmcnt(1)
	v_add_f64 v[0:1], v[0:1], v[4:5]
	v_add_f64 v[2:3], v[2:3], v[6:7]
	;; [unrolled: 3-line block ×3, first 2 shown]
	s_mov_b64 s[4:5], s[14:15]
	ds_write_b128 v11, v[4:7]
                                        ; implicit-def: $vgpr2_vgpr3
                                        ; implicit-def: $vgpr8_vgpr9
	s_and_saveexec_b64 s[2:3], vcc
	s_cbranch_execz .LBB157_30
; %bb.27:
	v_mul_f64 v[0:1], s[22:23], v[6:7]
	v_mul_f64 v[2:3], s[20:21], v[6:7]
	v_cmp_neq_f64_e64 s[4:5], s[8:9], 0
	v_cmp_neq_f64_e64 s[6:7], s[10:11], 0
	v_fma_f64 v[0:1], s[20:21], v[4:5], -v[0:1]
	v_fmac_f64_e32 v[2:3], s[22:23], v[4:5]
	v_ashrrev_i32_e32 v4, 31, v10
	v_mul_lo_u32 v5, v10, s17
	v_mul_lo_u32 v4, v4, s16
	v_mad_u64_u32 v[8:9], s[16:17], v10, s16, 0
	s_or_b64 s[4:5], s[4:5], s[6:7]
	s_andn2_b64 vcc, exec, s[4:5]
	v_add3_u32 v9, v9, v5, v4
	s_cbranch_vccnz .LBB157_29
; %bb.28:
	v_lshl_add_u64 v[4:5], v[8:9], 4, s[12:13]
	global_load_dwordx4 v[4:7], v[4:5], off
	s_waitcnt vmcnt(0)
	v_mul_f64 v[10:11], s[10:11], v[6:7]
	v_mul_f64 v[6:7], s[8:9], v[6:7]
	v_fma_f64 v[10:11], s[8:9], v[4:5], -v[10:11]
	v_fmac_f64_e32 v[6:7], s[10:11], v[4:5]
	v_add_f64 v[0:1], v[0:1], v[10:11]
	v_add_f64 v[2:3], v[2:3], v[6:7]
.LBB157_29:
	s_or_b64 s[4:5], s[14:15], exec
.LBB157_30:
	s_or_b64 exec, exec, s[2:3]
	s_andn2_b64 s[2:3], s[14:15], exec
	s_and_b64 s[4:5], s[4:5], exec
	s_or_b64 s[14:15], s[2:3], s[4:5]
.LBB157_31:
	s_or_b64 exec, exec, s[0:1]
.LBB157_32:
	s_and_saveexec_b64 s[0:1], s[14:15]
	s_cbranch_execz .LBB157_34
; %bb.33:
	s_waitcnt vmcnt(0)
	v_lshl_add_u64 v[4:5], v[8:9], 4, s[12:13]
	global_store_dwordx4 v[4:5], v[0:3], off
.LBB157_34:
	s_endpgm
	.section	.rodata,"a",@progbits
	.p2align	6, 0x0
	.amdhsa_kernel _ZL20rocblas_gemvn_kernelILi64ELi16El19rocblas_complex_numIdEPKS1_S1_EviiT3_lPKT2_lT1_lS7_lS8_lS4_lPT4_lS8_li
		.amdhsa_group_segment_fixed_size 16384
		.amdhsa_private_segment_fixed_size 0
		.amdhsa_kernarg_size 400
		.amdhsa_user_sgpr_count 2
		.amdhsa_user_sgpr_dispatch_ptr 0
		.amdhsa_user_sgpr_queue_ptr 0
		.amdhsa_user_sgpr_kernarg_segment_ptr 1
		.amdhsa_user_sgpr_dispatch_id 0
		.amdhsa_user_sgpr_kernarg_preload_length 0
		.amdhsa_user_sgpr_kernarg_preload_offset 0
		.amdhsa_user_sgpr_private_segment_size 0
		.amdhsa_uses_dynamic_stack 0
		.amdhsa_enable_private_segment 0
		.amdhsa_system_sgpr_workgroup_id_x 1
		.amdhsa_system_sgpr_workgroup_id_y 0
		.amdhsa_system_sgpr_workgroup_id_z 1
		.amdhsa_system_sgpr_workgroup_info 0
		.amdhsa_system_vgpr_workitem_id 1
		.amdhsa_next_free_vgpr 22
		.amdhsa_next_free_sgpr 52
		.amdhsa_accum_offset 24
		.amdhsa_reserve_vcc 1
		.amdhsa_float_round_mode_32 0
		.amdhsa_float_round_mode_16_64 0
		.amdhsa_float_denorm_mode_32 3
		.amdhsa_float_denorm_mode_16_64 3
		.amdhsa_dx10_clamp 1
		.amdhsa_ieee_mode 1
		.amdhsa_fp16_overflow 0
		.amdhsa_tg_split 0
		.amdhsa_exception_fp_ieee_invalid_op 0
		.amdhsa_exception_fp_denorm_src 0
		.amdhsa_exception_fp_ieee_div_zero 0
		.amdhsa_exception_fp_ieee_overflow 0
		.amdhsa_exception_fp_ieee_underflow 0
		.amdhsa_exception_fp_ieee_inexact 0
		.amdhsa_exception_int_div_zero 0
	.end_amdhsa_kernel
	.section	.text._ZL20rocblas_gemvn_kernelILi64ELi16El19rocblas_complex_numIdEPKS1_S1_EviiT3_lPKT2_lT1_lS7_lS8_lS4_lPT4_lS8_li,"axG",@progbits,_ZL20rocblas_gemvn_kernelILi64ELi16El19rocblas_complex_numIdEPKS1_S1_EviiT3_lPKT2_lT1_lS7_lS8_lS4_lPT4_lS8_li,comdat
.Lfunc_end157:
	.size	_ZL20rocblas_gemvn_kernelILi64ELi16El19rocblas_complex_numIdEPKS1_S1_EviiT3_lPKT2_lT1_lS7_lS8_lS4_lPT4_lS8_li, .Lfunc_end157-_ZL20rocblas_gemvn_kernelILi64ELi16El19rocblas_complex_numIdEPKS1_S1_EviiT3_lPKT2_lT1_lS7_lS8_lS4_lPT4_lS8_li
                                        ; -- End function
	.section	.AMDGPU.csdata,"",@progbits
; Kernel info:
; codeLenInByte = 1856
; NumSgprs: 58
; NumVgprs: 22
; NumAgprs: 0
; TotalNumVgprs: 22
; ScratchSize: 0
; MemoryBound: 0
; FloatMode: 240
; IeeeMode: 1
; LDSByteSize: 16384 bytes/workgroup (compile time only)
; SGPRBlocks: 7
; VGPRBlocks: 2
; NumSGPRsForWavesPerEU: 58
; NumVGPRsForWavesPerEU: 22
; AccumOffset: 24
; Occupancy: 8
; WaveLimiterHint : 0
; COMPUTE_PGM_RSRC2:SCRATCH_EN: 0
; COMPUTE_PGM_RSRC2:USER_SGPR: 2
; COMPUTE_PGM_RSRC2:TRAP_HANDLER: 0
; COMPUTE_PGM_RSRC2:TGID_X_EN: 1
; COMPUTE_PGM_RSRC2:TGID_Y_EN: 0
; COMPUTE_PGM_RSRC2:TGID_Z_EN: 1
; COMPUTE_PGM_RSRC2:TIDIG_COMP_CNT: 1
; COMPUTE_PGM_RSRC3_GFX90A:ACCUM_OFFSET: 5
; COMPUTE_PGM_RSRC3_GFX90A:TG_SPLIT: 0
	.section	.text._ZL20rocblas_gemvn_kernelILi64ELi16Ei19rocblas_complex_numIdES1_S1_EviiT3_lPKT2_lT1_lS5_lS6_lS2_lPT4_lS6_li,"axG",@progbits,_ZL20rocblas_gemvn_kernelILi64ELi16Ei19rocblas_complex_numIdES1_S1_EviiT3_lPKT2_lT1_lS5_lS6_lS2_lPT4_lS6_li,comdat
	.globl	_ZL20rocblas_gemvn_kernelILi64ELi16Ei19rocblas_complex_numIdES1_S1_EviiT3_lPKT2_lT1_lS5_lS6_lS2_lPT4_lS6_li ; -- Begin function _ZL20rocblas_gemvn_kernelILi64ELi16Ei19rocblas_complex_numIdES1_S1_EviiT3_lPKT2_lT1_lS5_lS6_lS2_lPT4_lS6_li
	.p2align	8
	.type	_ZL20rocblas_gemvn_kernelILi64ELi16Ei19rocblas_complex_numIdES1_S1_EviiT3_lPKT2_lT1_lS5_lS6_lS2_lPT4_lS6_li,@function
_ZL20rocblas_gemvn_kernelILi64ELi16Ei19rocblas_complex_numIdES1_S1_EviiT3_lPKT2_lT1_lS5_lS6_lS2_lPT4_lS6_li: ; @_ZL20rocblas_gemvn_kernelILi64ELi16Ei19rocblas_complex_numIdES1_S1_EviiT3_lPKT2_lT1_lS5_lS6_lS2_lPT4_lS6_li
; %bb.0:
	s_load_dwordx2 s[4:5], s[0:1], 0xac
	s_waitcnt lgkmcnt(0)
	s_lshr_b32 s6, s4, 16
	s_and_b32 s20, s4, 0xffff
	s_and_b32 s5, s5, 0xffff
	s_mul_i32 s4, s6, s20
	s_mul_i32 s4, s4, s5
	s_cmpk_lg_i32 s4, 0x400
	s_cbranch_scc1 .LBB158_34
; %bb.1:
	s_load_dwordx4 s[12:15], s[0:1], 0x8
	s_load_dwordx4 s[8:11], s[0:1], 0x58
	s_load_dwordx2 s[16:17], s[0:1], 0x68
	s_waitcnt lgkmcnt(0)
	v_cmp_neq_f64_e64 s[4:5], s[12:13], 0
	v_cmp_neq_f64_e64 s[6:7], s[14:15], 0
	s_or_b64 s[4:5], s[4:5], s[6:7]
	s_mov_b64 s[6:7], -1
	s_and_b64 vcc, exec, s[4:5]
	s_cbranch_vccnz .LBB158_3
; %bb.2:
	v_cmp_neq_f64_e64 s[6:7], s[10:11], 1.0
	v_cmp_neq_f64_e64 s[18:19], s[16:17], 0
	s_or_b64 s[6:7], s[6:7], s[18:19]
.LBB158_3:
	s_andn2_b64 vcc, exec, s[6:7]
	s_cbranch_vccnz .LBB158_34
; %bb.4:
	s_load_dwordx2 s[6:7], s[0:1], 0x90
	s_load_dword s26, s[0:1], 0x88
	s_load_dwordx2 s[18:19], s[0:1], 0x0
	s_load_dwordx4 s[28:31], s[0:1], 0x78
	s_xor_b64 s[4:5], s[4:5], -1
	s_waitcnt lgkmcnt(0)
	s_mul_i32 s7, s3, s7
	s_mul_hi_u32 s21, s3, s6
	s_add_i32 s7, s21, s7
	s_mul_i32 s6, s3, s6
	s_lshl_b64 s[6:7], s[6:7], 4
	s_add_u32 s21, s28, s6
	s_addc_u32 s22, s29, s7
	s_lshl_b64 s[6:7], s[30:31], 4
	v_and_b32_e32 v1, 0x3ff, v0
	v_bfe_u32 v0, v0, 10, 10
	s_add_u32 s6, s21, s6
	v_mad_u32_u24 v10, v0, s20, v1
	s_addc_u32 s7, s22, s7
	s_andn2_b64 vcc, exec, s[4:5]
	v_cmp_gt_u32_e64 s[4:5], 64, v10
	s_cbranch_vccnz .LBB158_11
; %bb.5:
	s_mov_b64 s[22:23], 0
	s_mov_b64 s[20:21], 0
                                        ; implicit-def: $vgpr2_vgpr3
                                        ; implicit-def: $vgpr8_vgpr9
	s_and_saveexec_b64 s[24:25], s[4:5]
	s_cbranch_execz .LBB158_12
; %bb.6:
	v_lshl_or_b32 v0, s2, 6, v10
	v_mov_b32_e32 v1, 0
	s_ashr_i32 s5, s18, 31
	s_mov_b32 s4, s18
	v_cmp_gt_i64_e32 vcc, s[4:5], v[0:1]
                                        ; implicit-def: $vgpr2_vgpr3
                                        ; implicit-def: $vgpr8_vgpr9
	s_and_saveexec_b64 s[4:5], vcc
	s_cbranch_execz .LBB158_10
; %bb.7:
	v_mad_u64_u32 v[8:9], s[30:31], v0, s26, 0
	v_cmp_neq_f64_e64 s[20:21], s[10:11], 0
	v_cmp_neq_f64_e64 s[28:29], s[16:17], 0
	s_ashr_i32 s27, s26, 31
	v_mov_b32_e32 v4, v9
	v_mov_b64_e32 v[2:3], 0
	v_mad_u64_u32 v[0:1], s[30:31], v0, s27, v[4:5]
	s_or_b64 s[20:21], s[20:21], s[28:29]
	v_mov_b32_e32 v9, v0
	s_andn2_b64 vcc, exec, s[20:21]
	v_mov_b64_e32 v[0:1], v[2:3]
	s_cbranch_vccnz .LBB158_9
; %bb.8:
	v_lshl_add_u64 v[0:1], v[8:9], 4, s[6:7]
	global_load_dwordx4 v[4:7], v[0:1], off
	s_waitcnt vmcnt(0)
	v_mul_f64 v[0:1], s[16:17], v[6:7]
	v_mul_f64 v[2:3], s[10:11], v[6:7]
	v_fma_f64 v[0:1], s[10:11], v[4:5], -v[0:1]
	v_fmac_f64_e32 v[2:3], s[16:17], v[4:5]
.LBB158_9:
	s_mov_b64 s[20:21], exec
.LBB158_10:
	s_or_b64 exec, exec, s[4:5]
	s_and_b64 s[20:21], s[20:21], exec
	s_or_b64 exec, exec, s[24:25]
	s_and_b64 vcc, exec, s[22:23]
	s_cbranch_vccnz .LBB158_13
	s_branch .LBB158_32
.LBB158_11:
	s_mov_b64 s[20:21], 0
                                        ; implicit-def: $vgpr2_vgpr3
                                        ; implicit-def: $vgpr8_vgpr9
	s_cbranch_execnz .LBB158_13
	s_branch .LBB158_32
.LBB158_12:
	s_or_b64 exec, exec, s[24:25]
	s_and_b64 vcc, exec, s[22:23]
	s_cbranch_vccz .LBB158_32
.LBB158_13:
	s_load_dwordx4 s[28:31], s[0:1], 0x38
	s_load_dwordx4 s[36:39], s[0:1], 0x20
	s_load_dword s25, s[0:1], 0x30
	s_load_dwordx2 s[22:23], s[0:1], 0x48
	s_load_dword s27, s[0:1], 0x50
	s_waitcnt lgkmcnt(0)
	s_mul_i32 s0, s3, s29
	s_mul_hi_u32 s1, s3, s28
	s_add_i32 s1, s1, s0
	s_mul_i32 s0, s3, s28
	s_lshl_b64 s[0:1], s[0:1], 4
	s_add_u32 s4, s36, s0
	s_addc_u32 s5, s37, s1
	s_lshl_b64 s[0:1], s[38:39], 4
	s_add_u32 s4, s4, s0
	s_addc_u32 s5, s5, s1
	s_mul_i32 s0, s3, s9
	s_mul_hi_u32 s1, s3, s8
	s_add_i32 s1, s1, s0
	s_mul_i32 s0, s3, s8
	s_lshl_b64 s[0:1], s[0:1], 4
	s_add_u32 s3, s30, s0
	s_addc_u32 s9, s31, s1
	s_lshl_b64 s[0:1], s[22:23], 4
	s_add_u32 s8, s3, s0
	s_addc_u32 s9, s9, s1
	s_ashr_i32 s0, s19, 31
	s_lshr_b32 s0, s0, 28
	s_add_i32 s0, s19, s0
	v_and_b32_e32 v5, 63, v10
	v_lshrrev_b32_e32 v9, 6, v10
	s_lshl_b32 s24, s2, 6
	s_and_b32 s28, s0, -16
	v_mov_b64_e32 v[2:3], 0
	v_or_b32_e32 v8, s24, v5
	v_cmp_gt_i32_e32 vcc, s28, v9
	v_mov_b64_e32 v[0:1], v[2:3]
	s_and_saveexec_b64 s[2:3], vcc
	s_cbranch_execz .LBB158_19
; %bb.14:
	v_mul_lo_u32 v0, s25, v9
	v_mov_b64_e32 v[2:3], 0
	v_cmp_gt_i32_e32 vcc, s18, v8
	v_mul_lo_u32 v4, s27, v9
	s_lshl_b32 s29, s27, 4
	v_add3_u32 v6, v0, s24, v5
	s_lshl_b32 s30, s25, 4
	s_mov_b64 s[22:23], 0
	v_mov_b64_e32 v[0:1], v[2:3]
	s_branch .LBB158_16
.LBB158_15:                             ;   in Loop: Header=BB158_16 Depth=1
	s_or_b64 exec, exec, s[0:1]
	v_add_u32_e32 v9, 16, v9
	v_cmp_le_i32_e64 s[0:1], s28, v9
	v_add_u32_e32 v4, s29, v4
	s_or_b64 s[22:23], s[0:1], s[22:23]
	v_add_u32_e32 v6, s30, v6
	s_andn2_b64 exec, exec, s[22:23]
	s_cbranch_execz .LBB158_18
.LBB158_16:                             ; =>This Inner Loop Header: Depth=1
	s_and_saveexec_b64 s[0:1], vcc
	s_cbranch_execz .LBB158_15
; %bb.17:                               ;   in Loop: Header=BB158_16 Depth=1
	v_ashrrev_i32_e32 v5, 31, v4
	v_ashrrev_i32_e32 v7, 31, v6
	v_lshl_add_u64 v[22:23], v[4:5], 4, s[8:9]
	v_lshl_add_u64 v[20:21], v[6:7], 4, s[4:5]
	global_load_dwordx4 v[12:15], v[22:23], off
	global_load_dwordx4 v[16:19], v[20:21], off
	s_waitcnt vmcnt(0)
	v_mul_f64 v[20:21], v[14:15], v[18:19]
	v_mul_f64 v[18:19], v[12:13], v[18:19]
	v_fma_f64 v[12:13], v[12:13], v[16:17], -v[20:21]
	v_fmac_f64_e32 v[18:19], v[14:15], v[16:17]
	v_add_f64 v[0:1], v[0:1], v[12:13]
	v_add_f64 v[2:3], v[2:3], v[18:19]
	s_branch .LBB158_15
.LBB158_18:
	s_or_b64 exec, exec, s[22:23]
.LBB158_19:
	s_or_b64 exec, exec, s[2:3]
	s_sub_i32 s0, s19, s28
	s_cmp_lt_i32 s0, 1
	s_cbranch_scc1 .LBB158_25
; %bb.20:
	v_mov_b64_e32 v[4:5], 0
	v_cmp_gt_i32_e32 vcc, s19, v9
	v_mov_b64_e32 v[6:7], v[4:5]
	s_and_saveexec_b64 s[0:1], vcc
	s_cbranch_execz .LBB158_22
; %bb.21:
	v_mul_lo_u32 v4, v9, s27
	v_ashrrev_i32_e32 v5, 31, v4
	v_lshl_add_u64 v[4:5], v[4:5], 4, s[8:9]
	global_load_dwordx4 v[4:7], v[4:5], off
.LBB158_22:
	s_or_b64 exec, exec, s[0:1]
	v_cmp_gt_i32_e64 s[0:1], s18, v8
	s_and_saveexec_b64 s[2:3], s[0:1]
	s_cbranch_execz .LBB158_24
; %bb.23:
	v_mul_lo_u32 v9, v9, s25
	v_cndmask_b32_e32 v9, 0, v9, vcc
	v_add_u32_e32 v8, v9, v8
	v_ashrrev_i32_e32 v9, 31, v8
	v_lshl_add_u64 v[8:9], v[8:9], 4, s[4:5]
	global_load_dwordx4 v[12:15], v[8:9], off
	s_waitcnt vmcnt(0)
	v_mul_f64 v[8:9], v[6:7], v[14:15]
	v_mul_f64 v[14:15], v[4:5], v[14:15]
	v_fma_f64 v[4:5], v[4:5], v[12:13], -v[8:9]
	v_fmac_f64_e32 v[14:15], v[6:7], v[12:13]
	v_add_f64 v[0:1], v[0:1], v[4:5]
	v_add_f64 v[2:3], v[2:3], v[14:15]
.LBB158_24:
	s_or_b64 exec, exec, s[2:3]
.LBB158_25:
	v_lshlrev_b32_e32 v11, 4, v10
	v_cmp_gt_u32_e32 vcc, 64, v10
	ds_write_b128 v11, v[0:3]
	s_waitcnt lgkmcnt(0)
	s_barrier
	s_waitcnt lgkmcnt(0)
                                        ; implicit-def: $vgpr2_vgpr3
                                        ; implicit-def: $vgpr8_vgpr9
	s_and_saveexec_b64 s[0:1], vcc
	s_cbranch_execz .LBB158_31
; %bb.26:
	ds_read_b128 v[0:3], v11
	s_waitcnt vmcnt(0)
	ds_read_b128 v[4:7], v11 offset:1024
	ds_read_b128 v[12:15], v11 offset:2048
	;; [unrolled: 1-line block ×3, first 2 shown]
	v_or_b32_e32 v10, s24, v10
	v_cmp_gt_i32_e32 vcc, s18, v10
	s_waitcnt lgkmcnt(2)
	v_add_f64 v[0:1], v[0:1], v[4:5]
	v_add_f64 v[4:5], v[2:3], v[6:7]
	s_waitcnt lgkmcnt(1)
	v_add_f64 v[6:7], v[0:1], v[12:13]
	ds_read_b128 v[0:3], v11 offset:4096
	v_add_f64 v[8:9], v[4:5], v[14:15]
	s_waitcnt lgkmcnt(1)
	v_add_f64 v[12:13], v[6:7], v[16:17]
	ds_read_b128 v[4:7], v11 offset:5120
	;; [unrolled: 4-line block ×9, first 2 shown]
	v_add_f64 v[2:3], v[8:9], v[2:3]
	s_waitcnt lgkmcnt(1)
	v_add_f64 v[4:5], v[0:1], v[4:5]
	v_add_f64 v[8:9], v[2:3], v[6:7]
	ds_read_b128 v[0:3], v11 offset:13312
	s_waitcnt lgkmcnt(1)
	v_add_f64 v[16:17], v[4:5], v[12:13]
	ds_read_b128 v[4:7], v11 offset:14336
	v_add_f64 v[8:9], v[8:9], v[14:15]
	ds_read_b128 v[12:15], v11 offset:15360
	s_waitcnt lgkmcnt(2)
	v_add_f64 v[0:1], v[16:17], v[0:1]
	v_add_f64 v[2:3], v[8:9], v[2:3]
	s_waitcnt lgkmcnt(1)
	v_add_f64 v[0:1], v[0:1], v[4:5]
	v_add_f64 v[2:3], v[2:3], v[6:7]
	;; [unrolled: 3-line block ×3, first 2 shown]
	s_mov_b64 s[4:5], s[20:21]
	ds_write_b128 v11, v[4:7]
                                        ; implicit-def: $vgpr2_vgpr3
                                        ; implicit-def: $vgpr8_vgpr9
	s_and_saveexec_b64 s[2:3], vcc
	s_cbranch_execz .LBB158_30
; %bb.27:
	v_cmp_neq_f64_e64 s[4:5], s[10:11], 0
	v_cmp_neq_f64_e64 s[8:9], s[16:17], 0
	v_mul_f64 v[0:1], s[14:15], v[6:7]
	v_mul_f64 v[2:3], s[12:13], v[6:7]
	v_mul_lo_u32 v8, v10, s26
	s_or_b64 s[4:5], s[4:5], s[8:9]
	v_fma_f64 v[0:1], s[12:13], v[4:5], -v[0:1]
	v_fmac_f64_e32 v[2:3], s[14:15], v[4:5]
	s_andn2_b64 vcc, exec, s[4:5]
	v_ashrrev_i32_e32 v9, 31, v8
	s_cbranch_vccnz .LBB158_29
; %bb.28:
	v_lshl_add_u64 v[4:5], v[8:9], 4, s[6:7]
	global_load_dwordx4 v[4:7], v[4:5], off
	s_waitcnt vmcnt(0)
	v_mul_f64 v[10:11], s[16:17], v[6:7]
	v_mul_f64 v[6:7], s[10:11], v[6:7]
	v_fma_f64 v[10:11], s[10:11], v[4:5], -v[10:11]
	v_fmac_f64_e32 v[6:7], s[16:17], v[4:5]
	v_add_f64 v[0:1], v[0:1], v[10:11]
	v_add_f64 v[2:3], v[2:3], v[6:7]
.LBB158_29:
	s_or_b64 s[4:5], s[20:21], exec
.LBB158_30:
	s_or_b64 exec, exec, s[2:3]
	s_andn2_b64 s[2:3], s[20:21], exec
	s_and_b64 s[4:5], s[4:5], exec
	s_or_b64 s[20:21], s[2:3], s[4:5]
.LBB158_31:
	s_or_b64 exec, exec, s[0:1]
.LBB158_32:
	s_and_saveexec_b64 s[0:1], s[20:21]
	s_cbranch_execz .LBB158_34
; %bb.33:
	s_waitcnt vmcnt(0)
	v_lshl_add_u64 v[4:5], v[8:9], 4, s[6:7]
	global_store_dwordx4 v[4:5], v[0:3], off
.LBB158_34:
	s_endpgm
	.section	.rodata,"a",@progbits
	.p2align	6, 0x0
	.amdhsa_kernel _ZL20rocblas_gemvn_kernelILi64ELi16Ei19rocblas_complex_numIdES1_S1_EviiT3_lPKT2_lT1_lS5_lS6_lS2_lPT4_lS6_li
		.amdhsa_group_segment_fixed_size 16384
		.amdhsa_private_segment_fixed_size 0
		.amdhsa_kernarg_size 416
		.amdhsa_user_sgpr_count 2
		.amdhsa_user_sgpr_dispatch_ptr 0
		.amdhsa_user_sgpr_queue_ptr 0
		.amdhsa_user_sgpr_kernarg_segment_ptr 1
		.amdhsa_user_sgpr_dispatch_id 0
		.amdhsa_user_sgpr_kernarg_preload_length 0
		.amdhsa_user_sgpr_kernarg_preload_offset 0
		.amdhsa_user_sgpr_private_segment_size 0
		.amdhsa_uses_dynamic_stack 0
		.amdhsa_enable_private_segment 0
		.amdhsa_system_sgpr_workgroup_id_x 1
		.amdhsa_system_sgpr_workgroup_id_y 0
		.amdhsa_system_sgpr_workgroup_id_z 1
		.amdhsa_system_sgpr_workgroup_info 0
		.amdhsa_system_vgpr_workitem_id 1
		.amdhsa_next_free_vgpr 24
		.amdhsa_next_free_sgpr 40
		.amdhsa_accum_offset 24
		.amdhsa_reserve_vcc 1
		.amdhsa_float_round_mode_32 0
		.amdhsa_float_round_mode_16_64 0
		.amdhsa_float_denorm_mode_32 3
		.amdhsa_float_denorm_mode_16_64 3
		.amdhsa_dx10_clamp 1
		.amdhsa_ieee_mode 1
		.amdhsa_fp16_overflow 0
		.amdhsa_tg_split 0
		.amdhsa_exception_fp_ieee_invalid_op 0
		.amdhsa_exception_fp_denorm_src 0
		.amdhsa_exception_fp_ieee_div_zero 0
		.amdhsa_exception_fp_ieee_overflow 0
		.amdhsa_exception_fp_ieee_underflow 0
		.amdhsa_exception_fp_ieee_inexact 0
		.amdhsa_exception_int_div_zero 0
	.end_amdhsa_kernel
	.section	.text._ZL20rocblas_gemvn_kernelILi64ELi16Ei19rocblas_complex_numIdES1_S1_EviiT3_lPKT2_lT1_lS5_lS6_lS2_lPT4_lS6_li,"axG",@progbits,_ZL20rocblas_gemvn_kernelILi64ELi16Ei19rocblas_complex_numIdES1_S1_EviiT3_lPKT2_lT1_lS5_lS6_lS2_lPT4_lS6_li,comdat
.Lfunc_end158:
	.size	_ZL20rocblas_gemvn_kernelILi64ELi16Ei19rocblas_complex_numIdES1_S1_EviiT3_lPKT2_lT1_lS5_lS6_lS2_lPT4_lS6_li, .Lfunc_end158-_ZL20rocblas_gemvn_kernelILi64ELi16Ei19rocblas_complex_numIdES1_S1_EviiT3_lPKT2_lT1_lS5_lS6_lS2_lPT4_lS6_li
                                        ; -- End function
	.section	.AMDGPU.csdata,"",@progbits
; Kernel info:
; codeLenInByte = 1692
; NumSgprs: 46
; NumVgprs: 24
; NumAgprs: 0
; TotalNumVgprs: 24
; ScratchSize: 0
; MemoryBound: 1
; FloatMode: 240
; IeeeMode: 1
; LDSByteSize: 16384 bytes/workgroup (compile time only)
; SGPRBlocks: 5
; VGPRBlocks: 2
; NumSGPRsForWavesPerEU: 46
; NumVGPRsForWavesPerEU: 24
; AccumOffset: 24
; Occupancy: 8
; WaveLimiterHint : 1
; COMPUTE_PGM_RSRC2:SCRATCH_EN: 0
; COMPUTE_PGM_RSRC2:USER_SGPR: 2
; COMPUTE_PGM_RSRC2:TRAP_HANDLER: 0
; COMPUTE_PGM_RSRC2:TGID_X_EN: 1
; COMPUTE_PGM_RSRC2:TGID_Y_EN: 0
; COMPUTE_PGM_RSRC2:TGID_Z_EN: 1
; COMPUTE_PGM_RSRC2:TIDIG_COMP_CNT: 1
; COMPUTE_PGM_RSRC3_GFX90A:ACCUM_OFFSET: 5
; COMPUTE_PGM_RSRC3_GFX90A:TG_SPLIT: 0
	.section	.text._ZL20rocblas_gemvn_kernelILi64ELi16El19rocblas_complex_numIdES1_S1_EviiT3_lPKT2_lT1_lS5_lS6_lS2_lPT4_lS6_li,"axG",@progbits,_ZL20rocblas_gemvn_kernelILi64ELi16El19rocblas_complex_numIdES1_S1_EviiT3_lPKT2_lT1_lS5_lS6_lS2_lPT4_lS6_li,comdat
	.globl	_ZL20rocblas_gemvn_kernelILi64ELi16El19rocblas_complex_numIdES1_S1_EviiT3_lPKT2_lT1_lS5_lS6_lS2_lPT4_lS6_li ; -- Begin function _ZL20rocblas_gemvn_kernelILi64ELi16El19rocblas_complex_numIdES1_S1_EviiT3_lPKT2_lT1_lS5_lS6_lS2_lPT4_lS6_li
	.p2align	8
	.type	_ZL20rocblas_gemvn_kernelILi64ELi16El19rocblas_complex_numIdES1_S1_EviiT3_lPKT2_lT1_lS5_lS6_lS2_lPT4_lS6_li,@function
_ZL20rocblas_gemvn_kernelILi64ELi16El19rocblas_complex_numIdES1_S1_EviiT3_lPKT2_lT1_lS5_lS6_lS2_lPT4_lS6_li: ; @_ZL20rocblas_gemvn_kernelILi64ELi16El19rocblas_complex_numIdES1_S1_EviiT3_lPKT2_lT1_lS5_lS6_lS2_lPT4_lS6_li
; %bb.0:
	s_load_dwordx2 s[4:5], s[0:1], 0xac
	s_waitcnt lgkmcnt(0)
	s_lshr_b32 s6, s4, 16
	s_and_b32 s8, s4, 0xffff
	s_and_b32 s5, s5, 0xffff
	s_mul_i32 s4, s6, s8
	s_mul_i32 s4, s4, s5
	s_cmpk_lg_i32 s4, 0x400
	s_cbranch_scc1 .LBB159_34
; %bb.1:
	s_load_dwordx4 s[28:31], s[0:1], 0x8
	s_load_dwordx4 s[24:27], s[0:1], 0x60
	s_waitcnt lgkmcnt(0)
	v_cmp_neq_f64_e64 s[4:5], s[28:29], 0
	v_cmp_neq_f64_e64 s[6:7], s[30:31], 0
	s_or_b64 s[4:5], s[4:5], s[6:7]
	s_mov_b64 s[6:7], -1
	s_and_b64 vcc, exec, s[4:5]
	s_cbranch_vccnz .LBB159_3
; %bb.2:
	v_cmp_neq_f64_e64 s[6:7], s[24:25], 1.0
	v_cmp_neq_f64_e64 s[10:11], s[26:27], 0
	s_or_b64 s[6:7], s[6:7], s[10:11]
.LBB159_3:
	s_andn2_b64 vcc, exec, s[6:7]
	s_cbranch_vccnz .LBB159_34
; %bb.4:
	s_load_dwordx8 s[16:23], s[0:1], 0x78
	s_load_dwordx2 s[34:35], s[0:1], 0x0
	s_xor_b64 s[4:5], s[4:5], -1
	v_and_b32_e32 v1, 0x3ff, v0
	v_bfe_u32 v0, v0, 10, 10
	s_waitcnt lgkmcnt(0)
	s_mul_i32 s7, s3, s23
	s_mul_hi_u32 s9, s3, s22
	s_mul_i32 s6, s3, s22
	s_add_i32 s7, s9, s7
	s_lshl_b64 s[6:7], s[6:7], 4
	s_add_u32 s9, s16, s6
	s_addc_u32 s10, s17, s7
	s_lshl_b64 s[6:7], s[18:19], 4
	s_add_u32 s22, s9, s6
	v_mad_u32_u24 v10, v0, s8, v1
	s_addc_u32 s23, s10, s7
	s_andn2_b64 vcc, exec, s[4:5]
	v_cmp_gt_u32_e64 s[4:5], 64, v10
	s_cbranch_vccnz .LBB159_11
; %bb.5:
	s_mov_b64 s[6:7], 0
	s_mov_b64 s[36:37], 0
                                        ; implicit-def: $vgpr2_vgpr3
                                        ; implicit-def: $vgpr8_vgpr9
	s_and_saveexec_b64 s[8:9], s[4:5]
	s_cbranch_execz .LBB159_12
; %bb.6:
	v_lshl_or_b32 v0, s2, 6, v10
	v_mov_b32_e32 v1, 0
	s_ashr_i32 s5, s34, 31
	s_mov_b32 s4, s34
	v_cmp_gt_i64_e32 vcc, s[4:5], v[0:1]
	s_mov_b64 s[10:11], 0
                                        ; implicit-def: $vgpr2_vgpr3
                                        ; implicit-def: $vgpr8_vgpr9
	s_and_saveexec_b64 s[4:5], vcc
	s_cbranch_execz .LBB159_10
; %bb.7:
	v_mad_u64_u32 v[8:9], s[14:15], v0, s20, 0
	v_cmp_neq_f64_e64 s[10:11], s[24:25], 0
	v_cmp_neq_f64_e64 s[12:13], s[26:27], 0
	v_mov_b32_e32 v4, v9
	v_mov_b64_e32 v[2:3], 0
	v_mad_u64_u32 v[0:1], s[14:15], v0, s21, v[4:5]
	s_or_b64 s[10:11], s[10:11], s[12:13]
	v_mov_b32_e32 v9, v0
	s_andn2_b64 vcc, exec, s[10:11]
	v_mov_b64_e32 v[0:1], v[2:3]
	s_cbranch_vccnz .LBB159_9
; %bb.8:
	v_lshl_add_u64 v[0:1], v[8:9], 4, s[22:23]
	global_load_dwordx4 v[4:7], v[0:1], off
	s_waitcnt vmcnt(0)
	v_mul_f64 v[0:1], s[26:27], v[6:7]
	v_mul_f64 v[2:3], s[24:25], v[6:7]
	v_fma_f64 v[0:1], s[24:25], v[4:5], -v[0:1]
	v_fmac_f64_e32 v[2:3], s[26:27], v[4:5]
.LBB159_9:
	s_mov_b64 s[10:11], exec
.LBB159_10:
	s_or_b64 exec, exec, s[4:5]
	s_and_b64 s[36:37], s[10:11], exec
	s_or_b64 exec, exec, s[8:9]
	s_and_b64 vcc, exec, s[6:7]
	s_cbranch_vccnz .LBB159_13
	s_branch .LBB159_32
.LBB159_11:
	s_mov_b64 s[36:37], 0
                                        ; implicit-def: $vgpr2_vgpr3
                                        ; implicit-def: $vgpr8_vgpr9
	s_cbranch_execnz .LBB159_13
	s_branch .LBB159_32
.LBB159_12:
	s_or_b64 exec, exec, s[8:9]
	s_and_b64 vcc, exec, s[6:7]
	s_cbranch_vccz .LBB159_32
.LBB159_13:
	s_load_dwordx16 s[4:19], s[0:1], 0x20
	v_and_b32_e32 v6, 63, v10
	v_lshrrev_b32_e32 v11, 6, v10
	v_mov_b64_e32 v[2:3], 0
	v_mov_b64_e32 v[0:1], v[2:3]
	s_waitcnt lgkmcnt(0)
	s_mul_i32 s0, s3, s11
	s_mul_hi_u32 s1, s3, s10
	s_add_i32 s11, s1, s0
	s_ashr_i32 s0, s35, 31
	s_lshr_b32 s0, s0, 28
	s_mul_i32 s19, s3, s19
	s_mul_hi_u32 s33, s3, s18
	s_add_i32 s0, s35, s0
	s_add_i32 s19, s33, s19
	s_lshl_b32 s33, s2, 6
	s_and_b32 s44, s0, -16
	s_mul_i32 s10, s3, s10
	s_mul_i32 s18, s3, s18
	v_or_b32_e32 v8, s33, v6
	v_cmp_gt_i32_e32 vcc, s44, v11
	s_and_saveexec_b64 s[2:3], vcc
	s_cbranch_execz .LBB159_19
; %bb.14:
	v_lshrrev_b32_e32 v7, 6, v10
	v_mad_u64_u32 v[0:1], s[0:1], s16, v7, 0
	v_mov_b32_e32 v2, v1
	v_mad_u64_u32 v[2:3], s[0:1], s17, v7, v[2:3]
	s_lshl_b64 s[0:1], s[18:19], 4
	s_lshl_b64 s[38:39], s[14:15], 4
	s_add_u32 s38, s12, s38
	s_addc_u32 s39, s13, s39
	s_add_u32 s0, s38, s0
	v_mov_b32_e32 v1, v2
	s_addc_u32 s1, s39, s1
	v_lshl_add_u64 v[0:1], v[0:1], 4, s[0:1]
	v_lshl_add_u64 v[4:5], v[0:1], 0, 8
	v_mad_u64_u32 v[0:1], s[0:1], s8, v7, 0
	v_mov_b32_e32 v2, v1
	v_mad_u64_u32 v[2:3], s[0:1], s9, v7, v[2:3]
	s_lshl_b64 s[38:39], s[16:17], 8
	s_lshl_b64 s[0:1], s[10:11], 4
	;; [unrolled: 1-line block ×3, first 2 shown]
	s_add_u32 s0, s40, s0
	v_mov_b32_e32 v1, v2
	s_addc_u32 s1, s41, s1
	v_add_u32_e32 v2, s33, v6
	v_lshl_add_u64 v[0:1], v[0:1], 4, s[0:1]
	v_ashrrev_i32_e32 v3, 31, v2
	v_lshl_add_u64 v[0:1], v[2:3], 4, v[0:1]
	v_lshl_add_u64 v[0:1], v[0:1], 0, s[4:5]
	v_mov_b64_e32 v[2:3], 0
	v_cmp_gt_i32_e32 vcc, s34, v8
	v_lshl_add_u64 v[6:7], v[0:1], 0, 8
	s_lshl_b64 s[42:43], s[8:9], 8
	s_mov_b64 s[40:41], 0
	v_mov_b64_e32 v[0:1], v[2:3]
	s_branch .LBB159_16
.LBB159_15:                             ;   in Loop: Header=BB159_16 Depth=1
	s_or_b64 exec, exec, s[0:1]
	v_add_u32_e32 v11, 16, v11
	v_cmp_le_i32_e64 s[0:1], s44, v11
	v_lshl_add_u64 v[4:5], v[4:5], 0, s[38:39]
	s_or_b64 s[40:41], s[0:1], s[40:41]
	v_lshl_add_u64 v[6:7], v[6:7], 0, s[42:43]
	s_andn2_b64 exec, exec, s[40:41]
	s_cbranch_execz .LBB159_18
.LBB159_16:                             ; =>This Inner Loop Header: Depth=1
	s_and_saveexec_b64 s[0:1], vcc
	s_cbranch_execz .LBB159_15
; %bb.17:                               ;   in Loop: Header=BB159_16 Depth=1
	global_load_dwordx4 v[12:15], v[4:5], off offset:-8
	global_load_dwordx4 v[16:19], v[6:7], off offset:-8
	s_waitcnt vmcnt(0)
	v_mul_f64 v[20:21], v[14:15], v[18:19]
	v_mul_f64 v[18:19], v[12:13], v[18:19]
	v_fma_f64 v[12:13], v[12:13], v[16:17], -v[20:21]
	v_fmac_f64_e32 v[18:19], v[14:15], v[16:17]
	v_add_f64 v[0:1], v[0:1], v[12:13]
	v_add_f64 v[2:3], v[2:3], v[18:19]
	s_branch .LBB159_15
.LBB159_18:
	s_or_b64 exec, exec, s[40:41]
.LBB159_19:
	s_or_b64 exec, exec, s[2:3]
	s_sub_i32 s0, s35, s44
	s_cmp_lt_i32 s0, 1
	s_cbranch_scc1 .LBB159_25
; %bb.20:
	v_mov_b64_e32 v[4:5], 0
	v_cmp_gt_i32_e32 vcc, s35, v11
	v_mov_b64_e32 v[6:7], v[4:5]
	s_and_saveexec_b64 s[0:1], vcc
	s_cbranch_execz .LBB159_22
; %bb.21:
	s_lshl_b64 s[2:3], s[18:19], 4
	s_add_u32 s12, s12, s2
	s_addc_u32 s13, s13, s3
	s_lshl_b64 s[2:3], s[14:15], 4
	s_add_u32 s2, s12, s2
	s_addc_u32 s3, s13, s3
	v_mad_u64_u32 v[4:5], s[12:13], v11, s16, 0
	v_mov_b32_e32 v6, v5
	v_mad_u64_u32 v[6:7], s[12:13], v11, s17, v[6:7]
	v_mov_b32_e32 v5, v6
	v_lshl_add_u64 v[4:5], v[4:5], 4, s[2:3]
	global_load_dwordx4 v[4:7], v[4:5], off
.LBB159_22:
	s_or_b64 exec, exec, s[0:1]
	v_cmp_gt_i32_e64 s[0:1], s34, v8
	s_and_saveexec_b64 s[2:3], s[0:1]
	s_cbranch_execz .LBB159_24
; %bb.23:
	s_lshl_b64 s[0:1], s[10:11], 4
	s_add_u32 s4, s4, s0
	s_addc_u32 s5, s5, s1
	s_lshl_b64 s[0:1], s[6:7], 4
	s_add_u32 s0, s4, s0
	s_addc_u32 s1, s5, s1
	v_mad_u64_u32 v[12:13], s[4:5], v11, s8, 0
	v_mov_b32_e32 v14, v13
	v_mad_u64_u32 v[14:15], s[4:5], v11, s9, v[14:15]
	v_cndmask_b32_e32 v12, 0, v12, vcc
	v_cndmask_b32_e32 v13, 0, v14, vcc
	v_ashrrev_i32_e32 v9, 31, v8
	v_lshl_add_u64 v[12:13], v[12:13], 4, s[0:1]
	v_lshl_add_u64 v[8:9], v[8:9], 4, v[12:13]
	global_load_dwordx4 v[12:15], v[8:9], off
	s_waitcnt vmcnt(0)
	v_mul_f64 v[8:9], v[6:7], v[14:15]
	v_mul_f64 v[14:15], v[4:5], v[14:15]
	v_fma_f64 v[4:5], v[4:5], v[12:13], -v[8:9]
	v_fmac_f64_e32 v[14:15], v[6:7], v[12:13]
	v_add_f64 v[0:1], v[0:1], v[4:5]
	v_add_f64 v[2:3], v[2:3], v[14:15]
.LBB159_24:
	s_or_b64 exec, exec, s[2:3]
.LBB159_25:
	v_lshlrev_b32_e32 v11, 4, v10
	v_cmp_gt_u32_e32 vcc, 64, v10
	ds_write_b128 v11, v[0:3]
	s_waitcnt lgkmcnt(0)
	s_barrier
	s_waitcnt lgkmcnt(0)
                                        ; implicit-def: $vgpr2_vgpr3
                                        ; implicit-def: $vgpr8_vgpr9
	s_and_saveexec_b64 s[0:1], vcc
	s_cbranch_execz .LBB159_31
; %bb.26:
	ds_read_b128 v[0:3], v11
	s_waitcnt vmcnt(0)
	ds_read_b128 v[4:7], v11 offset:1024
	ds_read_b128 v[12:15], v11 offset:2048
	;; [unrolled: 1-line block ×3, first 2 shown]
	v_or_b32_e32 v10, s33, v10
	v_cmp_gt_i32_e32 vcc, s34, v10
	s_waitcnt lgkmcnt(2)
	v_add_f64 v[0:1], v[0:1], v[4:5]
	v_add_f64 v[4:5], v[2:3], v[6:7]
	s_waitcnt lgkmcnt(1)
	v_add_f64 v[6:7], v[0:1], v[12:13]
	ds_read_b128 v[0:3], v11 offset:4096
	v_add_f64 v[8:9], v[4:5], v[14:15]
	s_waitcnt lgkmcnt(1)
	v_add_f64 v[12:13], v[6:7], v[16:17]
	ds_read_b128 v[4:7], v11 offset:5120
	v_add_f64 v[8:9], v[8:9], v[18:19]
	s_waitcnt lgkmcnt(1)
	v_add_f64 v[0:1], v[12:13], v[0:1]
	ds_read_b128 v[12:15], v11 offset:6144
	v_add_f64 v[8:9], v[8:9], v[2:3]
	s_waitcnt lgkmcnt(1)
	v_add_f64 v[4:5], v[0:1], v[4:5]
	ds_read_b128 v[0:3], v11 offset:7168
	v_add_f64 v[8:9], v[8:9], v[6:7]
	s_waitcnt lgkmcnt(1)
	v_add_f64 v[12:13], v[4:5], v[12:13]
	ds_read_b128 v[4:7], v11 offset:8192
	v_add_f64 v[8:9], v[8:9], v[14:15]
	s_waitcnt lgkmcnt(1)
	v_add_f64 v[0:1], v[12:13], v[0:1]
	ds_read_b128 v[12:15], v11 offset:9216
	v_add_f64 v[8:9], v[8:9], v[2:3]
	s_waitcnt lgkmcnt(1)
	v_add_f64 v[4:5], v[0:1], v[4:5]
	ds_read_b128 v[0:3], v11 offset:10240
	v_add_f64 v[8:9], v[8:9], v[6:7]
	s_waitcnt lgkmcnt(1)
	v_add_f64 v[12:13], v[4:5], v[12:13]
	ds_read_b128 v[4:7], v11 offset:11264
	v_add_f64 v[8:9], v[8:9], v[14:15]
	s_waitcnt lgkmcnt(1)
	v_add_f64 v[0:1], v[12:13], v[0:1]
	ds_read_b128 v[12:15], v11 offset:12288
	v_add_f64 v[2:3], v[8:9], v[2:3]
	s_waitcnt lgkmcnt(1)
	v_add_f64 v[4:5], v[0:1], v[4:5]
	v_add_f64 v[8:9], v[2:3], v[6:7]
	ds_read_b128 v[0:3], v11 offset:13312
	s_waitcnt lgkmcnt(1)
	v_add_f64 v[16:17], v[4:5], v[12:13]
	ds_read_b128 v[4:7], v11 offset:14336
	v_add_f64 v[8:9], v[8:9], v[14:15]
	ds_read_b128 v[12:15], v11 offset:15360
	s_waitcnt lgkmcnt(2)
	v_add_f64 v[0:1], v[16:17], v[0:1]
	v_add_f64 v[2:3], v[8:9], v[2:3]
	s_waitcnt lgkmcnt(1)
	v_add_f64 v[0:1], v[0:1], v[4:5]
	v_add_f64 v[2:3], v[2:3], v[6:7]
	;; [unrolled: 3-line block ×3, first 2 shown]
	s_mov_b64 s[4:5], s[36:37]
	ds_write_b128 v11, v[4:7]
                                        ; implicit-def: $vgpr2_vgpr3
                                        ; implicit-def: $vgpr8_vgpr9
	s_and_saveexec_b64 s[2:3], vcc
	s_cbranch_execz .LBB159_30
; %bb.27:
	v_mul_f64 v[0:1], s[30:31], v[6:7]
	v_mul_f64 v[2:3], s[28:29], v[6:7]
	v_cmp_neq_f64_e64 s[4:5], s[24:25], 0
	v_cmp_neq_f64_e64 s[6:7], s[26:27], 0
	v_fma_f64 v[0:1], s[28:29], v[4:5], -v[0:1]
	v_fmac_f64_e32 v[2:3], s[30:31], v[4:5]
	v_ashrrev_i32_e32 v4, 31, v10
	v_mul_lo_u32 v5, v10, s21
	v_mul_lo_u32 v4, v4, s20
	v_mad_u64_u32 v[8:9], s[8:9], v10, s20, 0
	s_or_b64 s[4:5], s[4:5], s[6:7]
	s_andn2_b64 vcc, exec, s[4:5]
	v_add3_u32 v9, v9, v5, v4
	s_cbranch_vccnz .LBB159_29
; %bb.28:
	v_lshl_add_u64 v[4:5], v[8:9], 4, s[22:23]
	global_load_dwordx4 v[4:7], v[4:5], off
	s_waitcnt vmcnt(0)
	v_mul_f64 v[10:11], s[26:27], v[6:7]
	v_mul_f64 v[6:7], s[24:25], v[6:7]
	v_fma_f64 v[10:11], s[24:25], v[4:5], -v[10:11]
	v_fmac_f64_e32 v[6:7], s[26:27], v[4:5]
	v_add_f64 v[0:1], v[0:1], v[10:11]
	v_add_f64 v[2:3], v[2:3], v[6:7]
.LBB159_29:
	s_or_b64 s[4:5], s[36:37], exec
.LBB159_30:
	s_or_b64 exec, exec, s[2:3]
	s_andn2_b64 s[2:3], s[36:37], exec
	s_and_b64 s[4:5], s[4:5], exec
	s_or_b64 s[36:37], s[2:3], s[4:5]
.LBB159_31:
	s_or_b64 exec, exec, s[0:1]
.LBB159_32:
	s_and_saveexec_b64 s[0:1], s[36:37]
	s_cbranch_execz .LBB159_34
; %bb.33:
	s_waitcnt vmcnt(0)
	v_lshl_add_u64 v[4:5], v[8:9], 4, s[22:23]
	global_store_dwordx4 v[4:5], v[0:3], off
.LBB159_34:
	s_endpgm
	.section	.rodata,"a",@progbits
	.p2align	6, 0x0
	.amdhsa_kernel _ZL20rocblas_gemvn_kernelILi64ELi16El19rocblas_complex_numIdES1_S1_EviiT3_lPKT2_lT1_lS5_lS6_lS2_lPT4_lS6_li
		.amdhsa_group_segment_fixed_size 16384
		.amdhsa_private_segment_fixed_size 0
		.amdhsa_kernarg_size 416
		.amdhsa_user_sgpr_count 2
		.amdhsa_user_sgpr_dispatch_ptr 0
		.amdhsa_user_sgpr_queue_ptr 0
		.amdhsa_user_sgpr_kernarg_segment_ptr 1
		.amdhsa_user_sgpr_dispatch_id 0
		.amdhsa_user_sgpr_kernarg_preload_length 0
		.amdhsa_user_sgpr_kernarg_preload_offset 0
		.amdhsa_user_sgpr_private_segment_size 0
		.amdhsa_uses_dynamic_stack 0
		.amdhsa_enable_private_segment 0
		.amdhsa_system_sgpr_workgroup_id_x 1
		.amdhsa_system_sgpr_workgroup_id_y 0
		.amdhsa_system_sgpr_workgroup_id_z 1
		.amdhsa_system_sgpr_workgroup_info 0
		.amdhsa_system_vgpr_workitem_id 1
		.amdhsa_next_free_vgpr 22
		.amdhsa_next_free_sgpr 45
		.amdhsa_accum_offset 24
		.amdhsa_reserve_vcc 1
		.amdhsa_float_round_mode_32 0
		.amdhsa_float_round_mode_16_64 0
		.amdhsa_float_denorm_mode_32 3
		.amdhsa_float_denorm_mode_16_64 3
		.amdhsa_dx10_clamp 1
		.amdhsa_ieee_mode 1
		.amdhsa_fp16_overflow 0
		.amdhsa_tg_split 0
		.amdhsa_exception_fp_ieee_invalid_op 0
		.amdhsa_exception_fp_denorm_src 0
		.amdhsa_exception_fp_ieee_div_zero 0
		.amdhsa_exception_fp_ieee_overflow 0
		.amdhsa_exception_fp_ieee_underflow 0
		.amdhsa_exception_fp_ieee_inexact 0
		.amdhsa_exception_int_div_zero 0
	.end_amdhsa_kernel
	.section	.text._ZL20rocblas_gemvn_kernelILi64ELi16El19rocblas_complex_numIdES1_S1_EviiT3_lPKT2_lT1_lS5_lS6_lS2_lPT4_lS6_li,"axG",@progbits,_ZL20rocblas_gemvn_kernelILi64ELi16El19rocblas_complex_numIdES1_S1_EviiT3_lPKT2_lT1_lS5_lS6_lS2_lPT4_lS6_li,comdat
.Lfunc_end159:
	.size	_ZL20rocblas_gemvn_kernelILi64ELi16El19rocblas_complex_numIdES1_S1_EviiT3_lPKT2_lT1_lS5_lS6_lS2_lPT4_lS6_li, .Lfunc_end159-_ZL20rocblas_gemvn_kernelILi64ELi16El19rocblas_complex_numIdES1_S1_EviiT3_lPKT2_lT1_lS5_lS6_lS2_lPT4_lS6_li
                                        ; -- End function
	.section	.AMDGPU.csdata,"",@progbits
; Kernel info:
; codeLenInByte = 1800
; NumSgprs: 51
; NumVgprs: 22
; NumAgprs: 0
; TotalNumVgprs: 22
; ScratchSize: 0
; MemoryBound: 0
; FloatMode: 240
; IeeeMode: 1
; LDSByteSize: 16384 bytes/workgroup (compile time only)
; SGPRBlocks: 6
; VGPRBlocks: 2
; NumSGPRsForWavesPerEU: 51
; NumVGPRsForWavesPerEU: 22
; AccumOffset: 24
; Occupancy: 8
; WaveLimiterHint : 1
; COMPUTE_PGM_RSRC2:SCRATCH_EN: 0
; COMPUTE_PGM_RSRC2:USER_SGPR: 2
; COMPUTE_PGM_RSRC2:TRAP_HANDLER: 0
; COMPUTE_PGM_RSRC2:TGID_X_EN: 1
; COMPUTE_PGM_RSRC2:TGID_Y_EN: 0
; COMPUTE_PGM_RSRC2:TGID_Z_EN: 1
; COMPUTE_PGM_RSRC2:TIDIG_COMP_CNT: 1
; COMPUTE_PGM_RSRC3_GFX90A:ACCUM_OFFSET: 5
; COMPUTE_PGM_RSRC3_GFX90A:TG_SPLIT: 0
	.section	.text._ZL22rocblas_gemvtsm_kernelILb0ELi256E19rocblas_complex_numIdEPKS1_S1_EviiT2_lPKT1_lilS7_lilS4_lPT3_lil,"axG",@progbits,_ZL22rocblas_gemvtsm_kernelILb0ELi256E19rocblas_complex_numIdEPKS1_S1_EviiT2_lPKT1_lilS7_lilS4_lPT3_lil,comdat
	.globl	_ZL22rocblas_gemvtsm_kernelILb0ELi256E19rocblas_complex_numIdEPKS1_S1_EviiT2_lPKT1_lilS7_lilS4_lPT3_lil ; -- Begin function _ZL22rocblas_gemvtsm_kernelILb0ELi256E19rocblas_complex_numIdEPKS1_S1_EviiT2_lPKT1_lilS7_lilS4_lPT3_lil
	.p2align	8
	.type	_ZL22rocblas_gemvtsm_kernelILb0ELi256E19rocblas_complex_numIdEPKS1_S1_EviiT2_lPKT1_lilS7_lilS4_lPT3_lil,@function
_ZL22rocblas_gemvtsm_kernelILb0ELi256E19rocblas_complex_numIdEPKS1_S1_EviiT2_lPKT1_lilS7_lilS4_lPT3_lil: ; @_ZL22rocblas_gemvtsm_kernelILb0ELi256E19rocblas_complex_numIdEPKS1_S1_EviiT2_lPKT1_lilS7_lilS4_lPT3_lil
; %bb.0:
	s_load_dwordx8 s[4:11], s[0:1], 0x8
	s_load_dwordx8 s[12:19], s[0:1], 0x50
	s_waitcnt lgkmcnt(0)
	s_mul_i32 s3, s2, s7
	s_mul_hi_u32 s7, s2, s6
	s_add_i32 s7, s7, s3
	s_mul_i32 s6, s2, s6
	s_lshl_b64 s[6:7], s[6:7], 4
	s_add_u32 s4, s4, s6
	s_mul_i32 s3, s2, s17
	s_mul_hi_u32 s17, s2, s16
	s_addc_u32 s5, s5, s7
	s_add_i32 s17, s17, s3
	s_mul_i32 s16, s2, s16
	s_load_dwordx4 s[4:7], s[4:5], 0x0
	s_lshl_b64 s[16:17], s[16:17], 4
	s_add_u32 s14, s14, s16
	s_addc_u32 s15, s15, s17
	s_load_dwordx4 s[20:23], s[14:15], 0x0
	s_waitcnt lgkmcnt(0)
	v_cmp_neq_f64_e64 s[14:15], s[4:5], 0
	v_cmp_neq_f64_e64 s[16:17], s[6:7], 0
	s_or_b64 s[24:25], s[14:15], s[16:17]
	s_mov_b64 s[14:15], -1
	s_and_b64 vcc, exec, s[24:25]
	s_cbranch_vccnz .LBB160_2
; %bb.1:
	v_cmp_neq_f64_e64 s[14:15], s[20:21], 1.0
	v_cmp_neq_f64_e64 s[16:17], s[22:23], 0
	s_or_b64 s[14:15], s[14:15], s[16:17]
.LBB160_2:
	s_andn2_b64 vcc, exec, s[14:15]
	s_cbranch_vccnz .LBB160_36
; %bb.3:
	s_load_dwordx2 s[26:27], s[0:1], 0x80
	s_load_dword s14, s[0:1], 0x78
	s_load_dwordx2 s[28:29], s[0:1], 0x70
	s_load_dwordx2 s[16:17], s[0:1], 0x0
	s_xor_b64 s[24:25], s[24:25], -1
	s_waitcnt lgkmcnt(0)
	s_mul_i32 s3, s2, s27
	s_mul_hi_u32 s15, s2, s26
	s_add_i32 s31, s15, s3
	s_mul_i32 s30, s2, s26
	s_andn2_b64 vcc, exec, s[24:25]
	s_mov_b64 s[24:25], -1
	s_cbranch_vccnz .LBB160_18
; %bb.4:
	v_cmp_neq_f64_e64 s[24:25], s[20:21], 0
	v_cmp_neq_f64_e64 s[26:27], s[22:23], 0
	s_or_b64 s[34:35], s[24:25], s[26:27]
	s_cmp_gt_i32 s17, 0
	s_mov_b64 s[26:27], -1
	s_cselect_b64 s[24:25], -1, 0
	s_and_b64 vcc, exec, s[34:35]
	s_cbranch_vccnz .LBB160_11
; %bb.5:
	s_andn2_b64 vcc, exec, s[24:25]
	s_cbranch_vccnz .LBB160_10
; %bb.6:
	v_mad_i64_i32 v[2:3], s[34:35], s14, v0, 0
	s_ashr_i32 s15, s14, 31
	s_lshl_b64 s[26:27], s[30:31], 4
	s_lshl_b64 s[34:35], s[28:29], 4
	s_add_u32 s3, s18, s34
	s_addc_u32 s33, s19, s35
	s_add_u32 s26, s3, s26
	s_addc_u32 s27, s33, s27
	v_lshl_add_u64 v[2:3], v[2:3], 4, s[26:27]
	v_lshl_add_u64 v[6:7], v[2:3], 0, 8
	s_lshl_b64 s[26:27], s[14:15], 12
	s_mov_b32 s3, 0
	v_mov_b32_e32 v2, 0
	s_branch .LBB160_8
.LBB160_7:                              ;   in Loop: Header=BB160_8 Depth=1
	s_or_b64 exec, exec, s[34:35]
	s_addk_i32 s3, 0x100
	s_cmp_ge_i32 s3, s17
	v_lshl_add_u64 v[6:7], v[6:7], 0, s[26:27]
	s_cbranch_scc1 .LBB160_10
.LBB160_8:                              ; =>This Inner Loop Header: Depth=1
	v_add_u32_e32 v1, s3, v0
	v_cmp_gt_i32_e32 vcc, s17, v1
	s_and_saveexec_b64 s[34:35], vcc
	s_cbranch_execz .LBB160_7
; %bb.9:                                ;   in Loop: Header=BB160_8 Depth=1
	v_mov_b32_e32 v3, v2
	v_mov_b32_e32 v4, v2
	;; [unrolled: 1-line block ×3, first 2 shown]
	global_store_dwordx4 v[6:7], v[2:5], off offset:-8
	s_branch .LBB160_7
.LBB160_10:
	s_mov_b64 s[26:27], 0
.LBB160_11:
	s_andn2_b64 vcc, exec, s[26:27]
	s_cbranch_vccnz .LBB160_17
; %bb.12:
	s_andn2_b64 vcc, exec, s[24:25]
	s_cbranch_vccnz .LBB160_17
; %bb.13:
	v_mad_i64_i32 v[2:3], s[26:27], s14, v0, 0
	s_ashr_i32 s15, s14, 31
	s_lshl_b64 s[24:25], s[30:31], 4
	s_lshl_b64 s[26:27], s[28:29], 4
	s_add_u32 s3, s18, s26
	s_addc_u32 s26, s19, s27
	s_add_u32 s24, s3, s24
	s_addc_u32 s25, s26, s25
	v_lshl_add_u64 v[2:3], v[2:3], 4, s[24:25]
	v_lshl_add_u64 v[2:3], v[2:3], 0, 8
	s_lshl_b64 s[24:25], s[14:15], 12
	s_mov_b32 s3, 0
	s_branch .LBB160_15
.LBB160_14:                             ;   in Loop: Header=BB160_15 Depth=1
	s_or_b64 exec, exec, s[26:27]
	s_addk_i32 s3, 0x100
	s_cmp_ge_i32 s3, s17
	v_lshl_add_u64 v[2:3], v[2:3], 0, s[24:25]
	s_cbranch_scc1 .LBB160_17
.LBB160_15:                             ; =>This Inner Loop Header: Depth=1
	v_add_u32_e32 v1, s3, v0
	v_cmp_gt_i32_e32 vcc, s17, v1
	s_and_saveexec_b64 s[26:27], vcc
	s_cbranch_execz .LBB160_14
; %bb.16:                               ;   in Loop: Header=BB160_15 Depth=1
	global_load_dwordx4 v[4:7], v[2:3], off offset:-8
	s_waitcnt vmcnt(0)
	v_mul_f64 v[10:11], s[22:23], v[6:7]
	v_mul_f64 v[8:9], s[20:21], v[6:7]
	v_fma_f64 v[6:7], s[20:21], v[4:5], -v[10:11]
	v_fmac_f64_e32 v[8:9], s[22:23], v[4:5]
	global_store_dwordx4 v[2:3], v[6:9], off offset:-8
	s_branch .LBB160_14
.LBB160_17:
	s_mov_b64 s[24:25], 0
.LBB160_18:
	s_andn2_b64 vcc, exec, s[24:25]
	s_cbranch_vccnz .LBB160_36
; %bb.19:
	s_load_dwordx4 s[24:27], s[0:1], 0x30
	s_load_dwordx2 s[36:37], s[0:1], 0x40
	v_cmp_gt_i32_e32 vcc, s16, v0
	s_and_saveexec_b64 s[34:35], vcc
	s_cbranch_execz .LBB160_21
; %bb.20:
	s_mul_i32 s3, s2, s13
	s_mul_hi_u32 s13, s2, s12
	s_add_i32 s13, s13, s3
	s_mul_i32 s12, s2, s12
	s_lshl_b64 s[12:13], s[12:13], 4
	s_waitcnt lgkmcnt(0)
	s_add_u32 s3, s26, s12
	s_load_dword s26, s[0:1], 0x48
	s_addc_u32 s15, s27, s13
	s_lshl_b64 s[12:13], s[36:37], 4
	s_add_u32 s12, s3, s12
	s_addc_u32 s13, s15, s13
	s_waitcnt lgkmcnt(0)
	v_mad_i64_i32 v[2:3], s[26:27], s26, v0, 0
	v_lshl_add_u64 v[2:3], v[2:3], 4, s[12:13]
	global_load_dwordx4 v[2:5], v[2:3], off
	v_lshlrev_b32_e32 v1, 4, v0
	s_waitcnt vmcnt(0)
	v_mul_f64 v[8:9], s[6:7], v[4:5]
	v_mul_f64 v[6:7], s[4:5], v[4:5]
	v_fma_f64 v[4:5], s[4:5], v[2:3], -v[8:9]
	v_fmac_f64_e32 v[6:7], s[6:7], v[2:3]
	ds_write_b128 v1, v[4:7]
.LBB160_21:
	s_or_b64 exec, exec, s[34:35]
	s_cmp_lt_i32 s17, 1
	s_waitcnt lgkmcnt(0)
	s_barrier
	s_cbranch_scc1 .LBB160_36
; %bb.22:
	s_lshl_b64 s[4:5], s[30:31], 4
	s_load_dword s0, s[0:1], 0x28
	s_add_u32 s3, s18, s4
	s_addc_u32 s1, s19, s5
	s_lshl_b64 s[4:5], s[28:29], 4
	s_add_u32 s6, s3, s4
	s_addc_u32 s7, s1, s5
	v_cmp_neq_f64_e64 s[4:5], s[20:21], 0
	v_cmp_neq_f64_e64 s[18:19], s[22:23], 0
	s_waitcnt lgkmcnt(0)
	s_ashr_i32 s1, s0, 31
	s_ashr_i32 s15, s14, 31
	s_or_b64 s[4:5], s[4:5], s[18:19]
	s_cmp_gt_i32 s16, 0
	s_cselect_b64 s[28:29], -1, 0
	s_and_b32 s26, s16, 7
	s_cmp_gt_u32 s16, 7
	s_cselect_b64 s[30:31], -1, 0
	s_and_b32 s16, s16, 0x7ffffff8
	s_cmp_lg_u32 s26, 0
	s_mul_i32 s3, s25, s2
	s_mul_hi_u32 s12, s24, s2
	s_cselect_b64 s[18:19], -1, 0
	s_add_i32 s3, s12, s3
	s_mul_i32 s2, s24, s2
	s_lshl_b64 s[2:3], s[2:3], 4
	s_lshl_b64 s[10:11], s[10:11], 4
	s_add_u32 s8, s8, s10
	s_addc_u32 s9, s9, s11
	s_add_u32 s2, s8, s2
	v_mad_i64_i32 v[2:3], s[24:25], s0, v0, 0
	s_addc_u32 s3, s9, s3
	v_lshl_add_u64 v[6:7], v[2:3], 4, s[2:3]
	s_mov_b64 s[2:3], 0x78
	v_cndmask_b32_e64 v1, 0, 1, s[4:5]
	v_cndmask_b32_e64 v2, 0, 1, s[28:29]
	;; [unrolled: 1-line block ×3, first 2 shown]
	s_mov_b32 s13, 0
	v_lshl_add_u64 v[8:9], v[6:7], 0, s[2:3]
	s_lshl_b64 s[8:9], s[0:1], 12
	s_mov_b64 s[10:11], 0x80
	v_cmp_ne_u32_e64 s[0:1], 1, v1
	v_cmp_ne_u32_e64 s[2:3], 1, v2
	;; [unrolled: 1-line block ×3, first 2 shown]
	s_mov_b32 s27, 0
	s_branch .LBB160_25
.LBB160_23:                             ;   in Loop: Header=BB160_25 Depth=1
	global_store_dwordx4 v[10:11], v[2:5], off
.LBB160_24:                             ;   in Loop: Header=BB160_25 Depth=1
	s_or_b64 exec, exec, s[24:25]
	s_addk_i32 s27, 0x100
	v_lshl_add_u64 v[8:9], v[8:9], 0, s[8:9]
	s_cmp_ge_i32 s27, s17
	v_lshl_add_u64 v[6:7], v[6:7], 0, s[8:9]
	s_cbranch_scc1 .LBB160_36
.LBB160_25:                             ; =>This Loop Header: Depth=1
                                        ;     Child Loop BB160_31 Depth 2
                                        ;     Child Loop BB160_35 Depth 2
	v_add_u32_e32 v1, s27, v0
	v_cmp_gt_i32_e32 vcc, s17, v1
	s_and_saveexec_b64 s[24:25], vcc
	s_cbranch_execz .LBB160_24
; %bb.26:                               ;   in Loop: Header=BB160_25 Depth=1
	v_mad_u64_u32 v[4:5], s[28:29], v1, s14, 0
	v_mov_b32_e32 v2, v5
	v_mad_u64_u32 v[2:3], s[28:29], v1, s15, v[2:3]
	v_mov_b32_e32 v5, v2
	v_mov_b64_e32 v[2:3], 0
	s_and_b64 vcc, exec, s[0:1]
	v_lshl_add_u64 v[10:11], v[4:5], 4, s[6:7]
	v_mov_b64_e32 v[4:5], v[2:3]
	s_cbranch_vccnz .LBB160_28
; %bb.27:                               ;   in Loop: Header=BB160_25 Depth=1
	global_load_dwordx4 v[12:15], v[10:11], off
	s_waitcnt vmcnt(0)
	v_mul_f64 v[2:3], s[22:23], v[14:15]
	v_mul_f64 v[4:5], s[20:21], v[14:15]
	v_fma_f64 v[2:3], s[20:21], v[12:13], -v[2:3]
	v_fmac_f64_e32 v[4:5], s[22:23], v[12:13]
.LBB160_28:                             ;   in Loop: Header=BB160_25 Depth=1
	s_and_b64 vcc, exec, s[2:3]
	s_cbranch_vccnz .LBB160_23
; %bb.29:                               ;   in Loop: Header=BB160_25 Depth=1
	s_mov_b32 s12, 0
	s_and_b64 vcc, exec, s[4:5]
	s_cbranch_vccnz .LBB160_33
; %bb.30:                               ;   in Loop: Header=BB160_25 Depth=1
	s_mov_b32 s28, 0
	v_mov_b64_e32 v[12:13], v[8:9]
.LBB160_31:                             ;   Parent Loop BB160_25 Depth=1
                                        ; =>  This Inner Loop Header: Depth=2
	global_load_dwordx4 v[14:17], v[12:13], off offset:-120
	global_load_dwordx4 v[18:21], v[12:13], off offset:-104
	;; [unrolled: 1-line block ×8, first 2 shown]
	v_mov_b32_e32 v1, s12
	ds_read_b128 v[46:49], v1
	ds_read_b128 v[50:53], v1 offset:16
	s_add_i32 s28, s28, 8
	s_addk_i32 s12, 0x80
	v_lshl_add_u64 v[12:13], v[12:13], 0, s[10:11]
	s_cmp_eq_u32 s16, s28
	s_waitcnt vmcnt(7) lgkmcnt(1)
	v_mul_f64 v[54:55], v[16:17], v[48:49]
	v_mul_f64 v[48:49], v[14:15], v[48:49]
	v_fma_f64 v[54:55], v[14:15], v[46:47], -v[54:55]
	v_fmac_f64_e32 v[48:49], v[16:17], v[46:47]
	ds_read_b128 v[14:17], v1 offset:32
	s_waitcnt vmcnt(6) lgkmcnt(1)
	v_mul_f64 v[46:47], v[20:21], v[52:53]
	v_mul_f64 v[52:53], v[18:19], v[52:53]
	v_fma_f64 v[46:47], v[18:19], v[50:51], -v[46:47]
	v_fmac_f64_e32 v[52:53], v[20:21], v[50:51]
	ds_read_b128 v[18:21], v1 offset:48
	;; [unrolled: 6-line block ×6, first 2 shown]
	v_add_f64 v[2:3], v[2:3], v[54:55]
	v_add_f64 v[4:5], v[4:5], v[48:49]
	;; [unrolled: 1-line block ×8, first 2 shown]
	s_waitcnt vmcnt(1) lgkmcnt(1)
	v_mul_f64 v[34:35], v[40:41], v[16:17]
	v_mul_f64 v[16:17], v[38:39], v[16:17]
	v_add_f64 v[2:3], v[2:3], v[26:27]
	v_add_f64 v[4:5], v[4:5], v[28:29]
	s_waitcnt vmcnt(0) lgkmcnt(0)
	v_mul_f64 v[36:37], v[44:45], v[20:21]
	v_fma_f64 v[34:35], v[38:39], v[14:15], -v[34:35]
	v_fmac_f64_e32 v[16:17], v[40:41], v[14:15]
	v_mul_f64 v[14:15], v[42:43], v[20:21]
	v_add_f64 v[2:3], v[2:3], v[30:31]
	v_add_f64 v[4:5], v[4:5], v[32:33]
	v_fma_f64 v[20:21], v[42:43], v[18:19], -v[36:37]
	v_fmac_f64_e32 v[14:15], v[44:45], v[18:19]
	v_add_f64 v[2:3], v[2:3], v[34:35]
	v_add_f64 v[4:5], v[4:5], v[16:17]
	;; [unrolled: 1-line block ×4, first 2 shown]
	s_cbranch_scc0 .LBB160_31
; %bb.32:                               ;   in Loop: Header=BB160_25 Depth=1
	s_mov_b32 s12, s16
.LBB160_33:                             ;   in Loop: Header=BB160_25 Depth=1
	s_andn2_b64 vcc, exec, s[18:19]
	s_cbranch_vccnz .LBB160_23
; %bb.34:                               ;   in Loop: Header=BB160_25 Depth=1
	s_lshl_b32 s28, s12, 4
	v_lshl_add_u64 v[12:13], s[12:13], 4, v[6:7]
	s_mov_b32 s12, s26
.LBB160_35:                             ;   Parent Loop BB160_25 Depth=1
                                        ; =>  This Inner Loop Header: Depth=2
	global_load_dwordx4 v[14:17], v[12:13], off
	v_mov_b32_e32 v1, s28
	ds_read_b128 v[18:21], v1
	s_add_i32 s28, s28, 16
	s_add_i32 s12, s12, -1
	v_lshl_add_u64 v[12:13], v[12:13], 0, 16
	s_cmp_lg_u32 s12, 0
	s_waitcnt vmcnt(0) lgkmcnt(0)
	v_mul_f64 v[22:23], v[16:17], v[20:21]
	v_mul_f64 v[20:21], v[14:15], v[20:21]
	v_fma_f64 v[14:15], v[14:15], v[18:19], -v[22:23]
	v_fmac_f64_e32 v[20:21], v[16:17], v[18:19]
	v_add_f64 v[2:3], v[2:3], v[14:15]
	v_add_f64 v[4:5], v[4:5], v[20:21]
	s_cbranch_scc1 .LBB160_35
	s_branch .LBB160_23
.LBB160_36:
	s_endpgm
	.section	.rodata,"a",@progbits
	.p2align	6, 0x0
	.amdhsa_kernel _ZL22rocblas_gemvtsm_kernelILb0ELi256E19rocblas_complex_numIdEPKS1_S1_EviiT2_lPKT1_lilS7_lilS4_lPT3_lil
		.amdhsa_group_segment_fixed_size 1024
		.amdhsa_private_segment_fixed_size 0
		.amdhsa_kernarg_size 136
		.amdhsa_user_sgpr_count 2
		.amdhsa_user_sgpr_dispatch_ptr 0
		.amdhsa_user_sgpr_queue_ptr 0
		.amdhsa_user_sgpr_kernarg_segment_ptr 1
		.amdhsa_user_sgpr_dispatch_id 0
		.amdhsa_user_sgpr_kernarg_preload_length 0
		.amdhsa_user_sgpr_kernarg_preload_offset 0
		.amdhsa_user_sgpr_private_segment_size 0
		.amdhsa_uses_dynamic_stack 0
		.amdhsa_enable_private_segment 0
		.amdhsa_system_sgpr_workgroup_id_x 1
		.amdhsa_system_sgpr_workgroup_id_y 0
		.amdhsa_system_sgpr_workgroup_id_z 0
		.amdhsa_system_sgpr_workgroup_info 0
		.amdhsa_system_vgpr_workitem_id 0
		.amdhsa_next_free_vgpr 58
		.amdhsa_next_free_sgpr 38
		.amdhsa_accum_offset 60
		.amdhsa_reserve_vcc 1
		.amdhsa_float_round_mode_32 0
		.amdhsa_float_round_mode_16_64 0
		.amdhsa_float_denorm_mode_32 3
		.amdhsa_float_denorm_mode_16_64 3
		.amdhsa_dx10_clamp 1
		.amdhsa_ieee_mode 1
		.amdhsa_fp16_overflow 0
		.amdhsa_tg_split 0
		.amdhsa_exception_fp_ieee_invalid_op 0
		.amdhsa_exception_fp_denorm_src 0
		.amdhsa_exception_fp_ieee_div_zero 0
		.amdhsa_exception_fp_ieee_overflow 0
		.amdhsa_exception_fp_ieee_underflow 0
		.amdhsa_exception_fp_ieee_inexact 0
		.amdhsa_exception_int_div_zero 0
	.end_amdhsa_kernel
	.section	.text._ZL22rocblas_gemvtsm_kernelILb0ELi256E19rocblas_complex_numIdEPKS1_S1_EviiT2_lPKT1_lilS7_lilS4_lPT3_lil,"axG",@progbits,_ZL22rocblas_gemvtsm_kernelILb0ELi256E19rocblas_complex_numIdEPKS1_S1_EviiT2_lPKT1_lilS7_lilS4_lPT3_lil,comdat
.Lfunc_end160:
	.size	_ZL22rocblas_gemvtsm_kernelILb0ELi256E19rocblas_complex_numIdEPKS1_S1_EviiT2_lPKT1_lilS7_lilS4_lPT3_lil, .Lfunc_end160-_ZL22rocblas_gemvtsm_kernelILb0ELi256E19rocblas_complex_numIdEPKS1_S1_EviiT2_lPKT1_lilS7_lilS4_lPT3_lil
                                        ; -- End function
	.section	.AMDGPU.csdata,"",@progbits
; Kernel info:
; codeLenInByte = 1848
; NumSgprs: 44
; NumVgprs: 58
; NumAgprs: 0
; TotalNumVgprs: 58
; ScratchSize: 0
; MemoryBound: 0
; FloatMode: 240
; IeeeMode: 1
; LDSByteSize: 1024 bytes/workgroup (compile time only)
; SGPRBlocks: 5
; VGPRBlocks: 7
; NumSGPRsForWavesPerEU: 44
; NumVGPRsForWavesPerEU: 58
; AccumOffset: 60
; Occupancy: 8
; WaveLimiterHint : 1
; COMPUTE_PGM_RSRC2:SCRATCH_EN: 0
; COMPUTE_PGM_RSRC2:USER_SGPR: 2
; COMPUTE_PGM_RSRC2:TRAP_HANDLER: 0
; COMPUTE_PGM_RSRC2:TGID_X_EN: 1
; COMPUTE_PGM_RSRC2:TGID_Y_EN: 0
; COMPUTE_PGM_RSRC2:TGID_Z_EN: 0
; COMPUTE_PGM_RSRC2:TIDIG_COMP_CNT: 0
; COMPUTE_PGM_RSRC3_GFX90A:ACCUM_OFFSET: 14
; COMPUTE_PGM_RSRC3_GFX90A:TG_SPLIT: 0
	.section	.text._ZL22rocblas_gemvtsm_kernelILb0ELi256E19rocblas_complex_numIdES1_S1_EviiT2_lPKT1_lilS5_lilS2_lPT3_lil,"axG",@progbits,_ZL22rocblas_gemvtsm_kernelILb0ELi256E19rocblas_complex_numIdES1_S1_EviiT2_lPKT1_lilS5_lilS2_lPT3_lil,comdat
	.globl	_ZL22rocblas_gemvtsm_kernelILb0ELi256E19rocblas_complex_numIdES1_S1_EviiT2_lPKT1_lilS5_lilS2_lPT3_lil ; -- Begin function _ZL22rocblas_gemvtsm_kernelILb0ELi256E19rocblas_complex_numIdES1_S1_EviiT2_lPKT1_lilS5_lilS2_lPT3_lil
	.p2align	8
	.type	_ZL22rocblas_gemvtsm_kernelILb0ELi256E19rocblas_complex_numIdES1_S1_EviiT2_lPKT1_lilS5_lilS2_lPT3_lil,@function
_ZL22rocblas_gemvtsm_kernelILb0ELi256E19rocblas_complex_numIdES1_S1_EviiT2_lPKT1_lilS5_lilS2_lPT3_lil: ; @_ZL22rocblas_gemvtsm_kernelILb0ELi256E19rocblas_complex_numIdES1_S1_EviiT2_lPKT1_lilS5_lilS2_lPT3_lil
; %bb.0:
	s_load_dwordx4 s[8:11], s[0:1], 0x8
	s_load_dwordx4 s[4:7], s[0:1], 0x58
	s_load_dwordx2 s[20:21], s[0:1], 0x68
	s_waitcnt lgkmcnt(0)
	v_cmp_neq_f64_e64 s[12:13], s[8:9], 0
	v_cmp_neq_f64_e64 s[14:15], s[10:11], 0
	s_or_b64 s[16:17], s[12:13], s[14:15]
	s_mov_b64 s[12:13], -1
	s_and_b64 vcc, exec, s[16:17]
	s_cbranch_vccnz .LBB161_2
; %bb.1:
	v_cmp_neq_f64_e64 s[12:13], s[6:7], 1.0
	v_cmp_neq_f64_e64 s[14:15], s[20:21], 0
	s_or_b64 s[12:13], s[12:13], s[14:15]
.LBB161_2:
	s_andn2_b64 vcc, exec, s[12:13]
	s_cbranch_vccnz .LBB161_36
; %bb.3:
	s_load_dwordx2 s[18:19], s[0:1], 0x90
	s_load_dword s22, s[0:1], 0x88
	s_load_dwordx2 s[24:25], s[0:1], 0x0
	s_load_dwordx4 s[12:15], s[0:1], 0x78
	s_xor_b64 s[16:17], s[16:17], -1
	s_waitcnt lgkmcnt(0)
	s_mul_i32 s3, s2, s19
	s_mul_hi_u32 s19, s2, s18
	s_add_i32 s27, s19, s3
	s_mul_i32 s26, s2, s18
	s_andn2_b64 vcc, exec, s[16:17]
	s_mov_b64 s[16:17], -1
	s_cbranch_vccnz .LBB161_18
; %bb.4:
	v_cmp_neq_f64_e64 s[16:17], s[6:7], 0
	v_cmp_neq_f64_e64 s[18:19], s[20:21], 0
	s_or_b64 s[28:29], s[16:17], s[18:19]
	s_cmp_gt_i32 s25, 0
	s_mov_b64 s[18:19], -1
	s_cselect_b64 s[16:17], -1, 0
	s_and_b64 vcc, exec, s[28:29]
	s_cbranch_vccnz .LBB161_11
; %bb.5:
	s_andn2_b64 vcc, exec, s[16:17]
	s_cbranch_vccnz .LBB161_10
; %bb.6:
	v_mad_i64_i32 v[2:3], s[28:29], s22, v0, 0
	s_ashr_i32 s23, s22, 31
	s_lshl_b64 s[18:19], s[26:27], 4
	s_lshl_b64 s[28:29], s[14:15], 4
	s_add_u32 s3, s12, s28
	s_addc_u32 s28, s13, s29
	s_add_u32 s18, s3, s18
	s_addc_u32 s19, s28, s19
	v_lshl_add_u64 v[2:3], v[2:3], 4, s[18:19]
	v_lshl_add_u64 v[6:7], v[2:3], 0, 8
	s_lshl_b64 s[18:19], s[22:23], 12
	s_mov_b32 s3, 0
	v_mov_b32_e32 v2, 0
	s_branch .LBB161_8
.LBB161_7:                              ;   in Loop: Header=BB161_8 Depth=1
	s_or_b64 exec, exec, s[28:29]
	s_addk_i32 s3, 0x100
	s_cmp_ge_i32 s3, s25
	v_lshl_add_u64 v[6:7], v[6:7], 0, s[18:19]
	s_cbranch_scc1 .LBB161_10
.LBB161_8:                              ; =>This Inner Loop Header: Depth=1
	v_add_u32_e32 v1, s3, v0
	v_cmp_gt_i32_e32 vcc, s25, v1
	s_and_saveexec_b64 s[28:29], vcc
	s_cbranch_execz .LBB161_7
; %bb.9:                                ;   in Loop: Header=BB161_8 Depth=1
	v_mov_b32_e32 v3, v2
	v_mov_b32_e32 v4, v2
	;; [unrolled: 1-line block ×3, first 2 shown]
	global_store_dwordx4 v[6:7], v[2:5], off offset:-8
	s_branch .LBB161_7
.LBB161_10:
	s_mov_b64 s[18:19], 0
.LBB161_11:
	s_andn2_b64 vcc, exec, s[18:19]
	s_cbranch_vccnz .LBB161_17
; %bb.12:
	s_andn2_b64 vcc, exec, s[16:17]
	s_cbranch_vccnz .LBB161_17
; %bb.13:
	v_mad_i64_i32 v[2:3], s[18:19], s22, v0, 0
	s_ashr_i32 s23, s22, 31
	s_lshl_b64 s[16:17], s[26:27], 4
	s_lshl_b64 s[18:19], s[14:15], 4
	s_add_u32 s3, s12, s18
	s_addc_u32 s18, s13, s19
	s_add_u32 s16, s3, s16
	s_addc_u32 s17, s18, s17
	v_lshl_add_u64 v[2:3], v[2:3], 4, s[16:17]
	v_lshl_add_u64 v[2:3], v[2:3], 0, 8
	s_lshl_b64 s[16:17], s[22:23], 12
	s_mov_b32 s3, 0
	s_branch .LBB161_15
.LBB161_14:                             ;   in Loop: Header=BB161_15 Depth=1
	s_or_b64 exec, exec, s[18:19]
	s_addk_i32 s3, 0x100
	s_cmp_ge_i32 s3, s25
	v_lshl_add_u64 v[2:3], v[2:3], 0, s[16:17]
	s_cbranch_scc1 .LBB161_17
.LBB161_15:                             ; =>This Inner Loop Header: Depth=1
	v_add_u32_e32 v1, s3, v0
	v_cmp_gt_i32_e32 vcc, s25, v1
	s_and_saveexec_b64 s[18:19], vcc
	s_cbranch_execz .LBB161_14
; %bb.16:                               ;   in Loop: Header=BB161_15 Depth=1
	global_load_dwordx4 v[4:7], v[2:3], off offset:-8
	s_waitcnt vmcnt(0)
	v_mul_f64 v[10:11], s[20:21], v[6:7]
	v_mul_f64 v[8:9], s[6:7], v[6:7]
	v_fma_f64 v[6:7], s[6:7], v[4:5], -v[10:11]
	v_fmac_f64_e32 v[8:9], s[20:21], v[4:5]
	global_store_dwordx4 v[2:3], v[6:9], off offset:-8
	s_branch .LBB161_14
.LBB161_17:
	s_mov_b64 s[16:17], 0
.LBB161_18:
	s_andn2_b64 vcc, exec, s[16:17]
	s_cbranch_vccnz .LBB161_36
; %bb.19:
	s_load_dwordx4 s[16:19], s[0:1], 0x38
	s_load_dwordx2 s[30:31], s[0:1], 0x48
	v_cmp_gt_i32_e32 vcc, s24, v0
	s_and_saveexec_b64 s[28:29], vcc
	s_cbranch_execz .LBB161_21
; %bb.20:
	s_mul_i32 s3, s2, s5
	s_mul_hi_u32 s5, s2, s4
	s_add_i32 s5, s5, s3
	s_mul_i32 s4, s2, s4
	s_lshl_b64 s[4:5], s[4:5], 4
	s_waitcnt lgkmcnt(0)
	s_add_u32 s3, s18, s4
	s_addc_u32 s18, s19, s5
	s_load_dword s19, s[0:1], 0x50
	s_lshl_b64 s[4:5], s[30:31], 4
	s_add_u32 s4, s3, s4
	s_addc_u32 s5, s18, s5
	v_lshlrev_b32_e32 v1, 4, v0
	s_waitcnt lgkmcnt(0)
	v_mad_i64_i32 v[2:3], s[18:19], s19, v0, 0
	v_lshl_add_u64 v[2:3], v[2:3], 4, s[4:5]
	global_load_dwordx4 v[2:5], v[2:3], off
	s_waitcnt vmcnt(0)
	v_mul_f64 v[8:9], s[10:11], v[4:5]
	v_mul_f64 v[6:7], s[8:9], v[4:5]
	v_fma_f64 v[4:5], s[8:9], v[2:3], -v[8:9]
	v_fmac_f64_e32 v[6:7], s[10:11], v[2:3]
	ds_write_b128 v1, v[4:7]
.LBB161_21:
	s_or_b64 exec, exec, s[28:29]
	s_cmp_lt_i32 s25, 1
	s_waitcnt lgkmcnt(0)
	s_barrier
	s_cbranch_scc1 .LBB161_36
; %bb.22:
	s_lshl_b64 s[4:5], s[26:27], 4
	s_add_u32 s3, s12, s4
	s_load_dwordx4 s[28:31], s[0:1], 0x20
	s_load_dword s4, s[0:1], 0x30
	s_addc_u32 s5, s13, s5
	s_lshl_b64 s[0:1], s[14:15], 4
	s_add_u32 s8, s3, s0
	s_addc_u32 s9, s5, s1
	v_cmp_neq_f64_e64 s[0:1], s[6:7], 0
	v_cmp_neq_f64_e64 s[12:13], s[20:21], 0
	s_waitcnt lgkmcnt(0)
	s_ashr_i32 s5, s4, 31
	s_ashr_i32 s23, s22, 31
	s_or_b64 s[0:1], s[0:1], s[12:13]
	s_cmp_gt_i32 s24, 0
	s_cselect_b64 s[18:19], -1, 0
	s_and_b32 s26, s24, 7
	s_cmp_gt_u32 s24, 7
	s_cselect_b64 s[34:35], -1, 0
	s_and_b32 s24, s24, 0x7ffffff8
	s_cmp_lg_u32 s26, 0
	s_mul_i32 s3, s17, s2
	s_mul_hi_u32 s10, s16, s2
	s_cselect_b64 s[12:13], -1, 0
	s_add_i32 s3, s10, s3
	s_mul_i32 s2, s16, s2
	v_mad_i64_i32 v[2:3], s[14:15], s4, v0, 0
	s_lshl_b64 s[2:3], s[2:3], 4
	s_lshl_b64 s[14:15], s[30:31], 4
	s_add_u32 s10, s28, s14
	s_addc_u32 s14, s29, s15
	s_add_u32 s2, s10, s2
	s_addc_u32 s3, s14, s3
	v_cndmask_b32_e64 v1, 0, 1, s[0:1]
	v_lshl_add_u64 v[6:7], v[2:3], 4, s[2:3]
	s_mov_b64 s[2:3], 0x78
	v_cmp_ne_u32_e64 s[0:1], 1, v1
	v_cndmask_b32_e64 v1, 0, 1, s[18:19]
	v_cndmask_b32_e64 v2, 0, 1, s[34:35]
	s_mov_b32 s11, 0
	v_lshl_add_u64 v[8:9], v[6:7], 0, s[2:3]
	s_lshl_b64 s[14:15], s[4:5], 12
	s_mov_b64 s[16:17], 0x80
	v_cmp_ne_u32_e64 s[2:3], 1, v1
	v_cmp_ne_u32_e64 s[4:5], 1, v2
	s_mov_b32 s27, 0
	s_branch .LBB161_25
.LBB161_23:                             ;   in Loop: Header=BB161_25 Depth=1
	global_store_dwordx4 v[10:11], v[2:5], off
.LBB161_24:                             ;   in Loop: Header=BB161_25 Depth=1
	s_or_b64 exec, exec, s[18:19]
	s_addk_i32 s27, 0x100
	v_lshl_add_u64 v[8:9], v[8:9], 0, s[14:15]
	s_cmp_ge_i32 s27, s25
	v_lshl_add_u64 v[6:7], v[6:7], 0, s[14:15]
	s_cbranch_scc1 .LBB161_36
.LBB161_25:                             ; =>This Loop Header: Depth=1
                                        ;     Child Loop BB161_31 Depth 2
                                        ;     Child Loop BB161_35 Depth 2
	v_add_u32_e32 v1, s27, v0
	v_cmp_gt_i32_e32 vcc, s25, v1
	s_and_saveexec_b64 s[18:19], vcc
	s_cbranch_execz .LBB161_24
; %bb.26:                               ;   in Loop: Header=BB161_25 Depth=1
	v_mad_u64_u32 v[4:5], s[28:29], v1, s22, 0
	v_mov_b32_e32 v2, v5
	v_mad_u64_u32 v[2:3], s[28:29], v1, s23, v[2:3]
	v_mov_b32_e32 v5, v2
	v_mov_b64_e32 v[2:3], 0
	s_and_b64 vcc, exec, s[0:1]
	v_lshl_add_u64 v[10:11], v[4:5], 4, s[8:9]
	v_mov_b64_e32 v[4:5], v[2:3]
	s_cbranch_vccnz .LBB161_28
; %bb.27:                               ;   in Loop: Header=BB161_25 Depth=1
	global_load_dwordx4 v[12:15], v[10:11], off
	s_waitcnt vmcnt(0)
	v_mul_f64 v[2:3], s[20:21], v[14:15]
	v_mul_f64 v[4:5], s[6:7], v[14:15]
	v_fma_f64 v[2:3], s[6:7], v[12:13], -v[2:3]
	v_fmac_f64_e32 v[4:5], s[20:21], v[12:13]
.LBB161_28:                             ;   in Loop: Header=BB161_25 Depth=1
	s_and_b64 vcc, exec, s[2:3]
	s_cbranch_vccnz .LBB161_23
; %bb.29:                               ;   in Loop: Header=BB161_25 Depth=1
	s_mov_b32 s10, 0
	s_and_b64 vcc, exec, s[4:5]
	s_cbranch_vccnz .LBB161_33
; %bb.30:                               ;   in Loop: Header=BB161_25 Depth=1
	s_mov_b32 s28, 0
	v_mov_b64_e32 v[12:13], v[8:9]
.LBB161_31:                             ;   Parent Loop BB161_25 Depth=1
                                        ; =>  This Inner Loop Header: Depth=2
	global_load_dwordx4 v[14:17], v[12:13], off offset:-120
	global_load_dwordx4 v[18:21], v[12:13], off offset:-104
	;; [unrolled: 1-line block ×8, first 2 shown]
	v_mov_b32_e32 v1, s10
	ds_read_b128 v[46:49], v1
	ds_read_b128 v[50:53], v1 offset:16
	s_add_i32 s28, s28, 8
	s_addk_i32 s10, 0x80
	v_lshl_add_u64 v[12:13], v[12:13], 0, s[16:17]
	s_cmp_eq_u32 s24, s28
	s_waitcnt vmcnt(7) lgkmcnt(1)
	v_mul_f64 v[54:55], v[16:17], v[48:49]
	v_mul_f64 v[48:49], v[14:15], v[48:49]
	v_fma_f64 v[54:55], v[14:15], v[46:47], -v[54:55]
	v_fmac_f64_e32 v[48:49], v[16:17], v[46:47]
	ds_read_b128 v[14:17], v1 offset:32
	s_waitcnt vmcnt(6) lgkmcnt(1)
	v_mul_f64 v[46:47], v[20:21], v[52:53]
	v_mul_f64 v[52:53], v[18:19], v[52:53]
	v_fma_f64 v[46:47], v[18:19], v[50:51], -v[46:47]
	v_fmac_f64_e32 v[52:53], v[20:21], v[50:51]
	ds_read_b128 v[18:21], v1 offset:48
	;; [unrolled: 6-line block ×6, first 2 shown]
	v_add_f64 v[2:3], v[2:3], v[54:55]
	v_add_f64 v[4:5], v[4:5], v[48:49]
	;; [unrolled: 1-line block ×8, first 2 shown]
	s_waitcnt vmcnt(1) lgkmcnt(1)
	v_mul_f64 v[34:35], v[40:41], v[16:17]
	v_mul_f64 v[16:17], v[38:39], v[16:17]
	v_add_f64 v[2:3], v[2:3], v[26:27]
	v_add_f64 v[4:5], v[4:5], v[28:29]
	s_waitcnt vmcnt(0) lgkmcnt(0)
	v_mul_f64 v[36:37], v[44:45], v[20:21]
	v_fma_f64 v[34:35], v[38:39], v[14:15], -v[34:35]
	v_fmac_f64_e32 v[16:17], v[40:41], v[14:15]
	v_mul_f64 v[14:15], v[42:43], v[20:21]
	v_add_f64 v[2:3], v[2:3], v[30:31]
	v_add_f64 v[4:5], v[4:5], v[32:33]
	v_fma_f64 v[20:21], v[42:43], v[18:19], -v[36:37]
	v_fmac_f64_e32 v[14:15], v[44:45], v[18:19]
	v_add_f64 v[2:3], v[2:3], v[34:35]
	v_add_f64 v[4:5], v[4:5], v[16:17]
	;; [unrolled: 1-line block ×4, first 2 shown]
	s_cbranch_scc0 .LBB161_31
; %bb.32:                               ;   in Loop: Header=BB161_25 Depth=1
	s_mov_b32 s10, s24
.LBB161_33:                             ;   in Loop: Header=BB161_25 Depth=1
	s_andn2_b64 vcc, exec, s[12:13]
	s_cbranch_vccnz .LBB161_23
; %bb.34:                               ;   in Loop: Header=BB161_25 Depth=1
	s_lshl_b32 s28, s10, 4
	v_lshl_add_u64 v[12:13], s[10:11], 4, v[6:7]
	s_mov_b32 s10, s26
.LBB161_35:                             ;   Parent Loop BB161_25 Depth=1
                                        ; =>  This Inner Loop Header: Depth=2
	global_load_dwordx4 v[14:17], v[12:13], off
	v_mov_b32_e32 v1, s28
	ds_read_b128 v[18:21], v1
	s_add_i32 s28, s28, 16
	s_add_i32 s10, s10, -1
	v_lshl_add_u64 v[12:13], v[12:13], 0, 16
	s_cmp_lg_u32 s10, 0
	s_waitcnt vmcnt(0) lgkmcnt(0)
	v_mul_f64 v[22:23], v[16:17], v[20:21]
	v_mul_f64 v[20:21], v[14:15], v[20:21]
	v_fma_f64 v[14:15], v[14:15], v[18:19], -v[22:23]
	v_fmac_f64_e32 v[20:21], v[16:17], v[18:19]
	v_add_f64 v[2:3], v[2:3], v[14:15]
	v_add_f64 v[4:5], v[4:5], v[20:21]
	s_cbranch_scc1 .LBB161_35
	s_branch .LBB161_23
.LBB161_36:
	s_endpgm
	.section	.rodata,"a",@progbits
	.p2align	6, 0x0
	.amdhsa_kernel _ZL22rocblas_gemvtsm_kernelILb0ELi256E19rocblas_complex_numIdES1_S1_EviiT2_lPKT1_lilS5_lilS2_lPT3_lil
		.amdhsa_group_segment_fixed_size 1024
		.amdhsa_private_segment_fixed_size 0
		.amdhsa_kernarg_size 152
		.amdhsa_user_sgpr_count 2
		.amdhsa_user_sgpr_dispatch_ptr 0
		.amdhsa_user_sgpr_queue_ptr 0
		.amdhsa_user_sgpr_kernarg_segment_ptr 1
		.amdhsa_user_sgpr_dispatch_id 0
		.amdhsa_user_sgpr_kernarg_preload_length 0
		.amdhsa_user_sgpr_kernarg_preload_offset 0
		.amdhsa_user_sgpr_private_segment_size 0
		.amdhsa_uses_dynamic_stack 0
		.amdhsa_enable_private_segment 0
		.amdhsa_system_sgpr_workgroup_id_x 1
		.amdhsa_system_sgpr_workgroup_id_y 0
		.amdhsa_system_sgpr_workgroup_id_z 0
		.amdhsa_system_sgpr_workgroup_info 0
		.amdhsa_system_vgpr_workitem_id 0
		.amdhsa_next_free_vgpr 58
		.amdhsa_next_free_sgpr 36
		.amdhsa_accum_offset 60
		.amdhsa_reserve_vcc 1
		.amdhsa_float_round_mode_32 0
		.amdhsa_float_round_mode_16_64 0
		.amdhsa_float_denorm_mode_32 3
		.amdhsa_float_denorm_mode_16_64 3
		.amdhsa_dx10_clamp 1
		.amdhsa_ieee_mode 1
		.amdhsa_fp16_overflow 0
		.amdhsa_tg_split 0
		.amdhsa_exception_fp_ieee_invalid_op 0
		.amdhsa_exception_fp_denorm_src 0
		.amdhsa_exception_fp_ieee_div_zero 0
		.amdhsa_exception_fp_ieee_overflow 0
		.amdhsa_exception_fp_ieee_underflow 0
		.amdhsa_exception_fp_ieee_inexact 0
		.amdhsa_exception_int_div_zero 0
	.end_amdhsa_kernel
	.section	.text._ZL22rocblas_gemvtsm_kernelILb0ELi256E19rocblas_complex_numIdES1_S1_EviiT2_lPKT1_lilS5_lilS2_lPT3_lil,"axG",@progbits,_ZL22rocblas_gemvtsm_kernelILb0ELi256E19rocblas_complex_numIdES1_S1_EviiT2_lPKT1_lilS5_lilS2_lPT3_lil,comdat
.Lfunc_end161:
	.size	_ZL22rocblas_gemvtsm_kernelILb0ELi256E19rocblas_complex_numIdES1_S1_EviiT2_lPKT1_lilS5_lilS2_lPT3_lil, .Lfunc_end161-_ZL22rocblas_gemvtsm_kernelILb0ELi256E19rocblas_complex_numIdES1_S1_EviiT2_lPKT1_lilS5_lilS2_lPT3_lil
                                        ; -- End function
	.section	.AMDGPU.csdata,"",@progbits
; Kernel info:
; codeLenInByte = 1788
; NumSgprs: 42
; NumVgprs: 58
; NumAgprs: 0
; TotalNumVgprs: 58
; ScratchSize: 0
; MemoryBound: 0
; FloatMode: 240
; IeeeMode: 1
; LDSByteSize: 1024 bytes/workgroup (compile time only)
; SGPRBlocks: 5
; VGPRBlocks: 7
; NumSGPRsForWavesPerEU: 42
; NumVGPRsForWavesPerEU: 58
; AccumOffset: 60
; Occupancy: 8
; WaveLimiterHint : 1
; COMPUTE_PGM_RSRC2:SCRATCH_EN: 0
; COMPUTE_PGM_RSRC2:USER_SGPR: 2
; COMPUTE_PGM_RSRC2:TRAP_HANDLER: 0
; COMPUTE_PGM_RSRC2:TGID_X_EN: 1
; COMPUTE_PGM_RSRC2:TGID_Y_EN: 0
; COMPUTE_PGM_RSRC2:TGID_Z_EN: 0
; COMPUTE_PGM_RSRC2:TIDIG_COMP_CNT: 0
; COMPUTE_PGM_RSRC3_GFX90A:ACCUM_OFFSET: 14
; COMPUTE_PGM_RSRC3_GFX90A:TG_SPLIT: 0
	.section	.text._ZL23rocblas_gemvt_sn_kernelILb0ELi256ELi4Ei19rocblas_complex_numIdEPKS1_S1_EviiT4_lPKT3_lilS7_lilPT5_i,"axG",@progbits,_ZL23rocblas_gemvt_sn_kernelILb0ELi256ELi4Ei19rocblas_complex_numIdEPKS1_S1_EviiT4_lPKT3_lilS7_lilPT5_i,comdat
	.globl	_ZL23rocblas_gemvt_sn_kernelILb0ELi256ELi4Ei19rocblas_complex_numIdEPKS1_S1_EviiT4_lPKT3_lilS7_lilPT5_i ; -- Begin function _ZL23rocblas_gemvt_sn_kernelILb0ELi256ELi4Ei19rocblas_complex_numIdEPKS1_S1_EviiT4_lPKT3_lilS7_lilPT5_i
	.p2align	8
	.type	_ZL23rocblas_gemvt_sn_kernelILb0ELi256ELi4Ei19rocblas_complex_numIdEPKS1_S1_EviiT4_lPKT3_lilS7_lilPT5_i,@function
_ZL23rocblas_gemvt_sn_kernelILb0ELi256ELi4Ei19rocblas_complex_numIdEPKS1_S1_EviiT4_lPKT3_lilS7_lilPT5_i: ; @_ZL23rocblas_gemvt_sn_kernelILb0ELi256ELi4Ei19rocblas_complex_numIdEPKS1_S1_EviiT4_lPKT3_lilS7_lilPT5_i
; %bb.0:
	s_load_dwordx8 s[12:19], s[0:1], 0x8
	s_load_dwordx2 s[24:25], s[0:1], 0x0
	s_mov_b32 s27, 0
	s_waitcnt lgkmcnt(0)
	s_mul_i32 s4, s3, s15
	s_mul_hi_u32 s5, s3, s14
	s_add_i32 s5, s5, s4
	s_mul_i32 s4, s3, s14
	s_lshl_b64 s[4:5], s[4:5], 4
	s_add_u32 s4, s12, s4
	s_addc_u32 s5, s13, s5
	s_load_dwordx4 s[20:23], s[4:5], 0x0
	s_load_dwordx4 s[8:11], s[0:1], 0x50
	s_load_dword s26, s[0:1], 0x68
	s_ashr_i32 s30, s25, 31
	s_mul_hi_u32 s4, s25, s3
	s_mul_i32 s5, s30, s3
	s_add_i32 s4, s4, s5
	s_mul_i32 s5, s25, s3
	s_waitcnt lgkmcnt(0)
	s_mul_i32 s4, s4, s26
	s_mul_hi_u32 s6, s5, s26
	s_add_i32 s7, s6, s4
	s_mul_i32 s6, s5, s26
	v_cmp_neq_f64_e64 s[4:5], s[20:21], 0
	v_cmp_neq_f64_e64 s[12:13], s[22:23], 0
	s_or_b64 s[4:5], s[4:5], s[12:13]
	s_mov_b64 s[12:13], -1
	s_and_b64 vcc, exec, s[4:5]
	v_cmp_eq_u32_e64 s[4:5], 0, v0
	s_cbranch_vccnz .LBB162_5
; %bb.1:
	s_cmp_gt_i32 s25, 0
	s_cselect_b64 s[12:13], -1, 0
	s_and_b64 s[12:13], s[4:5], s[12:13]
	s_and_saveexec_b64 s[4:5], s[12:13]
	s_cbranch_execz .LBB162_4
; %bb.2:
	s_mov_b32 s12, s3
	s_mov_b32 s3, 0
	s_lshl_b64 s[14:15], s[6:7], 4
	s_lshl_b64 s[28:29], s[2:3], 4
	s_mov_b32 s3, s12
	s_add_u32 s12, s14, s28
	s_addc_u32 s13, s15, s29
	s_add_u32 s12, s12, s10
	s_addc_u32 s13, s13, s11
	s_add_u32 s12, s12, 8
	v_mov_b32_e32 v2, 0
	s_addc_u32 s13, s13, 0
	s_lshl_b64 s[14:15], s[26:27], 4
	v_mov_b32_e32 v3, v2
	v_mov_b32_e32 v4, v2
	v_mov_b32_e32 v5, v2
	s_mov_b32 s27, s25
.LBB162_3:                              ; =>This Inner Loop Header: Depth=1
	s_add_i32 s27, s27, -1
	global_store_dwordx4 v2, v[2:5], s[12:13] offset:-8
	s_add_u32 s12, s12, s14
	s_addc_u32 s13, s13, s15
	s_cmp_eq_u32 s27, 0
	s_cbranch_scc0 .LBB162_3
.LBB162_4:
	s_or_b64 exec, exec, s[4:5]
	s_mov_b64 s[12:13], 0
.LBB162_5:
	s_andn2_b64 vcc, exec, s[12:13]
	s_cbranch_vccnz .LBB162_76
; %bb.6:
	s_load_dword s27, s[0:1], 0x28
	s_load_dwordx4 s[12:15], s[0:1], 0x30
	s_load_dwordx2 s[4:5], s[0:1], 0x40
	s_load_dword s33, s[0:1], 0x48
	s_mul_i32 s0, s3, s9
	s_mul_hi_u32 s1, s3, s8
	s_add_i32 s1, s1, s0
	s_mul_i32 s0, s3, s8
	s_lshl_b64 s[0:1], s[0:1], 4
	s_waitcnt lgkmcnt(0)
	s_add_u32 s8, s14, s0
	s_addc_u32 s9, s15, s1
	s_lshl_b64 s[0:1], s[4:5], 4
	s_add_u32 s14, s8, s0
	s_addc_u32 s15, s9, s1
	s_lshl_b64 s[0:1], s[6:7], 4
	s_add_u32 s50, s10, s0
	s_addc_u32 s51, s11, s1
	s_mul_i32 s0, s3, s13
	s_mul_hi_u32 s1, s3, s12
	s_add_i32 s1, s1, s0
	s_mul_i32 s0, s3, s12
	s_lshl_b64 s[28:29], s[0:1], 4
	s_add_u32 s0, s16, s28
	s_addc_u32 s1, s17, s29
	s_lshl_b64 s[18:19], s[18:19], 4
	s_add_u32 s0, s0, s18
	s_addc_u32 s1, s1, s19
	s_lshl_b32 s3, s2, 10
	v_lshl_or_b32 v32, v0, 2, s3
	v_ashrrev_i32_e32 v33, 31, v32
	v_lshl_add_u64 v[28:29], v[32:33], 4, s[0:1]
	s_lshr_b32 s0, s30, 30
	s_add_i32 s0, s25, s0
	s_and_b32 s3, s0, -4
	s_ashr_i32 s0, s24, 31
	s_lshr_b32 s0, s0, 30
	s_add_i32 s0, s24, s0
	s_and_b32 s0, s0, -4
	s_sub_i32 s48, s24, s0
	s_cmp_lt_i32 s3, 1
	v_add_u32_e32 v55, 4, v32
	v_add_u32_e32 v56, s48, v32
	v_and_b32_e32 v1, 63, v0
	v_cmp_gt_u32_e64 s[0:1], 64, v0
	v_mbcnt_lo_u32_b32 v54, -1, 0
	v_cmp_gt_u32_e64 s[4:5], 4, v0
	v_lshrrev_b32_e32 v31, 2, v0
	v_mul_lo_u32 v30, v32, s33
	s_cbranch_scc1 .LBB162_53
; %bb.7:
	v_mbcnt_hi_u32_b32 v2, -1, v54
	v_and_b32_e32 v3, 63, v2
	v_cmp_gt_u32_e32 vcc, 32, v3
	v_mul_lo_u32 v34, v32, s33
	s_cmp_gt_i32 s48, 0
	v_cndmask_b32_e64 v4, 0, 1, vcc
	v_lshlrev_b32_e32 v4, 5, v4
	v_cmp_gt_u32_e32 vcc, 48, v3
	v_add_lshl_u32 v57, v4, v2, 2
	s_cselect_b64 s[34:35], -1, 0
	v_cndmask_b32_e64 v4, 0, 1, vcc
	v_lshlrev_b32_e32 v4, 4, v4
	v_cmp_gt_u32_e32 vcc, 56, v3
	v_add_lshl_u32 v58, v4, v2, 2
	s_lshl_b32 s52, s27, 2
	v_cndmask_b32_e64 v4, 0, 1, vcc
	v_lshlrev_b32_e32 v4, 3, v4
	v_cmp_gt_u32_e32 vcc, 60, v3
	v_add_lshl_u32 v59, v4, v2, 2
	s_lshl_b32 s53, s27, 1
	v_cndmask_b32_e64 v4, 0, 1, vcc
	v_lshlrev_b32_e32 v4, 2, v4
	v_cmp_gt_u32_e32 vcc, 62, v3
	v_add_lshl_u32 v60, v4, v2, 2
	s_add_u32 s30, s28, s18
	v_cndmask_b32_e64 v4, 0, 1, vcc
	v_lshlrev_b32_e32 v4, 1, v4
	v_cmp_ne_u32_e32 vcc, 63, v3
	v_add_lshl_u32 v61, v4, v2, 2
	s_addc_u32 s37, s29, s19
	v_addc_co_u32_e32 v2, vcc, 0, v2, vcc
	v_lshlrev_b32_e32 v62, 2, v2
	v_add_u32_e32 v2, s33, v34
	v_ashrrev_i32_e32 v3, 31, v2
	v_lshl_add_u64 v[38:39], v[2:3], 4, s[14:15]
	v_add_u32_e32 v2, s33, v2
	v_ashrrev_i32_e32 v3, 31, v2
	v_lshl_add_u64 v[40:41], v[2:3], 4, s[14:15]
	v_add_u32_e32 v2, s33, v2
	s_add_u32 s36, s16, s30
	v_ashrrev_i32_e32 v3, 31, v2
	s_addc_u32 s37, s17, s37
	s_mov_b32 s31, 0
	v_ashrrev_i32_e32 v35, 31, v34
	v_mov_b32_e32 v4, 0
	v_lshl_add_u64 v[42:43], v[2:3], 4, s[14:15]
	v_lshl_add_u64 v[2:3], v[32:33], 4, s[36:37]
	v_cmp_ge_i32_e64 s[6:7], s24, v55
	v_cmp_ge_i32_e64 s[8:9], s24, v56
	v_cmp_eq_u32_e64 s[10:11], 0, v1
	v_lshlrev_b32_e32 v63, 4, v1
	v_and_b32_e32 v64, 48, v31
	v_cmp_eq_u32_e64 s[12:13], 0, v0
	v_lshl_add_u64 v[36:37], v[34:35], 4, s[14:15]
	v_add_u32_e32 v35, 16, v4
	v_add_u32_e32 v65, 32, v4
	;; [unrolled: 1-line block ×3, first 2 shown]
	s_mul_i32 s54, s27, 3
	v_lshl_add_u64 v[44:45], v[2:3], 0, 8
	v_mov_b32_e32 v2, 0
	s_mov_b32 s36, s31
	s_mov_b32 s55, s27
	;; [unrolled: 1-line block ×3, first 2 shown]
	s_branch .LBB162_9
.LBB162_8:                              ;   in Loop: Header=BB162_9 Depth=1
	s_or_b64 exec, exec, s[38:39]
	s_add_i32 s49, s49, 4
	s_add_i32 s55, s55, s52
	;; [unrolled: 1-line block ×5, first 2 shown]
	s_cmp_ge_i32 s49, s3
	s_cbranch_scc1 .LBB162_54
.LBB162_9:                              ; =>This Loop Header: Depth=1
                                        ;     Child Loop BB162_40 Depth 2
                                        ;     Child Loop BB162_42 Depth 2
                                        ; implicit-def: $vgpr18_vgpr19
                                        ; implicit-def: $vgpr20_vgpr21
                                        ; implicit-def: $vgpr14_vgpr15
                                        ; implicit-def: $vgpr16_vgpr17
                                        ; implicit-def: $vgpr10_vgpr11
                                        ; implicit-def: $vgpr12_vgpr13
                                        ; implicit-def: $vgpr8_vgpr9
                                        ; implicit-def: $vgpr6_vgpr7
	s_and_saveexec_b64 s[38:39], s[6:7]
	s_xor_b64 s[38:39], exec, s[38:39]
	s_cbranch_execnz .LBB162_36
; %bb.10:                               ;   in Loop: Header=BB162_9 Depth=1
	s_andn2_saveexec_b64 s[38:39], s[38:39]
	s_cbranch_execnz .LBB162_37
.LBB162_11:                             ;   in Loop: Header=BB162_9 Depth=1
	s_or_b64 exec, exec, s[38:39]
	s_and_saveexec_b64 s[38:39], s[0:1]
	s_cbranch_execz .LBB162_13
.LBB162_12:                             ;   in Loop: Header=BB162_9 Depth=1
	v_mov_b32_e32 v3, v2
	v_mov_b32_e32 v4, v2
	;; [unrolled: 1-line block ×3, first 2 shown]
	ds_write_b128 v63, v[2:5]
.LBB162_13:                             ;   in Loop: Header=BB162_9 Depth=1
	s_or_b64 exec, exec, s[38:39]
	ds_bpermute_b32 v4, v57, v8
	ds_bpermute_b32 v5, v57, v9
	;; [unrolled: 1-line block ×4, first 2 shown]
	s_waitcnt lgkmcnt(0)
	s_barrier
	v_add_f64 v[4:5], v[8:9], v[4:5]
	ds_bpermute_b32 v8, v58, v4
	v_add_f64 v[6:7], v[6:7], v[22:23]
	ds_bpermute_b32 v9, v58, v5
	ds_bpermute_b32 v22, v58, v6
	;; [unrolled: 1-line block ×3, first 2 shown]
	s_waitcnt lgkmcnt(0)
	v_add_f64 v[4:5], v[4:5], v[8:9]
	ds_bpermute_b32 v8, v59, v4
	v_add_f64 v[6:7], v[6:7], v[22:23]
	ds_bpermute_b32 v9, v59, v5
	ds_bpermute_b32 v22, v59, v6
	;; [unrolled: 1-line block ×3, first 2 shown]
	s_waitcnt lgkmcnt(2)
	v_add_f64 v[4:5], v[4:5], v[8:9]
	ds_bpermute_b32 v8, v60, v4
	s_waitcnt lgkmcnt(1)
	v_add_f64 v[6:7], v[6:7], v[22:23]
	ds_bpermute_b32 v9, v60, v5
	ds_bpermute_b32 v22, v60, v6
	;; [unrolled: 1-line block ×3, first 2 shown]
	s_waitcnt lgkmcnt(2)
	v_add_f64 v[4:5], v[4:5], v[8:9]
	ds_bpermute_b32 v8, v61, v4
	s_waitcnt lgkmcnt(1)
	v_add_f64 v[6:7], v[6:7], v[22:23]
	ds_bpermute_b32 v9, v61, v5
	ds_bpermute_b32 v22, v61, v6
	;; [unrolled: 1-line block ×3, first 2 shown]
	s_waitcnt lgkmcnt(2)
	v_add_f64 v[4:5], v[4:5], v[8:9]
	s_waitcnt lgkmcnt(0)
	v_add_f64 v[8:9], v[6:7], v[22:23]
	ds_bpermute_b32 v6, v62, v4
	ds_bpermute_b32 v7, v62, v5
	;; [unrolled: 1-line block ×4, first 2 shown]
	s_and_saveexec_b64 s[38:39], s[10:11]
	s_cbranch_execz .LBB162_15
; %bb.14:                               ;   in Loop: Header=BB162_9 Depth=1
	s_waitcnt lgkmcnt(0)
	v_add_f64 v[8:9], v[8:9], v[22:23]
	v_add_f64 v[6:7], v[4:5], v[6:7]
	ds_write_b128 v64, v[6:9]
.LBB162_15:                             ;   in Loop: Header=BB162_9 Depth=1
	s_or_b64 exec, exec, s[38:39]
	v_mov_b64_e32 v[8:9], 0
	s_waitcnt lgkmcnt(2)
	v_mov_b64_e32 v[6:7], v[8:9]
	s_waitcnt lgkmcnt(0)
	s_barrier
	s_and_saveexec_b64 s[38:39], s[4:5]
	s_cbranch_execnz .LBB162_44
; %bb.16:                               ;   in Loop: Header=BB162_9 Depth=1
	s_or_b64 exec, exec, s[38:39]
	s_and_saveexec_b64 s[38:39], s[0:1]
	s_cbranch_execnz .LBB162_45
.LBB162_17:                             ;   in Loop: Header=BB162_9 Depth=1
	s_or_b64 exec, exec, s[38:39]
	s_and_saveexec_b64 s[38:39], s[0:1]
	s_cbranch_execz .LBB162_19
.LBB162_18:                             ;   in Loop: Header=BB162_9 Depth=1
	v_mov_b32_e32 v3, v2
	v_mov_b32_e32 v4, v2
	;; [unrolled: 1-line block ×3, first 2 shown]
	ds_write_b128 v63, v[2:5]
.LBB162_19:                             ;   in Loop: Header=BB162_9 Depth=1
	s_or_b64 exec, exec, s[38:39]
	ds_bpermute_b32 v4, v57, v10
	ds_bpermute_b32 v5, v57, v11
	;; [unrolled: 1-line block ×4, first 2 shown]
	s_waitcnt lgkmcnt(0)
	s_barrier
	v_add_f64 v[4:5], v[10:11], v[4:5]
	v_add_f64 v[10:11], v[12:13], v[22:23]
	ds_bpermute_b32 v12, v58, v4
	ds_bpermute_b32 v13, v58, v5
	;; [unrolled: 1-line block ×4, first 2 shown]
	s_waitcnt lgkmcnt(2)
	v_add_f64 v[4:5], v[4:5], v[12:13]
	ds_bpermute_b32 v12, v59, v4
	s_waitcnt lgkmcnt(1)
	v_add_f64 v[10:11], v[10:11], v[22:23]
	ds_bpermute_b32 v13, v59, v5
	ds_bpermute_b32 v22, v59, v10
	ds_bpermute_b32 v23, v59, v11
	s_waitcnt lgkmcnt(2)
	v_add_f64 v[4:5], v[4:5], v[12:13]
	ds_bpermute_b32 v12, v60, v4
	s_waitcnt lgkmcnt(1)
	v_add_f64 v[10:11], v[10:11], v[22:23]
	ds_bpermute_b32 v13, v60, v5
	ds_bpermute_b32 v22, v60, v10
	ds_bpermute_b32 v23, v60, v11
	;; [unrolled: 8-line block ×3, first 2 shown]
	s_waitcnt lgkmcnt(2)
	v_add_f64 v[4:5], v[4:5], v[12:13]
	s_waitcnt lgkmcnt(0)
	v_add_f64 v[12:13], v[10:11], v[22:23]
	ds_bpermute_b32 v10, v62, v4
	ds_bpermute_b32 v11, v62, v5
	;; [unrolled: 1-line block ×4, first 2 shown]
	s_and_saveexec_b64 s[38:39], s[10:11]
	s_cbranch_execz .LBB162_21
; %bb.20:                               ;   in Loop: Header=BB162_9 Depth=1
	s_waitcnt lgkmcnt(0)
	v_add_f64 v[12:13], v[12:13], v[22:23]
	v_add_f64 v[10:11], v[4:5], v[10:11]
	ds_write_b128 v64, v[10:13]
.LBB162_21:                             ;   in Loop: Header=BB162_9 Depth=1
	s_or_b64 exec, exec, s[38:39]
	v_mov_b64_e32 v[12:13], 0
	s_waitcnt lgkmcnt(2)
	v_mov_b64_e32 v[10:11], v[12:13]
	s_waitcnt lgkmcnt(0)
	s_barrier
	s_and_saveexec_b64 s[38:39], s[4:5]
	s_cbranch_execnz .LBB162_46
; %bb.22:                               ;   in Loop: Header=BB162_9 Depth=1
	s_or_b64 exec, exec, s[38:39]
	s_and_saveexec_b64 s[38:39], s[0:1]
	s_cbranch_execnz .LBB162_47
.LBB162_23:                             ;   in Loop: Header=BB162_9 Depth=1
	s_or_b64 exec, exec, s[38:39]
	s_and_saveexec_b64 s[38:39], s[0:1]
	s_cbranch_execz .LBB162_25
.LBB162_24:                             ;   in Loop: Header=BB162_9 Depth=1
	v_mov_b32_e32 v3, v2
	v_mov_b32_e32 v4, v2
	;; [unrolled: 1-line block ×3, first 2 shown]
	ds_write_b128 v63, v[2:5]
.LBB162_25:                             ;   in Loop: Header=BB162_9 Depth=1
	s_or_b64 exec, exec, s[38:39]
	ds_bpermute_b32 v4, v57, v14
	ds_bpermute_b32 v5, v57, v15
	;; [unrolled: 1-line block ×4, first 2 shown]
	s_waitcnt lgkmcnt(0)
	s_barrier
	v_add_f64 v[4:5], v[14:15], v[4:5]
	v_add_f64 v[14:15], v[16:17], v[22:23]
	ds_bpermute_b32 v16, v58, v4
	ds_bpermute_b32 v17, v58, v5
	;; [unrolled: 1-line block ×4, first 2 shown]
	s_waitcnt lgkmcnt(2)
	v_add_f64 v[4:5], v[4:5], v[16:17]
	ds_bpermute_b32 v16, v59, v4
	s_waitcnt lgkmcnt(1)
	v_add_f64 v[14:15], v[14:15], v[22:23]
	ds_bpermute_b32 v17, v59, v5
	ds_bpermute_b32 v22, v59, v14
	ds_bpermute_b32 v23, v59, v15
	s_waitcnt lgkmcnt(2)
	v_add_f64 v[4:5], v[4:5], v[16:17]
	ds_bpermute_b32 v16, v60, v4
	s_waitcnt lgkmcnt(1)
	v_add_f64 v[14:15], v[14:15], v[22:23]
	ds_bpermute_b32 v17, v60, v5
	ds_bpermute_b32 v22, v60, v14
	ds_bpermute_b32 v23, v60, v15
	;; [unrolled: 8-line block ×3, first 2 shown]
	s_waitcnt lgkmcnt(2)
	v_add_f64 v[4:5], v[4:5], v[16:17]
	s_waitcnt lgkmcnt(0)
	v_add_f64 v[16:17], v[14:15], v[22:23]
	ds_bpermute_b32 v14, v62, v4
	ds_bpermute_b32 v15, v62, v5
	;; [unrolled: 1-line block ×4, first 2 shown]
	s_and_saveexec_b64 s[38:39], s[10:11]
	s_cbranch_execz .LBB162_27
; %bb.26:                               ;   in Loop: Header=BB162_9 Depth=1
	s_waitcnt lgkmcnt(0)
	v_add_f64 v[16:17], v[16:17], v[22:23]
	v_add_f64 v[14:15], v[4:5], v[14:15]
	ds_write_b128 v64, v[14:17]
.LBB162_27:                             ;   in Loop: Header=BB162_9 Depth=1
	s_or_b64 exec, exec, s[38:39]
	v_mov_b64_e32 v[16:17], 0
	s_waitcnt lgkmcnt(2)
	v_mov_b64_e32 v[14:15], v[16:17]
	s_waitcnt lgkmcnt(0)
	s_barrier
	s_and_saveexec_b64 s[38:39], s[4:5]
	s_cbranch_execnz .LBB162_48
; %bb.28:                               ;   in Loop: Header=BB162_9 Depth=1
	s_or_b64 exec, exec, s[38:39]
	s_and_saveexec_b64 s[38:39], s[0:1]
	s_cbranch_execnz .LBB162_49
.LBB162_29:                             ;   in Loop: Header=BB162_9 Depth=1
	s_or_b64 exec, exec, s[38:39]
	s_and_saveexec_b64 s[38:39], s[0:1]
	s_cbranch_execz .LBB162_31
.LBB162_30:                             ;   in Loop: Header=BB162_9 Depth=1
	v_mov_b32_e32 v3, v2
	v_mov_b32_e32 v4, v2
	;; [unrolled: 1-line block ×3, first 2 shown]
	ds_write_b128 v63, v[2:5]
.LBB162_31:                             ;   in Loop: Header=BB162_9 Depth=1
	s_or_b64 exec, exec, s[38:39]
	ds_bpermute_b32 v4, v57, v18
	ds_bpermute_b32 v5, v57, v19
	;; [unrolled: 1-line block ×4, first 2 shown]
	s_waitcnt lgkmcnt(0)
	s_barrier
	v_add_f64 v[4:5], v[18:19], v[4:5]
	v_add_f64 v[18:19], v[20:21], v[22:23]
	ds_bpermute_b32 v20, v58, v4
	ds_bpermute_b32 v21, v58, v5
	;; [unrolled: 1-line block ×4, first 2 shown]
	s_waitcnt lgkmcnt(2)
	v_add_f64 v[4:5], v[4:5], v[20:21]
	ds_bpermute_b32 v20, v59, v4
	s_waitcnt lgkmcnt(1)
	v_add_f64 v[18:19], v[18:19], v[22:23]
	ds_bpermute_b32 v21, v59, v5
	ds_bpermute_b32 v22, v59, v18
	ds_bpermute_b32 v23, v59, v19
	s_waitcnt lgkmcnt(2)
	v_add_f64 v[4:5], v[4:5], v[20:21]
	ds_bpermute_b32 v20, v60, v4
	s_waitcnt lgkmcnt(1)
	v_add_f64 v[18:19], v[18:19], v[22:23]
	ds_bpermute_b32 v21, v60, v5
	ds_bpermute_b32 v22, v60, v18
	ds_bpermute_b32 v23, v60, v19
	;; [unrolled: 8-line block ×3, first 2 shown]
	s_waitcnt lgkmcnt(2)
	v_add_f64 v[4:5], v[4:5], v[20:21]
	s_waitcnt lgkmcnt(0)
	v_add_f64 v[20:21], v[18:19], v[22:23]
	ds_bpermute_b32 v18, v62, v4
	ds_bpermute_b32 v19, v62, v5
	;; [unrolled: 1-line block ×4, first 2 shown]
	s_and_saveexec_b64 s[38:39], s[10:11]
	s_cbranch_execz .LBB162_33
; %bb.32:                               ;   in Loop: Header=BB162_9 Depth=1
	s_waitcnt lgkmcnt(0)
	v_add_f64 v[20:21], v[20:21], v[22:23]
	v_add_f64 v[18:19], v[4:5], v[18:19]
	ds_write_b128 v64, v[18:21]
.LBB162_33:                             ;   in Loop: Header=BB162_9 Depth=1
	s_or_b64 exec, exec, s[38:39]
	v_mov_b64_e32 v[20:21], 0
	s_waitcnt lgkmcnt(2)
	v_mov_b64_e32 v[18:19], v[20:21]
	s_waitcnt lgkmcnt(0)
	s_barrier
	s_and_saveexec_b64 s[38:39], s[4:5]
	s_cbranch_execnz .LBB162_50
; %bb.34:                               ;   in Loop: Header=BB162_9 Depth=1
	s_or_b64 exec, exec, s[38:39]
	s_and_saveexec_b64 s[38:39], s[0:1]
	s_cbranch_execnz .LBB162_51
.LBB162_35:                             ;   in Loop: Header=BB162_9 Depth=1
	s_or_b64 exec, exec, s[38:39]
	s_and_saveexec_b64 s[38:39], s[12:13]
	s_cbranch_execz .LBB162_8
	s_branch .LBB162_52
.LBB162_36:                             ;   in Loop: Header=BB162_9 Depth=1
	global_load_dwordx4 v[4:7], v[38:39], off
	global_load_dwordx4 v[24:27], v[40:41], off
	s_mul_i32 s40, s49, s27
	s_ashr_i32 s41, s40, 31
	v_lshl_add_u64 v[50:51], s[40:41], 4, v[28:29]
	s_add_i32 s40, s40, s27
	s_ashr_i32 s41, s40, 31
	v_lshl_add_u64 v[52:53], s[40:41], 4, v[28:29]
	s_add_i32 s40, s40, s27
	global_load_dwordx4 v[8:11], v[50:51], off offset:16
	s_ashr_i32 s41, s40, 31
	global_load_dwordx4 v[12:15], v[52:53], off offset:16
	v_lshl_add_u64 v[46:47], s[40:41], 4, v[28:29]
	s_waitcnt lgkmcnt(0)
	global_load_dwordx4 v[16:19], v[46:47], off offset:16
	s_add_i32 s40, s40, s27
	s_ashr_i32 s41, s40, 31
	v_lshl_add_u64 v[48:49], s[40:41], 4, v[28:29]
	s_waitcnt vmcnt(4)
	scratch_store_dwordx4 v35, v[4:7], off
	scratch_load_dwordx4 v[4:7], off, off offset:16
	s_nop 0
	global_load_dwordx4 v[20:23], v[48:49], off offset:16
	global_load_dwordx4 v[68:71], v[42:43], off
	global_load_dwordx4 v[72:75], v[50:51], off offset:32
	s_waitcnt vmcnt(3)
	v_mul_f64 v[104:105], v[6:7], v[10:11]
	scratch_store_dwordx4 v65, v[24:27], off
	scratch_load_dwordx4 v[24:27], off, off offset:32
	s_nop 0
	global_load_dwordx4 v[76:79], v[52:53], off offset:32
	global_load_dwordx4 v[80:83], v[36:37], off
	global_load_dwordx4 v[84:87], v[46:47], off offset:32
	global_load_dwordx4 v[88:91], v[50:51], off
	global_load_dwordx4 v[92:95], v[52:53], off
	;; [unrolled: 1-line block ×3, first 2 shown]
	global_load_dwordx4 v[100:103], v[48:49], off offset:32
	v_mul_f64 v[106:107], v[4:5], v[10:11]
	v_fma_f64 v[104:105], v[4:5], v[8:9], -v[104:105]
	v_fmac_f64_e32 v[106:107], v[6:7], v[8:9]
	v_mul_f64 v[8:9], v[6:7], v[14:15]
	v_fma_f64 v[110:111], v[4:5], v[12:13], -v[8:9]
	v_mul_f64 v[8:9], v[6:7], v[18:19]
	v_mul_f64 v[108:109], v[4:5], v[14:15]
	;; [unrolled: 1-line block ×3, first 2 shown]
	v_fma_f64 v[114:115], v[4:5], v[16:17], -v[8:9]
	s_waitcnt vmcnt(11)
	v_mul_f64 v[8:9], v[6:7], v[22:23]
	v_mul_f64 v[116:117], v[4:5], v[22:23]
	v_fmac_f64_e32 v[108:109], v[6:7], v[12:13]
	v_fmac_f64_e32 v[112:113], v[6:7], v[16:17]
	v_fma_f64 v[118:119], v[4:5], v[20:21], -v[8:9]
	v_fmac_f64_e32 v[116:117], v[6:7], v[20:21]
	global_load_dwordx4 v[4:7], v[48:49], off
	global_load_dwordx4 v[8:11], v[50:51], off offset:48
	global_load_dwordx4 v[12:15], v[52:53], off offset:48
	s_waitcnt vmcnt(10)
	v_mul_f64 v[16:17], v[26:27], v[74:75]
	v_fma_f64 v[52:53], v[24:25], v[72:73], -v[16:17]
	s_waitcnt vmcnt(9)
	v_mul_f64 v[16:17], v[26:27], v[78:79]
	scratch_store_dwordx4 v66, v[68:71], off
	v_mul_f64 v[50:51], v[24:25], v[74:75]
	s_waitcnt vmcnt(7)
	v_mul_f64 v[20:21], v[82:83], v[90:91]
	v_fma_f64 v[70:71], v[24:25], v[76:77], -v[16:17]
	v_mul_f64 v[16:17], v[26:27], v[86:87]
	v_mul_f64 v[68:69], v[24:25], v[78:79]
	v_fma_f64 v[74:75], v[24:25], v[84:85], -v[16:17]
	s_waitcnt vmcnt(4)
	v_mul_f64 v[16:17], v[26:27], v[102:103]
	v_fmac_f64_e32 v[50:51], v[26:27], v[72:73]
	v_fmac_f64_e32 v[68:69], v[26:27], v[76:77]
	v_mul_f64 v[72:73], v[24:25], v[86:87]
	v_mul_f64 v[76:77], v[24:25], v[102:103]
	v_fma_f64 v[24:25], v[24:25], v[100:101], -v[16:17]
	scratch_load_dwordx4 v[16:19], off, off offset:48
	v_fma_f64 v[78:79], v[80:81], v[88:89], -v[20:21]
	v_mul_f64 v[20:21], v[82:83], v[94:95]
	v_fmac_f64_e32 v[72:73], v[26:27], v[84:85]
	v_mul_f64 v[84:85], v[80:81], v[94:95]
	v_fma_f64 v[86:87], v[80:81], v[92:93], -v[20:21]
	v_mul_f64 v[20:21], v[82:83], v[98:99]
	v_fmac_f64_e32 v[76:77], v[26:27], v[100:101]
	v_mul_f64 v[26:27], v[80:81], v[90:91]
	v_fmac_f64_e32 v[84:85], v[82:83], v[92:93]
	v_fma_f64 v[90:91], v[80:81], v[96:97], -v[20:21]
	s_waitcnt vmcnt(4)
	v_mul_f64 v[20:21], v[82:83], v[6:7]
	v_mul_f64 v[92:93], v[80:81], v[6:7]
	v_fma_f64 v[94:95], v[80:81], v[4:5], -v[20:21]
	v_fmac_f64_e32 v[92:93], v[82:83], v[4:5]
	global_load_dwordx4 v[4:7], v[46:47], off offset:48
	global_load_dwordx4 v[20:23], v[48:49], off offset:48
	v_fmac_f64_e32 v[26:27], v[82:83], v[88:89]
	v_mul_f64 v[88:89], v[80:81], v[98:99]
	v_fmac_f64_e32 v[88:89], v[82:83], v[96:97]
	scratch_store_dwordx4 off, v[80:83], off
	v_add_f64 v[48:49], v[86:87], 0
	v_add_f64 v[86:87], v[92:93], 0
	;; [unrolled: 1-line block ×8, first 2 shown]
	s_waitcnt vmcnt(3)
	v_mul_f64 v[88:89], v[18:19], v[10:11]
	v_mul_f64 v[10:11], v[16:17], v[10:11]
	v_fma_f64 v[88:89], v[16:17], v[8:9], -v[88:89]
	v_fmac_f64_e32 v[10:11], v[18:19], v[8:9]
	v_mul_f64 v[8:9], v[18:19], v[14:15]
	v_fma_f64 v[90:91], v[16:17], v[12:13], -v[8:9]
	v_mul_f64 v[14:15], v[16:17], v[14:15]
	v_fmac_f64_e32 v[14:15], v[18:19], v[12:13]
	v_add_f64 v[12:13], v[48:49], v[110:111]
	v_add_f64 v[12:13], v[12:13], v[70:71]
	s_waitcnt vmcnt(2)
	v_mul_f64 v[8:9], v[18:19], v[6:7]
	v_mul_f64 v[92:93], v[16:17], v[6:7]
	v_fma_f64 v[94:95], v[16:17], v[4:5], -v[8:9]
	v_fmac_f64_e32 v[92:93], v[18:19], v[4:5]
	s_waitcnt vmcnt(1)
	v_mul_f64 v[4:5], v[18:19], v[22:23]
	v_mul_f64 v[22:23], v[16:17], v[22:23]
	v_fma_f64 v[4:5], v[16:17], v[20:21], -v[4:5]
	v_fmac_f64_e32 v[22:23], v[18:19], v[20:21]
	v_add_f64 v[6:7], v[46:47], v[104:105]
	v_add_f64 v[8:9], v[26:27], v[106:107]
	;; [unrolled: 1-line block ×22, first 2 shown]
	s_andn2_saveexec_b64 s[38:39], s[38:39]
	s_cbranch_execz .LBB162_11
.LBB162_37:                             ;   in Loop: Header=BB162_9 Depth=1
	s_waitcnt lgkmcnt(0)
	v_mov_b64_e32 v[18:19], 0
	v_mov_b64_e32 v[20:21], v[18:19]
	v_mov_b64_e32 v[14:15], v[18:19]
	v_mov_b64_e32 v[16:17], v[18:19]
	v_mov_b64_e32 v[10:11], v[18:19]
	v_mov_b64_e32 v[12:13], v[18:19]
	v_mov_b64_e32 v[8:9], v[18:19]
	v_mov_b64_e32 v[6:7], v[18:19]
	s_and_saveexec_b64 s[40:41], s[8:9]
	s_cbranch_execz .LBB162_43
; %bb.38:                               ;   in Loop: Header=BB162_9 Depth=1
	v_mov_b64_e32 v[18:19], 0
	s_andn2_b64 vcc, exec, s[34:35]
	v_mov_b64_e32 v[20:21], v[18:19]
	v_mov_b64_e32 v[14:15], v[18:19]
	;; [unrolled: 1-line block ×7, first 2 shown]
	s_cbranch_vccnz .LBB162_43
; %bb.39:                               ;   in Loop: Header=BB162_9 Depth=1
	v_mov_b32_e32 v3, 0
	v_mov_b32_e32 v4, v34
	s_mov_b32 s30, s48
.LBB162_40:                             ;   Parent Loop BB162_9 Depth=1
                                        ; =>  This Inner Loop Header: Depth=2
	v_ashrrev_i32_e32 v5, 31, v4
	v_lshl_add_u64 v[6:7], v[4:5], 4, s[14:15]
	global_load_dwordx4 v[6:9], v[6:7], off
	s_add_i32 s30, s30, -1
	v_add_u32_e32 v4, s33, v4
	s_cmp_eq_u32 s30, 0
	s_waitcnt vmcnt(0)
	scratch_store_dwordx4 v3, v[6:9], off
	v_add_u32_e32 v3, 16, v3
	s_cbranch_scc0 .LBB162_40
; %bb.41:                               ;   in Loop: Header=BB162_9 Depth=1
	s_ashr_i32 s37, s36, 31
	v_mov_b64_e32 v[6:7], 0
	v_lshl_add_u64 v[4:5], s[36:37], 4, v[44:45]
	v_mov_b32_e32 v3, 0
	s_mov_b32 s42, s54
	s_mov_b32 s44, s53
	;; [unrolled: 1-line block ×4, first 2 shown]
	v_mov_b64_e32 v[8:9], v[6:7]
	v_mov_b64_e32 v[12:13], v[6:7]
	;; [unrolled: 1-line block ×7, first 2 shown]
.LBB162_42:                             ;   Parent Loop BB162_9 Depth=1
                                        ; =>  This Inner Loop Header: Depth=2
	scratch_load_dwordx4 v[22:25], v3, off
	global_load_dwordx4 v[46:49], v[4:5], off offset:-8
	s_ashr_i32 s47, s46, 31
	s_ashr_i32 s45, s44, 31
	s_ashr_i32 s43, s42, 31
	v_lshl_add_u64 v[26:27], s[46:47], 4, v[28:29]
	v_lshl_add_u64 v[68:69], s[44:45], 4, v[28:29]
	;; [unrolled: 1-line block ×3, first 2 shown]
	global_load_dwordx4 v[50:53], v[26:27], off
	s_nop 0
	global_load_dwordx4 v[68:71], v[68:69], off
	s_nop 0
	global_load_dwordx4 v[72:75], v[72:73], off
	s_add_i32 s30, s30, -1
	s_add_i32 s46, s46, 1
	s_add_i32 s44, s44, 1
	;; [unrolled: 1-line block ×3, first 2 shown]
	v_add_u32_e32 v3, 16, v3
	v_lshl_add_u64 v[4:5], v[4:5], 0, 16
	s_cmp_lg_u32 s30, 0
	s_waitcnt vmcnt(3)
	v_mul_f64 v[26:27], v[24:25], v[48:49]
	v_mul_f64 v[48:49], v[22:23], v[48:49]
	v_fma_f64 v[26:27], v[22:23], v[46:47], -v[26:27]
	v_fmac_f64_e32 v[48:49], v[24:25], v[46:47]
	v_add_f64 v[8:9], v[8:9], v[26:27]
	v_add_f64 v[6:7], v[6:7], v[48:49]
	s_waitcnt vmcnt(2)
	v_mul_f64 v[26:27], v[24:25], v[52:53]
	v_mul_f64 v[46:47], v[22:23], v[52:53]
	s_waitcnt vmcnt(1)
	v_mul_f64 v[48:49], v[24:25], v[70:71]
	v_mul_f64 v[52:53], v[22:23], v[70:71]
	;; [unrolled: 3-line block ×3, first 2 shown]
	v_fma_f64 v[26:27], v[22:23], v[50:51], -v[26:27]
	v_fmac_f64_e32 v[46:47], v[24:25], v[50:51]
	v_fma_f64 v[48:49], v[22:23], v[68:69], -v[48:49]
	v_fmac_f64_e32 v[52:53], v[24:25], v[68:69]
	;; [unrolled: 2-line block ×3, first 2 shown]
	v_add_f64 v[10:11], v[10:11], v[26:27]
	v_add_f64 v[12:13], v[12:13], v[46:47]
	;; [unrolled: 1-line block ×6, first 2 shown]
	s_cbranch_scc1 .LBB162_42
.LBB162_43:                             ;   in Loop: Header=BB162_9 Depth=1
	s_or_b64 exec, exec, s[40:41]
	s_or_b64 exec, exec, s[38:39]
	s_and_saveexec_b64 s[38:39], s[0:1]
	s_cbranch_execnz .LBB162_12
	s_branch .LBB162_13
.LBB162_44:                             ;   in Loop: Header=BB162_9 Depth=1
	ds_read_b128 v[6:9], v63
	s_or_b64 exec, exec, s[38:39]
	s_and_saveexec_b64 s[38:39], s[0:1]
	s_cbranch_execz .LBB162_17
.LBB162_45:                             ;   in Loop: Header=BB162_9 Depth=1
	s_waitcnt lgkmcnt(0)
	ds_bpermute_b32 v4, v61, v6
	ds_bpermute_b32 v5, v61, v7
	;; [unrolled: 1-line block ×4, first 2 shown]
	s_waitcnt lgkmcnt(2)
	v_add_f64 v[4:5], v[6:7], v[4:5]
	ds_bpermute_b32 v6, v62, v4
	s_waitcnt lgkmcnt(1)
	v_add_f64 v[8:9], v[8:9], v[22:23]
	ds_bpermute_b32 v7, v62, v5
	ds_bpermute_b32 v22, v62, v8
	;; [unrolled: 1-line block ×3, first 2 shown]
	s_waitcnt lgkmcnt(2)
	v_add_f64 v[6:7], v[4:5], v[6:7]
	s_waitcnt lgkmcnt(0)
	v_add_f64 v[8:9], v[8:9], v[22:23]
	s_or_b64 exec, exec, s[38:39]
	s_and_saveexec_b64 s[38:39], s[0:1]
	s_cbranch_execnz .LBB162_18
	s_branch .LBB162_19
.LBB162_46:                             ;   in Loop: Header=BB162_9 Depth=1
	ds_read_b128 v[10:13], v63
	s_or_b64 exec, exec, s[38:39]
	s_and_saveexec_b64 s[38:39], s[0:1]
	s_cbranch_execz .LBB162_23
.LBB162_47:                             ;   in Loop: Header=BB162_9 Depth=1
	s_waitcnt lgkmcnt(0)
	ds_bpermute_b32 v4, v61, v10
	ds_bpermute_b32 v5, v61, v11
	;; [unrolled: 1-line block ×4, first 2 shown]
	s_waitcnt lgkmcnt(2)
	v_add_f64 v[4:5], v[10:11], v[4:5]
	ds_bpermute_b32 v10, v62, v4
	s_waitcnt lgkmcnt(1)
	v_add_f64 v[12:13], v[12:13], v[22:23]
	ds_bpermute_b32 v11, v62, v5
	ds_bpermute_b32 v22, v62, v12
	;; [unrolled: 1-line block ×3, first 2 shown]
	s_waitcnt lgkmcnt(2)
	v_add_f64 v[10:11], v[4:5], v[10:11]
	s_waitcnt lgkmcnt(0)
	v_add_f64 v[12:13], v[12:13], v[22:23]
	s_or_b64 exec, exec, s[38:39]
	s_and_saveexec_b64 s[38:39], s[0:1]
	s_cbranch_execnz .LBB162_24
	s_branch .LBB162_25
.LBB162_48:                             ;   in Loop: Header=BB162_9 Depth=1
	ds_read_b128 v[14:17], v63
	s_or_b64 exec, exec, s[38:39]
	s_and_saveexec_b64 s[38:39], s[0:1]
	s_cbranch_execz .LBB162_29
.LBB162_49:                             ;   in Loop: Header=BB162_9 Depth=1
	s_waitcnt lgkmcnt(0)
	ds_bpermute_b32 v4, v61, v14
	ds_bpermute_b32 v5, v61, v15
	;; [unrolled: 1-line block ×4, first 2 shown]
	s_waitcnt lgkmcnt(2)
	v_add_f64 v[4:5], v[14:15], v[4:5]
	ds_bpermute_b32 v14, v62, v4
	s_waitcnt lgkmcnt(1)
	v_add_f64 v[16:17], v[16:17], v[22:23]
	ds_bpermute_b32 v15, v62, v5
	ds_bpermute_b32 v22, v62, v16
	;; [unrolled: 1-line block ×3, first 2 shown]
	s_waitcnt lgkmcnt(2)
	v_add_f64 v[14:15], v[4:5], v[14:15]
	s_waitcnt lgkmcnt(0)
	v_add_f64 v[16:17], v[16:17], v[22:23]
	s_or_b64 exec, exec, s[38:39]
	s_and_saveexec_b64 s[38:39], s[0:1]
	s_cbranch_execnz .LBB162_30
	s_branch .LBB162_31
.LBB162_50:                             ;   in Loop: Header=BB162_9 Depth=1
	ds_read_b128 v[18:21], v63
	s_or_b64 exec, exec, s[38:39]
	s_and_saveexec_b64 s[38:39], s[0:1]
	s_cbranch_execz .LBB162_35
.LBB162_51:                             ;   in Loop: Header=BB162_9 Depth=1
	s_waitcnt lgkmcnt(0)
	ds_bpermute_b32 v4, v61, v18
	ds_bpermute_b32 v5, v61, v19
	;; [unrolled: 1-line block ×4, first 2 shown]
	s_waitcnt lgkmcnt(2)
	v_add_f64 v[4:5], v[18:19], v[4:5]
	ds_bpermute_b32 v18, v62, v4
	s_waitcnt lgkmcnt(1)
	v_add_f64 v[20:21], v[20:21], v[22:23]
	ds_bpermute_b32 v19, v62, v5
	ds_bpermute_b32 v22, v62, v20
	;; [unrolled: 1-line block ×3, first 2 shown]
	s_waitcnt lgkmcnt(2)
	v_add_f64 v[18:19], v[4:5], v[18:19]
	s_waitcnt lgkmcnt(0)
	v_add_f64 v[20:21], v[20:21], v[22:23]
	s_or_b64 exec, exec, s[38:39]
	s_and_saveexec_b64 s[38:39], s[12:13]
	s_cbranch_execz .LBB162_8
.LBB162_52:                             ;   in Loop: Header=BB162_9 Depth=1
	s_mul_i32 s30, s49, s26
	s_add_i32 s30, s30, s2
	s_lshl_b64 s[40:41], s[30:31], 4
	v_mul_f64 v[4:5], s[22:23], v[8:9]
	v_mul_f64 v[24:25], s[20:21], v[8:9]
	s_add_u32 s40, s50, s40
	v_fma_f64 v[22:23], s[20:21], v[6:7], -v[4:5]
	v_fmac_f64_e32 v[24:25], s[22:23], v[6:7]
	s_addc_u32 s41, s51, s41
	s_add_i32 s30, s30, s26
	global_store_dwordx4 v2, v[22:25], s[40:41]
	s_lshl_b64 s[40:41], s[30:31], 4
	v_mul_f64 v[4:5], s[22:23], v[12:13]
	v_mul_f64 v[6:7], s[20:21], v[12:13]
	s_add_u32 s40, s50, s40
	v_fma_f64 v[4:5], s[20:21], v[10:11], -v[4:5]
	v_fmac_f64_e32 v[6:7], s[22:23], v[10:11]
	s_addc_u32 s41, s51, s41
	s_add_i32 s30, s30, s26
	global_store_dwordx4 v2, v[4:7], s[40:41]
	s_lshl_b64 s[40:41], s[30:31], 4
	s_add_u32 s40, s50, s40
	v_mul_f64 v[4:5], s[22:23], v[16:17]
	v_mul_f64 v[6:7], s[20:21], v[16:17]
	v_fma_f64 v[4:5], s[20:21], v[14:15], -v[4:5]
	v_fmac_f64_e32 v[6:7], s[22:23], v[14:15]
	s_addc_u32 s41, s51, s41
	s_add_i32 s30, s30, s26
	global_store_dwordx4 v2, v[4:7], s[40:41]
	s_lshl_b64 s[40:41], s[30:31], 4
	s_add_u32 s40, s50, s40
	s_waitcnt lgkmcnt(0)
	v_mul_f64 v[4:5], s[22:23], v[20:21]
	v_mul_f64 v[6:7], s[20:21], v[20:21]
	v_fma_f64 v[4:5], s[20:21], v[18:19], -v[4:5]
	v_fmac_f64_e32 v[6:7], s[22:23], v[18:19]
	s_addc_u32 s41, s51, s41
	global_store_dwordx4 v2, v[4:7], s[40:41]
	s_branch .LBB162_8
.LBB162_53:
	s_mov_b32 s49, 0
.LBB162_54:
	s_cmp_ge_i32 s49, s25
	s_cbranch_scc1 .LBB162_76
; %bb.55:
	v_mbcnt_hi_u32_b32 v2, -1, v54
	v_and_b32_e32 v3, 63, v2
	v_cmp_gt_u32_e64 s[4:5], 32, v3
	s_mov_b32 s3, 0
	s_cmp_gt_i32 s48, 0
	v_cndmask_b32_e64 v4, 0, 1, s[4:5]
	v_lshlrev_b32_e32 v4, 5, v4
	v_cmp_gt_u32_e64 s[4:5], 48, v3
	s_waitcnt lgkmcnt(0)
	v_add_lshl_u32 v21, v4, v2, 2
	s_cselect_b64 s[12:13], -1, 0
	v_cndmask_b32_e64 v4, 0, 1, s[4:5]
	v_lshlrev_b32_e32 v4, 4, v4
	v_cmp_gt_u32_e64 s[4:5], 56, v3
	v_add_lshl_u32 v22, v4, v2, 2
	s_lshl_b64 s[2:3], s[2:3], 4
	v_cndmask_b32_e64 v4, 0, 1, s[4:5]
	v_lshlrev_b32_e32 v4, 3, v4
	v_cmp_gt_u32_e64 s[4:5], 60, v3
	v_add_lshl_u32 v23, v4, v2, 2
	v_cmp_ge_i32_e32 vcc, s24, v55
	v_cndmask_b32_e64 v4, 0, 1, s[4:5]
	v_lshlrev_b32_e32 v4, 2, v4
	v_cmp_gt_u32_e64 s[4:5], 62, v3
	v_add_lshl_u32 v24, v4, v2, 2
	v_cmp_ge_i32_e64 s[10:11], s24, v56
	v_cndmask_b32_e64 v4, 0, 1, s[4:5]
	v_lshlrev_b32_e32 v4, 1, v4
	v_cmp_ne_u32_e64 s[4:5], 63, v3
	v_cmp_gt_u32_e64 s[0:1], 64, v0
	v_add_lshl_u32 v25, v4, v2, 2
	v_addc_co_u32_e64 v2, s[4:5], 0, v2, s[4:5]
	v_cmp_gt_u32_e64 s[6:7], 4, v0
	v_cmp_eq_u32_e64 s[8:9], 0, v0
	s_add_u32 s24, s50, s2
	v_add_u32_e32 v0, s33, v30
	v_lshlrev_b32_e32 v20, 4, v1
	v_cmp_eq_u32_e64 s[4:5], 0, v1
	s_addc_u32 s30, s51, s3
	v_ashrrev_i32_e32 v1, 31, v0
	s_and_b64 s[2:3], s[12:13], s[10:11]
	v_lshl_add_u64 v[8:9], v[0:1], 4, s[14:15]
	v_add_u32_e32 v0, s33, v0
	s_add_u32 s10, s28, s18
	v_ashrrev_i32_e32 v1, 31, v0
	s_addc_u32 s11, s29, s19
	v_lshl_add_u64 v[10:11], v[0:1], 4, s[14:15]
	v_add_u32_e32 v0, s33, v0
	s_add_u32 s10, s16, s10
	v_ashrrev_i32_e32 v1, 31, v0
	s_addc_u32 s11, s17, s11
	v_lshlrev_b32_e32 v26, 2, v2
	v_and_b32_e32 v27, 48, v31
	v_ashrrev_i32_e32 v31, 31, v30
	v_mov_b32_e32 v2, 0
	v_lshl_add_u64 v[12:13], v[0:1], 4, s[14:15]
	v_lshl_add_u64 v[0:1], v[32:33], 4, s[10:11]
	;; [unrolled: 1-line block ×3, first 2 shown]
	v_add_u32_e32 v31, 16, v2
	v_add_u32_e32 v34, 32, v2
	;; [unrolled: 1-line block ×3, first 2 shown]
	v_lshl_add_u64 v[14:15], v[0:1], 0, 8
	s_mul_i32 s10, s49, s27
	v_mov_b32_e32 v0, 0
	s_branch .LBB162_57
.LBB162_56:                             ;   in Loop: Header=BB162_57 Depth=1
	s_or_b64 exec, exec, s[12:13]
	s_add_i32 s49, s49, 1
	s_add_i32 s10, s10, s27
	s_cmp_lt_i32 s49, s25
	s_cbranch_scc0 .LBB162_76
.LBB162_57:                             ; =>This Loop Header: Depth=1
                                        ;     Child Loop BB162_69 Depth 2
                                        ;     Child Loop BB162_71 Depth 2
                                        ; implicit-def: $vgpr4_vgpr5
                                        ; implicit-def: $vgpr16_vgpr17
	s_and_saveexec_b64 s[12:13], vcc
	s_xor_b64 s[12:13], exec, s[12:13]
	s_cbranch_execnz .LBB162_66
; %bb.58:                               ;   in Loop: Header=BB162_57 Depth=1
	s_andn2_saveexec_b64 s[12:13], s[12:13]
	s_cbranch_execnz .LBB162_67
.LBB162_59:                             ;   in Loop: Header=BB162_57 Depth=1
	s_or_b64 exec, exec, s[12:13]
	s_and_saveexec_b64 s[12:13], s[0:1]
	s_cbranch_execz .LBB162_61
.LBB162_60:                             ;   in Loop: Header=BB162_57 Depth=1
	v_mov_b32_e32 v1, v0
	s_waitcnt lgkmcnt(0)
	v_mov_b32_e32 v2, v0
	v_mov_b32_e32 v3, v0
	ds_write_b128 v20, v[0:3]
.LBB162_61:                             ;   in Loop: Header=BB162_57 Depth=1
	s_or_b64 exec, exec, s[12:13]
	s_waitcnt lgkmcnt(0)
	ds_bpermute_b32 v2, v21, v4
	ds_bpermute_b32 v3, v21, v5
	ds_bpermute_b32 v18, v21, v16
	ds_bpermute_b32 v19, v21, v17
	s_waitcnt lgkmcnt(0)
	s_barrier
	v_add_f64 v[2:3], v[4:5], v[2:3]
	v_add_f64 v[4:5], v[16:17], v[18:19]
	ds_bpermute_b32 v16, v22, v2
	ds_bpermute_b32 v17, v22, v3
	;; [unrolled: 1-line block ×4, first 2 shown]
	s_waitcnt lgkmcnt(2)
	v_add_f64 v[2:3], v[2:3], v[16:17]
	ds_bpermute_b32 v16, v23, v2
	s_waitcnt lgkmcnt(1)
	v_add_f64 v[4:5], v[4:5], v[18:19]
	ds_bpermute_b32 v17, v23, v3
	ds_bpermute_b32 v18, v23, v4
	ds_bpermute_b32 v19, v23, v5
	s_waitcnt lgkmcnt(2)
	v_add_f64 v[2:3], v[2:3], v[16:17]
	ds_bpermute_b32 v16, v24, v2
	s_waitcnt lgkmcnt(1)
	v_add_f64 v[4:5], v[4:5], v[18:19]
	ds_bpermute_b32 v17, v24, v3
	ds_bpermute_b32 v18, v24, v4
	ds_bpermute_b32 v19, v24, v5
	;; [unrolled: 8-line block ×3, first 2 shown]
	s_waitcnt lgkmcnt(2)
	v_add_f64 v[2:3], v[2:3], v[16:17]
	s_waitcnt lgkmcnt(0)
	v_add_f64 v[16:17], v[4:5], v[18:19]
	ds_bpermute_b32 v4, v26, v2
	ds_bpermute_b32 v5, v26, v3
	ds_bpermute_b32 v18, v26, v16
	ds_bpermute_b32 v19, v26, v17
	s_and_saveexec_b64 s[12:13], s[4:5]
	s_cbranch_execz .LBB162_63
; %bb.62:                               ;   in Loop: Header=BB162_57 Depth=1
	s_waitcnt lgkmcnt(0)
	v_add_f64 v[18:19], v[16:17], v[18:19]
	v_add_f64 v[16:17], v[2:3], v[4:5]
	ds_write_b128 v27, v[16:19]
.LBB162_63:                             ;   in Loop: Header=BB162_57 Depth=1
	s_or_b64 exec, exec, s[12:13]
	s_waitcnt lgkmcnt(2)
	v_mov_b64_e32 v[4:5], 0
	v_mov_b64_e32 v[2:3], v[4:5]
	s_waitcnt lgkmcnt(0)
	s_barrier
	s_and_saveexec_b64 s[12:13], s[6:7]
	s_cbranch_execnz .LBB162_73
; %bb.64:                               ;   in Loop: Header=BB162_57 Depth=1
	s_or_b64 exec, exec, s[12:13]
	s_and_saveexec_b64 s[12:13], s[0:1]
	s_cbranch_execnz .LBB162_74
.LBB162_65:                             ;   in Loop: Header=BB162_57 Depth=1
	s_or_b64 exec, exec, s[12:13]
	s_and_saveexec_b64 s[12:13], s[8:9]
	s_cbranch_execz .LBB162_56
	s_branch .LBB162_75
.LBB162_66:                             ;   in Loop: Header=BB162_57 Depth=1
	s_waitcnt lgkmcnt(0)
	global_load_dwordx4 v[2:5], v[8:9], off
	global_load_dwordx4 v[16:19], v[10:11], off
	;; [unrolled: 1-line block ×4, first 2 shown]
	s_mul_i32 s16, s49, s27
	s_ashr_i32 s17, s16, 31
	v_lshl_add_u64 v[32:33], s[16:17], 4, v[28:29]
	global_load_dwordx4 v[44:47], v[32:33], off
	global_load_dwordx4 v[48:51], v[32:33], off offset:16
	global_load_dwordx4 v[52:55], v[32:33], off offset:48
	;; [unrolled: 1-line block ×3, first 2 shown]
	s_waitcnt vmcnt(3)
	v_mul_f64 v[32:33], v[46:47], v[42:43]
	scratch_store_dwordx4 v31, v[2:5], off
	scratch_load_dwordx4 v[2:5], off, off offset:16
	v_fma_f64 v[32:33], v[44:45], v[40:41], -v[32:33]
	scratch_store_dwordx4 v34, v[16:19], off
	scratch_load_dwordx4 v[16:19], off, off offset:32
	v_add_f64 v[32:33], v[32:33], 0
	scratch_store_dwordx4 v35, v[36:39], off
	scratch_load_dwordx4 v[36:39], off, off offset:48
	s_nop 0
	scratch_store_dwordx4 off, v[40:43], off
	s_nop 1
	v_mul_f64 v[42:43], v[44:45], v[42:43]
	v_fmac_f64_e32 v[42:43], v[46:47], v[40:41]
	v_add_f64 v[40:41], v[42:43], 0
	s_waitcnt vmcnt(5)
	v_mul_f64 v[42:43], v[50:51], v[4:5]
	v_mul_f64 v[4:5], v[48:49], v[4:5]
	v_fma_f64 v[42:43], v[48:49], v[2:3], -v[42:43]
	s_waitcnt vmcnt(3)
	v_mul_f64 v[44:45], v[58:59], v[18:19]
	v_mul_f64 v[18:19], v[56:57], v[18:19]
	v_fmac_f64_e32 v[4:5], v[50:51], v[2:3]
	s_waitcnt vmcnt(1)
	v_mul_f64 v[46:47], v[54:55], v[38:39]
	v_mul_f64 v[38:39], v[52:53], v[38:39]
	v_fma_f64 v[2:3], v[56:57], v[16:17], -v[44:45]
	v_fmac_f64_e32 v[18:19], v[58:59], v[16:17]
	v_add_f64 v[32:33], v[32:33], v[42:43]
	v_add_f64 v[4:5], v[40:41], v[4:5]
	v_fma_f64 v[16:17], v[52:53], v[36:37], -v[46:47]
	v_fmac_f64_e32 v[38:39], v[54:55], v[36:37]
	v_add_f64 v[2:3], v[32:33], v[2:3]
	v_add_f64 v[18:19], v[4:5], v[18:19]
	;; [unrolled: 1-line block ×4, first 2 shown]
	s_andn2_saveexec_b64 s[12:13], s[12:13]
	s_cbranch_execz .LBB162_59
.LBB162_67:                             ;   in Loop: Header=BB162_57 Depth=1
	s_waitcnt lgkmcnt(0)
	v_mov_b64_e32 v[4:5], 0
	v_mov_b64_e32 v[16:17], v[4:5]
	s_and_saveexec_b64 s[16:17], s[2:3]
	s_cbranch_execz .LBB162_72
; %bb.68:                               ;   in Loop: Header=BB162_57 Depth=1
	v_mov_b32_e32 v1, 0
	v_mov_b32_e32 v2, v30
	s_mov_b32 s11, s48
.LBB162_69:                             ;   Parent Loop BB162_57 Depth=1
                                        ; =>  This Inner Loop Header: Depth=2
	v_ashrrev_i32_e32 v3, 31, v2
	v_lshl_add_u64 v[4:5], v[2:3], 4, s[14:15]
	global_load_dwordx4 v[16:19], v[4:5], off
	s_add_i32 s11, s11, -1
	v_add_u32_e32 v2, s33, v2
	s_cmp_eq_u32 s11, 0
	s_waitcnt vmcnt(0)
	scratch_store_dwordx4 v1, v[16:19], off
	v_add_u32_e32 v1, 16, v1
	s_cbranch_scc0 .LBB162_69
; %bb.70:                               ;   in Loop: Header=BB162_57 Depth=1
	s_ashr_i32 s11, s10, 31
	v_mov_b64_e32 v[4:5], 0
	v_lshl_add_u64 v[2:3], s[10:11], 4, v[14:15]
	v_mov_b32_e32 v1, 0
	s_mov_b32 s11, s48
	v_mov_b64_e32 v[16:17], v[4:5]
.LBB162_71:                             ;   Parent Loop BB162_57 Depth=1
                                        ; =>  This Inner Loop Header: Depth=2
	global_load_dwordx4 v[36:39], v[2:3], off offset:-8
	scratch_load_dwordx4 v[40:43], v1, off
	s_add_i32 s11, s11, -1
	v_add_u32_e32 v1, 16, v1
	v_lshl_add_u64 v[2:3], v[2:3], 0, 16
	s_cmp_lg_u32 s11, 0
	s_waitcnt vmcnt(0)
	v_mul_f64 v[18:19], v[38:39], v[42:43]
	v_mul_f64 v[32:33], v[36:37], v[42:43]
	v_fma_f64 v[18:19], v[36:37], v[40:41], -v[18:19]
	v_fmac_f64_e32 v[32:33], v[38:39], v[40:41]
	v_add_f64 v[4:5], v[4:5], v[18:19]
	v_add_f64 v[16:17], v[16:17], v[32:33]
	s_cbranch_scc1 .LBB162_71
.LBB162_72:                             ;   in Loop: Header=BB162_57 Depth=1
	s_or_b64 exec, exec, s[16:17]
	s_or_b64 exec, exec, s[12:13]
	s_and_saveexec_b64 s[12:13], s[0:1]
	s_cbranch_execnz .LBB162_60
	s_branch .LBB162_61
.LBB162_73:                             ;   in Loop: Header=BB162_57 Depth=1
	ds_read_b128 v[2:5], v20
	s_or_b64 exec, exec, s[12:13]
	s_and_saveexec_b64 s[12:13], s[0:1]
	s_cbranch_execz .LBB162_65
.LBB162_74:                             ;   in Loop: Header=BB162_57 Depth=1
	s_waitcnt lgkmcnt(0)
	ds_bpermute_b32 v16, v25, v2
	ds_bpermute_b32 v17, v25, v3
	;; [unrolled: 1-line block ×4, first 2 shown]
	s_waitcnt lgkmcnt(2)
	v_add_f64 v[2:3], v[2:3], v[16:17]
	ds_bpermute_b32 v16, v26, v2
	s_waitcnt lgkmcnt(1)
	v_add_f64 v[4:5], v[4:5], v[18:19]
	ds_bpermute_b32 v17, v26, v3
	ds_bpermute_b32 v18, v26, v4
	;; [unrolled: 1-line block ×3, first 2 shown]
	s_waitcnt lgkmcnt(2)
	v_add_f64 v[2:3], v[2:3], v[16:17]
	s_waitcnt lgkmcnt(0)
	v_add_f64 v[4:5], v[4:5], v[18:19]
	s_or_b64 exec, exec, s[12:13]
	s_and_saveexec_b64 s[12:13], s[8:9]
	s_cbranch_execz .LBB162_56
.LBB162_75:                             ;   in Loop: Header=BB162_57 Depth=1
	s_mul_hi_u32 s17, s49, s26
	s_mul_i32 s16, s49, s26
	s_lshl_b64 s[16:17], s[16:17], 4
	s_waitcnt lgkmcnt(0)
	v_mul_f64 v[16:17], s[22:23], v[4:5]
	v_mul_f64 v[18:19], s[20:21], v[4:5]
	s_add_u32 s16, s24, s16
	v_fma_f64 v[16:17], s[20:21], v[2:3], -v[16:17]
	v_fmac_f64_e32 v[18:19], s[22:23], v[2:3]
	s_addc_u32 s17, s30, s17
	global_store_dwordx4 v0, v[16:19], s[16:17]
	s_branch .LBB162_56
.LBB162_76:
	s_endpgm
	.section	.rodata,"a",@progbits
	.p2align	6, 0x0
	.amdhsa_kernel _ZL23rocblas_gemvt_sn_kernelILb0ELi256ELi4Ei19rocblas_complex_numIdEPKS1_S1_EviiT4_lPKT3_lilS7_lilPT5_i
		.amdhsa_group_segment_fixed_size 1024
		.amdhsa_private_segment_fixed_size 80
		.amdhsa_kernarg_size 360
		.amdhsa_user_sgpr_count 2
		.amdhsa_user_sgpr_dispatch_ptr 0
		.amdhsa_user_sgpr_queue_ptr 0
		.amdhsa_user_sgpr_kernarg_segment_ptr 1
		.amdhsa_user_sgpr_dispatch_id 0
		.amdhsa_user_sgpr_kernarg_preload_length 0
		.amdhsa_user_sgpr_kernarg_preload_offset 0
		.amdhsa_user_sgpr_private_segment_size 0
		.amdhsa_uses_dynamic_stack 0
		.amdhsa_enable_private_segment 1
		.amdhsa_system_sgpr_workgroup_id_x 1
		.amdhsa_system_sgpr_workgroup_id_y 0
		.amdhsa_system_sgpr_workgroup_id_z 1
		.amdhsa_system_sgpr_workgroup_info 0
		.amdhsa_system_vgpr_workitem_id 0
		.amdhsa_next_free_vgpr 120
		.amdhsa_next_free_sgpr 56
		.amdhsa_accum_offset 120
		.amdhsa_reserve_vcc 1
		.amdhsa_float_round_mode_32 0
		.amdhsa_float_round_mode_16_64 0
		.amdhsa_float_denorm_mode_32 3
		.amdhsa_float_denorm_mode_16_64 3
		.amdhsa_dx10_clamp 1
		.amdhsa_ieee_mode 1
		.amdhsa_fp16_overflow 0
		.amdhsa_tg_split 0
		.amdhsa_exception_fp_ieee_invalid_op 0
		.amdhsa_exception_fp_denorm_src 0
		.amdhsa_exception_fp_ieee_div_zero 0
		.amdhsa_exception_fp_ieee_overflow 0
		.amdhsa_exception_fp_ieee_underflow 0
		.amdhsa_exception_fp_ieee_inexact 0
		.amdhsa_exception_int_div_zero 0
	.end_amdhsa_kernel
	.section	.text._ZL23rocblas_gemvt_sn_kernelILb0ELi256ELi4Ei19rocblas_complex_numIdEPKS1_S1_EviiT4_lPKT3_lilS7_lilPT5_i,"axG",@progbits,_ZL23rocblas_gemvt_sn_kernelILb0ELi256ELi4Ei19rocblas_complex_numIdEPKS1_S1_EviiT4_lPKT3_lilS7_lilPT5_i,comdat
.Lfunc_end162:
	.size	_ZL23rocblas_gemvt_sn_kernelILb0ELi256ELi4Ei19rocblas_complex_numIdEPKS1_S1_EviiT4_lPKT3_lilS7_lilPT5_i, .Lfunc_end162-_ZL23rocblas_gemvt_sn_kernelILb0ELi256ELi4Ei19rocblas_complex_numIdEPKS1_S1_EviiT4_lPKT3_lilS7_lilPT5_i
                                        ; -- End function
	.section	.AMDGPU.csdata,"",@progbits
; Kernel info:
; codeLenInByte = 6728
; NumSgprs: 62
; NumVgprs: 120
; NumAgprs: 0
; TotalNumVgprs: 120
; ScratchSize: 80
; MemoryBound: 0
; FloatMode: 240
; IeeeMode: 1
; LDSByteSize: 1024 bytes/workgroup (compile time only)
; SGPRBlocks: 7
; VGPRBlocks: 14
; NumSGPRsForWavesPerEU: 62
; NumVGPRsForWavesPerEU: 120
; AccumOffset: 120
; Occupancy: 4
; WaveLimiterHint : 1
; COMPUTE_PGM_RSRC2:SCRATCH_EN: 1
; COMPUTE_PGM_RSRC2:USER_SGPR: 2
; COMPUTE_PGM_RSRC2:TRAP_HANDLER: 0
; COMPUTE_PGM_RSRC2:TGID_X_EN: 1
; COMPUTE_PGM_RSRC2:TGID_Y_EN: 0
; COMPUTE_PGM_RSRC2:TGID_Z_EN: 1
; COMPUTE_PGM_RSRC2:TIDIG_COMP_CNT: 0
; COMPUTE_PGM_RSRC3_GFX90A:ACCUM_OFFSET: 29
; COMPUTE_PGM_RSRC3_GFX90A:TG_SPLIT: 0
	.section	.text._ZL23rocblas_gemvt_sn_kernelILb0ELi256ELi4El19rocblas_complex_numIdEPKS1_S1_EviiT4_lPKT3_lilS7_lilPT5_i,"axG",@progbits,_ZL23rocblas_gemvt_sn_kernelILb0ELi256ELi4El19rocblas_complex_numIdEPKS1_S1_EviiT4_lPKT3_lilS7_lilPT5_i,comdat
	.globl	_ZL23rocblas_gemvt_sn_kernelILb0ELi256ELi4El19rocblas_complex_numIdEPKS1_S1_EviiT4_lPKT3_lilS7_lilPT5_i ; -- Begin function _ZL23rocblas_gemvt_sn_kernelILb0ELi256ELi4El19rocblas_complex_numIdEPKS1_S1_EviiT4_lPKT3_lilS7_lilPT5_i
	.p2align	8
	.type	_ZL23rocblas_gemvt_sn_kernelILb0ELi256ELi4El19rocblas_complex_numIdEPKS1_S1_EviiT4_lPKT3_lilS7_lilPT5_i,@function
_ZL23rocblas_gemvt_sn_kernelILb0ELi256ELi4El19rocblas_complex_numIdEPKS1_S1_EviiT4_lPKT3_lilS7_lilPT5_i: ; @_ZL23rocblas_gemvt_sn_kernelILb0ELi256ELi4El19rocblas_complex_numIdEPKS1_S1_EviiT4_lPKT3_lilS7_lilPT5_i
; %bb.0:
	s_load_dwordx8 s[12:19], s[0:1], 0x8
	s_load_dwordx2 s[24:25], s[0:1], 0x0
	s_mov_b32 s27, 0
	s_waitcnt lgkmcnt(0)
	s_mul_i32 s4, s3, s15
	s_mul_hi_u32 s5, s3, s14
	s_add_i32 s5, s5, s4
	s_mul_i32 s4, s3, s14
	s_lshl_b64 s[4:5], s[4:5], 4
	s_add_u32 s4, s12, s4
	s_addc_u32 s5, s13, s5
	s_load_dwordx4 s[20:23], s[4:5], 0x0
	s_load_dwordx4 s[8:11], s[0:1], 0x50
	s_load_dword s26, s[0:1], 0x68
	s_ashr_i32 s42, s25, 31
	s_mul_hi_u32 s4, s25, s3
	s_mul_i32 s5, s42, s3
	s_add_i32 s4, s4, s5
	s_mul_i32 s5, s25, s3
	s_waitcnt lgkmcnt(0)
	s_mul_i32 s4, s4, s26
	s_mul_hi_u32 s6, s5, s26
	s_add_i32 s7, s6, s4
	s_mul_i32 s6, s5, s26
	v_cmp_neq_f64_e64 s[4:5], s[20:21], 0
	v_cmp_neq_f64_e64 s[12:13], s[22:23], 0
	s_or_b64 s[4:5], s[4:5], s[12:13]
	s_mov_b64 s[12:13], -1
	s_and_b64 vcc, exec, s[4:5]
	v_cmp_eq_u32_e64 s[4:5], 0, v0
	s_cbranch_vccnz .LBB163_5
; %bb.1:
	s_cmp_gt_i32 s25, 0
	s_cselect_b64 s[12:13], -1, 0
	s_and_b64 s[12:13], s[4:5], s[12:13]
	s_and_saveexec_b64 s[4:5], s[12:13]
	s_cbranch_execz .LBB163_4
; %bb.2:
	s_mov_b32 s12, s3
	s_mov_b32 s3, 0
	s_lshl_b64 s[14:15], s[6:7], 4
	s_lshl_b64 s[28:29], s[2:3], 4
	s_mov_b32 s3, s12
	s_add_u32 s12, s14, s28
	s_addc_u32 s13, s15, s29
	s_add_u32 s12, s12, s10
	s_addc_u32 s13, s13, s11
	s_add_u32 s12, s12, 8
	v_mov_b32_e32 v2, 0
	s_addc_u32 s13, s13, 0
	s_lshl_b64 s[14:15], s[26:27], 4
	v_mov_b32_e32 v3, v2
	v_mov_b32_e32 v4, v2
	;; [unrolled: 1-line block ×3, first 2 shown]
	s_mov_b32 s27, s25
.LBB163_3:                              ; =>This Inner Loop Header: Depth=1
	s_add_i32 s27, s27, -1
	global_store_dwordx4 v2, v[2:5], s[12:13] offset:-8
	s_add_u32 s12, s12, s14
	s_addc_u32 s13, s13, s15
	s_cmp_eq_u32 s27, 0
	s_cbranch_scc0 .LBB163_3
.LBB163_4:
	s_or_b64 exec, exec, s[4:5]
	s_mov_b64 s[12:13], 0
.LBB163_5:
	s_andn2_b64 vcc, exec, s[12:13]
	s_cbranch_vccnz .LBB163_76
; %bb.6:
	s_load_dword s28, s[0:1], 0x28
	s_load_dword s30, s[0:1], 0x48
	s_load_dwordx2 s[4:5], s[0:1], 0x40
	s_load_dwordx4 s[12:15], s[0:1], 0x30
	s_mul_i32 s0, s3, s9
	s_mul_hi_u32 s1, s3, s8
	s_add_i32 s1, s1, s0
	s_mul_i32 s0, s3, s8
	s_waitcnt lgkmcnt(0)
	s_ashr_i32 s29, s28, 31
	s_ashr_i32 s31, s30, 31
	s_lshl_b64 s[34:35], s[0:1], 4
	s_add_u32 s0, s14, s34
	s_addc_u32 s1, s15, s35
	s_lshl_b64 s[38:39], s[4:5], 4
	s_add_u32 s40, s0, s38
	s_addc_u32 s41, s1, s39
	;; [unrolled: 3-line block ×3, first 2 shown]
	s_mul_i32 s0, s3, s13
	s_mul_hi_u32 s1, s3, s12
	s_add_i32 s1, s1, s0
	s_mul_i32 s0, s3, s12
	s_lshl_b64 s[36:37], s[0:1], 4
	s_add_u32 s0, s16, s36
	s_addc_u32 s1, s17, s37
	s_lshl_b64 s[18:19], s[18:19], 4
	s_add_u32 s0, s0, s18
	s_addc_u32 s1, s1, s19
	s_lshl_b32 s3, s2, 10
	v_lshl_or_b32 v26, v0, 2, s3
	v_ashrrev_i32_e32 v27, 31, v26
	v_lshl_add_u64 v[24:25], v[26:27], 4, s[0:1]
	s_lshr_b32 s0, s42, 30
	s_add_i32 s0, s25, s0
	s_and_b32 s55, s0, -4
	s_ashr_i32 s0, s24, 31
	s_lshr_b32 s0, s0, 30
	s_add_i32 s0, s24, s0
	s_and_b32 s0, s0, -4
	s_sub_i32 s27, s24, s0
	s_cmp_lt_i32 s55, 1
	v_add_u32_e32 v53, 4, v26
	v_add_u32_e32 v54, s27, v26
	v_and_b32_e32 v50, 63, v0
	v_cmp_gt_u32_e64 s[0:1], 64, v0
	v_mbcnt_lo_u32_b32 v52, -1, 0
	v_cmp_gt_u32_e64 s[4:5], 4, v0
	v_lshrrev_b32_e32 v51, 2, v0
	v_or_b32_e32 v49, 1, v26
	v_or_b32_e32 v48, 2, v26
	;; [unrolled: 1-line block ×3, first 2 shown]
	s_cbranch_scc1 .LBB163_53
; %bb.7:
	v_mbcnt_hi_u32_b32 v2, -1, v52
	v_and_b32_e32 v3, 63, v2
	v_cmp_gt_u32_e32 vcc, 32, v3
	s_mov_b32 s3, 0
	s_cmp_gt_i32 s27, 0
	v_cndmask_b32_e64 v4, 0, 1, vcc
	v_lshlrev_b32_e32 v4, 5, v4
	v_cmp_gt_u32_e32 vcc, 48, v3
	v_add_lshl_u32 v55, v4, v2, 2
	s_cselect_b64 s[42:43], -1, 0
	v_cndmask_b32_e64 v4, 0, 1, vcc
	v_lshlrev_b32_e32 v4, 4, v4
	v_cmp_gt_u32_e32 vcc, 56, v3
	v_add_lshl_u32 v56, v4, v2, 2
	s_lshl_b64 s[44:45], s[2:3], 4
	v_cndmask_b32_e64 v4, 0, 1, vcc
	v_lshlrev_b32_e32 v4, 3, v4
	v_cmp_gt_u32_e32 vcc, 60, v3
	v_add_lshl_u32 v57, v4, v2, 2
	s_add_u32 s56, s33, s44
	v_cndmask_b32_e64 v4, 0, 1, vcc
	v_lshlrev_b32_e32 v4, 2, v4
	v_cmp_gt_u32_e32 vcc, 62, v3
	v_add_lshl_u32 v58, v4, v2, 2
	s_addc_u32 s57, s54, s45
	v_cndmask_b32_e64 v4, 0, 1, vcc
	v_lshlrev_b32_e32 v4, 1, v4
	v_add_lshl_u32 v59, v4, v2, 2
	v_cmp_ne_u32_e32 vcc, 63, v3
	v_mad_i64_i32 v[4:5], s[44:45], s30, v49, 0
	s_nop 0
	v_addc_co_u32_e32 v2, vcc, 0, v2, vcc
	v_lshl_add_u64 v[30:31], v[4:5], 4, s[40:41]
	v_mad_i64_i32 v[4:5], s[44:45], s30, v48, 0
	v_lshlrev_b32_e32 v60, 2, v2
	v_mad_i64_i32 v[2:3], s[44:45], s30, v26, 0
	v_lshl_add_u64 v[32:33], v[4:5], 4, s[40:41]
	v_mad_i64_i32 v[4:5], s[44:45], s30, v1, 0
	s_add_u32 s44, s14, s38
	s_addc_u32 s45, s15, s39
	s_add_u32 s44, s44, s34
	v_lshlrev_b64 v[2:3], 4, v[2:3]
	v_mov_b32_e32 v6, 0
	s_addc_u32 s45, s45, s35
	v_cmp_ge_i32_e64 s[6:7], s24, v53
	v_cmp_ge_i32_e64 s[8:9], s24, v54
	v_cmp_eq_u32_e64 s[10:11], 0, v50
	v_lshlrev_b32_e32 v61, 4, v50
	v_and_b32_e32 v62, 48, v51
	v_cmp_eq_u32_e64 s[12:13], 0, v0
	v_lshl_add_u64 v[28:29], s[40:41], 0, v[2:3]
	v_add_u32_e32 v63, 16, v6
	v_add_u32_e32 v64, 32, v6
	v_lshl_add_u64 v[34:35], v[4:5], 4, s[40:41]
	v_add_u32_e32 v65, 48, v6
	v_lshl_add_u64 v[36:37], s[44:45], 0, v[2:3]
	s_lshl_b64 s[44:45], s[30:31], 4
	s_lshl_b64 s[46:47], s[28:29], 6
	;; [unrolled: 1-line block ×3, first 2 shown]
	v_mov_b32_e32 v2, 0
	v_mov_b64_e32 v[38:39], v[24:25]
	s_branch .LBB163_9
.LBB163_8:                              ;   in Loop: Header=BB163_9 Depth=1
	s_or_b64 exec, exec, s[50:51]
	s_add_i32 s3, s3, 4
	s_cmp_ge_i32 s3, s55
	v_lshl_add_u64 v[38:39], v[38:39], 0, s[46:47]
	s_cbranch_scc1 .LBB163_54
.LBB163_9:                              ; =>This Loop Header: Depth=1
                                        ;     Child Loop BB163_40 Depth 2
                                        ;     Child Loop BB163_42 Depth 2
                                        ; implicit-def: $vgpr18_vgpr19
                                        ; implicit-def: $vgpr20_vgpr21
                                        ; implicit-def: $vgpr14_vgpr15
                                        ; implicit-def: $vgpr16_vgpr17
                                        ; implicit-def: $vgpr10_vgpr11
                                        ; implicit-def: $vgpr12_vgpr13
                                        ; implicit-def: $vgpr8_vgpr9
                                        ; implicit-def: $vgpr6_vgpr7
	s_and_saveexec_b64 s[50:51], s[6:7]
	s_xor_b64 s[50:51], exec, s[50:51]
	s_cbranch_execnz .LBB163_36
; %bb.10:                               ;   in Loop: Header=BB163_9 Depth=1
	s_andn2_saveexec_b64 s[50:51], s[50:51]
	s_cbranch_execnz .LBB163_37
.LBB163_11:                             ;   in Loop: Header=BB163_9 Depth=1
	s_or_b64 exec, exec, s[50:51]
	s_and_saveexec_b64 s[50:51], s[0:1]
	s_cbranch_execz .LBB163_13
.LBB163_12:                             ;   in Loop: Header=BB163_9 Depth=1
	v_mov_b32_e32 v3, v2
	v_mov_b32_e32 v4, v2
	;; [unrolled: 1-line block ×3, first 2 shown]
	ds_write_b128 v61, v[2:5]
.LBB163_13:                             ;   in Loop: Header=BB163_9 Depth=1
	s_or_b64 exec, exec, s[50:51]
	ds_bpermute_b32 v4, v55, v8
	ds_bpermute_b32 v5, v55, v9
	;; [unrolled: 1-line block ×4, first 2 shown]
	s_waitcnt lgkmcnt(0)
	s_barrier
	v_add_f64 v[4:5], v[8:9], v[4:5]
	ds_bpermute_b32 v8, v56, v4
	v_add_f64 v[6:7], v[6:7], v[22:23]
	ds_bpermute_b32 v9, v56, v5
	ds_bpermute_b32 v22, v56, v6
	;; [unrolled: 1-line block ×3, first 2 shown]
	s_waitcnt lgkmcnt(0)
	v_add_f64 v[4:5], v[4:5], v[8:9]
	ds_bpermute_b32 v8, v57, v4
	v_add_f64 v[6:7], v[6:7], v[22:23]
	ds_bpermute_b32 v9, v57, v5
	ds_bpermute_b32 v22, v57, v6
	;; [unrolled: 1-line block ×3, first 2 shown]
	s_waitcnt lgkmcnt(2)
	v_add_f64 v[4:5], v[4:5], v[8:9]
	ds_bpermute_b32 v8, v58, v4
	s_waitcnt lgkmcnt(1)
	v_add_f64 v[6:7], v[6:7], v[22:23]
	ds_bpermute_b32 v9, v58, v5
	ds_bpermute_b32 v22, v58, v6
	;; [unrolled: 1-line block ×3, first 2 shown]
	s_waitcnt lgkmcnt(2)
	v_add_f64 v[4:5], v[4:5], v[8:9]
	ds_bpermute_b32 v8, v59, v4
	s_waitcnt lgkmcnt(1)
	v_add_f64 v[6:7], v[6:7], v[22:23]
	ds_bpermute_b32 v9, v59, v5
	ds_bpermute_b32 v22, v59, v6
	;; [unrolled: 1-line block ×3, first 2 shown]
	s_waitcnt lgkmcnt(2)
	v_add_f64 v[4:5], v[4:5], v[8:9]
	s_waitcnt lgkmcnt(0)
	v_add_f64 v[8:9], v[6:7], v[22:23]
	ds_bpermute_b32 v6, v60, v4
	ds_bpermute_b32 v7, v60, v5
	ds_bpermute_b32 v22, v60, v8
	ds_bpermute_b32 v23, v60, v9
	s_and_saveexec_b64 s[50:51], s[10:11]
	s_cbranch_execz .LBB163_15
; %bb.14:                               ;   in Loop: Header=BB163_9 Depth=1
	s_waitcnt lgkmcnt(0)
	v_add_f64 v[8:9], v[8:9], v[22:23]
	v_add_f64 v[6:7], v[4:5], v[6:7]
	ds_write_b128 v62, v[6:9]
.LBB163_15:                             ;   in Loop: Header=BB163_9 Depth=1
	s_or_b64 exec, exec, s[50:51]
	v_mov_b64_e32 v[8:9], 0
	s_waitcnt lgkmcnt(2)
	v_mov_b64_e32 v[6:7], v[8:9]
	s_waitcnt lgkmcnt(0)
	s_barrier
	s_and_saveexec_b64 s[50:51], s[4:5]
	s_cbranch_execnz .LBB163_44
; %bb.16:                               ;   in Loop: Header=BB163_9 Depth=1
	s_or_b64 exec, exec, s[50:51]
	s_and_saveexec_b64 s[50:51], s[0:1]
	s_cbranch_execnz .LBB163_45
.LBB163_17:                             ;   in Loop: Header=BB163_9 Depth=1
	s_or_b64 exec, exec, s[50:51]
	s_and_saveexec_b64 s[50:51], s[0:1]
	s_cbranch_execz .LBB163_19
.LBB163_18:                             ;   in Loop: Header=BB163_9 Depth=1
	v_mov_b32_e32 v3, v2
	v_mov_b32_e32 v4, v2
	;; [unrolled: 1-line block ×3, first 2 shown]
	ds_write_b128 v61, v[2:5]
.LBB163_19:                             ;   in Loop: Header=BB163_9 Depth=1
	s_or_b64 exec, exec, s[50:51]
	ds_bpermute_b32 v4, v55, v10
	ds_bpermute_b32 v5, v55, v11
	;; [unrolled: 1-line block ×4, first 2 shown]
	s_waitcnt lgkmcnt(0)
	s_barrier
	v_add_f64 v[4:5], v[10:11], v[4:5]
	v_add_f64 v[10:11], v[12:13], v[22:23]
	ds_bpermute_b32 v12, v56, v4
	ds_bpermute_b32 v13, v56, v5
	ds_bpermute_b32 v22, v56, v10
	ds_bpermute_b32 v23, v56, v11
	s_waitcnt lgkmcnt(2)
	v_add_f64 v[4:5], v[4:5], v[12:13]
	ds_bpermute_b32 v12, v57, v4
	s_waitcnt lgkmcnt(1)
	v_add_f64 v[10:11], v[10:11], v[22:23]
	ds_bpermute_b32 v13, v57, v5
	ds_bpermute_b32 v22, v57, v10
	ds_bpermute_b32 v23, v57, v11
	s_waitcnt lgkmcnt(2)
	v_add_f64 v[4:5], v[4:5], v[12:13]
	ds_bpermute_b32 v12, v58, v4
	s_waitcnt lgkmcnt(1)
	v_add_f64 v[10:11], v[10:11], v[22:23]
	ds_bpermute_b32 v13, v58, v5
	ds_bpermute_b32 v22, v58, v10
	ds_bpermute_b32 v23, v58, v11
	;; [unrolled: 8-line block ×3, first 2 shown]
	s_waitcnt lgkmcnt(2)
	v_add_f64 v[4:5], v[4:5], v[12:13]
	s_waitcnt lgkmcnt(0)
	v_add_f64 v[12:13], v[10:11], v[22:23]
	ds_bpermute_b32 v10, v60, v4
	ds_bpermute_b32 v11, v60, v5
	;; [unrolled: 1-line block ×4, first 2 shown]
	s_and_saveexec_b64 s[50:51], s[10:11]
	s_cbranch_execz .LBB163_21
; %bb.20:                               ;   in Loop: Header=BB163_9 Depth=1
	s_waitcnt lgkmcnt(0)
	v_add_f64 v[12:13], v[12:13], v[22:23]
	v_add_f64 v[10:11], v[4:5], v[10:11]
	ds_write_b128 v62, v[10:13]
.LBB163_21:                             ;   in Loop: Header=BB163_9 Depth=1
	s_or_b64 exec, exec, s[50:51]
	v_mov_b64_e32 v[12:13], 0
	s_waitcnt lgkmcnt(2)
	v_mov_b64_e32 v[10:11], v[12:13]
	s_waitcnt lgkmcnt(0)
	s_barrier
	s_and_saveexec_b64 s[50:51], s[4:5]
	s_cbranch_execnz .LBB163_46
; %bb.22:                               ;   in Loop: Header=BB163_9 Depth=1
	s_or_b64 exec, exec, s[50:51]
	s_and_saveexec_b64 s[50:51], s[0:1]
	s_cbranch_execnz .LBB163_47
.LBB163_23:                             ;   in Loop: Header=BB163_9 Depth=1
	s_or_b64 exec, exec, s[50:51]
	s_and_saveexec_b64 s[50:51], s[0:1]
	s_cbranch_execz .LBB163_25
.LBB163_24:                             ;   in Loop: Header=BB163_9 Depth=1
	v_mov_b32_e32 v3, v2
	v_mov_b32_e32 v4, v2
	;; [unrolled: 1-line block ×3, first 2 shown]
	ds_write_b128 v61, v[2:5]
.LBB163_25:                             ;   in Loop: Header=BB163_9 Depth=1
	s_or_b64 exec, exec, s[50:51]
	ds_bpermute_b32 v4, v55, v14
	ds_bpermute_b32 v5, v55, v15
	ds_bpermute_b32 v22, v55, v16
	ds_bpermute_b32 v23, v55, v17
	s_waitcnt lgkmcnt(0)
	s_barrier
	v_add_f64 v[4:5], v[14:15], v[4:5]
	v_add_f64 v[14:15], v[16:17], v[22:23]
	ds_bpermute_b32 v16, v56, v4
	ds_bpermute_b32 v17, v56, v5
	;; [unrolled: 1-line block ×4, first 2 shown]
	s_waitcnt lgkmcnt(2)
	v_add_f64 v[4:5], v[4:5], v[16:17]
	ds_bpermute_b32 v16, v57, v4
	s_waitcnt lgkmcnt(1)
	v_add_f64 v[14:15], v[14:15], v[22:23]
	ds_bpermute_b32 v17, v57, v5
	ds_bpermute_b32 v22, v57, v14
	ds_bpermute_b32 v23, v57, v15
	s_waitcnt lgkmcnt(2)
	v_add_f64 v[4:5], v[4:5], v[16:17]
	ds_bpermute_b32 v16, v58, v4
	s_waitcnt lgkmcnt(1)
	v_add_f64 v[14:15], v[14:15], v[22:23]
	ds_bpermute_b32 v17, v58, v5
	ds_bpermute_b32 v22, v58, v14
	ds_bpermute_b32 v23, v58, v15
	;; [unrolled: 8-line block ×3, first 2 shown]
	s_waitcnt lgkmcnt(2)
	v_add_f64 v[4:5], v[4:5], v[16:17]
	s_waitcnt lgkmcnt(0)
	v_add_f64 v[16:17], v[14:15], v[22:23]
	ds_bpermute_b32 v14, v60, v4
	ds_bpermute_b32 v15, v60, v5
	;; [unrolled: 1-line block ×4, first 2 shown]
	s_and_saveexec_b64 s[50:51], s[10:11]
	s_cbranch_execz .LBB163_27
; %bb.26:                               ;   in Loop: Header=BB163_9 Depth=1
	s_waitcnt lgkmcnt(0)
	v_add_f64 v[16:17], v[16:17], v[22:23]
	v_add_f64 v[14:15], v[4:5], v[14:15]
	ds_write_b128 v62, v[14:17]
.LBB163_27:                             ;   in Loop: Header=BB163_9 Depth=1
	s_or_b64 exec, exec, s[50:51]
	v_mov_b64_e32 v[16:17], 0
	s_waitcnt lgkmcnt(2)
	v_mov_b64_e32 v[14:15], v[16:17]
	s_waitcnt lgkmcnt(0)
	s_barrier
	s_and_saveexec_b64 s[50:51], s[4:5]
	s_cbranch_execnz .LBB163_48
; %bb.28:                               ;   in Loop: Header=BB163_9 Depth=1
	s_or_b64 exec, exec, s[50:51]
	s_and_saveexec_b64 s[50:51], s[0:1]
	s_cbranch_execnz .LBB163_49
.LBB163_29:                             ;   in Loop: Header=BB163_9 Depth=1
	s_or_b64 exec, exec, s[50:51]
	s_and_saveexec_b64 s[50:51], s[0:1]
	s_cbranch_execz .LBB163_31
.LBB163_30:                             ;   in Loop: Header=BB163_9 Depth=1
	v_mov_b32_e32 v3, v2
	v_mov_b32_e32 v4, v2
	;; [unrolled: 1-line block ×3, first 2 shown]
	ds_write_b128 v61, v[2:5]
.LBB163_31:                             ;   in Loop: Header=BB163_9 Depth=1
	s_or_b64 exec, exec, s[50:51]
	ds_bpermute_b32 v4, v55, v18
	ds_bpermute_b32 v5, v55, v19
	;; [unrolled: 1-line block ×4, first 2 shown]
	s_waitcnt lgkmcnt(0)
	s_barrier
	v_add_f64 v[4:5], v[18:19], v[4:5]
	v_add_f64 v[18:19], v[20:21], v[22:23]
	ds_bpermute_b32 v20, v56, v4
	ds_bpermute_b32 v21, v56, v5
	;; [unrolled: 1-line block ×4, first 2 shown]
	s_waitcnt lgkmcnt(2)
	v_add_f64 v[4:5], v[4:5], v[20:21]
	ds_bpermute_b32 v20, v57, v4
	s_waitcnt lgkmcnt(1)
	v_add_f64 v[18:19], v[18:19], v[22:23]
	ds_bpermute_b32 v21, v57, v5
	ds_bpermute_b32 v22, v57, v18
	ds_bpermute_b32 v23, v57, v19
	s_waitcnt lgkmcnt(2)
	v_add_f64 v[4:5], v[4:5], v[20:21]
	ds_bpermute_b32 v20, v58, v4
	s_waitcnt lgkmcnt(1)
	v_add_f64 v[18:19], v[18:19], v[22:23]
	ds_bpermute_b32 v21, v58, v5
	ds_bpermute_b32 v22, v58, v18
	ds_bpermute_b32 v23, v58, v19
	;; [unrolled: 8-line block ×3, first 2 shown]
	s_waitcnt lgkmcnt(2)
	v_add_f64 v[4:5], v[4:5], v[20:21]
	s_waitcnt lgkmcnt(0)
	v_add_f64 v[20:21], v[18:19], v[22:23]
	ds_bpermute_b32 v18, v60, v4
	ds_bpermute_b32 v19, v60, v5
	;; [unrolled: 1-line block ×4, first 2 shown]
	s_and_saveexec_b64 s[50:51], s[10:11]
	s_cbranch_execz .LBB163_33
; %bb.32:                               ;   in Loop: Header=BB163_9 Depth=1
	s_waitcnt lgkmcnt(0)
	v_add_f64 v[20:21], v[20:21], v[22:23]
	v_add_f64 v[18:19], v[4:5], v[18:19]
	ds_write_b128 v62, v[18:21]
.LBB163_33:                             ;   in Loop: Header=BB163_9 Depth=1
	s_or_b64 exec, exec, s[50:51]
	v_mov_b64_e32 v[20:21], 0
	s_waitcnt lgkmcnt(2)
	v_mov_b64_e32 v[18:19], v[20:21]
	s_waitcnt lgkmcnt(0)
	s_barrier
	s_and_saveexec_b64 s[50:51], s[4:5]
	s_cbranch_execnz .LBB163_50
; %bb.34:                               ;   in Loop: Header=BB163_9 Depth=1
	s_or_b64 exec, exec, s[50:51]
	s_and_saveexec_b64 s[50:51], s[0:1]
	s_cbranch_execnz .LBB163_51
.LBB163_35:                             ;   in Loop: Header=BB163_9 Depth=1
	s_or_b64 exec, exec, s[50:51]
	s_and_saveexec_b64 s[50:51], s[12:13]
	s_cbranch_execz .LBB163_8
	s_branch .LBB163_52
.LBB163_36:                             ;   in Loop: Header=BB163_9 Depth=1
	global_load_dwordx4 v[4:7], v[30:31], off
	global_load_dwordx4 v[66:69], v[32:33], off
	s_mul_i32 s53, s3, s29
	s_mul_hi_u32 s58, s3, s28
	s_or_b32 s59, s3, 1
	s_mul_i32 s52, s3, s28
	s_or_b32 s60, s3, 2
	s_add_i32 s53, s58, s53
	s_mul_i32 s61, s59, s29
	s_mul_hi_u32 s63, s59, s28
	s_mul_i32 s58, s59, s28
	s_mul_i32 s64, s60, s29
	s_mul_hi_u32 s65, s60, s28
	v_lshl_add_u64 v[44:45], s[52:53], 4, v[24:25]
	s_add_i32 s59, s63, s61
	s_mul_i32 s60, s60, s28
	global_load_dwordx4 v[8:11], v[44:45], off offset:16
	v_lshl_add_u64 v[46:47], s[58:59], 4, v[24:25]
	s_add_i32 s61, s65, s64
	s_or_b32 s62, s3, 3
	global_load_dwordx4 v[12:15], v[46:47], off offset:16
	v_lshl_add_u64 v[40:41], s[60:61], 4, v[24:25]
	s_waitcnt lgkmcnt(0)
	global_load_dwordx4 v[16:19], v[40:41], off offset:16
	s_mul_i32 s53, s62, s29
	s_mul_hi_u32 s58, s62, s28
	s_mul_i32 s52, s62, s28
	s_add_i32 s53, s58, s53
	v_lshl_add_u64 v[42:43], s[52:53], 4, v[24:25]
	s_waitcnt vmcnt(4)
	scratch_store_dwordx4 v63, v[4:7], off
	scratch_load_dwordx4 v[4:7], off, off offset:16
	s_nop 0
	global_load_dwordx4 v[20:23], v[42:43], off offset:16
	global_load_dwordx4 v[70:73], v[34:35], off
	global_load_dwordx4 v[74:77], v[44:45], off offset:32
	s_waitcnt vmcnt(3)
	v_mul_f64 v[106:107], v[6:7], v[10:11]
	scratch_store_dwordx4 v64, v[66:69], off
	scratch_load_dwordx4 v[66:69], off, off offset:32
	s_nop 0
	global_load_dwordx4 v[78:81], v[46:47], off offset:32
	global_load_dwordx4 v[82:85], v[28:29], off
	global_load_dwordx4 v[86:89], v[40:41], off offset:32
	global_load_dwordx4 v[90:93], v[44:45], off
	global_load_dwordx4 v[94:97], v[46:47], off
	;; [unrolled: 1-line block ×3, first 2 shown]
	global_load_dwordx4 v[102:105], v[42:43], off offset:32
	v_mul_f64 v[108:109], v[4:5], v[10:11]
	v_fma_f64 v[106:107], v[4:5], v[8:9], -v[106:107]
	v_fmac_f64_e32 v[108:109], v[6:7], v[8:9]
	v_mul_f64 v[8:9], v[6:7], v[14:15]
	v_fma_f64 v[112:113], v[4:5], v[12:13], -v[8:9]
	v_mul_f64 v[8:9], v[6:7], v[18:19]
	v_mul_f64 v[110:111], v[4:5], v[14:15]
	v_mul_f64 v[114:115], v[4:5], v[18:19]
	v_fma_f64 v[116:117], v[4:5], v[16:17], -v[8:9]
	s_waitcnt vmcnt(11)
	v_mul_f64 v[8:9], v[6:7], v[22:23]
	v_mul_f64 v[118:119], v[4:5], v[22:23]
	v_fmac_f64_e32 v[110:111], v[6:7], v[12:13]
	v_fmac_f64_e32 v[114:115], v[6:7], v[16:17]
	v_fma_f64 v[120:121], v[4:5], v[20:21], -v[8:9]
	v_fmac_f64_e32 v[118:119], v[6:7], v[20:21]
	global_load_dwordx4 v[4:7], v[42:43], off
	global_load_dwordx4 v[8:11], v[44:45], off offset:48
	global_load_dwordx4 v[12:15], v[46:47], off offset:48
	s_waitcnt vmcnt(10)
	v_mul_f64 v[16:17], v[68:69], v[76:77]
	v_fma_f64 v[46:47], v[66:67], v[74:75], -v[16:17]
	s_waitcnt vmcnt(9)
	v_mul_f64 v[16:17], v[68:69], v[80:81]
	scratch_store_dwordx4 v65, v[70:73], off
	v_mul_f64 v[44:45], v[66:67], v[76:77]
	s_waitcnt vmcnt(7)
	v_mul_f64 v[20:21], v[84:85], v[92:93]
	v_fma_f64 v[72:73], v[66:67], v[78:79], -v[16:17]
	v_mul_f64 v[16:17], v[68:69], v[88:89]
	v_mul_f64 v[70:71], v[66:67], v[80:81]
	v_fma_f64 v[76:77], v[66:67], v[86:87], -v[16:17]
	s_waitcnt vmcnt(4)
	v_mul_f64 v[16:17], v[68:69], v[104:105]
	v_fmac_f64_e32 v[44:45], v[68:69], v[74:75]
	v_fmac_f64_e32 v[70:71], v[68:69], v[78:79]
	v_mul_f64 v[74:75], v[66:67], v[88:89]
	v_mul_f64 v[78:79], v[66:67], v[104:105]
	v_fma_f64 v[66:67], v[66:67], v[102:103], -v[16:17]
	scratch_load_dwordx4 v[16:19], off, off offset:48
	v_fma_f64 v[80:81], v[82:83], v[90:91], -v[20:21]
	v_mul_f64 v[20:21], v[84:85], v[96:97]
	v_fmac_f64_e32 v[74:75], v[68:69], v[86:87]
	v_mul_f64 v[86:87], v[82:83], v[96:97]
	v_fma_f64 v[88:89], v[82:83], v[94:95], -v[20:21]
	v_mul_f64 v[20:21], v[84:85], v[100:101]
	v_fmac_f64_e32 v[78:79], v[68:69], v[102:103]
	v_mul_f64 v[68:69], v[82:83], v[92:93]
	v_fmac_f64_e32 v[86:87], v[84:85], v[94:95]
	v_fma_f64 v[92:93], v[82:83], v[98:99], -v[20:21]
	s_waitcnt vmcnt(4)
	v_mul_f64 v[20:21], v[84:85], v[6:7]
	v_mul_f64 v[94:95], v[82:83], v[6:7]
	v_fma_f64 v[96:97], v[82:83], v[4:5], -v[20:21]
	v_fmac_f64_e32 v[94:95], v[84:85], v[4:5]
	global_load_dwordx4 v[4:7], v[40:41], off offset:48
	global_load_dwordx4 v[20:23], v[42:43], off offset:48
	v_fmac_f64_e32 v[68:69], v[84:85], v[90:91]
	v_mul_f64 v[90:91], v[82:83], v[100:101]
	v_fmac_f64_e32 v[90:91], v[84:85], v[98:99]
	scratch_store_dwordx4 off, v[82:85], off
	v_add_f64 v[42:43], v[68:69], 0
	v_add_f64 v[68:69], v[88:89], 0
	;; [unrolled: 1-line block ×8, first 2 shown]
	s_waitcnt vmcnt(3)
	v_mul_f64 v[90:91], v[18:19], v[10:11]
	v_mul_f64 v[10:11], v[16:17], v[10:11]
	v_fma_f64 v[90:91], v[16:17], v[8:9], -v[90:91]
	v_fmac_f64_e32 v[10:11], v[18:19], v[8:9]
	v_mul_f64 v[8:9], v[18:19], v[14:15]
	v_fma_f64 v[92:93], v[16:17], v[12:13], -v[8:9]
	v_mul_f64 v[14:15], v[16:17], v[14:15]
	v_fmac_f64_e32 v[14:15], v[18:19], v[12:13]
	v_add_f64 v[12:13], v[68:69], v[112:113]
	v_add_f64 v[12:13], v[12:13], v[72:73]
	s_waitcnt vmcnt(2)
	v_mul_f64 v[8:9], v[18:19], v[6:7]
	v_mul_f64 v[94:95], v[16:17], v[6:7]
	v_fma_f64 v[96:97], v[16:17], v[4:5], -v[8:9]
	v_fmac_f64_e32 v[94:95], v[18:19], v[4:5]
	s_waitcnt vmcnt(1)
	v_mul_f64 v[4:5], v[18:19], v[22:23]
	v_mul_f64 v[22:23], v[16:17], v[22:23]
	v_fma_f64 v[4:5], v[16:17], v[20:21], -v[4:5]
	v_fmac_f64_e32 v[22:23], v[18:19], v[20:21]
	v_add_f64 v[6:7], v[40:41], v[106:107]
	v_add_f64 v[8:9], v[42:43], v[108:109]
	;; [unrolled: 1-line block ×22, first 2 shown]
	s_andn2_saveexec_b64 s[50:51], s[50:51]
	s_cbranch_execz .LBB163_11
.LBB163_37:                             ;   in Loop: Header=BB163_9 Depth=1
	s_waitcnt lgkmcnt(0)
	v_mov_b64_e32 v[18:19], 0
	v_mov_b64_e32 v[20:21], v[18:19]
	;; [unrolled: 1-line block ×8, first 2 shown]
	s_and_saveexec_b64 s[52:53], s[8:9]
	s_cbranch_execz .LBB163_43
; %bb.38:                               ;   in Loop: Header=BB163_9 Depth=1
	v_mov_b64_e32 v[18:19], 0
	s_andn2_b64 vcc, exec, s[42:43]
	v_mov_b64_e32 v[20:21], v[18:19]
	v_mov_b64_e32 v[14:15], v[18:19]
	;; [unrolled: 1-line block ×7, first 2 shown]
	s_cbranch_vccnz .LBB163_43
; %bb.39:                               ;   in Loop: Header=BB163_9 Depth=1
	v_mov_b32_e32 v3, 0
	v_mov_b64_e32 v[4:5], v[36:37]
	s_mov_b32 s58, s27
.LBB163_40:                             ;   Parent Loop BB163_9 Depth=1
                                        ; =>  This Inner Loop Header: Depth=2
	global_load_dwordx4 v[6:9], v[4:5], off
	s_add_i32 s58, s58, -1
	v_lshl_add_u64 v[4:5], v[4:5], 0, s[44:45]
	s_cmp_eq_u32 s58, 0
	s_waitcnt vmcnt(0)
	scratch_store_dwordx4 v3, v[6:9], off
	v_add_u32_e32 v3, 16, v3
	s_cbranch_scc0 .LBB163_40
; %bb.41:                               ;   in Loop: Header=BB163_9 Depth=1
	v_mov_b64_e32 v[6:7], 0
	v_mov_b32_e32 v3, 0
	v_mov_b64_e32 v[4:5], v[38:39]
	s_mov_b32 s58, s27
	v_mov_b64_e32 v[8:9], v[6:7]
	v_mov_b64_e32 v[12:13], v[6:7]
	;; [unrolled: 1-line block ×7, first 2 shown]
.LBB163_42:                             ;   Parent Loop BB163_9 Depth=1
                                        ; =>  This Inner Loop Header: Depth=2
	scratch_load_dwordx4 v[40:43], v3, off
	global_load_dwordx4 v[44:47], v[4:5], off
	v_lshl_add_u64 v[22:23], v[4:5], 0, s[48:49]
	global_load_dwordx4 v[66:69], v[22:23], off
	v_lshl_add_u64 v[22:23], v[22:23], 0, s[48:49]
	;; [unrolled: 2-line block ×3, first 2 shown]
	global_load_dwordx4 v[74:77], v[22:23], off
	s_add_i32 s58, s58, -1
	v_add_u32_e32 v3, 16, v3
	s_cmp_lg_u32 s58, 0
	v_lshl_add_u64 v[4:5], v[4:5], 0, 16
	s_waitcnt vmcnt(3)
	v_mul_f64 v[22:23], v[42:43], v[46:47]
	v_mul_f64 v[46:47], v[40:41], v[46:47]
	v_fma_f64 v[22:23], v[40:41], v[44:45], -v[22:23]
	v_fmac_f64_e32 v[46:47], v[42:43], v[44:45]
	s_waitcnt vmcnt(2)
	v_mul_f64 v[44:45], v[42:43], v[68:69]
	v_mul_f64 v[68:69], v[40:41], v[68:69]
	v_add_f64 v[8:9], v[8:9], v[22:23]
	v_fma_f64 v[22:23], v[40:41], v[66:67], -v[44:45]
	s_waitcnt vmcnt(1)
	v_mul_f64 v[44:45], v[42:43], v[72:73]
	v_add_f64 v[6:7], v[6:7], v[46:47]
	v_fmac_f64_e32 v[68:69], v[42:43], v[66:67]
	v_mul_f64 v[46:47], v[40:41], v[72:73]
	v_add_f64 v[10:11], v[10:11], v[22:23]
	v_fma_f64 v[22:23], v[40:41], v[70:71], -v[44:45]
	s_waitcnt vmcnt(0)
	v_mul_f64 v[44:45], v[42:43], v[76:77]
	v_mul_f64 v[66:67], v[40:41], v[76:77]
	v_fmac_f64_e32 v[46:47], v[42:43], v[70:71]
	v_add_f64 v[14:15], v[14:15], v[22:23]
	v_fma_f64 v[22:23], v[40:41], v[74:75], -v[44:45]
	v_fmac_f64_e32 v[66:67], v[42:43], v[74:75]
	v_add_f64 v[12:13], v[12:13], v[68:69]
	v_add_f64 v[16:17], v[16:17], v[46:47]
	;; [unrolled: 1-line block ×4, first 2 shown]
	s_cbranch_scc1 .LBB163_42
.LBB163_43:                             ;   in Loop: Header=BB163_9 Depth=1
	s_or_b64 exec, exec, s[52:53]
	s_or_b64 exec, exec, s[50:51]
	s_and_saveexec_b64 s[50:51], s[0:1]
	s_cbranch_execnz .LBB163_12
	s_branch .LBB163_13
.LBB163_44:                             ;   in Loop: Header=BB163_9 Depth=1
	ds_read_b128 v[6:9], v61
	s_or_b64 exec, exec, s[50:51]
	s_and_saveexec_b64 s[50:51], s[0:1]
	s_cbranch_execz .LBB163_17
.LBB163_45:                             ;   in Loop: Header=BB163_9 Depth=1
	s_waitcnt lgkmcnt(0)
	ds_bpermute_b32 v4, v59, v6
	ds_bpermute_b32 v5, v59, v7
	;; [unrolled: 1-line block ×4, first 2 shown]
	s_waitcnt lgkmcnt(2)
	v_add_f64 v[4:5], v[6:7], v[4:5]
	ds_bpermute_b32 v6, v60, v4
	s_waitcnt lgkmcnt(1)
	v_add_f64 v[8:9], v[8:9], v[22:23]
	ds_bpermute_b32 v7, v60, v5
	ds_bpermute_b32 v22, v60, v8
	;; [unrolled: 1-line block ×3, first 2 shown]
	s_waitcnt lgkmcnt(2)
	v_add_f64 v[6:7], v[4:5], v[6:7]
	s_waitcnt lgkmcnt(0)
	v_add_f64 v[8:9], v[8:9], v[22:23]
	s_or_b64 exec, exec, s[50:51]
	s_and_saveexec_b64 s[50:51], s[0:1]
	s_cbranch_execnz .LBB163_18
	s_branch .LBB163_19
.LBB163_46:                             ;   in Loop: Header=BB163_9 Depth=1
	ds_read_b128 v[10:13], v61
	s_or_b64 exec, exec, s[50:51]
	s_and_saveexec_b64 s[50:51], s[0:1]
	s_cbranch_execz .LBB163_23
.LBB163_47:                             ;   in Loop: Header=BB163_9 Depth=1
	s_waitcnt lgkmcnt(0)
	ds_bpermute_b32 v4, v59, v10
	ds_bpermute_b32 v5, v59, v11
	;; [unrolled: 1-line block ×4, first 2 shown]
	s_waitcnt lgkmcnt(2)
	v_add_f64 v[4:5], v[10:11], v[4:5]
	ds_bpermute_b32 v10, v60, v4
	s_waitcnt lgkmcnt(1)
	v_add_f64 v[12:13], v[12:13], v[22:23]
	ds_bpermute_b32 v11, v60, v5
	ds_bpermute_b32 v22, v60, v12
	;; [unrolled: 1-line block ×3, first 2 shown]
	s_waitcnt lgkmcnt(2)
	v_add_f64 v[10:11], v[4:5], v[10:11]
	s_waitcnt lgkmcnt(0)
	v_add_f64 v[12:13], v[12:13], v[22:23]
	s_or_b64 exec, exec, s[50:51]
	s_and_saveexec_b64 s[50:51], s[0:1]
	s_cbranch_execnz .LBB163_24
	s_branch .LBB163_25
.LBB163_48:                             ;   in Loop: Header=BB163_9 Depth=1
	ds_read_b128 v[14:17], v61
	s_or_b64 exec, exec, s[50:51]
	s_and_saveexec_b64 s[50:51], s[0:1]
	s_cbranch_execz .LBB163_29
.LBB163_49:                             ;   in Loop: Header=BB163_9 Depth=1
	s_waitcnt lgkmcnt(0)
	ds_bpermute_b32 v4, v59, v14
	ds_bpermute_b32 v5, v59, v15
	;; [unrolled: 1-line block ×4, first 2 shown]
	s_waitcnt lgkmcnt(2)
	v_add_f64 v[4:5], v[14:15], v[4:5]
	ds_bpermute_b32 v14, v60, v4
	s_waitcnt lgkmcnt(1)
	v_add_f64 v[16:17], v[16:17], v[22:23]
	ds_bpermute_b32 v15, v60, v5
	ds_bpermute_b32 v22, v60, v16
	;; [unrolled: 1-line block ×3, first 2 shown]
	s_waitcnt lgkmcnt(2)
	v_add_f64 v[14:15], v[4:5], v[14:15]
	s_waitcnt lgkmcnt(0)
	v_add_f64 v[16:17], v[16:17], v[22:23]
	s_or_b64 exec, exec, s[50:51]
	s_and_saveexec_b64 s[50:51], s[0:1]
	s_cbranch_execnz .LBB163_30
	s_branch .LBB163_31
.LBB163_50:                             ;   in Loop: Header=BB163_9 Depth=1
	ds_read_b128 v[18:21], v61
	s_or_b64 exec, exec, s[50:51]
	s_and_saveexec_b64 s[50:51], s[0:1]
	s_cbranch_execz .LBB163_35
.LBB163_51:                             ;   in Loop: Header=BB163_9 Depth=1
	s_waitcnt lgkmcnt(0)
	ds_bpermute_b32 v4, v59, v18
	ds_bpermute_b32 v5, v59, v19
	;; [unrolled: 1-line block ×4, first 2 shown]
	s_waitcnt lgkmcnt(2)
	v_add_f64 v[4:5], v[18:19], v[4:5]
	ds_bpermute_b32 v18, v60, v4
	s_waitcnt lgkmcnt(1)
	v_add_f64 v[20:21], v[20:21], v[22:23]
	ds_bpermute_b32 v19, v60, v5
	ds_bpermute_b32 v22, v60, v20
	ds_bpermute_b32 v23, v60, v21
	s_waitcnt lgkmcnt(2)
	v_add_f64 v[18:19], v[4:5], v[18:19]
	s_waitcnt lgkmcnt(0)
	v_add_f64 v[20:21], v[20:21], v[22:23]
	s_or_b64 exec, exec, s[50:51]
	s_and_saveexec_b64 s[50:51], s[12:13]
	s_cbranch_execz .LBB163_8
.LBB163_52:                             ;   in Loop: Header=BB163_9 Depth=1
	s_mul_hi_u32 s53, s3, s26
	s_mul_i32 s52, s3, s26
	s_lshl_b64 s[52:53], s[52:53], 4
	v_mul_f64 v[4:5], s[22:23], v[8:9]
	v_mul_f64 v[42:43], s[20:21], v[8:9]
	s_add_u32 s52, s56, s52
	v_fma_f64 v[40:41], s[20:21], v[6:7], -v[4:5]
	v_fmac_f64_e32 v[42:43], s[22:23], v[6:7]
	s_addc_u32 s53, s57, s53
	global_store_dwordx4 v2, v[40:43], s[52:53]
	s_or_b32 s52, s3, 1
	s_mul_hi_u32 s53, s52, s26
	s_mul_i32 s52, s52, s26
	s_lshl_b64 s[52:53], s[52:53], 4
	v_mul_f64 v[4:5], s[22:23], v[12:13]
	v_mul_f64 v[6:7], s[20:21], v[12:13]
	s_add_u32 s52, s56, s52
	v_fma_f64 v[4:5], s[20:21], v[10:11], -v[4:5]
	v_fmac_f64_e32 v[6:7], s[22:23], v[10:11]
	s_addc_u32 s53, s57, s53
	global_store_dwordx4 v2, v[4:7], s[52:53]
	s_or_b32 s52, s3, 2
	;; [unrolled: 11-line block ×3, first 2 shown]
	s_mul_hi_u32 s53, s52, s26
	s_mul_i32 s52, s52, s26
	s_lshl_b64 s[52:53], s[52:53], 4
	s_waitcnt lgkmcnt(0)
	v_mul_f64 v[4:5], s[22:23], v[20:21]
	v_mul_f64 v[6:7], s[20:21], v[20:21]
	s_add_u32 s52, s56, s52
	v_fma_f64 v[4:5], s[20:21], v[18:19], -v[4:5]
	v_fmac_f64_e32 v[6:7], s[22:23], v[18:19]
	s_addc_u32 s53, s57, s53
	global_store_dwordx4 v2, v[4:7], s[52:53]
	s_branch .LBB163_8
.LBB163_53:
	s_mov_b32 s3, 0
.LBB163_54:
	s_cmp_ge_i32 s3, s25
	s_cbranch_scc1 .LBB163_76
; %bb.55:
	v_mbcnt_hi_u32_b32 v2, -1, v52
	v_and_b32_e32 v3, 63, v2
	v_cmp_gt_u32_e64 s[4:5], 32, v3
	s_mov_b32 s13, 0
	s_cmp_gt_i32 s27, 0
	v_cndmask_b32_e64 v4, 0, 1, s[4:5]
	v_lshlrev_b32_e32 v4, 5, v4
	v_cmp_gt_u32_e64 s[4:5], 48, v3
	v_add_lshl_u32 v23, v4, v2, 2
	s_mov_b32 s12, s2
	v_cndmask_b32_e64 v4, 0, 1, s[4:5]
	v_lshlrev_b32_e32 v4, 4, v4
	v_cmp_gt_u32_e64 s[4:5], 56, v3
	v_add_lshl_u32 v28, v4, v2, 2
	s_cselect_b64 s[42:43], -1, 0
	v_cndmask_b32_e64 v4, 0, 1, s[4:5]
	v_lshlrev_b32_e32 v4, 3, v4
	v_cmp_gt_u32_e64 s[4:5], 60, v3
	v_add_lshl_u32 v29, v4, v2, 2
	s_lshl_b64 s[12:13], s[12:13], 4
	v_cndmask_b32_e64 v4, 0, 1, s[4:5]
	v_lshlrev_b32_e32 v4, 2, v4
	v_cmp_gt_u32_e64 s[4:5], 62, v3
	v_add_lshl_u32 v30, v4, v2, 2
	s_add_u32 s2, s33, s12
	v_cndmask_b32_e64 v4, 0, 1, s[4:5]
	v_lshlrev_b32_e32 v4, 1, v4
	v_cmp_ne_u32_e64 s[4:5], 63, v3
	v_cmp_ge_i32_e32 vcc, s24, v53
	v_cmp_ge_i32_e64 s[10:11], s24, v54
	v_add_lshl_u32 v31, v4, v2, 2
	v_addc_co_u32_e64 v2, s[4:5], 0, v2, s[4:5]
	s_addc_u32 s24, s54, s13
	v_mad_i64_i32 v[4:5], s[12:13], s30, v49, 0
	v_cmp_gt_u32_e64 s[0:1], 64, v0
	v_lshlrev_b32_e32 v32, 2, v2
	v_cmp_gt_u32_e64 s[6:7], 4, v0
	v_cmp_eq_u32_e64 s[8:9], 0, v0
	v_mad_i64_i32 v[2:3], s[12:13], s30, v26, 0
	v_lshl_add_u64 v[8:9], v[4:5], 4, s[40:41]
	v_mad_i64_i32 v[4:5], s[12:13], s30, v48, 0
	v_mad_i64_i32 v[0:1], s[12:13], s30, v1, 0
	s_and_b64 s[10:11], s[42:43], s[10:11]
	s_add_u32 s12, s14, s38
	s_addc_u32 s13, s15, s39
	s_add_u32 s12, s12, s34
	s_mul_i32 s14, s29, s3
	s_mul_hi_u32 s15, s28, s3
	v_lshlrev_b64 v[2:3], 4, v[2:3]
	v_mov_b32_e32 v14, 0
	s_addc_u32 s13, s13, s35
	s_add_i32 s15, s15, s14
	s_mul_i32 s14, s28, s3
	v_add_u32_e32 v34, 16, v14
	v_add_u32_e32 v35, 32, v14
	;; [unrolled: 1-line block ×3, first 2 shown]
	v_lshl_add_u64 v[14:15], s[12:13], 0, v[2:3]
	s_lshl_b64 s[12:13], s[30:31], 4
	s_lshl_b64 s[14:15], s[14:15], 4
	s_add_u32 s14, s36, s14
	s_addc_u32 s15, s37, s15
	s_add_u32 s14, s14, s18
	s_addc_u32 s15, s15, s19
	s_add_u32 s14, s16, s14
	s_addc_u32 s15, s17, s15
	v_lshl_add_u64 v[12:13], v[0:1], 4, s[40:41]
	v_lshl_add_u64 v[0:1], v[26:27], 4, s[14:15]
	v_lshlrev_b32_e32 v22, 4, v50
	v_cmp_eq_u32_e64 s[4:5], 0, v50
	v_and_b32_e32 v33, 48, v51
	v_lshl_add_u64 v[6:7], s[40:41], 0, v[2:3]
	v_lshl_add_u64 v[10:11], v[4:5], 4, s[40:41]
	;; [unrolled: 1-line block ×3, first 2 shown]
	s_lshl_b64 s[14:15], s[28:29], 4
	v_mov_b32_e32 v0, 0
	s_branch .LBB163_57
.LBB163_56:                             ;   in Loop: Header=BB163_57 Depth=1
	s_or_b64 exec, exec, s[16:17]
	s_add_i32 s3, s3, 1
	s_cmp_lt_i32 s3, s25
	v_lshl_add_u64 v[16:17], v[16:17], 0, s[14:15]
	s_cbranch_scc0 .LBB163_76
.LBB163_57:                             ; =>This Loop Header: Depth=1
                                        ;     Child Loop BB163_69 Depth 2
                                        ;     Child Loop BB163_71 Depth 2
                                        ; implicit-def: $vgpr4_vgpr5
                                        ; implicit-def: $vgpr18_vgpr19
	s_and_saveexec_b64 s[16:17], vcc
	s_xor_b64 s[16:17], exec, s[16:17]
	s_cbranch_execnz .LBB163_66
; %bb.58:                               ;   in Loop: Header=BB163_57 Depth=1
	s_andn2_saveexec_b64 s[16:17], s[16:17]
	s_cbranch_execnz .LBB163_67
.LBB163_59:                             ;   in Loop: Header=BB163_57 Depth=1
	s_or_b64 exec, exec, s[16:17]
	s_and_saveexec_b64 s[16:17], s[0:1]
	s_cbranch_execz .LBB163_61
.LBB163_60:                             ;   in Loop: Header=BB163_57 Depth=1
	v_mov_b32_e32 v1, v0
	s_waitcnt lgkmcnt(0)
	v_mov_b32_e32 v2, v0
	v_mov_b32_e32 v3, v0
	ds_write_b128 v22, v[0:3]
.LBB163_61:                             ;   in Loop: Header=BB163_57 Depth=1
	s_or_b64 exec, exec, s[16:17]
	s_waitcnt lgkmcnt(0)
	ds_bpermute_b32 v2, v23, v4
	ds_bpermute_b32 v3, v23, v5
	s_waitcnt lgkmcnt(2)
	ds_bpermute_b32 v20, v23, v18
	ds_bpermute_b32 v21, v23, v19
	s_waitcnt lgkmcnt(0)
	s_barrier
	v_add_f64 v[2:3], v[4:5], v[2:3]
	v_add_f64 v[4:5], v[18:19], v[20:21]
	ds_bpermute_b32 v18, v28, v2
	ds_bpermute_b32 v19, v28, v3
	;; [unrolled: 1-line block ×4, first 2 shown]
	s_waitcnt lgkmcnt(2)
	v_add_f64 v[2:3], v[2:3], v[18:19]
	ds_bpermute_b32 v18, v29, v2
	s_waitcnt lgkmcnt(1)
	v_add_f64 v[4:5], v[4:5], v[20:21]
	ds_bpermute_b32 v19, v29, v3
	ds_bpermute_b32 v20, v29, v4
	ds_bpermute_b32 v21, v29, v5
	s_waitcnt lgkmcnt(2)
	v_add_f64 v[2:3], v[2:3], v[18:19]
	ds_bpermute_b32 v18, v30, v2
	s_waitcnt lgkmcnt(1)
	v_add_f64 v[4:5], v[4:5], v[20:21]
	ds_bpermute_b32 v19, v30, v3
	ds_bpermute_b32 v20, v30, v4
	ds_bpermute_b32 v21, v30, v5
	;; [unrolled: 8-line block ×3, first 2 shown]
	s_waitcnt lgkmcnt(2)
	v_add_f64 v[2:3], v[2:3], v[18:19]
	s_waitcnt lgkmcnt(0)
	v_add_f64 v[18:19], v[4:5], v[20:21]
	ds_bpermute_b32 v4, v32, v2
	ds_bpermute_b32 v5, v32, v3
	;; [unrolled: 1-line block ×4, first 2 shown]
	s_and_saveexec_b64 s[16:17], s[4:5]
	s_cbranch_execz .LBB163_63
; %bb.62:                               ;   in Loop: Header=BB163_57 Depth=1
	s_waitcnt lgkmcnt(0)
	v_add_f64 v[20:21], v[18:19], v[20:21]
	v_add_f64 v[18:19], v[2:3], v[4:5]
	ds_write_b128 v33, v[18:21]
.LBB163_63:                             ;   in Loop: Header=BB163_57 Depth=1
	s_or_b64 exec, exec, s[16:17]
	s_waitcnt lgkmcnt(2)
	v_mov_b64_e32 v[4:5], 0
	v_mov_b64_e32 v[2:3], v[4:5]
	s_waitcnt lgkmcnt(0)
	s_barrier
	s_and_saveexec_b64 s[16:17], s[6:7]
	s_cbranch_execnz .LBB163_73
; %bb.64:                               ;   in Loop: Header=BB163_57 Depth=1
	s_or_b64 exec, exec, s[16:17]
	s_and_saveexec_b64 s[16:17], s[0:1]
	s_cbranch_execnz .LBB163_74
.LBB163_65:                             ;   in Loop: Header=BB163_57 Depth=1
	s_or_b64 exec, exec, s[16:17]
	s_and_saveexec_b64 s[16:17], s[8:9]
	s_cbranch_execz .LBB163_56
	s_branch .LBB163_75
.LBB163_66:                             ;   in Loop: Header=BB163_57 Depth=1
	s_waitcnt lgkmcnt(0)
	global_load_dwordx4 v[2:5], v[8:9], off
	s_waitcnt lgkmcnt(0)
	global_load_dwordx4 v[18:21], v[10:11], off
	global_load_dwordx4 v[38:41], v[12:13], off
	;; [unrolled: 1-line block ×3, first 2 shown]
	s_mul_i32 s19, s3, s29
	s_mul_hi_u32 s30, s3, s28
	s_mul_i32 s18, s3, s28
	s_add_i32 s19, s30, s19
	v_lshl_add_u64 v[26:27], s[18:19], 4, v[24:25]
	global_load_dwordx4 v[46:49], v[26:27], off
	global_load_dwordx4 v[50:53], v[26:27], off offset:16
	global_load_dwordx4 v[54:57], v[26:27], off offset:48
	;; [unrolled: 1-line block ×3, first 2 shown]
	s_waitcnt vmcnt(3)
	v_mul_f64 v[26:27], v[48:49], v[44:45]
	scratch_store_dwordx4 v34, v[2:5], off
	scratch_load_dwordx4 v[2:5], off, off offset:16
	v_fma_f64 v[26:27], v[46:47], v[42:43], -v[26:27]
	scratch_store_dwordx4 v35, v[18:21], off
	scratch_load_dwordx4 v[18:21], off, off offset:32
	v_add_f64 v[26:27], v[26:27], 0
	scratch_store_dwordx4 v36, v[38:41], off
	scratch_load_dwordx4 v[38:41], off, off offset:48
	s_nop 0
	scratch_store_dwordx4 off, v[42:45], off
	s_nop 1
	v_mul_f64 v[44:45], v[46:47], v[44:45]
	v_fmac_f64_e32 v[44:45], v[48:49], v[42:43]
	v_add_f64 v[42:43], v[44:45], 0
	s_waitcnt vmcnt(5)
	v_mul_f64 v[44:45], v[52:53], v[4:5]
	v_mul_f64 v[4:5], v[50:51], v[4:5]
	v_fma_f64 v[44:45], v[50:51], v[2:3], -v[44:45]
	s_waitcnt vmcnt(3)
	v_mul_f64 v[46:47], v[60:61], v[20:21]
	v_mul_f64 v[20:21], v[58:59], v[20:21]
	v_fmac_f64_e32 v[4:5], v[52:53], v[2:3]
	s_waitcnt vmcnt(1)
	v_mul_f64 v[48:49], v[56:57], v[40:41]
	v_mul_f64 v[40:41], v[54:55], v[40:41]
	v_fma_f64 v[2:3], v[58:59], v[18:19], -v[46:47]
	v_fmac_f64_e32 v[20:21], v[60:61], v[18:19]
	v_add_f64 v[26:27], v[26:27], v[44:45]
	v_add_f64 v[4:5], v[42:43], v[4:5]
	v_fma_f64 v[18:19], v[54:55], v[38:39], -v[48:49]
	v_fmac_f64_e32 v[40:41], v[56:57], v[38:39]
	v_add_f64 v[2:3], v[26:27], v[2:3]
	v_add_f64 v[20:21], v[4:5], v[20:21]
	;; [unrolled: 1-line block ×4, first 2 shown]
	s_andn2_saveexec_b64 s[16:17], s[16:17]
	s_cbranch_execz .LBB163_59
.LBB163_67:                             ;   in Loop: Header=BB163_57 Depth=1
	s_waitcnt lgkmcnt(0)
	v_mov_b64_e32 v[4:5], 0
	s_waitcnt lgkmcnt(0)
	v_mov_b64_e32 v[18:19], v[4:5]
	s_and_saveexec_b64 s[18:19], s[10:11]
	s_cbranch_execz .LBB163_72
; %bb.68:                               ;   in Loop: Header=BB163_57 Depth=1
	v_mov_b32_e32 v1, 0
	v_mov_b64_e32 v[2:3], v[14:15]
	s_mov_b32 s30, s27
.LBB163_69:                             ;   Parent Loop BB163_57 Depth=1
                                        ; =>  This Inner Loop Header: Depth=2
	global_load_dwordx4 v[18:21], v[2:3], off
	s_add_i32 s30, s30, -1
	v_lshl_add_u64 v[2:3], v[2:3], 0, s[12:13]
	s_cmp_eq_u32 s30, 0
	s_waitcnt vmcnt(0)
	scratch_store_dwordx4 v1, v[18:21], off
	v_add_u32_e32 v1, 16, v1
	s_cbranch_scc0 .LBB163_69
; %bb.70:                               ;   in Loop: Header=BB163_57 Depth=1
	v_mov_b64_e32 v[4:5], 0
	v_mov_b32_e32 v1, 0
	v_mov_b64_e32 v[2:3], v[16:17]
	s_mov_b32 s30, s27
	v_mov_b64_e32 v[18:19], v[4:5]
.LBB163_71:                             ;   Parent Loop BB163_57 Depth=1
                                        ; =>  This Inner Loop Header: Depth=2
	global_load_dwordx4 v[38:41], v[2:3], off offset:-8
	scratch_load_dwordx4 v[42:45], v1, off
	s_add_i32 s30, s30, -1
	v_add_u32_e32 v1, 16, v1
	v_lshl_add_u64 v[2:3], v[2:3], 0, 16
	s_cmp_lg_u32 s30, 0
	s_waitcnt vmcnt(0)
	v_mul_f64 v[20:21], v[40:41], v[44:45]
	v_mul_f64 v[26:27], v[38:39], v[44:45]
	v_fma_f64 v[20:21], v[38:39], v[42:43], -v[20:21]
	v_fmac_f64_e32 v[26:27], v[40:41], v[42:43]
	v_add_f64 v[4:5], v[4:5], v[20:21]
	v_add_f64 v[18:19], v[18:19], v[26:27]
	s_cbranch_scc1 .LBB163_71
.LBB163_72:                             ;   in Loop: Header=BB163_57 Depth=1
	s_or_b64 exec, exec, s[18:19]
	s_or_b64 exec, exec, s[16:17]
	s_and_saveexec_b64 s[16:17], s[0:1]
	s_cbranch_execnz .LBB163_60
	s_branch .LBB163_61
.LBB163_73:                             ;   in Loop: Header=BB163_57 Depth=1
	ds_read_b128 v[2:5], v22
	s_or_b64 exec, exec, s[16:17]
	s_and_saveexec_b64 s[16:17], s[0:1]
	s_cbranch_execz .LBB163_65
.LBB163_74:                             ;   in Loop: Header=BB163_57 Depth=1
	s_waitcnt lgkmcnt(0)
	ds_bpermute_b32 v18, v31, v2
	ds_bpermute_b32 v19, v31, v3
	;; [unrolled: 1-line block ×4, first 2 shown]
	s_waitcnt lgkmcnt(2)
	v_add_f64 v[2:3], v[2:3], v[18:19]
	ds_bpermute_b32 v18, v32, v2
	s_waitcnt lgkmcnt(1)
	v_add_f64 v[4:5], v[4:5], v[20:21]
	ds_bpermute_b32 v19, v32, v3
	ds_bpermute_b32 v20, v32, v4
	;; [unrolled: 1-line block ×3, first 2 shown]
	s_waitcnt lgkmcnt(2)
	v_add_f64 v[2:3], v[2:3], v[18:19]
	s_waitcnt lgkmcnt(0)
	v_add_f64 v[4:5], v[4:5], v[20:21]
	s_or_b64 exec, exec, s[16:17]
	s_and_saveexec_b64 s[16:17], s[8:9]
	s_cbranch_execz .LBB163_56
.LBB163_75:                             ;   in Loop: Header=BB163_57 Depth=1
	s_mul_hi_u32 s19, s3, s26
	s_mul_i32 s18, s3, s26
	s_lshl_b64 s[18:19], s[18:19], 4
	s_waitcnt lgkmcnt(0)
	v_mul_f64 v[18:19], s[22:23], v[4:5]
	v_mul_f64 v[20:21], s[20:21], v[4:5]
	s_add_u32 s18, s2, s18
	v_fma_f64 v[18:19], s[20:21], v[2:3], -v[18:19]
	v_fmac_f64_e32 v[20:21], s[22:23], v[2:3]
	s_addc_u32 s19, s24, s19
	global_store_dwordx4 v0, v[18:21], s[18:19]
	s_branch .LBB163_56
.LBB163_76:
	s_endpgm
	.section	.rodata,"a",@progbits
	.p2align	6, 0x0
	.amdhsa_kernel _ZL23rocblas_gemvt_sn_kernelILb0ELi256ELi4El19rocblas_complex_numIdEPKS1_S1_EviiT4_lPKT3_lilS7_lilPT5_i
		.amdhsa_group_segment_fixed_size 1024
		.amdhsa_private_segment_fixed_size 80
		.amdhsa_kernarg_size 360
		.amdhsa_user_sgpr_count 2
		.amdhsa_user_sgpr_dispatch_ptr 0
		.amdhsa_user_sgpr_queue_ptr 0
		.amdhsa_user_sgpr_kernarg_segment_ptr 1
		.amdhsa_user_sgpr_dispatch_id 0
		.amdhsa_user_sgpr_kernarg_preload_length 0
		.amdhsa_user_sgpr_kernarg_preload_offset 0
		.amdhsa_user_sgpr_private_segment_size 0
		.amdhsa_uses_dynamic_stack 0
		.amdhsa_enable_private_segment 1
		.amdhsa_system_sgpr_workgroup_id_x 1
		.amdhsa_system_sgpr_workgroup_id_y 0
		.amdhsa_system_sgpr_workgroup_id_z 1
		.amdhsa_system_sgpr_workgroup_info 0
		.amdhsa_system_vgpr_workitem_id 0
		.amdhsa_next_free_vgpr 122
		.amdhsa_next_free_sgpr 66
		.amdhsa_accum_offset 124
		.amdhsa_reserve_vcc 1
		.amdhsa_float_round_mode_32 0
		.amdhsa_float_round_mode_16_64 0
		.amdhsa_float_denorm_mode_32 3
		.amdhsa_float_denorm_mode_16_64 3
		.amdhsa_dx10_clamp 1
		.amdhsa_ieee_mode 1
		.amdhsa_fp16_overflow 0
		.amdhsa_tg_split 0
		.amdhsa_exception_fp_ieee_invalid_op 0
		.amdhsa_exception_fp_denorm_src 0
		.amdhsa_exception_fp_ieee_div_zero 0
		.amdhsa_exception_fp_ieee_overflow 0
		.amdhsa_exception_fp_ieee_underflow 0
		.amdhsa_exception_fp_ieee_inexact 0
		.amdhsa_exception_int_div_zero 0
	.end_amdhsa_kernel
	.section	.text._ZL23rocblas_gemvt_sn_kernelILb0ELi256ELi4El19rocblas_complex_numIdEPKS1_S1_EviiT4_lPKT3_lilS7_lilPT5_i,"axG",@progbits,_ZL23rocblas_gemvt_sn_kernelILb0ELi256ELi4El19rocblas_complex_numIdEPKS1_S1_EviiT4_lPKT3_lilS7_lilPT5_i,comdat
.Lfunc_end163:
	.size	_ZL23rocblas_gemvt_sn_kernelILb0ELi256ELi4El19rocblas_complex_numIdEPKS1_S1_EviiT4_lPKT3_lilS7_lilPT5_i, .Lfunc_end163-_ZL23rocblas_gemvt_sn_kernelILb0ELi256ELi4El19rocblas_complex_numIdEPKS1_S1_EviiT4_lPKT3_lilS7_lilPT5_i
                                        ; -- End function
	.section	.AMDGPU.csdata,"",@progbits
; Kernel info:
; codeLenInByte = 6820
; NumSgprs: 72
; NumVgprs: 122
; NumAgprs: 0
; TotalNumVgprs: 122
; ScratchSize: 80
; MemoryBound: 0
; FloatMode: 240
; IeeeMode: 1
; LDSByteSize: 1024 bytes/workgroup (compile time only)
; SGPRBlocks: 8
; VGPRBlocks: 15
; NumSGPRsForWavesPerEU: 72
; NumVGPRsForWavesPerEU: 122
; AccumOffset: 124
; Occupancy: 4
; WaveLimiterHint : 1
; COMPUTE_PGM_RSRC2:SCRATCH_EN: 1
; COMPUTE_PGM_RSRC2:USER_SGPR: 2
; COMPUTE_PGM_RSRC2:TRAP_HANDLER: 0
; COMPUTE_PGM_RSRC2:TGID_X_EN: 1
; COMPUTE_PGM_RSRC2:TGID_Y_EN: 0
; COMPUTE_PGM_RSRC2:TGID_Z_EN: 1
; COMPUTE_PGM_RSRC2:TIDIG_COMP_CNT: 0
; COMPUTE_PGM_RSRC3_GFX90A:ACCUM_OFFSET: 30
; COMPUTE_PGM_RSRC3_GFX90A:TG_SPLIT: 0
	.section	.text._ZL23rocblas_gemvt_sn_reduceILi256ELi8E19rocblas_complex_numIdEPKS1_S1_EviT2_lPT3_lilPT1_i,"axG",@progbits,_ZL23rocblas_gemvt_sn_reduceILi256ELi8E19rocblas_complex_numIdEPKS1_S1_EviT2_lPT3_lilPT1_i,comdat
	.globl	_ZL23rocblas_gemvt_sn_reduceILi256ELi8E19rocblas_complex_numIdEPKS1_S1_EviT2_lPT3_lilPT1_i ; -- Begin function _ZL23rocblas_gemvt_sn_reduceILi256ELi8E19rocblas_complex_numIdEPKS1_S1_EviT2_lPT3_lilPT1_i
	.p2align	8
	.type	_ZL23rocblas_gemvt_sn_reduceILi256ELi8E19rocblas_complex_numIdEPKS1_S1_EviT2_lPT3_lilPT1_i,@function
_ZL23rocblas_gemvt_sn_reduceILi256ELi8E19rocblas_complex_numIdEPKS1_S1_EviT2_lPT3_lilPT1_i: ; @_ZL23rocblas_gemvt_sn_reduceILi256ELi8E19rocblas_complex_numIdEPKS1_S1_EviT2_lPT3_lilPT1_i
; %bb.0:
	s_load_dword s2, s[0:1], 0x0
	s_load_dwordx8 s[8:15], s[0:1], 0x8
	v_lshlrev_b32_e32 v1, 3, v0
	v_mov_b64_e32 v[2:3], 0
	s_mov_b32 s17, 0
	s_waitcnt lgkmcnt(0)
	s_ashr_i32 s5, s2, 31
	s_mul_i32 s6, s4, s11
	s_mul_hi_u32 s7, s4, s10
	s_add_i32 s7, s7, s6
	s_mul_i32 s6, s4, s10
	s_lshl_b64 s[10:11], s[6:7], 4
	s_load_dwordx2 s[6:7], s[0:1], 0x38
	s_load_dword s16, s[0:1], 0x4c
	s_add_u32 s8, s8, s10
	s_addc_u32 s9, s9, s11
	s_add_u32 s22, s0, 0x48
	s_load_dwordx4 s[8:11], s[8:9], 0x0
	s_waitcnt lgkmcnt(0)
	s_mul_i32 s16, s16, s4
	s_addc_u32 s23, s1, 0
	s_add_i32 s16, s16, s3
	s_mul_i32 s18, s16, s5
	s_lshr_b32 s5, s5, 29
	s_add_i32 s5, s2, s5
	s_mul_hi_u32 s19, s16, s2
	s_and_b32 s5, s5, -8
	s_add_i32 s19, s19, s18
	s_mul_i32 s18, s16, s2
	v_cmp_gt_i32_e32 vcc, s5, v1
	v_mov_b64_e32 v[4:5], v[2:3]
	s_and_saveexec_b64 s[20:21], vcc
	s_cbranch_execz .LBB164_4
; %bb.1:
	s_load_dword s16, s[22:23], 0xc
	s_lshl_b64 s[22:23], s[18:19], 4
	v_lshlrev_b32_e32 v2, 7, v0
	v_mov_b32_e32 v3, 0
	s_waitcnt lgkmcnt(0)
	s_and_b32 s16, s16, 0xffff
	s_lshl_b32 s24, s16, 3
	s_add_u32 s22, s6, s22
	s_addc_u32 s23, s7, s23
	v_lshl_add_u64 v[2:3], s[22:23], 0, v[2:3]
	s_mov_b64 s[22:23], 0x78
	v_lshl_add_u64 v[6:7], v[2:3], 0, s[22:23]
	v_mov_b64_e32 v[2:3], 0
	s_lshl_b32 s16, s16, 7
	s_mov_b64 s[22:23], 0
	v_mov_b64_e32 v[4:5], v[2:3]
.LBB164_2:                              ; =>This Inner Loop Header: Depth=1
	global_load_dwordx4 v[8:11], v[6:7], off offset:-120
	global_load_dwordx4 v[12:15], v[6:7], off offset:-104
	;; [unrolled: 1-line block ×8, first 2 shown]
	v_add_u32_e32 v1, s24, v1
	v_cmp_le_i32_e32 vcc, s5, v1
	v_lshl_add_u64 v[6:7], v[6:7], 0, s[16:17]
	s_or_b64 s[22:23], vcc, s[22:23]
	s_waitcnt vmcnt(7)
	v_add_f64 v[4:5], v[4:5], v[8:9]
	v_add_f64 v[2:3], v[2:3], v[10:11]
	s_waitcnt vmcnt(6)
	v_add_f64 v[4:5], v[4:5], v[12:13]
	v_add_f64 v[2:3], v[2:3], v[14:15]
	;; [unrolled: 3-line block ×8, first 2 shown]
	s_andn2_b64 exec, exec, s[22:23]
	s_cbranch_execnz .LBB164_2
; %bb.3:
	s_or_b64 exec, exec, s[22:23]
.LBB164_4:
	s_or_b64 exec, exec, s[20:21]
	s_sub_i32 s5, s2, s5
	v_cmp_gt_u32_e32 vcc, s5, v0
	s_and_saveexec_b64 s[16:17], vcc
	s_cbranch_execz .LBB164_6
; %bb.5:
	s_lshl_b64 s[18:19], s[18:19], 4
	s_add_u32 s6, s6, s18
	s_addc_u32 s7, s7, s19
	v_xad_u32 v6, v0, -1, s2
	v_mov_b32_e32 v7, 0
	v_lshl_add_u64 v[6:7], v[6:7], 4, s[6:7]
	global_load_dwordx4 v[6:9], v[6:7], off
	s_waitcnt vmcnt(0)
	v_add_f64 v[4:5], v[4:5], v[6:7]
	v_add_f64 v[2:3], v[2:3], v[8:9]
.LBB164_6:
	s_or_b64 exec, exec, s[16:17]
	v_and_b32_e32 v10, 63, v0
	v_cmp_gt_u32_e32 vcc, 64, v0
	v_lshlrev_b32_e32 v1, 4, v10
	s_and_saveexec_b64 s[6:7], vcc
	s_cbranch_execz .LBB164_8
; %bb.7:
	v_mov_b32_e32 v6, 0
	v_mov_b32_e32 v7, v6
	;; [unrolled: 1-line block ×4, first 2 shown]
	ds_write_b128 v1, v[6:9]
.LBB164_8:
	s_or_b64 exec, exec, s[6:7]
	v_mbcnt_lo_u32_b32 v6, -1, 0
	v_mbcnt_hi_u32_b32 v12, -1, v6
	v_and_b32_e32 v13, 63, v12
	v_cmp_gt_u32_e64 s[6:7], 32, v13
	s_waitcnt lgkmcnt(0)
	s_barrier
	v_cndmask_b32_e64 v6, 0, 1, s[6:7]
	v_lshlrev_b32_e32 v6, 5, v6
	v_add_lshl_u32 v9, v6, v12, 2
	ds_bpermute_b32 v6, v9, v4
	ds_bpermute_b32 v7, v9, v5
	;; [unrolled: 1-line block ×4, first 2 shown]
	v_cmp_gt_u32_e64 s[6:7], 48, v13
	s_waitcnt lgkmcnt(0)
	v_add_f64 v[4:5], v[4:5], v[6:7]
	v_cndmask_b32_e64 v6, 0, 1, s[6:7]
	v_lshlrev_b32_e32 v6, 4, v6
	v_add_f64 v[2:3], v[2:3], v[8:9]
	v_add_lshl_u32 v9, v6, v12, 2
	ds_bpermute_b32 v6, v9, v4
	ds_bpermute_b32 v7, v9, v5
	;; [unrolled: 1-line block ×4, first 2 shown]
	v_cmp_gt_u32_e64 s[6:7], 56, v13
	s_waitcnt lgkmcnt(2)
	v_add_f64 v[4:5], v[4:5], v[6:7]
	v_cndmask_b32_e64 v6, 0, 1, s[6:7]
	v_lshlrev_b32_e32 v6, 3, v6
	s_waitcnt lgkmcnt(0)
	v_add_f64 v[2:3], v[2:3], v[8:9]
	v_add_lshl_u32 v9, v6, v12, 2
	ds_bpermute_b32 v6, v9, v4
	ds_bpermute_b32 v7, v9, v5
	;; [unrolled: 1-line block ×4, first 2 shown]
	v_cmp_gt_u32_e64 s[6:7], 60, v13
	s_waitcnt lgkmcnt(2)
	v_add_f64 v[4:5], v[4:5], v[6:7]
	v_cndmask_b32_e64 v6, 0, 1, s[6:7]
	v_lshlrev_b32_e32 v6, 2, v6
	s_waitcnt lgkmcnt(0)
	v_add_f64 v[2:3], v[2:3], v[8:9]
	v_add_lshl_u32 v9, v6, v12, 2
	ds_bpermute_b32 v6, v9, v4
	ds_bpermute_b32 v7, v9, v5
	;; [unrolled: 1-line block ×4, first 2 shown]
	v_cmp_gt_u32_e64 s[6:7], 62, v13
	s_waitcnt lgkmcnt(2)
	v_add_f64 v[4:5], v[4:5], v[6:7]
	s_waitcnt lgkmcnt(0)
	v_add_f64 v[6:7], v[2:3], v[8:9]
	v_cndmask_b32_e64 v2, 0, 1, s[6:7]
	v_lshlrev_b32_e32 v2, 1, v2
	v_add_lshl_u32 v11, v2, v12, 2
	ds_bpermute_b32 v2, v11, v4
	ds_bpermute_b32 v3, v11, v5
	;; [unrolled: 1-line block ×4, first 2 shown]
	v_cmp_ne_u32_e64 s[6:7], 63, v13
	s_waitcnt lgkmcnt(2)
	v_add_f64 v[2:3], v[4:5], v[2:3]
	v_addc_co_u32_e64 v4, s[6:7], 0, v12, s[6:7]
	s_waitcnt lgkmcnt(0)
	v_add_f64 v[6:7], v[6:7], v[8:9]
	v_lshlrev_b32_e32 v12, 2, v4
	ds_bpermute_b32 v4, v12, v2
	ds_bpermute_b32 v5, v12, v3
	;; [unrolled: 1-line block ×4, first 2 shown]
	v_cmp_eq_u32_e64 s[6:7], 0, v10
	s_and_saveexec_b64 s[16:17], s[6:7]
	s_cbranch_execz .LBB164_10
; %bb.9:
	v_lshrrev_b32_e32 v10, 2, v0
	v_and_b32_e32 v10, 48, v10
	s_waitcnt lgkmcnt(0)
	v_add_f64 v[6:7], v[6:7], v[8:9]
	v_add_f64 v[4:5], v[2:3], v[4:5]
	ds_write_b128 v10, v[4:7]
.LBB164_10:
	s_or_b64 exec, exec, s[16:17]
	s_waitcnt lgkmcnt(2)
	v_mov_b64_e32 v[4:5], 0
	v_cmp_gt_u32_e64 s[6:7], 4, v0
	v_mov_b64_e32 v[2:3], v[4:5]
	s_waitcnt lgkmcnt(0)
	s_barrier
	s_and_saveexec_b64 s[16:17], s[6:7]
	s_cbranch_execnz .LBB164_14
; %bb.11:
	s_or_b64 exec, exec, s[16:17]
	s_and_saveexec_b64 s[6:7], vcc
	s_cbranch_execnz .LBB164_15
.LBB164_12:
	s_or_b64 exec, exec, s[6:7]
	v_cmp_eq_u32_e32 vcc, 0, v0
	s_and_saveexec_b64 s[6:7], vcc
	s_cbranch_execnz .LBB164_16
.LBB164_13:
	s_endpgm
.LBB164_14:
	ds_read_b128 v[2:5], v1
	s_or_b64 exec, exec, s[16:17]
	s_and_saveexec_b64 s[6:7], vcc
	s_cbranch_execz .LBB164_12
.LBB164_15:
	s_waitcnt lgkmcnt(0)
	ds_bpermute_b32 v6, v11, v2
	ds_bpermute_b32 v7, v11, v3
	;; [unrolled: 1-line block ×4, first 2 shown]
	s_waitcnt lgkmcnt(2)
	v_add_f64 v[2:3], v[2:3], v[6:7]
	ds_bpermute_b32 v6, v12, v2
	s_waitcnt lgkmcnt(1)
	v_add_f64 v[4:5], v[4:5], v[8:9]
	ds_bpermute_b32 v7, v12, v3
	ds_bpermute_b32 v8, v12, v4
	;; [unrolled: 1-line block ×3, first 2 shown]
	s_waitcnt lgkmcnt(2)
	v_add_f64 v[2:3], v[2:3], v[6:7]
	s_waitcnt lgkmcnt(0)
	v_add_f64 v[4:5], v[4:5], v[8:9]
	s_or_b64 exec, exec, s[6:7]
	v_cmp_eq_u32_e32 vcc, 0, v0
	s_and_saveexec_b64 s[6:7], vcc
	s_cbranch_execz .LBB164_13
.LBB164_16:
	s_load_dword s5, s[0:1], 0x28
	s_load_dwordx2 s[6:7], s[0:1], 0x30
	s_waitcnt lgkmcnt(0)
	s_ashr_i32 s16, s5, 31
	s_mul_i32 s1, s4, s7
	s_mul_hi_u32 s2, s4, s6
	s_mul_i32 s0, s4, s6
	s_add_i32 s1, s2, s1
	s_lshl_b64 s[0:1], s[0:1], 4
	s_add_u32 s2, s12, s0
	s_addc_u32 s4, s13, s1
	s_lshl_b64 s[0:1], s[14:15], 4
	s_add_u32 s2, s2, s0
	v_cmp_neq_f64_e64 s[6:7], s[8:9], 0
	v_cmp_neq_f64_e64 s[12:13], s[10:11], 0
	s_addc_u32 s4, s4, s1
	s_mul_hi_u32 s0, s5, s3
	s_mul_i32 s16, s16, s3
	s_or_b64 s[6:7], s[6:7], s[12:13]
	s_add_i32 s1, s0, s16
	s_andn2_b64 vcc, exec, s[6:7]
	s_mul_i32 s0, s5, s3
	s_cbranch_vccnz .LBB164_18
; %bb.17:
	s_lshl_b64 s[6:7], s[0:1], 4
	s_add_u32 s6, s2, s6
	s_addc_u32 s7, s4, s7
	s_load_dwordx4 s[12:15], s[6:7], 0x0
	s_waitcnt lgkmcnt(0)
	v_mov_b64_e32 v[0:1], s[14:15]
	v_mov_b64_e32 v[6:7], s[12:13]
	v_mul_f64 v[8:9], s[10:11], v[0:1]
	v_mul_f64 v[0:1], s[8:9], v[0:1]
	v_fma_f64 v[8:9], s[8:9], v[6:7], -v[8:9]
	v_fmac_f64_e32 v[0:1], s[10:11], v[6:7]
	v_add_f64 v[2:3], v[2:3], v[8:9]
	v_add_f64 v[4:5], v[4:5], v[0:1]
.LBB164_18:
	s_lshl_b64 s[0:1], s[0:1], 4
	s_add_u32 s0, s2, s0
	s_addc_u32 s1, s4, s1
	v_mov_b32_e32 v0, 0
	global_store_dwordx4 v0, v[2:5], s[0:1]
	s_endpgm
	.section	.rodata,"a",@progbits
	.p2align	6, 0x0
	.amdhsa_kernel _ZL23rocblas_gemvt_sn_reduceILi256ELi8E19rocblas_complex_numIdEPKS1_S1_EviT2_lPT3_lilPT1_i
		.amdhsa_group_segment_fixed_size 1024
		.amdhsa_private_segment_fixed_size 0
		.amdhsa_kernarg_size 328
		.amdhsa_user_sgpr_count 2
		.amdhsa_user_sgpr_dispatch_ptr 0
		.amdhsa_user_sgpr_queue_ptr 0
		.amdhsa_user_sgpr_kernarg_segment_ptr 1
		.amdhsa_user_sgpr_dispatch_id 0
		.amdhsa_user_sgpr_kernarg_preload_length 0
		.amdhsa_user_sgpr_kernarg_preload_offset 0
		.amdhsa_user_sgpr_private_segment_size 0
		.amdhsa_uses_dynamic_stack 0
		.amdhsa_enable_private_segment 0
		.amdhsa_system_sgpr_workgroup_id_x 1
		.amdhsa_system_sgpr_workgroup_id_y 1
		.amdhsa_system_sgpr_workgroup_id_z 1
		.amdhsa_system_sgpr_workgroup_info 0
		.amdhsa_system_vgpr_workitem_id 0
		.amdhsa_next_free_vgpr 40
		.amdhsa_next_free_sgpr 25
		.amdhsa_accum_offset 40
		.amdhsa_reserve_vcc 1
		.amdhsa_float_round_mode_32 0
		.amdhsa_float_round_mode_16_64 0
		.amdhsa_float_denorm_mode_32 3
		.amdhsa_float_denorm_mode_16_64 3
		.amdhsa_dx10_clamp 1
		.amdhsa_ieee_mode 1
		.amdhsa_fp16_overflow 0
		.amdhsa_tg_split 0
		.amdhsa_exception_fp_ieee_invalid_op 0
		.amdhsa_exception_fp_denorm_src 0
		.amdhsa_exception_fp_ieee_div_zero 0
		.amdhsa_exception_fp_ieee_overflow 0
		.amdhsa_exception_fp_ieee_underflow 0
		.amdhsa_exception_fp_ieee_inexact 0
		.amdhsa_exception_int_div_zero 0
	.end_amdhsa_kernel
	.section	.text._ZL23rocblas_gemvt_sn_reduceILi256ELi8E19rocblas_complex_numIdEPKS1_S1_EviT2_lPT3_lilPT1_i,"axG",@progbits,_ZL23rocblas_gemvt_sn_reduceILi256ELi8E19rocblas_complex_numIdEPKS1_S1_EviT2_lPT3_lilPT1_i,comdat
.Lfunc_end164:
	.size	_ZL23rocblas_gemvt_sn_reduceILi256ELi8E19rocblas_complex_numIdEPKS1_S1_EviT2_lPT3_lilPT1_i, .Lfunc_end164-_ZL23rocblas_gemvt_sn_reduceILi256ELi8E19rocblas_complex_numIdEPKS1_S1_EviT2_lPT3_lilPT1_i
                                        ; -- End function
	.section	.AMDGPU.csdata,"",@progbits
; Kernel info:
; codeLenInByte = 1612
; NumSgprs: 31
; NumVgprs: 40
; NumAgprs: 0
; TotalNumVgprs: 40
; ScratchSize: 0
; MemoryBound: 1
; FloatMode: 240
; IeeeMode: 1
; LDSByteSize: 1024 bytes/workgroup (compile time only)
; SGPRBlocks: 3
; VGPRBlocks: 4
; NumSGPRsForWavesPerEU: 31
; NumVGPRsForWavesPerEU: 40
; AccumOffset: 40
; Occupancy: 8
; WaveLimiterHint : 0
; COMPUTE_PGM_RSRC2:SCRATCH_EN: 0
; COMPUTE_PGM_RSRC2:USER_SGPR: 2
; COMPUTE_PGM_RSRC2:TRAP_HANDLER: 0
; COMPUTE_PGM_RSRC2:TGID_X_EN: 1
; COMPUTE_PGM_RSRC2:TGID_Y_EN: 1
; COMPUTE_PGM_RSRC2:TGID_Z_EN: 1
; COMPUTE_PGM_RSRC2:TIDIG_COMP_CNT: 0
; COMPUTE_PGM_RSRC3_GFX90A:ACCUM_OFFSET: 9
; COMPUTE_PGM_RSRC3_GFX90A:TG_SPLIT: 0
	.section	.text._ZL23rocblas_gemvt_sn_kernelILb0ELi256ELi4Ei19rocblas_complex_numIdES1_S1_EviiT4_lPKT3_lilS5_lilPT5_i,"axG",@progbits,_ZL23rocblas_gemvt_sn_kernelILb0ELi256ELi4Ei19rocblas_complex_numIdES1_S1_EviiT4_lPKT3_lilS5_lilPT5_i,comdat
	.globl	_ZL23rocblas_gemvt_sn_kernelILb0ELi256ELi4Ei19rocblas_complex_numIdES1_S1_EviiT4_lPKT3_lilS5_lilPT5_i ; -- Begin function _ZL23rocblas_gemvt_sn_kernelILb0ELi256ELi4Ei19rocblas_complex_numIdES1_S1_EviiT4_lPKT3_lilS5_lilPT5_i
	.p2align	8
	.type	_ZL23rocblas_gemvt_sn_kernelILb0ELi256ELi4Ei19rocblas_complex_numIdES1_S1_EviiT4_lPKT3_lilS5_lilPT5_i,@function
_ZL23rocblas_gemvt_sn_kernelILb0ELi256ELi4Ei19rocblas_complex_numIdES1_S1_EviiT4_lPKT3_lilS5_lilPT5_i: ; @_ZL23rocblas_gemvt_sn_kernelILb0ELi256ELi4Ei19rocblas_complex_numIdES1_S1_EviiT4_lPKT3_lilS5_lilPT5_i
; %bb.0:
	s_load_dwordx2 s[14:15], s[0:1], 0x0
	s_load_dwordx4 s[16:19], s[0:1], 0x8
	s_load_dwordx4 s[8:11], s[0:1], 0x58
	s_load_dword s24, s[0:1], 0x70
	s_mov_b32 s25, 0
	s_waitcnt lgkmcnt(0)
	s_ashr_i32 s30, s15, 31
	s_mul_hi_u32 s4, s15, s3
	s_mul_i32 s5, s30, s3
	s_add_i32 s4, s4, s5
	s_mul_i32 s5, s15, s3
	s_mul_i32 s4, s4, s24
	s_mul_hi_u32 s6, s5, s24
	s_add_i32 s7, s6, s4
	s_mul_i32 s6, s5, s24
	v_cmp_neq_f64_e64 s[4:5], s[16:17], 0
	v_cmp_neq_f64_e64 s[12:13], s[18:19], 0
	s_or_b64 s[4:5], s[4:5], s[12:13]
	s_mov_b64 s[12:13], -1
	s_and_b64 vcc, exec, s[4:5]
	v_cmp_eq_u32_e64 s[4:5], 0, v0
	s_cbranch_vccnz .LBB165_5
; %bb.1:
	s_cmp_gt_i32 s15, 0
	s_cselect_b64 s[12:13], -1, 0
	s_and_b64 s[12:13], s[4:5], s[12:13]
	s_and_saveexec_b64 s[4:5], s[12:13]
	s_cbranch_execz .LBB165_4
; %bb.2:
	s_mov_b32 s12, s3
	s_mov_b32 s3, 0
	s_lshl_b64 s[20:21], s[6:7], 4
	s_lshl_b64 s[22:23], s[2:3], 4
	s_mov_b32 s3, s12
	s_add_u32 s12, s20, s22
	s_addc_u32 s13, s21, s23
	s_add_u32 s12, s12, s10
	s_addc_u32 s13, s13, s11
	s_add_u32 s12, s12, 8
	v_mov_b32_e32 v2, 0
	s_addc_u32 s13, s13, 0
	s_lshl_b64 s[20:21], s[24:25], 4
	v_mov_b32_e32 v3, v2
	v_mov_b32_e32 v4, v2
	v_mov_b32_e32 v5, v2
	s_mov_b32 s22, s15
.LBB165_3:                              ; =>This Inner Loop Header: Depth=1
	s_add_i32 s22, s22, -1
	global_store_dwordx4 v2, v[2:5], s[12:13] offset:-8
	s_add_u32 s12, s12, s20
	s_addc_u32 s13, s13, s21
	s_cmp_eq_u32 s22, 0
	s_cbranch_scc0 .LBB165_3
.LBB165_4:
	s_or_b64 exec, exec, s[4:5]
	s_mov_b64 s[12:13], 0
.LBB165_5:
	s_andn2_b64 vcc, exec, s[12:13]
	s_cbranch_vccnz .LBB165_76
; %bb.6:
	s_load_dwordx4 s[20:23], s[0:1], 0x20
	s_load_dword s25, s[0:1], 0x30
	s_load_dwordx4 s[36:39], s[0:1], 0x38
	s_load_dwordx2 s[4:5], s[0:1], 0x48
	s_load_dword s33, s[0:1], 0x50
	s_mul_i32 s0, s3, s9
	s_mul_hi_u32 s1, s3, s8
	s_add_i32 s1, s1, s0
	s_mul_i32 s0, s3, s8
	s_lshl_b64 s[0:1], s[0:1], 4
	s_waitcnt lgkmcnt(0)
	s_add_u32 s8, s38, s0
	s_addc_u32 s9, s39, s1
	s_lshl_b64 s[0:1], s[4:5], 4
	s_add_u32 s26, s8, s0
	s_addc_u32 s27, s9, s1
	s_lshl_b64 s[0:1], s[6:7], 4
	s_add_u32 s50, s10, s0
	s_addc_u32 s51, s11, s1
	s_mul_i32 s0, s3, s37
	s_mul_hi_u32 s1, s3, s36
	s_add_i32 s1, s1, s0
	s_mul_i32 s0, s3, s36
	s_lshl_b64 s[28:29], s[0:1], 4
	s_add_u32 s0, s20, s28
	s_addc_u32 s1, s21, s29
	s_lshl_b64 s[22:23], s[22:23], 4
	s_add_u32 s0, s0, s22
	s_addc_u32 s1, s1, s23
	s_lshl_b32 s3, s2, 10
	v_lshl_or_b32 v32, v0, 2, s3
	v_ashrrev_i32_e32 v33, 31, v32
	v_lshl_add_u64 v[28:29], v[32:33], 4, s[0:1]
	s_lshr_b32 s0, s30, 30
	s_add_i32 s0, s15, s0
	s_and_b32 s3, s0, -4
	s_ashr_i32 s0, s14, 31
	s_lshr_b32 s0, s0, 30
	s_add_i32 s0, s14, s0
	s_and_b32 s0, s0, -4
	s_sub_i32 s48, s14, s0
	s_cmp_lt_i32 s3, 1
	v_add_u32_e32 v55, 4, v32
	v_add_u32_e32 v56, s48, v32
	v_and_b32_e32 v1, 63, v0
	v_cmp_gt_u32_e64 s[0:1], 64, v0
	v_mbcnt_lo_u32_b32 v54, -1, 0
	v_cmp_gt_u32_e64 s[4:5], 4, v0
	v_lshrrev_b32_e32 v31, 2, v0
	v_mul_lo_u32 v30, v32, s33
	s_cbranch_scc1 .LBB165_53
; %bb.7:
	v_mbcnt_hi_u32_b32 v2, -1, v54
	v_and_b32_e32 v3, 63, v2
	v_cmp_gt_u32_e32 vcc, 32, v3
	v_mul_lo_u32 v34, v32, s33
	s_cmp_gt_i32 s48, 0
	v_cndmask_b32_e64 v4, 0, 1, vcc
	v_lshlrev_b32_e32 v4, 5, v4
	v_cmp_gt_u32_e32 vcc, 48, v3
	v_add_lshl_u32 v57, v4, v2, 2
	s_cselect_b64 s[34:35], -1, 0
	v_cndmask_b32_e64 v4, 0, 1, vcc
	v_lshlrev_b32_e32 v4, 4, v4
	v_cmp_gt_u32_e32 vcc, 56, v3
	v_add_lshl_u32 v58, v4, v2, 2
	s_lshl_b32 s52, s25, 2
	v_cndmask_b32_e64 v4, 0, 1, vcc
	v_lshlrev_b32_e32 v4, 3, v4
	v_cmp_gt_u32_e32 vcc, 60, v3
	v_add_lshl_u32 v59, v4, v2, 2
	s_lshl_b32 s53, s25, 1
	v_cndmask_b32_e64 v4, 0, 1, vcc
	v_lshlrev_b32_e32 v4, 2, v4
	v_cmp_gt_u32_e32 vcc, 62, v3
	v_add_lshl_u32 v60, v4, v2, 2
	s_add_u32 s30, s28, s22
	v_cndmask_b32_e64 v4, 0, 1, vcc
	v_lshlrev_b32_e32 v4, 1, v4
	v_cmp_ne_u32_e32 vcc, 63, v3
	v_add_lshl_u32 v61, v4, v2, 2
	s_addc_u32 s37, s29, s23
	v_addc_co_u32_e32 v2, vcc, 0, v2, vcc
	v_lshlrev_b32_e32 v62, 2, v2
	v_add_u32_e32 v2, s33, v34
	v_ashrrev_i32_e32 v3, 31, v2
	v_lshl_add_u64 v[38:39], v[2:3], 4, s[26:27]
	v_add_u32_e32 v2, s33, v2
	v_ashrrev_i32_e32 v3, 31, v2
	v_lshl_add_u64 v[40:41], v[2:3], 4, s[26:27]
	v_add_u32_e32 v2, s33, v2
	s_add_u32 s36, s20, s30
	v_ashrrev_i32_e32 v3, 31, v2
	s_addc_u32 s37, s21, s37
	s_mov_b32 s31, 0
	v_ashrrev_i32_e32 v35, 31, v34
	v_mov_b32_e32 v4, 0
	v_lshl_add_u64 v[42:43], v[2:3], 4, s[26:27]
	v_lshl_add_u64 v[2:3], v[32:33], 4, s[36:37]
	v_cmp_ge_i32_e64 s[6:7], s14, v55
	v_cmp_ge_i32_e64 s[8:9], s14, v56
	v_cmp_eq_u32_e64 s[10:11], 0, v1
	v_lshlrev_b32_e32 v63, 4, v1
	v_and_b32_e32 v64, 48, v31
	v_cmp_eq_u32_e64 s[12:13], 0, v0
	v_lshl_add_u64 v[36:37], v[34:35], 4, s[26:27]
	v_add_u32_e32 v35, 16, v4
	v_add_u32_e32 v65, 32, v4
	;; [unrolled: 1-line block ×3, first 2 shown]
	s_mul_i32 s54, s25, 3
	v_lshl_add_u64 v[44:45], v[2:3], 0, 8
	v_mov_b32_e32 v2, 0
	s_mov_b32 s36, s31
	s_mov_b32 s55, s25
	;; [unrolled: 1-line block ×3, first 2 shown]
	s_branch .LBB165_9
.LBB165_8:                              ;   in Loop: Header=BB165_9 Depth=1
	s_or_b64 exec, exec, s[38:39]
	s_add_i32 s49, s49, 4
	s_add_i32 s55, s55, s52
	;; [unrolled: 1-line block ×5, first 2 shown]
	s_cmp_ge_i32 s49, s3
	s_cbranch_scc1 .LBB165_54
.LBB165_9:                              ; =>This Loop Header: Depth=1
                                        ;     Child Loop BB165_40 Depth 2
                                        ;     Child Loop BB165_42 Depth 2
                                        ; implicit-def: $vgpr18_vgpr19
                                        ; implicit-def: $vgpr20_vgpr21
                                        ; implicit-def: $vgpr14_vgpr15
                                        ; implicit-def: $vgpr16_vgpr17
                                        ; implicit-def: $vgpr10_vgpr11
                                        ; implicit-def: $vgpr12_vgpr13
                                        ; implicit-def: $vgpr8_vgpr9
                                        ; implicit-def: $vgpr6_vgpr7
	s_and_saveexec_b64 s[38:39], s[6:7]
	s_xor_b64 s[38:39], exec, s[38:39]
	s_cbranch_execnz .LBB165_36
; %bb.10:                               ;   in Loop: Header=BB165_9 Depth=1
	s_andn2_saveexec_b64 s[38:39], s[38:39]
	s_cbranch_execnz .LBB165_37
.LBB165_11:                             ;   in Loop: Header=BB165_9 Depth=1
	s_or_b64 exec, exec, s[38:39]
	s_and_saveexec_b64 s[38:39], s[0:1]
	s_cbranch_execz .LBB165_13
.LBB165_12:                             ;   in Loop: Header=BB165_9 Depth=1
	v_mov_b32_e32 v3, v2
	v_mov_b32_e32 v4, v2
	;; [unrolled: 1-line block ×3, first 2 shown]
	ds_write_b128 v63, v[2:5]
.LBB165_13:                             ;   in Loop: Header=BB165_9 Depth=1
	s_or_b64 exec, exec, s[38:39]
	ds_bpermute_b32 v4, v57, v8
	ds_bpermute_b32 v5, v57, v9
	;; [unrolled: 1-line block ×4, first 2 shown]
	s_waitcnt lgkmcnt(0)
	s_barrier
	v_add_f64 v[4:5], v[8:9], v[4:5]
	ds_bpermute_b32 v8, v58, v4
	v_add_f64 v[6:7], v[6:7], v[22:23]
	ds_bpermute_b32 v9, v58, v5
	ds_bpermute_b32 v22, v58, v6
	;; [unrolled: 1-line block ×3, first 2 shown]
	s_waitcnt lgkmcnt(0)
	v_add_f64 v[4:5], v[4:5], v[8:9]
	ds_bpermute_b32 v8, v59, v4
	v_add_f64 v[6:7], v[6:7], v[22:23]
	ds_bpermute_b32 v9, v59, v5
	ds_bpermute_b32 v22, v59, v6
	;; [unrolled: 1-line block ×3, first 2 shown]
	s_waitcnt lgkmcnt(2)
	v_add_f64 v[4:5], v[4:5], v[8:9]
	ds_bpermute_b32 v8, v60, v4
	s_waitcnt lgkmcnt(1)
	v_add_f64 v[6:7], v[6:7], v[22:23]
	ds_bpermute_b32 v9, v60, v5
	ds_bpermute_b32 v22, v60, v6
	;; [unrolled: 1-line block ×3, first 2 shown]
	s_waitcnt lgkmcnt(2)
	v_add_f64 v[4:5], v[4:5], v[8:9]
	ds_bpermute_b32 v8, v61, v4
	s_waitcnt lgkmcnt(1)
	v_add_f64 v[6:7], v[6:7], v[22:23]
	ds_bpermute_b32 v9, v61, v5
	ds_bpermute_b32 v22, v61, v6
	;; [unrolled: 1-line block ×3, first 2 shown]
	s_waitcnt lgkmcnt(2)
	v_add_f64 v[4:5], v[4:5], v[8:9]
	s_waitcnt lgkmcnt(0)
	v_add_f64 v[8:9], v[6:7], v[22:23]
	ds_bpermute_b32 v6, v62, v4
	ds_bpermute_b32 v7, v62, v5
	;; [unrolled: 1-line block ×4, first 2 shown]
	s_and_saveexec_b64 s[38:39], s[10:11]
	s_cbranch_execz .LBB165_15
; %bb.14:                               ;   in Loop: Header=BB165_9 Depth=1
	s_waitcnt lgkmcnt(0)
	v_add_f64 v[8:9], v[8:9], v[22:23]
	v_add_f64 v[6:7], v[4:5], v[6:7]
	ds_write_b128 v64, v[6:9]
.LBB165_15:                             ;   in Loop: Header=BB165_9 Depth=1
	s_or_b64 exec, exec, s[38:39]
	v_mov_b64_e32 v[8:9], 0
	s_waitcnt lgkmcnt(2)
	v_mov_b64_e32 v[6:7], v[8:9]
	s_waitcnt lgkmcnt(0)
	s_barrier
	s_and_saveexec_b64 s[38:39], s[4:5]
	s_cbranch_execnz .LBB165_44
; %bb.16:                               ;   in Loop: Header=BB165_9 Depth=1
	s_or_b64 exec, exec, s[38:39]
	s_and_saveexec_b64 s[38:39], s[0:1]
	s_cbranch_execnz .LBB165_45
.LBB165_17:                             ;   in Loop: Header=BB165_9 Depth=1
	s_or_b64 exec, exec, s[38:39]
	s_and_saveexec_b64 s[38:39], s[0:1]
	s_cbranch_execz .LBB165_19
.LBB165_18:                             ;   in Loop: Header=BB165_9 Depth=1
	v_mov_b32_e32 v3, v2
	v_mov_b32_e32 v4, v2
	;; [unrolled: 1-line block ×3, first 2 shown]
	ds_write_b128 v63, v[2:5]
.LBB165_19:                             ;   in Loop: Header=BB165_9 Depth=1
	s_or_b64 exec, exec, s[38:39]
	ds_bpermute_b32 v4, v57, v10
	ds_bpermute_b32 v5, v57, v11
	;; [unrolled: 1-line block ×4, first 2 shown]
	s_waitcnt lgkmcnt(0)
	s_barrier
	v_add_f64 v[4:5], v[10:11], v[4:5]
	v_add_f64 v[10:11], v[12:13], v[22:23]
	ds_bpermute_b32 v12, v58, v4
	ds_bpermute_b32 v13, v58, v5
	;; [unrolled: 1-line block ×4, first 2 shown]
	s_waitcnt lgkmcnt(2)
	v_add_f64 v[4:5], v[4:5], v[12:13]
	ds_bpermute_b32 v12, v59, v4
	s_waitcnt lgkmcnt(1)
	v_add_f64 v[10:11], v[10:11], v[22:23]
	ds_bpermute_b32 v13, v59, v5
	ds_bpermute_b32 v22, v59, v10
	ds_bpermute_b32 v23, v59, v11
	s_waitcnt lgkmcnt(2)
	v_add_f64 v[4:5], v[4:5], v[12:13]
	ds_bpermute_b32 v12, v60, v4
	s_waitcnt lgkmcnt(1)
	v_add_f64 v[10:11], v[10:11], v[22:23]
	ds_bpermute_b32 v13, v60, v5
	ds_bpermute_b32 v22, v60, v10
	ds_bpermute_b32 v23, v60, v11
	;; [unrolled: 8-line block ×3, first 2 shown]
	s_waitcnt lgkmcnt(2)
	v_add_f64 v[4:5], v[4:5], v[12:13]
	s_waitcnt lgkmcnt(0)
	v_add_f64 v[12:13], v[10:11], v[22:23]
	ds_bpermute_b32 v10, v62, v4
	ds_bpermute_b32 v11, v62, v5
	ds_bpermute_b32 v22, v62, v12
	ds_bpermute_b32 v23, v62, v13
	s_and_saveexec_b64 s[38:39], s[10:11]
	s_cbranch_execz .LBB165_21
; %bb.20:                               ;   in Loop: Header=BB165_9 Depth=1
	s_waitcnt lgkmcnt(0)
	v_add_f64 v[12:13], v[12:13], v[22:23]
	v_add_f64 v[10:11], v[4:5], v[10:11]
	ds_write_b128 v64, v[10:13]
.LBB165_21:                             ;   in Loop: Header=BB165_9 Depth=1
	s_or_b64 exec, exec, s[38:39]
	v_mov_b64_e32 v[12:13], 0
	s_waitcnt lgkmcnt(2)
	v_mov_b64_e32 v[10:11], v[12:13]
	s_waitcnt lgkmcnt(0)
	s_barrier
	s_and_saveexec_b64 s[38:39], s[4:5]
	s_cbranch_execnz .LBB165_46
; %bb.22:                               ;   in Loop: Header=BB165_9 Depth=1
	s_or_b64 exec, exec, s[38:39]
	s_and_saveexec_b64 s[38:39], s[0:1]
	s_cbranch_execnz .LBB165_47
.LBB165_23:                             ;   in Loop: Header=BB165_9 Depth=1
	s_or_b64 exec, exec, s[38:39]
	s_and_saveexec_b64 s[38:39], s[0:1]
	s_cbranch_execz .LBB165_25
.LBB165_24:                             ;   in Loop: Header=BB165_9 Depth=1
	v_mov_b32_e32 v3, v2
	v_mov_b32_e32 v4, v2
	;; [unrolled: 1-line block ×3, first 2 shown]
	ds_write_b128 v63, v[2:5]
.LBB165_25:                             ;   in Loop: Header=BB165_9 Depth=1
	s_or_b64 exec, exec, s[38:39]
	ds_bpermute_b32 v4, v57, v14
	ds_bpermute_b32 v5, v57, v15
	;; [unrolled: 1-line block ×4, first 2 shown]
	s_waitcnt lgkmcnt(0)
	s_barrier
	v_add_f64 v[4:5], v[14:15], v[4:5]
	v_add_f64 v[14:15], v[16:17], v[22:23]
	ds_bpermute_b32 v16, v58, v4
	ds_bpermute_b32 v17, v58, v5
	;; [unrolled: 1-line block ×4, first 2 shown]
	s_waitcnt lgkmcnt(2)
	v_add_f64 v[4:5], v[4:5], v[16:17]
	ds_bpermute_b32 v16, v59, v4
	s_waitcnt lgkmcnt(1)
	v_add_f64 v[14:15], v[14:15], v[22:23]
	ds_bpermute_b32 v17, v59, v5
	ds_bpermute_b32 v22, v59, v14
	ds_bpermute_b32 v23, v59, v15
	s_waitcnt lgkmcnt(2)
	v_add_f64 v[4:5], v[4:5], v[16:17]
	ds_bpermute_b32 v16, v60, v4
	s_waitcnt lgkmcnt(1)
	v_add_f64 v[14:15], v[14:15], v[22:23]
	ds_bpermute_b32 v17, v60, v5
	ds_bpermute_b32 v22, v60, v14
	ds_bpermute_b32 v23, v60, v15
	;; [unrolled: 8-line block ×3, first 2 shown]
	s_waitcnt lgkmcnt(2)
	v_add_f64 v[4:5], v[4:5], v[16:17]
	s_waitcnt lgkmcnt(0)
	v_add_f64 v[16:17], v[14:15], v[22:23]
	ds_bpermute_b32 v14, v62, v4
	ds_bpermute_b32 v15, v62, v5
	;; [unrolled: 1-line block ×4, first 2 shown]
	s_and_saveexec_b64 s[38:39], s[10:11]
	s_cbranch_execz .LBB165_27
; %bb.26:                               ;   in Loop: Header=BB165_9 Depth=1
	s_waitcnt lgkmcnt(0)
	v_add_f64 v[16:17], v[16:17], v[22:23]
	v_add_f64 v[14:15], v[4:5], v[14:15]
	ds_write_b128 v64, v[14:17]
.LBB165_27:                             ;   in Loop: Header=BB165_9 Depth=1
	s_or_b64 exec, exec, s[38:39]
	v_mov_b64_e32 v[16:17], 0
	s_waitcnt lgkmcnt(2)
	v_mov_b64_e32 v[14:15], v[16:17]
	s_waitcnt lgkmcnt(0)
	s_barrier
	s_and_saveexec_b64 s[38:39], s[4:5]
	s_cbranch_execnz .LBB165_48
; %bb.28:                               ;   in Loop: Header=BB165_9 Depth=1
	s_or_b64 exec, exec, s[38:39]
	s_and_saveexec_b64 s[38:39], s[0:1]
	s_cbranch_execnz .LBB165_49
.LBB165_29:                             ;   in Loop: Header=BB165_9 Depth=1
	s_or_b64 exec, exec, s[38:39]
	s_and_saveexec_b64 s[38:39], s[0:1]
	s_cbranch_execz .LBB165_31
.LBB165_30:                             ;   in Loop: Header=BB165_9 Depth=1
	v_mov_b32_e32 v3, v2
	v_mov_b32_e32 v4, v2
	;; [unrolled: 1-line block ×3, first 2 shown]
	ds_write_b128 v63, v[2:5]
.LBB165_31:                             ;   in Loop: Header=BB165_9 Depth=1
	s_or_b64 exec, exec, s[38:39]
	ds_bpermute_b32 v4, v57, v18
	ds_bpermute_b32 v5, v57, v19
	;; [unrolled: 1-line block ×4, first 2 shown]
	s_waitcnt lgkmcnt(0)
	s_barrier
	v_add_f64 v[4:5], v[18:19], v[4:5]
	v_add_f64 v[18:19], v[20:21], v[22:23]
	ds_bpermute_b32 v20, v58, v4
	ds_bpermute_b32 v21, v58, v5
	;; [unrolled: 1-line block ×4, first 2 shown]
	s_waitcnt lgkmcnt(2)
	v_add_f64 v[4:5], v[4:5], v[20:21]
	ds_bpermute_b32 v20, v59, v4
	s_waitcnt lgkmcnt(1)
	v_add_f64 v[18:19], v[18:19], v[22:23]
	ds_bpermute_b32 v21, v59, v5
	ds_bpermute_b32 v22, v59, v18
	ds_bpermute_b32 v23, v59, v19
	s_waitcnt lgkmcnt(2)
	v_add_f64 v[4:5], v[4:5], v[20:21]
	ds_bpermute_b32 v20, v60, v4
	s_waitcnt lgkmcnt(1)
	v_add_f64 v[18:19], v[18:19], v[22:23]
	ds_bpermute_b32 v21, v60, v5
	ds_bpermute_b32 v22, v60, v18
	ds_bpermute_b32 v23, v60, v19
	;; [unrolled: 8-line block ×3, first 2 shown]
	s_waitcnt lgkmcnt(2)
	v_add_f64 v[4:5], v[4:5], v[20:21]
	s_waitcnt lgkmcnt(0)
	v_add_f64 v[20:21], v[18:19], v[22:23]
	ds_bpermute_b32 v18, v62, v4
	ds_bpermute_b32 v19, v62, v5
	;; [unrolled: 1-line block ×4, first 2 shown]
	s_and_saveexec_b64 s[38:39], s[10:11]
	s_cbranch_execz .LBB165_33
; %bb.32:                               ;   in Loop: Header=BB165_9 Depth=1
	s_waitcnt lgkmcnt(0)
	v_add_f64 v[20:21], v[20:21], v[22:23]
	v_add_f64 v[18:19], v[4:5], v[18:19]
	ds_write_b128 v64, v[18:21]
.LBB165_33:                             ;   in Loop: Header=BB165_9 Depth=1
	s_or_b64 exec, exec, s[38:39]
	v_mov_b64_e32 v[20:21], 0
	s_waitcnt lgkmcnt(2)
	v_mov_b64_e32 v[18:19], v[20:21]
	s_waitcnt lgkmcnt(0)
	s_barrier
	s_and_saveexec_b64 s[38:39], s[4:5]
	s_cbranch_execnz .LBB165_50
; %bb.34:                               ;   in Loop: Header=BB165_9 Depth=1
	s_or_b64 exec, exec, s[38:39]
	s_and_saveexec_b64 s[38:39], s[0:1]
	s_cbranch_execnz .LBB165_51
.LBB165_35:                             ;   in Loop: Header=BB165_9 Depth=1
	s_or_b64 exec, exec, s[38:39]
	s_and_saveexec_b64 s[38:39], s[12:13]
	s_cbranch_execz .LBB165_8
	s_branch .LBB165_52
.LBB165_36:                             ;   in Loop: Header=BB165_9 Depth=1
	global_load_dwordx4 v[4:7], v[38:39], off
	global_load_dwordx4 v[24:27], v[40:41], off
	s_mul_i32 s40, s49, s25
	s_ashr_i32 s41, s40, 31
	v_lshl_add_u64 v[50:51], s[40:41], 4, v[28:29]
	s_add_i32 s40, s40, s25
	s_ashr_i32 s41, s40, 31
	v_lshl_add_u64 v[52:53], s[40:41], 4, v[28:29]
	s_add_i32 s40, s40, s25
	global_load_dwordx4 v[8:11], v[50:51], off offset:16
	s_ashr_i32 s41, s40, 31
	global_load_dwordx4 v[12:15], v[52:53], off offset:16
	v_lshl_add_u64 v[46:47], s[40:41], 4, v[28:29]
	s_waitcnt lgkmcnt(0)
	global_load_dwordx4 v[16:19], v[46:47], off offset:16
	s_add_i32 s40, s40, s25
	s_ashr_i32 s41, s40, 31
	v_lshl_add_u64 v[48:49], s[40:41], 4, v[28:29]
	s_waitcnt vmcnt(4)
	scratch_store_dwordx4 v35, v[4:7], off
	scratch_load_dwordx4 v[4:7], off, off offset:16
	s_nop 0
	global_load_dwordx4 v[20:23], v[48:49], off offset:16
	global_load_dwordx4 v[68:71], v[42:43], off
	global_load_dwordx4 v[72:75], v[50:51], off offset:32
	s_waitcnt vmcnt(3)
	v_mul_f64 v[104:105], v[6:7], v[10:11]
	scratch_store_dwordx4 v65, v[24:27], off
	scratch_load_dwordx4 v[24:27], off, off offset:32
	s_nop 0
	global_load_dwordx4 v[76:79], v[52:53], off offset:32
	global_load_dwordx4 v[80:83], v[36:37], off
	global_load_dwordx4 v[84:87], v[46:47], off offset:32
	global_load_dwordx4 v[88:91], v[50:51], off
	global_load_dwordx4 v[92:95], v[52:53], off
	;; [unrolled: 1-line block ×3, first 2 shown]
	global_load_dwordx4 v[100:103], v[48:49], off offset:32
	v_mul_f64 v[106:107], v[4:5], v[10:11]
	v_fma_f64 v[104:105], v[4:5], v[8:9], -v[104:105]
	v_fmac_f64_e32 v[106:107], v[6:7], v[8:9]
	v_mul_f64 v[8:9], v[6:7], v[14:15]
	v_fma_f64 v[110:111], v[4:5], v[12:13], -v[8:9]
	v_mul_f64 v[8:9], v[6:7], v[18:19]
	v_mul_f64 v[108:109], v[4:5], v[14:15]
	;; [unrolled: 1-line block ×3, first 2 shown]
	v_fma_f64 v[114:115], v[4:5], v[16:17], -v[8:9]
	s_waitcnt vmcnt(11)
	v_mul_f64 v[8:9], v[6:7], v[22:23]
	v_mul_f64 v[116:117], v[4:5], v[22:23]
	v_fmac_f64_e32 v[108:109], v[6:7], v[12:13]
	v_fmac_f64_e32 v[112:113], v[6:7], v[16:17]
	v_fma_f64 v[118:119], v[4:5], v[20:21], -v[8:9]
	v_fmac_f64_e32 v[116:117], v[6:7], v[20:21]
	global_load_dwordx4 v[4:7], v[48:49], off
	global_load_dwordx4 v[8:11], v[50:51], off offset:48
	global_load_dwordx4 v[12:15], v[52:53], off offset:48
	s_waitcnt vmcnt(10)
	v_mul_f64 v[16:17], v[26:27], v[74:75]
	v_fma_f64 v[52:53], v[24:25], v[72:73], -v[16:17]
	s_waitcnt vmcnt(9)
	v_mul_f64 v[16:17], v[26:27], v[78:79]
	scratch_store_dwordx4 v66, v[68:71], off
	v_mul_f64 v[50:51], v[24:25], v[74:75]
	s_waitcnt vmcnt(7)
	v_mul_f64 v[20:21], v[82:83], v[90:91]
	v_fma_f64 v[70:71], v[24:25], v[76:77], -v[16:17]
	v_mul_f64 v[16:17], v[26:27], v[86:87]
	v_mul_f64 v[68:69], v[24:25], v[78:79]
	v_fma_f64 v[74:75], v[24:25], v[84:85], -v[16:17]
	s_waitcnt vmcnt(4)
	v_mul_f64 v[16:17], v[26:27], v[102:103]
	v_fmac_f64_e32 v[50:51], v[26:27], v[72:73]
	v_fmac_f64_e32 v[68:69], v[26:27], v[76:77]
	v_mul_f64 v[72:73], v[24:25], v[86:87]
	v_mul_f64 v[76:77], v[24:25], v[102:103]
	v_fma_f64 v[24:25], v[24:25], v[100:101], -v[16:17]
	scratch_load_dwordx4 v[16:19], off, off offset:48
	v_fma_f64 v[78:79], v[80:81], v[88:89], -v[20:21]
	v_mul_f64 v[20:21], v[82:83], v[94:95]
	v_fmac_f64_e32 v[72:73], v[26:27], v[84:85]
	v_mul_f64 v[84:85], v[80:81], v[94:95]
	v_fma_f64 v[86:87], v[80:81], v[92:93], -v[20:21]
	v_mul_f64 v[20:21], v[82:83], v[98:99]
	v_fmac_f64_e32 v[76:77], v[26:27], v[100:101]
	v_mul_f64 v[26:27], v[80:81], v[90:91]
	v_fmac_f64_e32 v[84:85], v[82:83], v[92:93]
	v_fma_f64 v[90:91], v[80:81], v[96:97], -v[20:21]
	s_waitcnt vmcnt(4)
	v_mul_f64 v[20:21], v[82:83], v[6:7]
	v_mul_f64 v[92:93], v[80:81], v[6:7]
	v_fma_f64 v[94:95], v[80:81], v[4:5], -v[20:21]
	v_fmac_f64_e32 v[92:93], v[82:83], v[4:5]
	global_load_dwordx4 v[4:7], v[46:47], off offset:48
	global_load_dwordx4 v[20:23], v[48:49], off offset:48
	v_fmac_f64_e32 v[26:27], v[82:83], v[88:89]
	v_mul_f64 v[88:89], v[80:81], v[98:99]
	v_fmac_f64_e32 v[88:89], v[82:83], v[96:97]
	scratch_store_dwordx4 off, v[80:83], off
	v_add_f64 v[48:49], v[86:87], 0
	v_add_f64 v[86:87], v[92:93], 0
	;; [unrolled: 1-line block ×8, first 2 shown]
	s_waitcnt vmcnt(3)
	v_mul_f64 v[88:89], v[18:19], v[10:11]
	v_mul_f64 v[10:11], v[16:17], v[10:11]
	v_fma_f64 v[88:89], v[16:17], v[8:9], -v[88:89]
	v_fmac_f64_e32 v[10:11], v[18:19], v[8:9]
	v_mul_f64 v[8:9], v[18:19], v[14:15]
	v_fma_f64 v[90:91], v[16:17], v[12:13], -v[8:9]
	v_mul_f64 v[14:15], v[16:17], v[14:15]
	v_fmac_f64_e32 v[14:15], v[18:19], v[12:13]
	v_add_f64 v[12:13], v[48:49], v[110:111]
	v_add_f64 v[12:13], v[12:13], v[70:71]
	s_waitcnt vmcnt(2)
	v_mul_f64 v[8:9], v[18:19], v[6:7]
	v_mul_f64 v[92:93], v[16:17], v[6:7]
	v_fma_f64 v[94:95], v[16:17], v[4:5], -v[8:9]
	v_fmac_f64_e32 v[92:93], v[18:19], v[4:5]
	s_waitcnt vmcnt(1)
	v_mul_f64 v[4:5], v[18:19], v[22:23]
	v_mul_f64 v[22:23], v[16:17], v[22:23]
	v_fma_f64 v[4:5], v[16:17], v[20:21], -v[4:5]
	v_fmac_f64_e32 v[22:23], v[18:19], v[20:21]
	v_add_f64 v[6:7], v[46:47], v[104:105]
	v_add_f64 v[8:9], v[26:27], v[106:107]
	;; [unrolled: 1-line block ×22, first 2 shown]
	s_andn2_saveexec_b64 s[38:39], s[38:39]
	s_cbranch_execz .LBB165_11
.LBB165_37:                             ;   in Loop: Header=BB165_9 Depth=1
	s_waitcnt lgkmcnt(0)
	v_mov_b64_e32 v[18:19], 0
	v_mov_b64_e32 v[20:21], v[18:19]
	;; [unrolled: 1-line block ×8, first 2 shown]
	s_and_saveexec_b64 s[40:41], s[8:9]
	s_cbranch_execz .LBB165_43
; %bb.38:                               ;   in Loop: Header=BB165_9 Depth=1
	v_mov_b64_e32 v[18:19], 0
	s_andn2_b64 vcc, exec, s[34:35]
	v_mov_b64_e32 v[20:21], v[18:19]
	v_mov_b64_e32 v[14:15], v[18:19]
	;; [unrolled: 1-line block ×7, first 2 shown]
	s_cbranch_vccnz .LBB165_43
; %bb.39:                               ;   in Loop: Header=BB165_9 Depth=1
	v_mov_b32_e32 v3, 0
	v_mov_b32_e32 v4, v34
	s_mov_b32 s30, s48
.LBB165_40:                             ;   Parent Loop BB165_9 Depth=1
                                        ; =>  This Inner Loop Header: Depth=2
	v_ashrrev_i32_e32 v5, 31, v4
	v_lshl_add_u64 v[6:7], v[4:5], 4, s[26:27]
	global_load_dwordx4 v[6:9], v[6:7], off
	s_add_i32 s30, s30, -1
	v_add_u32_e32 v4, s33, v4
	s_cmp_eq_u32 s30, 0
	s_waitcnt vmcnt(0)
	scratch_store_dwordx4 v3, v[6:9], off
	v_add_u32_e32 v3, 16, v3
	s_cbranch_scc0 .LBB165_40
; %bb.41:                               ;   in Loop: Header=BB165_9 Depth=1
	s_ashr_i32 s37, s36, 31
	v_mov_b64_e32 v[6:7], 0
	v_lshl_add_u64 v[4:5], s[36:37], 4, v[44:45]
	v_mov_b32_e32 v3, 0
	s_mov_b32 s42, s54
	s_mov_b32 s44, s53
	;; [unrolled: 1-line block ×4, first 2 shown]
	v_mov_b64_e32 v[8:9], v[6:7]
	v_mov_b64_e32 v[12:13], v[6:7]
	;; [unrolled: 1-line block ×7, first 2 shown]
.LBB165_42:                             ;   Parent Loop BB165_9 Depth=1
                                        ; =>  This Inner Loop Header: Depth=2
	scratch_load_dwordx4 v[22:25], v3, off
	global_load_dwordx4 v[46:49], v[4:5], off offset:-8
	s_ashr_i32 s47, s46, 31
	s_ashr_i32 s45, s44, 31
	;; [unrolled: 1-line block ×3, first 2 shown]
	v_lshl_add_u64 v[26:27], s[46:47], 4, v[28:29]
	v_lshl_add_u64 v[68:69], s[44:45], 4, v[28:29]
	;; [unrolled: 1-line block ×3, first 2 shown]
	global_load_dwordx4 v[50:53], v[26:27], off
	s_nop 0
	global_load_dwordx4 v[68:71], v[68:69], off
	s_nop 0
	global_load_dwordx4 v[72:75], v[72:73], off
	s_add_i32 s30, s30, -1
	s_add_i32 s46, s46, 1
	s_add_i32 s44, s44, 1
	s_add_i32 s42, s42, 1
	v_add_u32_e32 v3, 16, v3
	v_lshl_add_u64 v[4:5], v[4:5], 0, 16
	s_cmp_lg_u32 s30, 0
	s_waitcnt vmcnt(3)
	v_mul_f64 v[26:27], v[24:25], v[48:49]
	v_mul_f64 v[48:49], v[22:23], v[48:49]
	v_fma_f64 v[26:27], v[22:23], v[46:47], -v[26:27]
	v_fmac_f64_e32 v[48:49], v[24:25], v[46:47]
	v_add_f64 v[8:9], v[8:9], v[26:27]
	v_add_f64 v[6:7], v[6:7], v[48:49]
	s_waitcnt vmcnt(2)
	v_mul_f64 v[26:27], v[24:25], v[52:53]
	v_mul_f64 v[46:47], v[22:23], v[52:53]
	s_waitcnt vmcnt(1)
	v_mul_f64 v[48:49], v[24:25], v[70:71]
	v_mul_f64 v[52:53], v[22:23], v[70:71]
	;; [unrolled: 3-line block ×3, first 2 shown]
	v_fma_f64 v[26:27], v[22:23], v[50:51], -v[26:27]
	v_fmac_f64_e32 v[46:47], v[24:25], v[50:51]
	v_fma_f64 v[48:49], v[22:23], v[68:69], -v[48:49]
	v_fmac_f64_e32 v[52:53], v[24:25], v[68:69]
	;; [unrolled: 2-line block ×3, first 2 shown]
	v_add_f64 v[10:11], v[10:11], v[26:27]
	v_add_f64 v[12:13], v[12:13], v[46:47]
	;; [unrolled: 1-line block ×6, first 2 shown]
	s_cbranch_scc1 .LBB165_42
.LBB165_43:                             ;   in Loop: Header=BB165_9 Depth=1
	s_or_b64 exec, exec, s[40:41]
	s_or_b64 exec, exec, s[38:39]
	s_and_saveexec_b64 s[38:39], s[0:1]
	s_cbranch_execnz .LBB165_12
	s_branch .LBB165_13
.LBB165_44:                             ;   in Loop: Header=BB165_9 Depth=1
	ds_read_b128 v[6:9], v63
	s_or_b64 exec, exec, s[38:39]
	s_and_saveexec_b64 s[38:39], s[0:1]
	s_cbranch_execz .LBB165_17
.LBB165_45:                             ;   in Loop: Header=BB165_9 Depth=1
	s_waitcnt lgkmcnt(0)
	ds_bpermute_b32 v4, v61, v6
	ds_bpermute_b32 v5, v61, v7
	;; [unrolled: 1-line block ×4, first 2 shown]
	s_waitcnt lgkmcnt(2)
	v_add_f64 v[4:5], v[6:7], v[4:5]
	ds_bpermute_b32 v6, v62, v4
	s_waitcnt lgkmcnt(1)
	v_add_f64 v[8:9], v[8:9], v[22:23]
	ds_bpermute_b32 v7, v62, v5
	ds_bpermute_b32 v22, v62, v8
	;; [unrolled: 1-line block ×3, first 2 shown]
	s_waitcnt lgkmcnt(2)
	v_add_f64 v[6:7], v[4:5], v[6:7]
	s_waitcnt lgkmcnt(0)
	v_add_f64 v[8:9], v[8:9], v[22:23]
	s_or_b64 exec, exec, s[38:39]
	s_and_saveexec_b64 s[38:39], s[0:1]
	s_cbranch_execnz .LBB165_18
	s_branch .LBB165_19
.LBB165_46:                             ;   in Loop: Header=BB165_9 Depth=1
	ds_read_b128 v[10:13], v63
	s_or_b64 exec, exec, s[38:39]
	s_and_saveexec_b64 s[38:39], s[0:1]
	s_cbranch_execz .LBB165_23
.LBB165_47:                             ;   in Loop: Header=BB165_9 Depth=1
	s_waitcnt lgkmcnt(0)
	ds_bpermute_b32 v4, v61, v10
	ds_bpermute_b32 v5, v61, v11
	;; [unrolled: 1-line block ×4, first 2 shown]
	s_waitcnt lgkmcnt(2)
	v_add_f64 v[4:5], v[10:11], v[4:5]
	ds_bpermute_b32 v10, v62, v4
	s_waitcnt lgkmcnt(1)
	v_add_f64 v[12:13], v[12:13], v[22:23]
	ds_bpermute_b32 v11, v62, v5
	ds_bpermute_b32 v22, v62, v12
	;; [unrolled: 1-line block ×3, first 2 shown]
	s_waitcnt lgkmcnt(2)
	v_add_f64 v[10:11], v[4:5], v[10:11]
	s_waitcnt lgkmcnt(0)
	v_add_f64 v[12:13], v[12:13], v[22:23]
	s_or_b64 exec, exec, s[38:39]
	s_and_saveexec_b64 s[38:39], s[0:1]
	s_cbranch_execnz .LBB165_24
	s_branch .LBB165_25
.LBB165_48:                             ;   in Loop: Header=BB165_9 Depth=1
	ds_read_b128 v[14:17], v63
	s_or_b64 exec, exec, s[38:39]
	s_and_saveexec_b64 s[38:39], s[0:1]
	s_cbranch_execz .LBB165_29
.LBB165_49:                             ;   in Loop: Header=BB165_9 Depth=1
	s_waitcnt lgkmcnt(0)
	ds_bpermute_b32 v4, v61, v14
	ds_bpermute_b32 v5, v61, v15
	;; [unrolled: 1-line block ×4, first 2 shown]
	s_waitcnt lgkmcnt(2)
	v_add_f64 v[4:5], v[14:15], v[4:5]
	ds_bpermute_b32 v14, v62, v4
	s_waitcnt lgkmcnt(1)
	v_add_f64 v[16:17], v[16:17], v[22:23]
	ds_bpermute_b32 v15, v62, v5
	ds_bpermute_b32 v22, v62, v16
	;; [unrolled: 1-line block ×3, first 2 shown]
	s_waitcnt lgkmcnt(2)
	v_add_f64 v[14:15], v[4:5], v[14:15]
	s_waitcnt lgkmcnt(0)
	v_add_f64 v[16:17], v[16:17], v[22:23]
	s_or_b64 exec, exec, s[38:39]
	s_and_saveexec_b64 s[38:39], s[0:1]
	s_cbranch_execnz .LBB165_30
	s_branch .LBB165_31
.LBB165_50:                             ;   in Loop: Header=BB165_9 Depth=1
	ds_read_b128 v[18:21], v63
	s_or_b64 exec, exec, s[38:39]
	s_and_saveexec_b64 s[38:39], s[0:1]
	s_cbranch_execz .LBB165_35
.LBB165_51:                             ;   in Loop: Header=BB165_9 Depth=1
	s_waitcnt lgkmcnt(0)
	ds_bpermute_b32 v4, v61, v18
	ds_bpermute_b32 v5, v61, v19
	;; [unrolled: 1-line block ×4, first 2 shown]
	s_waitcnt lgkmcnt(2)
	v_add_f64 v[4:5], v[18:19], v[4:5]
	ds_bpermute_b32 v18, v62, v4
	s_waitcnt lgkmcnt(1)
	v_add_f64 v[20:21], v[20:21], v[22:23]
	ds_bpermute_b32 v19, v62, v5
	ds_bpermute_b32 v22, v62, v20
	;; [unrolled: 1-line block ×3, first 2 shown]
	s_waitcnt lgkmcnt(2)
	v_add_f64 v[18:19], v[4:5], v[18:19]
	s_waitcnt lgkmcnt(0)
	v_add_f64 v[20:21], v[20:21], v[22:23]
	s_or_b64 exec, exec, s[38:39]
	s_and_saveexec_b64 s[38:39], s[12:13]
	s_cbranch_execz .LBB165_8
.LBB165_52:                             ;   in Loop: Header=BB165_9 Depth=1
	s_mul_i32 s30, s49, s24
	s_add_i32 s30, s30, s2
	s_lshl_b64 s[40:41], s[30:31], 4
	v_mul_f64 v[4:5], s[18:19], v[8:9]
	v_mul_f64 v[24:25], s[16:17], v[8:9]
	s_add_u32 s40, s50, s40
	v_fma_f64 v[22:23], s[16:17], v[6:7], -v[4:5]
	v_fmac_f64_e32 v[24:25], s[18:19], v[6:7]
	s_addc_u32 s41, s51, s41
	s_add_i32 s30, s30, s24
	global_store_dwordx4 v2, v[22:25], s[40:41]
	s_lshl_b64 s[40:41], s[30:31], 4
	v_mul_f64 v[4:5], s[18:19], v[12:13]
	v_mul_f64 v[6:7], s[16:17], v[12:13]
	s_add_u32 s40, s50, s40
	v_fma_f64 v[4:5], s[16:17], v[10:11], -v[4:5]
	v_fmac_f64_e32 v[6:7], s[18:19], v[10:11]
	s_addc_u32 s41, s51, s41
	s_add_i32 s30, s30, s24
	global_store_dwordx4 v2, v[4:7], s[40:41]
	s_lshl_b64 s[40:41], s[30:31], 4
	s_add_u32 s40, s50, s40
	v_mul_f64 v[4:5], s[18:19], v[16:17]
	v_mul_f64 v[6:7], s[16:17], v[16:17]
	v_fma_f64 v[4:5], s[16:17], v[14:15], -v[4:5]
	v_fmac_f64_e32 v[6:7], s[18:19], v[14:15]
	s_addc_u32 s41, s51, s41
	s_add_i32 s30, s30, s24
	global_store_dwordx4 v2, v[4:7], s[40:41]
	s_lshl_b64 s[40:41], s[30:31], 4
	s_add_u32 s40, s50, s40
	s_waitcnt lgkmcnt(0)
	v_mul_f64 v[4:5], s[18:19], v[20:21]
	v_mul_f64 v[6:7], s[16:17], v[20:21]
	v_fma_f64 v[4:5], s[16:17], v[18:19], -v[4:5]
	v_fmac_f64_e32 v[6:7], s[18:19], v[18:19]
	s_addc_u32 s41, s51, s41
	global_store_dwordx4 v2, v[4:7], s[40:41]
	s_branch .LBB165_8
.LBB165_53:
	s_mov_b32 s49, 0
.LBB165_54:
	s_cmp_ge_i32 s49, s15
	s_cbranch_scc1 .LBB165_76
; %bb.55:
	v_mbcnt_hi_u32_b32 v2, -1, v54
	v_and_b32_e32 v3, 63, v2
	v_cmp_gt_u32_e64 s[4:5], 32, v3
	s_mov_b32 s3, 0
	s_cmp_gt_i32 s48, 0
	v_cndmask_b32_e64 v4, 0, 1, s[4:5]
	v_lshlrev_b32_e32 v4, 5, v4
	v_cmp_gt_u32_e64 s[4:5], 48, v3
	s_waitcnt lgkmcnt(0)
	v_add_lshl_u32 v21, v4, v2, 2
	s_cselect_b64 s[12:13], -1, 0
	v_cndmask_b32_e64 v4, 0, 1, s[4:5]
	v_lshlrev_b32_e32 v4, 4, v4
	v_cmp_gt_u32_e64 s[4:5], 56, v3
	v_add_lshl_u32 v22, v4, v2, 2
	s_lshl_b64 s[2:3], s[2:3], 4
	v_cndmask_b32_e64 v4, 0, 1, s[4:5]
	v_lshlrev_b32_e32 v4, 3, v4
	v_cmp_gt_u32_e64 s[4:5], 60, v3
	v_add_lshl_u32 v23, v4, v2, 2
	v_cmp_ge_i32_e32 vcc, s14, v55
	v_cndmask_b32_e64 v4, 0, 1, s[4:5]
	v_lshlrev_b32_e32 v4, 2, v4
	v_cmp_gt_u32_e64 s[4:5], 62, v3
	v_add_lshl_u32 v24, v4, v2, 2
	v_cmp_ge_i32_e64 s[10:11], s14, v56
	v_cndmask_b32_e64 v4, 0, 1, s[4:5]
	v_lshlrev_b32_e32 v4, 1, v4
	v_cmp_ne_u32_e64 s[4:5], 63, v3
	v_cmp_gt_u32_e64 s[0:1], 64, v0
	v_add_lshl_u32 v25, v4, v2, 2
	v_addc_co_u32_e64 v2, s[4:5], 0, v2, s[4:5]
	v_cmp_gt_u32_e64 s[6:7], 4, v0
	v_cmp_eq_u32_e64 s[8:9], 0, v0
	s_add_u32 s14, s50, s2
	v_add_u32_e32 v0, s33, v30
	v_lshlrev_b32_e32 v20, 4, v1
	v_cmp_eq_u32_e64 s[4:5], 0, v1
	s_addc_u32 s30, s51, s3
	v_ashrrev_i32_e32 v1, 31, v0
	s_and_b64 s[2:3], s[12:13], s[10:11]
	v_lshl_add_u64 v[8:9], v[0:1], 4, s[26:27]
	v_add_u32_e32 v0, s33, v0
	s_add_u32 s10, s28, s22
	v_ashrrev_i32_e32 v1, 31, v0
	s_addc_u32 s11, s29, s23
	v_lshl_add_u64 v[10:11], v[0:1], 4, s[26:27]
	v_add_u32_e32 v0, s33, v0
	s_add_u32 s10, s20, s10
	v_ashrrev_i32_e32 v1, 31, v0
	s_addc_u32 s11, s21, s11
	v_lshlrev_b32_e32 v26, 2, v2
	v_and_b32_e32 v27, 48, v31
	v_ashrrev_i32_e32 v31, 31, v30
	v_mov_b32_e32 v2, 0
	v_lshl_add_u64 v[12:13], v[0:1], 4, s[26:27]
	v_lshl_add_u64 v[0:1], v[32:33], 4, s[10:11]
	v_lshl_add_u64 v[6:7], v[30:31], 4, s[26:27]
	v_add_u32_e32 v31, 16, v2
	v_add_u32_e32 v34, 32, v2
	;; [unrolled: 1-line block ×3, first 2 shown]
	v_lshl_add_u64 v[14:15], v[0:1], 0, 8
	s_mul_i32 s10, s49, s25
	v_mov_b32_e32 v0, 0
	s_branch .LBB165_57
.LBB165_56:                             ;   in Loop: Header=BB165_57 Depth=1
	s_or_b64 exec, exec, s[12:13]
	s_add_i32 s49, s49, 1
	s_add_i32 s10, s10, s25
	s_cmp_lt_i32 s49, s15
	s_cbranch_scc0 .LBB165_76
.LBB165_57:                             ; =>This Loop Header: Depth=1
                                        ;     Child Loop BB165_69 Depth 2
                                        ;     Child Loop BB165_71 Depth 2
                                        ; implicit-def: $vgpr4_vgpr5
                                        ; implicit-def: $vgpr16_vgpr17
	s_and_saveexec_b64 s[12:13], vcc
	s_xor_b64 s[12:13], exec, s[12:13]
	s_cbranch_execnz .LBB165_66
; %bb.58:                               ;   in Loop: Header=BB165_57 Depth=1
	s_andn2_saveexec_b64 s[12:13], s[12:13]
	s_cbranch_execnz .LBB165_67
.LBB165_59:                             ;   in Loop: Header=BB165_57 Depth=1
	s_or_b64 exec, exec, s[12:13]
	s_and_saveexec_b64 s[12:13], s[0:1]
	s_cbranch_execz .LBB165_61
.LBB165_60:                             ;   in Loop: Header=BB165_57 Depth=1
	v_mov_b32_e32 v1, v0
	s_waitcnt lgkmcnt(0)
	v_mov_b32_e32 v2, v0
	v_mov_b32_e32 v3, v0
	ds_write_b128 v20, v[0:3]
.LBB165_61:                             ;   in Loop: Header=BB165_57 Depth=1
	s_or_b64 exec, exec, s[12:13]
	s_waitcnt lgkmcnt(0)
	ds_bpermute_b32 v2, v21, v4
	ds_bpermute_b32 v3, v21, v5
	;; [unrolled: 1-line block ×4, first 2 shown]
	s_waitcnt lgkmcnt(0)
	s_barrier
	v_add_f64 v[2:3], v[4:5], v[2:3]
	v_add_f64 v[4:5], v[16:17], v[18:19]
	ds_bpermute_b32 v16, v22, v2
	ds_bpermute_b32 v17, v22, v3
	;; [unrolled: 1-line block ×4, first 2 shown]
	s_waitcnt lgkmcnt(2)
	v_add_f64 v[2:3], v[2:3], v[16:17]
	ds_bpermute_b32 v16, v23, v2
	s_waitcnt lgkmcnt(1)
	v_add_f64 v[4:5], v[4:5], v[18:19]
	ds_bpermute_b32 v17, v23, v3
	ds_bpermute_b32 v18, v23, v4
	ds_bpermute_b32 v19, v23, v5
	s_waitcnt lgkmcnt(2)
	v_add_f64 v[2:3], v[2:3], v[16:17]
	ds_bpermute_b32 v16, v24, v2
	s_waitcnt lgkmcnt(1)
	v_add_f64 v[4:5], v[4:5], v[18:19]
	ds_bpermute_b32 v17, v24, v3
	ds_bpermute_b32 v18, v24, v4
	ds_bpermute_b32 v19, v24, v5
	;; [unrolled: 8-line block ×3, first 2 shown]
	s_waitcnt lgkmcnt(2)
	v_add_f64 v[2:3], v[2:3], v[16:17]
	s_waitcnt lgkmcnt(0)
	v_add_f64 v[16:17], v[4:5], v[18:19]
	ds_bpermute_b32 v4, v26, v2
	ds_bpermute_b32 v5, v26, v3
	;; [unrolled: 1-line block ×4, first 2 shown]
	s_and_saveexec_b64 s[12:13], s[4:5]
	s_cbranch_execz .LBB165_63
; %bb.62:                               ;   in Loop: Header=BB165_57 Depth=1
	s_waitcnt lgkmcnt(0)
	v_add_f64 v[18:19], v[16:17], v[18:19]
	v_add_f64 v[16:17], v[2:3], v[4:5]
	ds_write_b128 v27, v[16:19]
.LBB165_63:                             ;   in Loop: Header=BB165_57 Depth=1
	s_or_b64 exec, exec, s[12:13]
	s_waitcnt lgkmcnt(2)
	v_mov_b64_e32 v[4:5], 0
	v_mov_b64_e32 v[2:3], v[4:5]
	s_waitcnt lgkmcnt(0)
	s_barrier
	s_and_saveexec_b64 s[12:13], s[6:7]
	s_cbranch_execnz .LBB165_73
; %bb.64:                               ;   in Loop: Header=BB165_57 Depth=1
	s_or_b64 exec, exec, s[12:13]
	s_and_saveexec_b64 s[12:13], s[0:1]
	s_cbranch_execnz .LBB165_74
.LBB165_65:                             ;   in Loop: Header=BB165_57 Depth=1
	s_or_b64 exec, exec, s[12:13]
	s_and_saveexec_b64 s[12:13], s[8:9]
	s_cbranch_execz .LBB165_56
	s_branch .LBB165_75
.LBB165_66:                             ;   in Loop: Header=BB165_57 Depth=1
	s_waitcnt lgkmcnt(0)
	global_load_dwordx4 v[2:5], v[8:9], off
	global_load_dwordx4 v[16:19], v[10:11], off
	global_load_dwordx4 v[36:39], v[12:13], off
	global_load_dwordx4 v[40:43], v[6:7], off
	s_mul_i32 s20, s49, s25
	s_ashr_i32 s21, s20, 31
	v_lshl_add_u64 v[32:33], s[20:21], 4, v[28:29]
	global_load_dwordx4 v[44:47], v[32:33], off
	global_load_dwordx4 v[48:51], v[32:33], off offset:16
	global_load_dwordx4 v[52:55], v[32:33], off offset:48
	;; [unrolled: 1-line block ×3, first 2 shown]
	s_waitcnt vmcnt(3)
	v_mul_f64 v[32:33], v[46:47], v[42:43]
	scratch_store_dwordx4 v31, v[2:5], off
	scratch_load_dwordx4 v[2:5], off, off offset:16
	v_fma_f64 v[32:33], v[44:45], v[40:41], -v[32:33]
	scratch_store_dwordx4 v34, v[16:19], off
	scratch_load_dwordx4 v[16:19], off, off offset:32
	v_add_f64 v[32:33], v[32:33], 0
	scratch_store_dwordx4 v35, v[36:39], off
	scratch_load_dwordx4 v[36:39], off, off offset:48
	s_nop 0
	scratch_store_dwordx4 off, v[40:43], off
	s_nop 1
	v_mul_f64 v[42:43], v[44:45], v[42:43]
	v_fmac_f64_e32 v[42:43], v[46:47], v[40:41]
	v_add_f64 v[40:41], v[42:43], 0
	s_waitcnt vmcnt(5)
	v_mul_f64 v[42:43], v[50:51], v[4:5]
	v_mul_f64 v[4:5], v[48:49], v[4:5]
	v_fma_f64 v[42:43], v[48:49], v[2:3], -v[42:43]
	s_waitcnt vmcnt(3)
	v_mul_f64 v[44:45], v[58:59], v[18:19]
	v_mul_f64 v[18:19], v[56:57], v[18:19]
	v_fmac_f64_e32 v[4:5], v[50:51], v[2:3]
	s_waitcnt vmcnt(1)
	v_mul_f64 v[46:47], v[54:55], v[38:39]
	v_mul_f64 v[38:39], v[52:53], v[38:39]
	v_fma_f64 v[2:3], v[56:57], v[16:17], -v[44:45]
	v_fmac_f64_e32 v[18:19], v[58:59], v[16:17]
	v_add_f64 v[32:33], v[32:33], v[42:43]
	v_add_f64 v[4:5], v[40:41], v[4:5]
	v_fma_f64 v[16:17], v[52:53], v[36:37], -v[46:47]
	v_fmac_f64_e32 v[38:39], v[54:55], v[36:37]
	v_add_f64 v[2:3], v[32:33], v[2:3]
	v_add_f64 v[18:19], v[4:5], v[18:19]
	;; [unrolled: 1-line block ×4, first 2 shown]
	s_andn2_saveexec_b64 s[12:13], s[12:13]
	s_cbranch_execz .LBB165_59
.LBB165_67:                             ;   in Loop: Header=BB165_57 Depth=1
	s_waitcnt lgkmcnt(0)
	v_mov_b64_e32 v[4:5], 0
	v_mov_b64_e32 v[16:17], v[4:5]
	s_and_saveexec_b64 s[20:21], s[2:3]
	s_cbranch_execz .LBB165_72
; %bb.68:                               ;   in Loop: Header=BB165_57 Depth=1
	v_mov_b32_e32 v1, 0
	v_mov_b32_e32 v2, v30
	s_mov_b32 s11, s48
.LBB165_69:                             ;   Parent Loop BB165_57 Depth=1
                                        ; =>  This Inner Loop Header: Depth=2
	v_ashrrev_i32_e32 v3, 31, v2
	v_lshl_add_u64 v[4:5], v[2:3], 4, s[26:27]
	global_load_dwordx4 v[16:19], v[4:5], off
	s_add_i32 s11, s11, -1
	v_add_u32_e32 v2, s33, v2
	s_cmp_eq_u32 s11, 0
	s_waitcnt vmcnt(0)
	scratch_store_dwordx4 v1, v[16:19], off
	v_add_u32_e32 v1, 16, v1
	s_cbranch_scc0 .LBB165_69
; %bb.70:                               ;   in Loop: Header=BB165_57 Depth=1
	s_ashr_i32 s11, s10, 31
	v_mov_b64_e32 v[4:5], 0
	v_lshl_add_u64 v[2:3], s[10:11], 4, v[14:15]
	v_mov_b32_e32 v1, 0
	s_mov_b32 s11, s48
	v_mov_b64_e32 v[16:17], v[4:5]
.LBB165_71:                             ;   Parent Loop BB165_57 Depth=1
                                        ; =>  This Inner Loop Header: Depth=2
	global_load_dwordx4 v[36:39], v[2:3], off offset:-8
	scratch_load_dwordx4 v[40:43], v1, off
	s_add_i32 s11, s11, -1
	v_add_u32_e32 v1, 16, v1
	v_lshl_add_u64 v[2:3], v[2:3], 0, 16
	s_cmp_lg_u32 s11, 0
	s_waitcnt vmcnt(0)
	v_mul_f64 v[18:19], v[38:39], v[42:43]
	v_mul_f64 v[32:33], v[36:37], v[42:43]
	v_fma_f64 v[18:19], v[36:37], v[40:41], -v[18:19]
	v_fmac_f64_e32 v[32:33], v[38:39], v[40:41]
	v_add_f64 v[4:5], v[4:5], v[18:19]
	v_add_f64 v[16:17], v[16:17], v[32:33]
	s_cbranch_scc1 .LBB165_71
.LBB165_72:                             ;   in Loop: Header=BB165_57 Depth=1
	s_or_b64 exec, exec, s[20:21]
	s_or_b64 exec, exec, s[12:13]
	s_and_saveexec_b64 s[12:13], s[0:1]
	s_cbranch_execnz .LBB165_60
	s_branch .LBB165_61
.LBB165_73:                             ;   in Loop: Header=BB165_57 Depth=1
	ds_read_b128 v[2:5], v20
	s_or_b64 exec, exec, s[12:13]
	s_and_saveexec_b64 s[12:13], s[0:1]
	s_cbranch_execz .LBB165_65
.LBB165_74:                             ;   in Loop: Header=BB165_57 Depth=1
	s_waitcnt lgkmcnt(0)
	ds_bpermute_b32 v16, v25, v2
	ds_bpermute_b32 v17, v25, v3
	;; [unrolled: 1-line block ×4, first 2 shown]
	s_waitcnt lgkmcnt(2)
	v_add_f64 v[2:3], v[2:3], v[16:17]
	ds_bpermute_b32 v16, v26, v2
	s_waitcnt lgkmcnt(1)
	v_add_f64 v[4:5], v[4:5], v[18:19]
	ds_bpermute_b32 v17, v26, v3
	ds_bpermute_b32 v18, v26, v4
	;; [unrolled: 1-line block ×3, first 2 shown]
	s_waitcnt lgkmcnt(2)
	v_add_f64 v[2:3], v[2:3], v[16:17]
	s_waitcnt lgkmcnt(0)
	v_add_f64 v[4:5], v[4:5], v[18:19]
	s_or_b64 exec, exec, s[12:13]
	s_and_saveexec_b64 s[12:13], s[8:9]
	s_cbranch_execz .LBB165_56
.LBB165_75:                             ;   in Loop: Header=BB165_57 Depth=1
	s_mul_hi_u32 s21, s49, s24
	s_mul_i32 s20, s49, s24
	s_lshl_b64 s[20:21], s[20:21], 4
	s_waitcnt lgkmcnt(0)
	v_mul_f64 v[16:17], s[18:19], v[4:5]
	v_mul_f64 v[18:19], s[16:17], v[4:5]
	s_add_u32 s20, s14, s20
	v_fma_f64 v[16:17], s[16:17], v[2:3], -v[16:17]
	v_fmac_f64_e32 v[18:19], s[18:19], v[2:3]
	s_addc_u32 s21, s30, s21
	global_store_dwordx4 v0, v[16:19], s[20:21]
	s_branch .LBB165_56
.LBB165_76:
	s_endpgm
	.section	.rodata,"a",@progbits
	.p2align	6, 0x0
	.amdhsa_kernel _ZL23rocblas_gemvt_sn_kernelILb0ELi256ELi4Ei19rocblas_complex_numIdES1_S1_EviiT4_lPKT3_lilS5_lilPT5_i
		.amdhsa_group_segment_fixed_size 1024
		.amdhsa_private_segment_fixed_size 80
		.amdhsa_kernarg_size 368
		.amdhsa_user_sgpr_count 2
		.amdhsa_user_sgpr_dispatch_ptr 0
		.amdhsa_user_sgpr_queue_ptr 0
		.amdhsa_user_sgpr_kernarg_segment_ptr 1
		.amdhsa_user_sgpr_dispatch_id 0
		.amdhsa_user_sgpr_kernarg_preload_length 0
		.amdhsa_user_sgpr_kernarg_preload_offset 0
		.amdhsa_user_sgpr_private_segment_size 0
		.amdhsa_uses_dynamic_stack 0
		.amdhsa_enable_private_segment 1
		.amdhsa_system_sgpr_workgroup_id_x 1
		.amdhsa_system_sgpr_workgroup_id_y 0
		.amdhsa_system_sgpr_workgroup_id_z 1
		.amdhsa_system_sgpr_workgroup_info 0
		.amdhsa_system_vgpr_workitem_id 0
		.amdhsa_next_free_vgpr 120
		.amdhsa_next_free_sgpr 56
		.amdhsa_accum_offset 120
		.amdhsa_reserve_vcc 1
		.amdhsa_float_round_mode_32 0
		.amdhsa_float_round_mode_16_64 0
		.amdhsa_float_denorm_mode_32 3
		.amdhsa_float_denorm_mode_16_64 3
		.amdhsa_dx10_clamp 1
		.amdhsa_ieee_mode 1
		.amdhsa_fp16_overflow 0
		.amdhsa_tg_split 0
		.amdhsa_exception_fp_ieee_invalid_op 0
		.amdhsa_exception_fp_denorm_src 0
		.amdhsa_exception_fp_ieee_div_zero 0
		.amdhsa_exception_fp_ieee_overflow 0
		.amdhsa_exception_fp_ieee_underflow 0
		.amdhsa_exception_fp_ieee_inexact 0
		.amdhsa_exception_int_div_zero 0
	.end_amdhsa_kernel
	.section	.text._ZL23rocblas_gemvt_sn_kernelILb0ELi256ELi4Ei19rocblas_complex_numIdES1_S1_EviiT4_lPKT3_lilS5_lilPT5_i,"axG",@progbits,_ZL23rocblas_gemvt_sn_kernelILb0ELi256ELi4Ei19rocblas_complex_numIdES1_S1_EviiT4_lPKT3_lilS5_lilPT5_i,comdat
.Lfunc_end165:
	.size	_ZL23rocblas_gemvt_sn_kernelILb0ELi256ELi4Ei19rocblas_complex_numIdES1_S1_EviiT4_lPKT3_lilS5_lilPT5_i, .Lfunc_end165-_ZL23rocblas_gemvt_sn_kernelILb0ELi256ELi4Ei19rocblas_complex_numIdES1_S1_EviiT4_lPKT3_lilS5_lilPT5_i
                                        ; -- End function
	.section	.AMDGPU.csdata,"",@progbits
; Kernel info:
; codeLenInByte = 6696
; NumSgprs: 62
; NumVgprs: 120
; NumAgprs: 0
; TotalNumVgprs: 120
; ScratchSize: 80
; MemoryBound: 0
; FloatMode: 240
; IeeeMode: 1
; LDSByteSize: 1024 bytes/workgroup (compile time only)
; SGPRBlocks: 7
; VGPRBlocks: 14
; NumSGPRsForWavesPerEU: 62
; NumVGPRsForWavesPerEU: 120
; AccumOffset: 120
; Occupancy: 4
; WaveLimiterHint : 1
; COMPUTE_PGM_RSRC2:SCRATCH_EN: 1
; COMPUTE_PGM_RSRC2:USER_SGPR: 2
; COMPUTE_PGM_RSRC2:TRAP_HANDLER: 0
; COMPUTE_PGM_RSRC2:TGID_X_EN: 1
; COMPUTE_PGM_RSRC2:TGID_Y_EN: 0
; COMPUTE_PGM_RSRC2:TGID_Z_EN: 1
; COMPUTE_PGM_RSRC2:TIDIG_COMP_CNT: 0
; COMPUTE_PGM_RSRC3_GFX90A:ACCUM_OFFSET: 29
; COMPUTE_PGM_RSRC3_GFX90A:TG_SPLIT: 0
	.section	.text._ZL23rocblas_gemvt_sn_kernelILb0ELi256ELi4El19rocblas_complex_numIdES1_S1_EviiT4_lPKT3_lilS5_lilPT5_i,"axG",@progbits,_ZL23rocblas_gemvt_sn_kernelILb0ELi256ELi4El19rocblas_complex_numIdES1_S1_EviiT4_lPKT3_lilS5_lilPT5_i,comdat
	.globl	_ZL23rocblas_gemvt_sn_kernelILb0ELi256ELi4El19rocblas_complex_numIdES1_S1_EviiT4_lPKT3_lilS5_lilPT5_i ; -- Begin function _ZL23rocblas_gemvt_sn_kernelILb0ELi256ELi4El19rocblas_complex_numIdES1_S1_EviiT4_lPKT3_lilS5_lilPT5_i
	.p2align	8
	.type	_ZL23rocblas_gemvt_sn_kernelILb0ELi256ELi4El19rocblas_complex_numIdES1_S1_EviiT4_lPKT3_lilS5_lilPT5_i,@function
_ZL23rocblas_gemvt_sn_kernelILb0ELi256ELi4El19rocblas_complex_numIdES1_S1_EviiT4_lPKT3_lilS5_lilPT5_i: ; @_ZL23rocblas_gemvt_sn_kernelILb0ELi256ELi4El19rocblas_complex_numIdES1_S1_EviiT4_lPKT3_lilS5_lilPT5_i
; %bb.0:
	s_load_dwordx2 s[24:25], s[0:1], 0x0
	s_load_dwordx4 s[16:19], s[0:1], 0x8
	s_load_dwordx4 s[8:11], s[0:1], 0x58
	s_load_dword s26, s[0:1], 0x70
	s_mov_b32 s27, 0
	s_waitcnt lgkmcnt(0)
	s_ashr_i32 s42, s25, 31
	s_mul_hi_u32 s4, s25, s3
	s_mul_i32 s5, s42, s3
	s_add_i32 s4, s4, s5
	s_mul_i32 s5, s25, s3
	s_mul_i32 s4, s4, s26
	s_mul_hi_u32 s6, s5, s26
	s_add_i32 s7, s6, s4
	s_mul_i32 s6, s5, s26
	v_cmp_neq_f64_e64 s[4:5], s[16:17], 0
	v_cmp_neq_f64_e64 s[12:13], s[18:19], 0
	s_or_b64 s[4:5], s[4:5], s[12:13]
	s_mov_b64 s[12:13], -1
	s_and_b64 vcc, exec, s[4:5]
	v_cmp_eq_u32_e64 s[4:5], 0, v0
	s_cbranch_vccnz .LBB166_5
; %bb.1:
	s_cmp_gt_i32 s25, 0
	s_cselect_b64 s[12:13], -1, 0
	s_and_b64 s[12:13], s[4:5], s[12:13]
	s_and_saveexec_b64 s[4:5], s[12:13]
	s_cbranch_execz .LBB166_4
; %bb.2:
	s_mov_b32 s12, s3
	s_mov_b32 s3, 0
	s_lshl_b64 s[14:15], s[6:7], 4
	s_lshl_b64 s[20:21], s[2:3], 4
	s_mov_b32 s3, s12
	s_add_u32 s12, s14, s20
	s_addc_u32 s13, s15, s21
	s_add_u32 s12, s12, s10
	s_addc_u32 s13, s13, s11
	s_add_u32 s12, s12, 8
	v_mov_b32_e32 v2, 0
	s_addc_u32 s13, s13, 0
	s_lshl_b64 s[14:15], s[26:27], 4
	v_mov_b32_e32 v3, v2
	v_mov_b32_e32 v4, v2
	;; [unrolled: 1-line block ×3, first 2 shown]
	s_mov_b32 s20, s25
.LBB166_3:                              ; =>This Inner Loop Header: Depth=1
	s_add_i32 s20, s20, -1
	global_store_dwordx4 v2, v[2:5], s[12:13] offset:-8
	s_add_u32 s12, s12, s14
	s_addc_u32 s13, s13, s15
	s_cmp_eq_u32 s20, 0
	s_cbranch_scc0 .LBB166_3
.LBB166_4:
	s_or_b64 exec, exec, s[4:5]
	s_mov_b64 s[12:13], 0
.LBB166_5:
	s_andn2_b64 vcc, exec, s[12:13]
	s_cbranch_vccnz .LBB166_76
; %bb.6:
	s_load_dword s28, s[0:1], 0x30
	s_load_dword s30, s[0:1], 0x50
	s_load_dwordx4 s[20:23], s[0:1], 0x20
	s_load_dwordx4 s[12:15], s[0:1], 0x38
	s_load_dwordx2 s[4:5], s[0:1], 0x48
	s_mul_i32 s0, s3, s9
	s_mul_hi_u32 s1, s3, s8
	s_add_i32 s1, s1, s0
	s_mul_i32 s0, s3, s8
	s_waitcnt lgkmcnt(0)
	s_ashr_i32 s29, s28, 31
	s_ashr_i32 s31, s30, 31
	s_lshl_b64 s[34:35], s[0:1], 4
	s_add_u32 s0, s14, s34
	s_addc_u32 s1, s15, s35
	s_lshl_b64 s[38:39], s[4:5], 4
	s_add_u32 s40, s0, s38
	s_addc_u32 s41, s1, s39
	;; [unrolled: 3-line block ×3, first 2 shown]
	s_mul_i32 s0, s3, s13
	s_mul_hi_u32 s1, s3, s12
	s_add_i32 s1, s1, s0
	s_mul_i32 s0, s3, s12
	s_lshl_b64 s[36:37], s[0:1], 4
	s_add_u32 s0, s20, s36
	s_addc_u32 s1, s21, s37
	s_lshl_b64 s[22:23], s[22:23], 4
	s_add_u32 s0, s0, s22
	s_addc_u32 s1, s1, s23
	s_lshl_b32 s3, s2, 10
	v_lshl_or_b32 v26, v0, 2, s3
	v_ashrrev_i32_e32 v27, 31, v26
	v_lshl_add_u64 v[24:25], v[26:27], 4, s[0:1]
	s_lshr_b32 s0, s42, 30
	s_add_i32 s0, s25, s0
	s_and_b32 s55, s0, -4
	s_ashr_i32 s0, s24, 31
	s_lshr_b32 s0, s0, 30
	s_add_i32 s0, s24, s0
	s_and_b32 s0, s0, -4
	s_sub_i32 s27, s24, s0
	s_cmp_lt_i32 s55, 1
	v_add_u32_e32 v53, 4, v26
	v_add_u32_e32 v54, s27, v26
	v_and_b32_e32 v50, 63, v0
	v_cmp_gt_u32_e64 s[0:1], 64, v0
	v_mbcnt_lo_u32_b32 v52, -1, 0
	v_cmp_gt_u32_e64 s[4:5], 4, v0
	v_lshrrev_b32_e32 v51, 2, v0
	v_or_b32_e32 v49, 1, v26
	v_or_b32_e32 v48, 2, v26
	;; [unrolled: 1-line block ×3, first 2 shown]
	s_cbranch_scc1 .LBB166_53
; %bb.7:
	v_mbcnt_hi_u32_b32 v2, -1, v52
	v_and_b32_e32 v3, 63, v2
	v_cmp_gt_u32_e32 vcc, 32, v3
	s_mov_b32 s3, 0
	s_cmp_gt_i32 s27, 0
	v_cndmask_b32_e64 v4, 0, 1, vcc
	v_lshlrev_b32_e32 v4, 5, v4
	v_cmp_gt_u32_e32 vcc, 48, v3
	v_add_lshl_u32 v55, v4, v2, 2
	s_cselect_b64 s[42:43], -1, 0
	v_cndmask_b32_e64 v4, 0, 1, vcc
	v_lshlrev_b32_e32 v4, 4, v4
	v_cmp_gt_u32_e32 vcc, 56, v3
	v_add_lshl_u32 v56, v4, v2, 2
	s_lshl_b64 s[44:45], s[2:3], 4
	v_cndmask_b32_e64 v4, 0, 1, vcc
	v_lshlrev_b32_e32 v4, 3, v4
	v_cmp_gt_u32_e32 vcc, 60, v3
	v_add_lshl_u32 v57, v4, v2, 2
	s_add_u32 s56, s33, s44
	v_cndmask_b32_e64 v4, 0, 1, vcc
	v_lshlrev_b32_e32 v4, 2, v4
	v_cmp_gt_u32_e32 vcc, 62, v3
	v_add_lshl_u32 v58, v4, v2, 2
	s_addc_u32 s57, s54, s45
	v_cndmask_b32_e64 v4, 0, 1, vcc
	v_lshlrev_b32_e32 v4, 1, v4
	v_add_lshl_u32 v59, v4, v2, 2
	v_cmp_ne_u32_e32 vcc, 63, v3
	v_mad_i64_i32 v[4:5], s[44:45], s30, v49, 0
	s_nop 0
	v_addc_co_u32_e32 v2, vcc, 0, v2, vcc
	v_lshl_add_u64 v[30:31], v[4:5], 4, s[40:41]
	v_mad_i64_i32 v[4:5], s[44:45], s30, v48, 0
	v_lshlrev_b32_e32 v60, 2, v2
	v_mad_i64_i32 v[2:3], s[44:45], s30, v26, 0
	v_lshl_add_u64 v[32:33], v[4:5], 4, s[40:41]
	v_mad_i64_i32 v[4:5], s[44:45], s30, v1, 0
	s_add_u32 s44, s14, s38
	s_addc_u32 s45, s15, s39
	s_add_u32 s44, s44, s34
	v_lshlrev_b64 v[2:3], 4, v[2:3]
	v_mov_b32_e32 v6, 0
	s_addc_u32 s45, s45, s35
	v_cmp_ge_i32_e64 s[6:7], s24, v53
	v_cmp_ge_i32_e64 s[8:9], s24, v54
	v_cmp_eq_u32_e64 s[10:11], 0, v50
	v_lshlrev_b32_e32 v61, 4, v50
	v_and_b32_e32 v62, 48, v51
	v_cmp_eq_u32_e64 s[12:13], 0, v0
	v_lshl_add_u64 v[28:29], s[40:41], 0, v[2:3]
	v_add_u32_e32 v63, 16, v6
	v_add_u32_e32 v64, 32, v6
	v_lshl_add_u64 v[34:35], v[4:5], 4, s[40:41]
	v_add_u32_e32 v65, 48, v6
	v_lshl_add_u64 v[36:37], s[44:45], 0, v[2:3]
	s_lshl_b64 s[44:45], s[30:31], 4
	s_lshl_b64 s[46:47], s[28:29], 6
	;; [unrolled: 1-line block ×3, first 2 shown]
	v_mov_b32_e32 v2, 0
	v_mov_b64_e32 v[38:39], v[24:25]
	s_branch .LBB166_9
.LBB166_8:                              ;   in Loop: Header=BB166_9 Depth=1
	s_or_b64 exec, exec, s[50:51]
	s_add_i32 s3, s3, 4
	s_cmp_ge_i32 s3, s55
	v_lshl_add_u64 v[38:39], v[38:39], 0, s[46:47]
	s_cbranch_scc1 .LBB166_54
.LBB166_9:                              ; =>This Loop Header: Depth=1
                                        ;     Child Loop BB166_40 Depth 2
                                        ;     Child Loop BB166_42 Depth 2
                                        ; implicit-def: $vgpr18_vgpr19
                                        ; implicit-def: $vgpr20_vgpr21
                                        ; implicit-def: $vgpr14_vgpr15
                                        ; implicit-def: $vgpr16_vgpr17
                                        ; implicit-def: $vgpr10_vgpr11
                                        ; implicit-def: $vgpr12_vgpr13
                                        ; implicit-def: $vgpr8_vgpr9
                                        ; implicit-def: $vgpr6_vgpr7
	s_and_saveexec_b64 s[50:51], s[6:7]
	s_xor_b64 s[50:51], exec, s[50:51]
	s_cbranch_execnz .LBB166_36
; %bb.10:                               ;   in Loop: Header=BB166_9 Depth=1
	s_andn2_saveexec_b64 s[50:51], s[50:51]
	s_cbranch_execnz .LBB166_37
.LBB166_11:                             ;   in Loop: Header=BB166_9 Depth=1
	s_or_b64 exec, exec, s[50:51]
	s_and_saveexec_b64 s[50:51], s[0:1]
	s_cbranch_execz .LBB166_13
.LBB166_12:                             ;   in Loop: Header=BB166_9 Depth=1
	v_mov_b32_e32 v3, v2
	v_mov_b32_e32 v4, v2
	;; [unrolled: 1-line block ×3, first 2 shown]
	ds_write_b128 v61, v[2:5]
.LBB166_13:                             ;   in Loop: Header=BB166_9 Depth=1
	s_or_b64 exec, exec, s[50:51]
	ds_bpermute_b32 v4, v55, v8
	ds_bpermute_b32 v5, v55, v9
	;; [unrolled: 1-line block ×4, first 2 shown]
	s_waitcnt lgkmcnt(0)
	s_barrier
	v_add_f64 v[4:5], v[8:9], v[4:5]
	ds_bpermute_b32 v8, v56, v4
	v_add_f64 v[6:7], v[6:7], v[22:23]
	ds_bpermute_b32 v9, v56, v5
	ds_bpermute_b32 v22, v56, v6
	;; [unrolled: 1-line block ×3, first 2 shown]
	s_waitcnt lgkmcnt(0)
	v_add_f64 v[4:5], v[4:5], v[8:9]
	ds_bpermute_b32 v8, v57, v4
	v_add_f64 v[6:7], v[6:7], v[22:23]
	ds_bpermute_b32 v9, v57, v5
	ds_bpermute_b32 v22, v57, v6
	;; [unrolled: 1-line block ×3, first 2 shown]
	s_waitcnt lgkmcnt(2)
	v_add_f64 v[4:5], v[4:5], v[8:9]
	ds_bpermute_b32 v8, v58, v4
	s_waitcnt lgkmcnt(1)
	v_add_f64 v[6:7], v[6:7], v[22:23]
	ds_bpermute_b32 v9, v58, v5
	ds_bpermute_b32 v22, v58, v6
	;; [unrolled: 1-line block ×3, first 2 shown]
	s_waitcnt lgkmcnt(2)
	v_add_f64 v[4:5], v[4:5], v[8:9]
	ds_bpermute_b32 v8, v59, v4
	s_waitcnt lgkmcnt(1)
	v_add_f64 v[6:7], v[6:7], v[22:23]
	ds_bpermute_b32 v9, v59, v5
	ds_bpermute_b32 v22, v59, v6
	;; [unrolled: 1-line block ×3, first 2 shown]
	s_waitcnt lgkmcnt(2)
	v_add_f64 v[4:5], v[4:5], v[8:9]
	s_waitcnt lgkmcnt(0)
	v_add_f64 v[8:9], v[6:7], v[22:23]
	ds_bpermute_b32 v6, v60, v4
	ds_bpermute_b32 v7, v60, v5
	;; [unrolled: 1-line block ×4, first 2 shown]
	s_and_saveexec_b64 s[50:51], s[10:11]
	s_cbranch_execz .LBB166_15
; %bb.14:                               ;   in Loop: Header=BB166_9 Depth=1
	s_waitcnt lgkmcnt(0)
	v_add_f64 v[8:9], v[8:9], v[22:23]
	v_add_f64 v[6:7], v[4:5], v[6:7]
	ds_write_b128 v62, v[6:9]
.LBB166_15:                             ;   in Loop: Header=BB166_9 Depth=1
	s_or_b64 exec, exec, s[50:51]
	v_mov_b64_e32 v[8:9], 0
	s_waitcnt lgkmcnt(2)
	v_mov_b64_e32 v[6:7], v[8:9]
	s_waitcnt lgkmcnt(0)
	s_barrier
	s_and_saveexec_b64 s[50:51], s[4:5]
	s_cbranch_execnz .LBB166_44
; %bb.16:                               ;   in Loop: Header=BB166_9 Depth=1
	s_or_b64 exec, exec, s[50:51]
	s_and_saveexec_b64 s[50:51], s[0:1]
	s_cbranch_execnz .LBB166_45
.LBB166_17:                             ;   in Loop: Header=BB166_9 Depth=1
	s_or_b64 exec, exec, s[50:51]
	s_and_saveexec_b64 s[50:51], s[0:1]
	s_cbranch_execz .LBB166_19
.LBB166_18:                             ;   in Loop: Header=BB166_9 Depth=1
	v_mov_b32_e32 v3, v2
	v_mov_b32_e32 v4, v2
	;; [unrolled: 1-line block ×3, first 2 shown]
	ds_write_b128 v61, v[2:5]
.LBB166_19:                             ;   in Loop: Header=BB166_9 Depth=1
	s_or_b64 exec, exec, s[50:51]
	ds_bpermute_b32 v4, v55, v10
	ds_bpermute_b32 v5, v55, v11
	ds_bpermute_b32 v22, v55, v12
	ds_bpermute_b32 v23, v55, v13
	s_waitcnt lgkmcnt(0)
	s_barrier
	v_add_f64 v[4:5], v[10:11], v[4:5]
	v_add_f64 v[10:11], v[12:13], v[22:23]
	ds_bpermute_b32 v12, v56, v4
	ds_bpermute_b32 v13, v56, v5
	;; [unrolled: 1-line block ×4, first 2 shown]
	s_waitcnt lgkmcnt(2)
	v_add_f64 v[4:5], v[4:5], v[12:13]
	ds_bpermute_b32 v12, v57, v4
	s_waitcnt lgkmcnt(1)
	v_add_f64 v[10:11], v[10:11], v[22:23]
	ds_bpermute_b32 v13, v57, v5
	ds_bpermute_b32 v22, v57, v10
	ds_bpermute_b32 v23, v57, v11
	s_waitcnt lgkmcnt(2)
	v_add_f64 v[4:5], v[4:5], v[12:13]
	ds_bpermute_b32 v12, v58, v4
	s_waitcnt lgkmcnt(1)
	v_add_f64 v[10:11], v[10:11], v[22:23]
	ds_bpermute_b32 v13, v58, v5
	ds_bpermute_b32 v22, v58, v10
	ds_bpermute_b32 v23, v58, v11
	;; [unrolled: 8-line block ×3, first 2 shown]
	s_waitcnt lgkmcnt(2)
	v_add_f64 v[4:5], v[4:5], v[12:13]
	s_waitcnt lgkmcnt(0)
	v_add_f64 v[12:13], v[10:11], v[22:23]
	ds_bpermute_b32 v10, v60, v4
	ds_bpermute_b32 v11, v60, v5
	;; [unrolled: 1-line block ×4, first 2 shown]
	s_and_saveexec_b64 s[50:51], s[10:11]
	s_cbranch_execz .LBB166_21
; %bb.20:                               ;   in Loop: Header=BB166_9 Depth=1
	s_waitcnt lgkmcnt(0)
	v_add_f64 v[12:13], v[12:13], v[22:23]
	v_add_f64 v[10:11], v[4:5], v[10:11]
	ds_write_b128 v62, v[10:13]
.LBB166_21:                             ;   in Loop: Header=BB166_9 Depth=1
	s_or_b64 exec, exec, s[50:51]
	v_mov_b64_e32 v[12:13], 0
	s_waitcnt lgkmcnt(2)
	v_mov_b64_e32 v[10:11], v[12:13]
	s_waitcnt lgkmcnt(0)
	s_barrier
	s_and_saveexec_b64 s[50:51], s[4:5]
	s_cbranch_execnz .LBB166_46
; %bb.22:                               ;   in Loop: Header=BB166_9 Depth=1
	s_or_b64 exec, exec, s[50:51]
	s_and_saveexec_b64 s[50:51], s[0:1]
	s_cbranch_execnz .LBB166_47
.LBB166_23:                             ;   in Loop: Header=BB166_9 Depth=1
	s_or_b64 exec, exec, s[50:51]
	s_and_saveexec_b64 s[50:51], s[0:1]
	s_cbranch_execz .LBB166_25
.LBB166_24:                             ;   in Loop: Header=BB166_9 Depth=1
	v_mov_b32_e32 v3, v2
	v_mov_b32_e32 v4, v2
	;; [unrolled: 1-line block ×3, first 2 shown]
	ds_write_b128 v61, v[2:5]
.LBB166_25:                             ;   in Loop: Header=BB166_9 Depth=1
	s_or_b64 exec, exec, s[50:51]
	ds_bpermute_b32 v4, v55, v14
	ds_bpermute_b32 v5, v55, v15
	;; [unrolled: 1-line block ×4, first 2 shown]
	s_waitcnt lgkmcnt(0)
	s_barrier
	v_add_f64 v[4:5], v[14:15], v[4:5]
	v_add_f64 v[14:15], v[16:17], v[22:23]
	ds_bpermute_b32 v16, v56, v4
	ds_bpermute_b32 v17, v56, v5
	;; [unrolled: 1-line block ×4, first 2 shown]
	s_waitcnt lgkmcnt(2)
	v_add_f64 v[4:5], v[4:5], v[16:17]
	ds_bpermute_b32 v16, v57, v4
	s_waitcnt lgkmcnt(1)
	v_add_f64 v[14:15], v[14:15], v[22:23]
	ds_bpermute_b32 v17, v57, v5
	ds_bpermute_b32 v22, v57, v14
	ds_bpermute_b32 v23, v57, v15
	s_waitcnt lgkmcnt(2)
	v_add_f64 v[4:5], v[4:5], v[16:17]
	ds_bpermute_b32 v16, v58, v4
	s_waitcnt lgkmcnt(1)
	v_add_f64 v[14:15], v[14:15], v[22:23]
	ds_bpermute_b32 v17, v58, v5
	ds_bpermute_b32 v22, v58, v14
	ds_bpermute_b32 v23, v58, v15
	;; [unrolled: 8-line block ×3, first 2 shown]
	s_waitcnt lgkmcnt(2)
	v_add_f64 v[4:5], v[4:5], v[16:17]
	s_waitcnt lgkmcnt(0)
	v_add_f64 v[16:17], v[14:15], v[22:23]
	ds_bpermute_b32 v14, v60, v4
	ds_bpermute_b32 v15, v60, v5
	;; [unrolled: 1-line block ×4, first 2 shown]
	s_and_saveexec_b64 s[50:51], s[10:11]
	s_cbranch_execz .LBB166_27
; %bb.26:                               ;   in Loop: Header=BB166_9 Depth=1
	s_waitcnt lgkmcnt(0)
	v_add_f64 v[16:17], v[16:17], v[22:23]
	v_add_f64 v[14:15], v[4:5], v[14:15]
	ds_write_b128 v62, v[14:17]
.LBB166_27:                             ;   in Loop: Header=BB166_9 Depth=1
	s_or_b64 exec, exec, s[50:51]
	v_mov_b64_e32 v[16:17], 0
	s_waitcnt lgkmcnt(2)
	v_mov_b64_e32 v[14:15], v[16:17]
	s_waitcnt lgkmcnt(0)
	s_barrier
	s_and_saveexec_b64 s[50:51], s[4:5]
	s_cbranch_execnz .LBB166_48
; %bb.28:                               ;   in Loop: Header=BB166_9 Depth=1
	s_or_b64 exec, exec, s[50:51]
	s_and_saveexec_b64 s[50:51], s[0:1]
	s_cbranch_execnz .LBB166_49
.LBB166_29:                             ;   in Loop: Header=BB166_9 Depth=1
	s_or_b64 exec, exec, s[50:51]
	s_and_saveexec_b64 s[50:51], s[0:1]
	s_cbranch_execz .LBB166_31
.LBB166_30:                             ;   in Loop: Header=BB166_9 Depth=1
	v_mov_b32_e32 v3, v2
	v_mov_b32_e32 v4, v2
	v_mov_b32_e32 v5, v2
	ds_write_b128 v61, v[2:5]
.LBB166_31:                             ;   in Loop: Header=BB166_9 Depth=1
	s_or_b64 exec, exec, s[50:51]
	ds_bpermute_b32 v4, v55, v18
	ds_bpermute_b32 v5, v55, v19
	;; [unrolled: 1-line block ×4, first 2 shown]
	s_waitcnt lgkmcnt(0)
	s_barrier
	v_add_f64 v[4:5], v[18:19], v[4:5]
	v_add_f64 v[18:19], v[20:21], v[22:23]
	ds_bpermute_b32 v20, v56, v4
	ds_bpermute_b32 v21, v56, v5
	;; [unrolled: 1-line block ×4, first 2 shown]
	s_waitcnt lgkmcnt(2)
	v_add_f64 v[4:5], v[4:5], v[20:21]
	ds_bpermute_b32 v20, v57, v4
	s_waitcnt lgkmcnt(1)
	v_add_f64 v[18:19], v[18:19], v[22:23]
	ds_bpermute_b32 v21, v57, v5
	ds_bpermute_b32 v22, v57, v18
	ds_bpermute_b32 v23, v57, v19
	s_waitcnt lgkmcnt(2)
	v_add_f64 v[4:5], v[4:5], v[20:21]
	ds_bpermute_b32 v20, v58, v4
	s_waitcnt lgkmcnt(1)
	v_add_f64 v[18:19], v[18:19], v[22:23]
	ds_bpermute_b32 v21, v58, v5
	ds_bpermute_b32 v22, v58, v18
	ds_bpermute_b32 v23, v58, v19
	;; [unrolled: 8-line block ×3, first 2 shown]
	s_waitcnt lgkmcnt(2)
	v_add_f64 v[4:5], v[4:5], v[20:21]
	s_waitcnt lgkmcnt(0)
	v_add_f64 v[20:21], v[18:19], v[22:23]
	ds_bpermute_b32 v18, v60, v4
	ds_bpermute_b32 v19, v60, v5
	ds_bpermute_b32 v22, v60, v20
	ds_bpermute_b32 v23, v60, v21
	s_and_saveexec_b64 s[50:51], s[10:11]
	s_cbranch_execz .LBB166_33
; %bb.32:                               ;   in Loop: Header=BB166_9 Depth=1
	s_waitcnt lgkmcnt(0)
	v_add_f64 v[20:21], v[20:21], v[22:23]
	v_add_f64 v[18:19], v[4:5], v[18:19]
	ds_write_b128 v62, v[18:21]
.LBB166_33:                             ;   in Loop: Header=BB166_9 Depth=1
	s_or_b64 exec, exec, s[50:51]
	v_mov_b64_e32 v[20:21], 0
	s_waitcnt lgkmcnt(2)
	v_mov_b64_e32 v[18:19], v[20:21]
	s_waitcnt lgkmcnt(0)
	s_barrier
	s_and_saveexec_b64 s[50:51], s[4:5]
	s_cbranch_execnz .LBB166_50
; %bb.34:                               ;   in Loop: Header=BB166_9 Depth=1
	s_or_b64 exec, exec, s[50:51]
	s_and_saveexec_b64 s[50:51], s[0:1]
	s_cbranch_execnz .LBB166_51
.LBB166_35:                             ;   in Loop: Header=BB166_9 Depth=1
	s_or_b64 exec, exec, s[50:51]
	s_and_saveexec_b64 s[50:51], s[12:13]
	s_cbranch_execz .LBB166_8
	s_branch .LBB166_52
.LBB166_36:                             ;   in Loop: Header=BB166_9 Depth=1
	global_load_dwordx4 v[4:7], v[30:31], off
	global_load_dwordx4 v[66:69], v[32:33], off
	s_mul_i32 s53, s3, s29
	s_mul_hi_u32 s58, s3, s28
	s_or_b32 s59, s3, 1
	s_mul_i32 s52, s3, s28
	s_or_b32 s60, s3, 2
	s_add_i32 s53, s58, s53
	s_mul_i32 s61, s59, s29
	s_mul_hi_u32 s63, s59, s28
	s_mul_i32 s58, s59, s28
	s_mul_i32 s64, s60, s29
	s_mul_hi_u32 s65, s60, s28
	v_lshl_add_u64 v[44:45], s[52:53], 4, v[24:25]
	s_add_i32 s59, s63, s61
	s_mul_i32 s60, s60, s28
	global_load_dwordx4 v[8:11], v[44:45], off offset:16
	v_lshl_add_u64 v[46:47], s[58:59], 4, v[24:25]
	s_add_i32 s61, s65, s64
	s_or_b32 s62, s3, 3
	global_load_dwordx4 v[12:15], v[46:47], off offset:16
	v_lshl_add_u64 v[40:41], s[60:61], 4, v[24:25]
	s_waitcnt lgkmcnt(0)
	global_load_dwordx4 v[16:19], v[40:41], off offset:16
	s_mul_i32 s53, s62, s29
	s_mul_hi_u32 s58, s62, s28
	s_mul_i32 s52, s62, s28
	s_add_i32 s53, s58, s53
	v_lshl_add_u64 v[42:43], s[52:53], 4, v[24:25]
	s_waitcnt vmcnt(4)
	scratch_store_dwordx4 v63, v[4:7], off
	scratch_load_dwordx4 v[4:7], off, off offset:16
	s_nop 0
	global_load_dwordx4 v[20:23], v[42:43], off offset:16
	global_load_dwordx4 v[70:73], v[34:35], off
	global_load_dwordx4 v[74:77], v[44:45], off offset:32
	s_waitcnt vmcnt(3)
	v_mul_f64 v[106:107], v[6:7], v[10:11]
	scratch_store_dwordx4 v64, v[66:69], off
	scratch_load_dwordx4 v[66:69], off, off offset:32
	s_nop 0
	global_load_dwordx4 v[78:81], v[46:47], off offset:32
	global_load_dwordx4 v[82:85], v[28:29], off
	global_load_dwordx4 v[86:89], v[40:41], off offset:32
	global_load_dwordx4 v[90:93], v[44:45], off
	global_load_dwordx4 v[94:97], v[46:47], off
	;; [unrolled: 1-line block ×3, first 2 shown]
	global_load_dwordx4 v[102:105], v[42:43], off offset:32
	v_mul_f64 v[108:109], v[4:5], v[10:11]
	v_fma_f64 v[106:107], v[4:5], v[8:9], -v[106:107]
	v_fmac_f64_e32 v[108:109], v[6:7], v[8:9]
	v_mul_f64 v[8:9], v[6:7], v[14:15]
	v_fma_f64 v[112:113], v[4:5], v[12:13], -v[8:9]
	v_mul_f64 v[8:9], v[6:7], v[18:19]
	v_mul_f64 v[110:111], v[4:5], v[14:15]
	;; [unrolled: 1-line block ×3, first 2 shown]
	v_fma_f64 v[116:117], v[4:5], v[16:17], -v[8:9]
	s_waitcnt vmcnt(11)
	v_mul_f64 v[8:9], v[6:7], v[22:23]
	v_mul_f64 v[118:119], v[4:5], v[22:23]
	v_fmac_f64_e32 v[110:111], v[6:7], v[12:13]
	v_fmac_f64_e32 v[114:115], v[6:7], v[16:17]
	v_fma_f64 v[120:121], v[4:5], v[20:21], -v[8:9]
	v_fmac_f64_e32 v[118:119], v[6:7], v[20:21]
	global_load_dwordx4 v[4:7], v[42:43], off
	global_load_dwordx4 v[8:11], v[44:45], off offset:48
	global_load_dwordx4 v[12:15], v[46:47], off offset:48
	s_waitcnt vmcnt(10)
	v_mul_f64 v[16:17], v[68:69], v[76:77]
	v_fma_f64 v[46:47], v[66:67], v[74:75], -v[16:17]
	s_waitcnt vmcnt(9)
	v_mul_f64 v[16:17], v[68:69], v[80:81]
	scratch_store_dwordx4 v65, v[70:73], off
	v_mul_f64 v[44:45], v[66:67], v[76:77]
	s_waitcnt vmcnt(7)
	v_mul_f64 v[20:21], v[84:85], v[92:93]
	v_fma_f64 v[72:73], v[66:67], v[78:79], -v[16:17]
	v_mul_f64 v[16:17], v[68:69], v[88:89]
	v_mul_f64 v[70:71], v[66:67], v[80:81]
	v_fma_f64 v[76:77], v[66:67], v[86:87], -v[16:17]
	s_waitcnt vmcnt(4)
	v_mul_f64 v[16:17], v[68:69], v[104:105]
	v_fmac_f64_e32 v[44:45], v[68:69], v[74:75]
	v_fmac_f64_e32 v[70:71], v[68:69], v[78:79]
	v_mul_f64 v[74:75], v[66:67], v[88:89]
	v_mul_f64 v[78:79], v[66:67], v[104:105]
	v_fma_f64 v[66:67], v[66:67], v[102:103], -v[16:17]
	scratch_load_dwordx4 v[16:19], off, off offset:48
	v_fma_f64 v[80:81], v[82:83], v[90:91], -v[20:21]
	v_mul_f64 v[20:21], v[84:85], v[96:97]
	v_fmac_f64_e32 v[74:75], v[68:69], v[86:87]
	v_mul_f64 v[86:87], v[82:83], v[96:97]
	v_fma_f64 v[88:89], v[82:83], v[94:95], -v[20:21]
	v_mul_f64 v[20:21], v[84:85], v[100:101]
	v_fmac_f64_e32 v[78:79], v[68:69], v[102:103]
	v_mul_f64 v[68:69], v[82:83], v[92:93]
	v_fmac_f64_e32 v[86:87], v[84:85], v[94:95]
	v_fma_f64 v[92:93], v[82:83], v[98:99], -v[20:21]
	s_waitcnt vmcnt(4)
	v_mul_f64 v[20:21], v[84:85], v[6:7]
	v_mul_f64 v[94:95], v[82:83], v[6:7]
	v_fma_f64 v[96:97], v[82:83], v[4:5], -v[20:21]
	v_fmac_f64_e32 v[94:95], v[84:85], v[4:5]
	global_load_dwordx4 v[4:7], v[40:41], off offset:48
	global_load_dwordx4 v[20:23], v[42:43], off offset:48
	v_fmac_f64_e32 v[68:69], v[84:85], v[90:91]
	v_mul_f64 v[90:91], v[82:83], v[100:101]
	v_fmac_f64_e32 v[90:91], v[84:85], v[98:99]
	scratch_store_dwordx4 off, v[82:85], off
	v_add_f64 v[42:43], v[68:69], 0
	v_add_f64 v[68:69], v[88:89], 0
	;; [unrolled: 1-line block ×8, first 2 shown]
	s_waitcnt vmcnt(3)
	v_mul_f64 v[90:91], v[18:19], v[10:11]
	v_mul_f64 v[10:11], v[16:17], v[10:11]
	v_fma_f64 v[90:91], v[16:17], v[8:9], -v[90:91]
	v_fmac_f64_e32 v[10:11], v[18:19], v[8:9]
	v_mul_f64 v[8:9], v[18:19], v[14:15]
	v_fma_f64 v[92:93], v[16:17], v[12:13], -v[8:9]
	v_mul_f64 v[14:15], v[16:17], v[14:15]
	v_fmac_f64_e32 v[14:15], v[18:19], v[12:13]
	v_add_f64 v[12:13], v[68:69], v[112:113]
	v_add_f64 v[12:13], v[12:13], v[72:73]
	s_waitcnt vmcnt(2)
	v_mul_f64 v[8:9], v[18:19], v[6:7]
	v_mul_f64 v[94:95], v[16:17], v[6:7]
	v_fma_f64 v[96:97], v[16:17], v[4:5], -v[8:9]
	v_fmac_f64_e32 v[94:95], v[18:19], v[4:5]
	s_waitcnt vmcnt(1)
	v_mul_f64 v[4:5], v[18:19], v[22:23]
	v_mul_f64 v[22:23], v[16:17], v[22:23]
	v_fma_f64 v[4:5], v[16:17], v[20:21], -v[4:5]
	v_fmac_f64_e32 v[22:23], v[18:19], v[20:21]
	v_add_f64 v[6:7], v[40:41], v[106:107]
	v_add_f64 v[8:9], v[42:43], v[108:109]
	;; [unrolled: 1-line block ×22, first 2 shown]
	s_andn2_saveexec_b64 s[50:51], s[50:51]
	s_cbranch_execz .LBB166_11
.LBB166_37:                             ;   in Loop: Header=BB166_9 Depth=1
	s_waitcnt lgkmcnt(0)
	v_mov_b64_e32 v[18:19], 0
	v_mov_b64_e32 v[20:21], v[18:19]
	;; [unrolled: 1-line block ×8, first 2 shown]
	s_and_saveexec_b64 s[52:53], s[8:9]
	s_cbranch_execz .LBB166_43
; %bb.38:                               ;   in Loop: Header=BB166_9 Depth=1
	v_mov_b64_e32 v[18:19], 0
	s_andn2_b64 vcc, exec, s[42:43]
	v_mov_b64_e32 v[20:21], v[18:19]
	v_mov_b64_e32 v[14:15], v[18:19]
	v_mov_b64_e32 v[16:17], v[18:19]
	v_mov_b64_e32 v[10:11], v[18:19]
	v_mov_b64_e32 v[12:13], v[18:19]
	v_mov_b64_e32 v[8:9], v[18:19]
	v_mov_b64_e32 v[6:7], v[18:19]
	s_cbranch_vccnz .LBB166_43
; %bb.39:                               ;   in Loop: Header=BB166_9 Depth=1
	v_mov_b32_e32 v3, 0
	v_mov_b64_e32 v[4:5], v[36:37]
	s_mov_b32 s58, s27
.LBB166_40:                             ;   Parent Loop BB166_9 Depth=1
                                        ; =>  This Inner Loop Header: Depth=2
	global_load_dwordx4 v[6:9], v[4:5], off
	s_add_i32 s58, s58, -1
	v_lshl_add_u64 v[4:5], v[4:5], 0, s[44:45]
	s_cmp_eq_u32 s58, 0
	s_waitcnt vmcnt(0)
	scratch_store_dwordx4 v3, v[6:9], off
	v_add_u32_e32 v3, 16, v3
	s_cbranch_scc0 .LBB166_40
; %bb.41:                               ;   in Loop: Header=BB166_9 Depth=1
	v_mov_b64_e32 v[6:7], 0
	v_mov_b32_e32 v3, 0
	v_mov_b64_e32 v[4:5], v[38:39]
	s_mov_b32 s58, s27
	v_mov_b64_e32 v[8:9], v[6:7]
	v_mov_b64_e32 v[12:13], v[6:7]
	;; [unrolled: 1-line block ×7, first 2 shown]
.LBB166_42:                             ;   Parent Loop BB166_9 Depth=1
                                        ; =>  This Inner Loop Header: Depth=2
	scratch_load_dwordx4 v[40:43], v3, off
	global_load_dwordx4 v[44:47], v[4:5], off
	v_lshl_add_u64 v[22:23], v[4:5], 0, s[48:49]
	global_load_dwordx4 v[66:69], v[22:23], off
	v_lshl_add_u64 v[22:23], v[22:23], 0, s[48:49]
	global_load_dwordx4 v[70:73], v[22:23], off
	v_lshl_add_u64 v[22:23], v[22:23], 0, s[48:49]
	global_load_dwordx4 v[74:77], v[22:23], off
	s_add_i32 s58, s58, -1
	v_add_u32_e32 v3, 16, v3
	s_cmp_lg_u32 s58, 0
	v_lshl_add_u64 v[4:5], v[4:5], 0, 16
	s_waitcnt vmcnt(3)
	v_mul_f64 v[22:23], v[42:43], v[46:47]
	v_mul_f64 v[46:47], v[40:41], v[46:47]
	v_fma_f64 v[22:23], v[40:41], v[44:45], -v[22:23]
	v_fmac_f64_e32 v[46:47], v[42:43], v[44:45]
	s_waitcnt vmcnt(2)
	v_mul_f64 v[44:45], v[42:43], v[68:69]
	v_mul_f64 v[68:69], v[40:41], v[68:69]
	v_add_f64 v[8:9], v[8:9], v[22:23]
	v_fma_f64 v[22:23], v[40:41], v[66:67], -v[44:45]
	s_waitcnt vmcnt(1)
	v_mul_f64 v[44:45], v[42:43], v[72:73]
	v_add_f64 v[6:7], v[6:7], v[46:47]
	v_fmac_f64_e32 v[68:69], v[42:43], v[66:67]
	v_mul_f64 v[46:47], v[40:41], v[72:73]
	v_add_f64 v[10:11], v[10:11], v[22:23]
	v_fma_f64 v[22:23], v[40:41], v[70:71], -v[44:45]
	s_waitcnt vmcnt(0)
	v_mul_f64 v[44:45], v[42:43], v[76:77]
	v_mul_f64 v[66:67], v[40:41], v[76:77]
	v_fmac_f64_e32 v[46:47], v[42:43], v[70:71]
	v_add_f64 v[14:15], v[14:15], v[22:23]
	v_fma_f64 v[22:23], v[40:41], v[74:75], -v[44:45]
	v_fmac_f64_e32 v[66:67], v[42:43], v[74:75]
	v_add_f64 v[12:13], v[12:13], v[68:69]
	v_add_f64 v[16:17], v[16:17], v[46:47]
	;; [unrolled: 1-line block ×4, first 2 shown]
	s_cbranch_scc1 .LBB166_42
.LBB166_43:                             ;   in Loop: Header=BB166_9 Depth=1
	s_or_b64 exec, exec, s[52:53]
	s_or_b64 exec, exec, s[50:51]
	s_and_saveexec_b64 s[50:51], s[0:1]
	s_cbranch_execnz .LBB166_12
	s_branch .LBB166_13
.LBB166_44:                             ;   in Loop: Header=BB166_9 Depth=1
	ds_read_b128 v[6:9], v61
	s_or_b64 exec, exec, s[50:51]
	s_and_saveexec_b64 s[50:51], s[0:1]
	s_cbranch_execz .LBB166_17
.LBB166_45:                             ;   in Loop: Header=BB166_9 Depth=1
	s_waitcnt lgkmcnt(0)
	ds_bpermute_b32 v4, v59, v6
	ds_bpermute_b32 v5, v59, v7
	;; [unrolled: 1-line block ×4, first 2 shown]
	s_waitcnt lgkmcnt(2)
	v_add_f64 v[4:5], v[6:7], v[4:5]
	ds_bpermute_b32 v6, v60, v4
	s_waitcnt lgkmcnt(1)
	v_add_f64 v[8:9], v[8:9], v[22:23]
	ds_bpermute_b32 v7, v60, v5
	ds_bpermute_b32 v22, v60, v8
	;; [unrolled: 1-line block ×3, first 2 shown]
	s_waitcnt lgkmcnt(2)
	v_add_f64 v[6:7], v[4:5], v[6:7]
	s_waitcnt lgkmcnt(0)
	v_add_f64 v[8:9], v[8:9], v[22:23]
	s_or_b64 exec, exec, s[50:51]
	s_and_saveexec_b64 s[50:51], s[0:1]
	s_cbranch_execnz .LBB166_18
	s_branch .LBB166_19
.LBB166_46:                             ;   in Loop: Header=BB166_9 Depth=1
	ds_read_b128 v[10:13], v61
	s_or_b64 exec, exec, s[50:51]
	s_and_saveexec_b64 s[50:51], s[0:1]
	s_cbranch_execz .LBB166_23
.LBB166_47:                             ;   in Loop: Header=BB166_9 Depth=1
	s_waitcnt lgkmcnt(0)
	ds_bpermute_b32 v4, v59, v10
	ds_bpermute_b32 v5, v59, v11
	;; [unrolled: 1-line block ×4, first 2 shown]
	s_waitcnt lgkmcnt(2)
	v_add_f64 v[4:5], v[10:11], v[4:5]
	ds_bpermute_b32 v10, v60, v4
	s_waitcnt lgkmcnt(1)
	v_add_f64 v[12:13], v[12:13], v[22:23]
	ds_bpermute_b32 v11, v60, v5
	ds_bpermute_b32 v22, v60, v12
	;; [unrolled: 1-line block ×3, first 2 shown]
	s_waitcnt lgkmcnt(2)
	v_add_f64 v[10:11], v[4:5], v[10:11]
	s_waitcnt lgkmcnt(0)
	v_add_f64 v[12:13], v[12:13], v[22:23]
	s_or_b64 exec, exec, s[50:51]
	s_and_saveexec_b64 s[50:51], s[0:1]
	s_cbranch_execnz .LBB166_24
	s_branch .LBB166_25
.LBB166_48:                             ;   in Loop: Header=BB166_9 Depth=1
	ds_read_b128 v[14:17], v61
	s_or_b64 exec, exec, s[50:51]
	s_and_saveexec_b64 s[50:51], s[0:1]
	s_cbranch_execz .LBB166_29
.LBB166_49:                             ;   in Loop: Header=BB166_9 Depth=1
	s_waitcnt lgkmcnt(0)
	ds_bpermute_b32 v4, v59, v14
	ds_bpermute_b32 v5, v59, v15
	;; [unrolled: 1-line block ×4, first 2 shown]
	s_waitcnt lgkmcnt(2)
	v_add_f64 v[4:5], v[14:15], v[4:5]
	ds_bpermute_b32 v14, v60, v4
	s_waitcnt lgkmcnt(1)
	v_add_f64 v[16:17], v[16:17], v[22:23]
	ds_bpermute_b32 v15, v60, v5
	ds_bpermute_b32 v22, v60, v16
	;; [unrolled: 1-line block ×3, first 2 shown]
	s_waitcnt lgkmcnt(2)
	v_add_f64 v[14:15], v[4:5], v[14:15]
	s_waitcnt lgkmcnt(0)
	v_add_f64 v[16:17], v[16:17], v[22:23]
	s_or_b64 exec, exec, s[50:51]
	s_and_saveexec_b64 s[50:51], s[0:1]
	s_cbranch_execnz .LBB166_30
	s_branch .LBB166_31
.LBB166_50:                             ;   in Loop: Header=BB166_9 Depth=1
	ds_read_b128 v[18:21], v61
	s_or_b64 exec, exec, s[50:51]
	s_and_saveexec_b64 s[50:51], s[0:1]
	s_cbranch_execz .LBB166_35
.LBB166_51:                             ;   in Loop: Header=BB166_9 Depth=1
	s_waitcnt lgkmcnt(0)
	ds_bpermute_b32 v4, v59, v18
	ds_bpermute_b32 v5, v59, v19
	;; [unrolled: 1-line block ×4, first 2 shown]
	s_waitcnt lgkmcnt(2)
	v_add_f64 v[4:5], v[18:19], v[4:5]
	ds_bpermute_b32 v18, v60, v4
	s_waitcnt lgkmcnt(1)
	v_add_f64 v[20:21], v[20:21], v[22:23]
	ds_bpermute_b32 v19, v60, v5
	ds_bpermute_b32 v22, v60, v20
	;; [unrolled: 1-line block ×3, first 2 shown]
	s_waitcnt lgkmcnt(2)
	v_add_f64 v[18:19], v[4:5], v[18:19]
	s_waitcnt lgkmcnt(0)
	v_add_f64 v[20:21], v[20:21], v[22:23]
	s_or_b64 exec, exec, s[50:51]
	s_and_saveexec_b64 s[50:51], s[12:13]
	s_cbranch_execz .LBB166_8
.LBB166_52:                             ;   in Loop: Header=BB166_9 Depth=1
	s_mul_hi_u32 s53, s3, s26
	s_mul_i32 s52, s3, s26
	s_lshl_b64 s[52:53], s[52:53], 4
	v_mul_f64 v[4:5], s[18:19], v[8:9]
	v_mul_f64 v[42:43], s[16:17], v[8:9]
	s_add_u32 s52, s56, s52
	v_fma_f64 v[40:41], s[16:17], v[6:7], -v[4:5]
	v_fmac_f64_e32 v[42:43], s[18:19], v[6:7]
	s_addc_u32 s53, s57, s53
	global_store_dwordx4 v2, v[40:43], s[52:53]
	s_or_b32 s52, s3, 1
	s_mul_hi_u32 s53, s52, s26
	s_mul_i32 s52, s52, s26
	s_lshl_b64 s[52:53], s[52:53], 4
	v_mul_f64 v[4:5], s[18:19], v[12:13]
	v_mul_f64 v[6:7], s[16:17], v[12:13]
	s_add_u32 s52, s56, s52
	v_fma_f64 v[4:5], s[16:17], v[10:11], -v[4:5]
	v_fmac_f64_e32 v[6:7], s[18:19], v[10:11]
	s_addc_u32 s53, s57, s53
	global_store_dwordx4 v2, v[4:7], s[52:53]
	s_or_b32 s52, s3, 2
	;; [unrolled: 11-line block ×3, first 2 shown]
	s_mul_hi_u32 s53, s52, s26
	s_mul_i32 s52, s52, s26
	s_lshl_b64 s[52:53], s[52:53], 4
	s_waitcnt lgkmcnt(0)
	v_mul_f64 v[4:5], s[18:19], v[20:21]
	v_mul_f64 v[6:7], s[16:17], v[20:21]
	s_add_u32 s52, s56, s52
	v_fma_f64 v[4:5], s[16:17], v[18:19], -v[4:5]
	v_fmac_f64_e32 v[6:7], s[18:19], v[18:19]
	s_addc_u32 s53, s57, s53
	global_store_dwordx4 v2, v[4:7], s[52:53]
	s_branch .LBB166_8
.LBB166_53:
	s_mov_b32 s3, 0
.LBB166_54:
	s_cmp_ge_i32 s3, s25
	s_cbranch_scc1 .LBB166_76
; %bb.55:
	v_mbcnt_hi_u32_b32 v2, -1, v52
	v_and_b32_e32 v3, 63, v2
	v_cmp_gt_u32_e64 s[4:5], 32, v3
	s_mov_b32 s13, 0
	s_cmp_gt_i32 s27, 0
	v_cndmask_b32_e64 v4, 0, 1, s[4:5]
	v_lshlrev_b32_e32 v4, 5, v4
	v_cmp_gt_u32_e64 s[4:5], 48, v3
	v_add_lshl_u32 v23, v4, v2, 2
	s_mov_b32 s12, s2
	v_cndmask_b32_e64 v4, 0, 1, s[4:5]
	v_lshlrev_b32_e32 v4, 4, v4
	v_cmp_gt_u32_e64 s[4:5], 56, v3
	v_add_lshl_u32 v28, v4, v2, 2
	s_cselect_b64 s[42:43], -1, 0
	v_cndmask_b32_e64 v4, 0, 1, s[4:5]
	v_lshlrev_b32_e32 v4, 3, v4
	v_cmp_gt_u32_e64 s[4:5], 60, v3
	v_add_lshl_u32 v29, v4, v2, 2
	s_lshl_b64 s[12:13], s[12:13], 4
	v_cndmask_b32_e64 v4, 0, 1, s[4:5]
	v_lshlrev_b32_e32 v4, 2, v4
	v_cmp_gt_u32_e64 s[4:5], 62, v3
	v_add_lshl_u32 v30, v4, v2, 2
	s_add_u32 s2, s33, s12
	v_cndmask_b32_e64 v4, 0, 1, s[4:5]
	v_lshlrev_b32_e32 v4, 1, v4
	v_cmp_ne_u32_e64 s[4:5], 63, v3
	v_cmp_ge_i32_e32 vcc, s24, v53
	v_cmp_ge_i32_e64 s[10:11], s24, v54
	v_add_lshl_u32 v31, v4, v2, 2
	v_addc_co_u32_e64 v2, s[4:5], 0, v2, s[4:5]
	s_addc_u32 s24, s54, s13
	v_mad_i64_i32 v[4:5], s[12:13], s30, v49, 0
	v_cmp_gt_u32_e64 s[0:1], 64, v0
	v_lshlrev_b32_e32 v32, 2, v2
	v_cmp_gt_u32_e64 s[6:7], 4, v0
	v_cmp_eq_u32_e64 s[8:9], 0, v0
	v_mad_i64_i32 v[2:3], s[12:13], s30, v26, 0
	v_lshl_add_u64 v[8:9], v[4:5], 4, s[40:41]
	v_mad_i64_i32 v[4:5], s[12:13], s30, v48, 0
	v_mad_i64_i32 v[0:1], s[12:13], s30, v1, 0
	s_and_b64 s[10:11], s[42:43], s[10:11]
	s_add_u32 s12, s14, s38
	s_addc_u32 s13, s15, s39
	s_add_u32 s12, s12, s34
	s_mul_i32 s14, s29, s3
	s_mul_hi_u32 s15, s28, s3
	v_lshlrev_b64 v[2:3], 4, v[2:3]
	v_mov_b32_e32 v14, 0
	s_addc_u32 s13, s13, s35
	s_add_i32 s15, s15, s14
	s_mul_i32 s14, s28, s3
	v_add_u32_e32 v34, 16, v14
	v_add_u32_e32 v35, 32, v14
	;; [unrolled: 1-line block ×3, first 2 shown]
	v_lshl_add_u64 v[14:15], s[12:13], 0, v[2:3]
	s_lshl_b64 s[12:13], s[30:31], 4
	s_lshl_b64 s[14:15], s[14:15], 4
	s_add_u32 s14, s36, s14
	s_addc_u32 s15, s37, s15
	s_add_u32 s14, s14, s22
	s_addc_u32 s15, s15, s23
	;; [unrolled: 2-line block ×3, first 2 shown]
	v_lshl_add_u64 v[12:13], v[0:1], 4, s[40:41]
	v_lshl_add_u64 v[0:1], v[26:27], 4, s[14:15]
	v_lshlrev_b32_e32 v22, 4, v50
	v_cmp_eq_u32_e64 s[4:5], 0, v50
	v_and_b32_e32 v33, 48, v51
	v_lshl_add_u64 v[6:7], s[40:41], 0, v[2:3]
	v_lshl_add_u64 v[10:11], v[4:5], 4, s[40:41]
	;; [unrolled: 1-line block ×3, first 2 shown]
	s_lshl_b64 s[14:15], s[28:29], 4
	v_mov_b32_e32 v0, 0
	s_branch .LBB166_57
.LBB166_56:                             ;   in Loop: Header=BB166_57 Depth=1
	s_or_b64 exec, exec, s[20:21]
	s_add_i32 s3, s3, 1
	s_cmp_lt_i32 s3, s25
	v_lshl_add_u64 v[16:17], v[16:17], 0, s[14:15]
	s_cbranch_scc0 .LBB166_76
.LBB166_57:                             ; =>This Loop Header: Depth=1
                                        ;     Child Loop BB166_69 Depth 2
                                        ;     Child Loop BB166_71 Depth 2
                                        ; implicit-def: $vgpr4_vgpr5
                                        ; implicit-def: $vgpr18_vgpr19
	s_and_saveexec_b64 s[20:21], vcc
	s_xor_b64 s[20:21], exec, s[20:21]
	s_cbranch_execnz .LBB166_66
; %bb.58:                               ;   in Loop: Header=BB166_57 Depth=1
	s_andn2_saveexec_b64 s[20:21], s[20:21]
	s_cbranch_execnz .LBB166_67
.LBB166_59:                             ;   in Loop: Header=BB166_57 Depth=1
	s_or_b64 exec, exec, s[20:21]
	s_and_saveexec_b64 s[20:21], s[0:1]
	s_cbranch_execz .LBB166_61
.LBB166_60:                             ;   in Loop: Header=BB166_57 Depth=1
	v_mov_b32_e32 v1, v0
	s_waitcnt lgkmcnt(0)
	v_mov_b32_e32 v2, v0
	v_mov_b32_e32 v3, v0
	ds_write_b128 v22, v[0:3]
.LBB166_61:                             ;   in Loop: Header=BB166_57 Depth=1
	s_or_b64 exec, exec, s[20:21]
	s_waitcnt lgkmcnt(0)
	ds_bpermute_b32 v2, v23, v4
	ds_bpermute_b32 v3, v23, v5
	s_waitcnt lgkmcnt(2)
	ds_bpermute_b32 v20, v23, v18
	ds_bpermute_b32 v21, v23, v19
	s_waitcnt lgkmcnt(0)
	s_barrier
	v_add_f64 v[2:3], v[4:5], v[2:3]
	v_add_f64 v[4:5], v[18:19], v[20:21]
	ds_bpermute_b32 v18, v28, v2
	ds_bpermute_b32 v19, v28, v3
	;; [unrolled: 1-line block ×4, first 2 shown]
	s_waitcnt lgkmcnt(2)
	v_add_f64 v[2:3], v[2:3], v[18:19]
	ds_bpermute_b32 v18, v29, v2
	s_waitcnt lgkmcnt(1)
	v_add_f64 v[4:5], v[4:5], v[20:21]
	ds_bpermute_b32 v19, v29, v3
	ds_bpermute_b32 v20, v29, v4
	ds_bpermute_b32 v21, v29, v5
	s_waitcnt lgkmcnt(2)
	v_add_f64 v[2:3], v[2:3], v[18:19]
	ds_bpermute_b32 v18, v30, v2
	s_waitcnt lgkmcnt(1)
	v_add_f64 v[4:5], v[4:5], v[20:21]
	ds_bpermute_b32 v19, v30, v3
	ds_bpermute_b32 v20, v30, v4
	ds_bpermute_b32 v21, v30, v5
	;; [unrolled: 8-line block ×3, first 2 shown]
	s_waitcnt lgkmcnt(2)
	v_add_f64 v[2:3], v[2:3], v[18:19]
	s_waitcnt lgkmcnt(0)
	v_add_f64 v[18:19], v[4:5], v[20:21]
	ds_bpermute_b32 v4, v32, v2
	ds_bpermute_b32 v5, v32, v3
	;; [unrolled: 1-line block ×4, first 2 shown]
	s_and_saveexec_b64 s[20:21], s[4:5]
	s_cbranch_execz .LBB166_63
; %bb.62:                               ;   in Loop: Header=BB166_57 Depth=1
	s_waitcnt lgkmcnt(0)
	v_add_f64 v[20:21], v[18:19], v[20:21]
	v_add_f64 v[18:19], v[2:3], v[4:5]
	ds_write_b128 v33, v[18:21]
.LBB166_63:                             ;   in Loop: Header=BB166_57 Depth=1
	s_or_b64 exec, exec, s[20:21]
	s_waitcnt lgkmcnt(2)
	v_mov_b64_e32 v[4:5], 0
	v_mov_b64_e32 v[2:3], v[4:5]
	s_waitcnt lgkmcnt(0)
	s_barrier
	s_and_saveexec_b64 s[20:21], s[6:7]
	s_cbranch_execnz .LBB166_73
; %bb.64:                               ;   in Loop: Header=BB166_57 Depth=1
	s_or_b64 exec, exec, s[20:21]
	s_and_saveexec_b64 s[20:21], s[0:1]
	s_cbranch_execnz .LBB166_74
.LBB166_65:                             ;   in Loop: Header=BB166_57 Depth=1
	s_or_b64 exec, exec, s[20:21]
	s_and_saveexec_b64 s[20:21], s[8:9]
	s_cbranch_execz .LBB166_56
	s_branch .LBB166_75
.LBB166_66:                             ;   in Loop: Header=BB166_57 Depth=1
	s_waitcnt lgkmcnt(0)
	global_load_dwordx4 v[2:5], v[8:9], off
	s_waitcnt lgkmcnt(0)
	global_load_dwordx4 v[18:21], v[10:11], off
	global_load_dwordx4 v[38:41], v[12:13], off
	;; [unrolled: 1-line block ×3, first 2 shown]
	s_mul_i32 s23, s3, s29
	s_mul_hi_u32 s30, s3, s28
	s_mul_i32 s22, s3, s28
	s_add_i32 s23, s30, s23
	v_lshl_add_u64 v[26:27], s[22:23], 4, v[24:25]
	global_load_dwordx4 v[46:49], v[26:27], off
	global_load_dwordx4 v[50:53], v[26:27], off offset:16
	global_load_dwordx4 v[54:57], v[26:27], off offset:48
	;; [unrolled: 1-line block ×3, first 2 shown]
	s_waitcnt vmcnt(3)
	v_mul_f64 v[26:27], v[48:49], v[44:45]
	scratch_store_dwordx4 v34, v[2:5], off
	scratch_load_dwordx4 v[2:5], off, off offset:16
	v_fma_f64 v[26:27], v[46:47], v[42:43], -v[26:27]
	scratch_store_dwordx4 v35, v[18:21], off
	scratch_load_dwordx4 v[18:21], off, off offset:32
	v_add_f64 v[26:27], v[26:27], 0
	scratch_store_dwordx4 v36, v[38:41], off
	scratch_load_dwordx4 v[38:41], off, off offset:48
	s_nop 0
	scratch_store_dwordx4 off, v[42:45], off
	s_nop 1
	v_mul_f64 v[44:45], v[46:47], v[44:45]
	v_fmac_f64_e32 v[44:45], v[48:49], v[42:43]
	v_add_f64 v[42:43], v[44:45], 0
	s_waitcnt vmcnt(5)
	v_mul_f64 v[44:45], v[52:53], v[4:5]
	v_mul_f64 v[4:5], v[50:51], v[4:5]
	v_fma_f64 v[44:45], v[50:51], v[2:3], -v[44:45]
	s_waitcnt vmcnt(3)
	v_mul_f64 v[46:47], v[60:61], v[20:21]
	v_mul_f64 v[20:21], v[58:59], v[20:21]
	v_fmac_f64_e32 v[4:5], v[52:53], v[2:3]
	s_waitcnt vmcnt(1)
	v_mul_f64 v[48:49], v[56:57], v[40:41]
	v_mul_f64 v[40:41], v[54:55], v[40:41]
	v_fma_f64 v[2:3], v[58:59], v[18:19], -v[46:47]
	v_fmac_f64_e32 v[20:21], v[60:61], v[18:19]
	v_add_f64 v[26:27], v[26:27], v[44:45]
	v_add_f64 v[4:5], v[42:43], v[4:5]
	v_fma_f64 v[18:19], v[54:55], v[38:39], -v[48:49]
	v_fmac_f64_e32 v[40:41], v[56:57], v[38:39]
	v_add_f64 v[2:3], v[26:27], v[2:3]
	v_add_f64 v[20:21], v[4:5], v[20:21]
	;; [unrolled: 1-line block ×4, first 2 shown]
	s_andn2_saveexec_b64 s[20:21], s[20:21]
	s_cbranch_execz .LBB166_59
.LBB166_67:                             ;   in Loop: Header=BB166_57 Depth=1
	s_waitcnt lgkmcnt(0)
	v_mov_b64_e32 v[4:5], 0
	s_waitcnt lgkmcnt(0)
	v_mov_b64_e32 v[18:19], v[4:5]
	s_and_saveexec_b64 s[22:23], s[10:11]
	s_cbranch_execz .LBB166_72
; %bb.68:                               ;   in Loop: Header=BB166_57 Depth=1
	v_mov_b32_e32 v1, 0
	v_mov_b64_e32 v[2:3], v[14:15]
	s_mov_b32 s30, s27
.LBB166_69:                             ;   Parent Loop BB166_57 Depth=1
                                        ; =>  This Inner Loop Header: Depth=2
	global_load_dwordx4 v[18:21], v[2:3], off
	s_add_i32 s30, s30, -1
	v_lshl_add_u64 v[2:3], v[2:3], 0, s[12:13]
	s_cmp_eq_u32 s30, 0
	s_waitcnt vmcnt(0)
	scratch_store_dwordx4 v1, v[18:21], off
	v_add_u32_e32 v1, 16, v1
	s_cbranch_scc0 .LBB166_69
; %bb.70:                               ;   in Loop: Header=BB166_57 Depth=1
	v_mov_b64_e32 v[4:5], 0
	v_mov_b32_e32 v1, 0
	v_mov_b64_e32 v[2:3], v[16:17]
	s_mov_b32 s30, s27
	v_mov_b64_e32 v[18:19], v[4:5]
.LBB166_71:                             ;   Parent Loop BB166_57 Depth=1
                                        ; =>  This Inner Loop Header: Depth=2
	global_load_dwordx4 v[38:41], v[2:3], off offset:-8
	scratch_load_dwordx4 v[42:45], v1, off
	s_add_i32 s30, s30, -1
	v_add_u32_e32 v1, 16, v1
	v_lshl_add_u64 v[2:3], v[2:3], 0, 16
	s_cmp_lg_u32 s30, 0
	s_waitcnt vmcnt(0)
	v_mul_f64 v[20:21], v[40:41], v[44:45]
	v_mul_f64 v[26:27], v[38:39], v[44:45]
	v_fma_f64 v[20:21], v[38:39], v[42:43], -v[20:21]
	v_fmac_f64_e32 v[26:27], v[40:41], v[42:43]
	v_add_f64 v[4:5], v[4:5], v[20:21]
	v_add_f64 v[18:19], v[18:19], v[26:27]
	s_cbranch_scc1 .LBB166_71
.LBB166_72:                             ;   in Loop: Header=BB166_57 Depth=1
	s_or_b64 exec, exec, s[22:23]
	s_or_b64 exec, exec, s[20:21]
	s_and_saveexec_b64 s[20:21], s[0:1]
	s_cbranch_execnz .LBB166_60
	s_branch .LBB166_61
.LBB166_73:                             ;   in Loop: Header=BB166_57 Depth=1
	ds_read_b128 v[2:5], v22
	s_or_b64 exec, exec, s[20:21]
	s_and_saveexec_b64 s[20:21], s[0:1]
	s_cbranch_execz .LBB166_65
.LBB166_74:                             ;   in Loop: Header=BB166_57 Depth=1
	s_waitcnt lgkmcnt(0)
	ds_bpermute_b32 v18, v31, v2
	ds_bpermute_b32 v19, v31, v3
	;; [unrolled: 1-line block ×4, first 2 shown]
	s_waitcnt lgkmcnt(2)
	v_add_f64 v[2:3], v[2:3], v[18:19]
	ds_bpermute_b32 v18, v32, v2
	s_waitcnt lgkmcnt(1)
	v_add_f64 v[4:5], v[4:5], v[20:21]
	ds_bpermute_b32 v19, v32, v3
	ds_bpermute_b32 v20, v32, v4
	;; [unrolled: 1-line block ×3, first 2 shown]
	s_waitcnt lgkmcnt(2)
	v_add_f64 v[2:3], v[2:3], v[18:19]
	s_waitcnt lgkmcnt(0)
	v_add_f64 v[4:5], v[4:5], v[20:21]
	s_or_b64 exec, exec, s[20:21]
	s_and_saveexec_b64 s[20:21], s[8:9]
	s_cbranch_execz .LBB166_56
.LBB166_75:                             ;   in Loop: Header=BB166_57 Depth=1
	s_mul_hi_u32 s23, s3, s26
	s_mul_i32 s22, s3, s26
	s_lshl_b64 s[22:23], s[22:23], 4
	s_waitcnt lgkmcnt(0)
	v_mul_f64 v[18:19], s[18:19], v[4:5]
	v_mul_f64 v[20:21], s[16:17], v[4:5]
	s_add_u32 s22, s2, s22
	v_fma_f64 v[18:19], s[16:17], v[2:3], -v[18:19]
	v_fmac_f64_e32 v[20:21], s[18:19], v[2:3]
	s_addc_u32 s23, s24, s23
	global_store_dwordx4 v0, v[18:21], s[22:23]
	s_branch .LBB166_56
.LBB166_76:
	s_endpgm
	.section	.rodata,"a",@progbits
	.p2align	6, 0x0
	.amdhsa_kernel _ZL23rocblas_gemvt_sn_kernelILb0ELi256ELi4El19rocblas_complex_numIdES1_S1_EviiT4_lPKT3_lilS5_lilPT5_i
		.amdhsa_group_segment_fixed_size 1024
		.amdhsa_private_segment_fixed_size 80
		.amdhsa_kernarg_size 368
		.amdhsa_user_sgpr_count 2
		.amdhsa_user_sgpr_dispatch_ptr 0
		.amdhsa_user_sgpr_queue_ptr 0
		.amdhsa_user_sgpr_kernarg_segment_ptr 1
		.amdhsa_user_sgpr_dispatch_id 0
		.amdhsa_user_sgpr_kernarg_preload_length 0
		.amdhsa_user_sgpr_kernarg_preload_offset 0
		.amdhsa_user_sgpr_private_segment_size 0
		.amdhsa_uses_dynamic_stack 0
		.amdhsa_enable_private_segment 1
		.amdhsa_system_sgpr_workgroup_id_x 1
		.amdhsa_system_sgpr_workgroup_id_y 0
		.amdhsa_system_sgpr_workgroup_id_z 1
		.amdhsa_system_sgpr_workgroup_info 0
		.amdhsa_system_vgpr_workitem_id 0
		.amdhsa_next_free_vgpr 122
		.amdhsa_next_free_sgpr 66
		.amdhsa_accum_offset 124
		.amdhsa_reserve_vcc 1
		.amdhsa_float_round_mode_32 0
		.amdhsa_float_round_mode_16_64 0
		.amdhsa_float_denorm_mode_32 3
		.amdhsa_float_denorm_mode_16_64 3
		.amdhsa_dx10_clamp 1
		.amdhsa_ieee_mode 1
		.amdhsa_fp16_overflow 0
		.amdhsa_tg_split 0
		.amdhsa_exception_fp_ieee_invalid_op 0
		.amdhsa_exception_fp_denorm_src 0
		.amdhsa_exception_fp_ieee_div_zero 0
		.amdhsa_exception_fp_ieee_overflow 0
		.amdhsa_exception_fp_ieee_underflow 0
		.amdhsa_exception_fp_ieee_inexact 0
		.amdhsa_exception_int_div_zero 0
	.end_amdhsa_kernel
	.section	.text._ZL23rocblas_gemvt_sn_kernelILb0ELi256ELi4El19rocblas_complex_numIdES1_S1_EviiT4_lPKT3_lilS5_lilPT5_i,"axG",@progbits,_ZL23rocblas_gemvt_sn_kernelILb0ELi256ELi4El19rocblas_complex_numIdES1_S1_EviiT4_lPKT3_lilS5_lilPT5_i,comdat
.Lfunc_end166:
	.size	_ZL23rocblas_gemvt_sn_kernelILb0ELi256ELi4El19rocblas_complex_numIdES1_S1_EviiT4_lPKT3_lilS5_lilPT5_i, .Lfunc_end166-_ZL23rocblas_gemvt_sn_kernelILb0ELi256ELi4El19rocblas_complex_numIdES1_S1_EviiT4_lPKT3_lilS5_lilPT5_i
                                        ; -- End function
	.section	.AMDGPU.csdata,"",@progbits
; Kernel info:
; codeLenInByte = 6788
; NumSgprs: 72
; NumVgprs: 122
; NumAgprs: 0
; TotalNumVgprs: 122
; ScratchSize: 80
; MemoryBound: 0
; FloatMode: 240
; IeeeMode: 1
; LDSByteSize: 1024 bytes/workgroup (compile time only)
; SGPRBlocks: 8
; VGPRBlocks: 15
; NumSGPRsForWavesPerEU: 72
; NumVGPRsForWavesPerEU: 122
; AccumOffset: 124
; Occupancy: 4
; WaveLimiterHint : 1
; COMPUTE_PGM_RSRC2:SCRATCH_EN: 1
; COMPUTE_PGM_RSRC2:USER_SGPR: 2
; COMPUTE_PGM_RSRC2:TRAP_HANDLER: 0
; COMPUTE_PGM_RSRC2:TGID_X_EN: 1
; COMPUTE_PGM_RSRC2:TGID_Y_EN: 0
; COMPUTE_PGM_RSRC2:TGID_Z_EN: 1
; COMPUTE_PGM_RSRC2:TIDIG_COMP_CNT: 0
; COMPUTE_PGM_RSRC3_GFX90A:ACCUM_OFFSET: 30
; COMPUTE_PGM_RSRC3_GFX90A:TG_SPLIT: 0
	.section	.text._ZL23rocblas_gemvt_sn_reduceILi256ELi8E19rocblas_complex_numIdES1_S1_EviT2_lPT3_lilPT1_i,"axG",@progbits,_ZL23rocblas_gemvt_sn_reduceILi256ELi8E19rocblas_complex_numIdES1_S1_EviT2_lPT3_lilPT1_i,comdat
	.globl	_ZL23rocblas_gemvt_sn_reduceILi256ELi8E19rocblas_complex_numIdES1_S1_EviT2_lPT3_lilPT1_i ; -- Begin function _ZL23rocblas_gemvt_sn_reduceILi256ELi8E19rocblas_complex_numIdES1_S1_EviT2_lPT3_lilPT1_i
	.p2align	8
	.type	_ZL23rocblas_gemvt_sn_reduceILi256ELi8E19rocblas_complex_numIdES1_S1_EviT2_lPT3_lilPT1_i,@function
_ZL23rocblas_gemvt_sn_reduceILi256ELi8E19rocblas_complex_numIdES1_S1_EviT2_lPT3_lilPT1_i: ; @_ZL23rocblas_gemvt_sn_reduceILi256ELi8E19rocblas_complex_numIdES1_S1_EviT2_lPT3_lilPT1_i
; %bb.0:
	s_load_dword s5, s[0:1], 0x54
	s_load_dword s2, s[0:1], 0x0
	s_load_dwordx2 s[6:7], s[0:1], 0x40
	v_lshlrev_b32_e32 v1, 3, v0
	v_mov_b64_e32 v[2:3], 0
	s_waitcnt lgkmcnt(0)
	s_mul_i32 s5, s5, s4
	s_ashr_i32 s8, s2, 31
	s_add_u32 s10, s0, 0x50
	s_addc_u32 s11, s1, 0
	s_add_i32 s5, s5, s3
	s_mul_i32 s9, s5, s8
	s_mul_hi_u32 s12, s5, s2
	s_add_i32 s13, s12, s9
	s_mul_i32 s12, s5, s2
	s_lshr_b32 s5, s8, 29
	s_add_i32 s5, s2, s5
	s_and_b32 s5, s5, -8
	v_cmp_gt_i32_e32 vcc, s5, v1
	v_mov_b64_e32 v[4:5], v[2:3]
	s_and_saveexec_b64 s[8:9], vcc
	s_cbranch_execz .LBB167_4
; %bb.1:
	s_load_dword s10, s[10:11], 0xc
	s_lshl_b64 s[14:15], s[12:13], 4
	v_lshlrev_b32_e32 v2, 7, v0
	v_mov_b32_e32 v3, 0
	s_mov_b32 s11, 0
	s_waitcnt lgkmcnt(0)
	s_and_b32 s10, s10, 0xffff
	s_lshl_b32 s16, s10, 3
	s_add_u32 s14, s6, s14
	s_addc_u32 s15, s7, s15
	v_lshl_add_u64 v[2:3], s[14:15], 0, v[2:3]
	s_mov_b64 s[14:15], 0x78
	v_lshl_add_u64 v[6:7], v[2:3], 0, s[14:15]
	v_mov_b64_e32 v[2:3], 0
	s_lshl_b32 s10, s10, 7
	s_mov_b64 s[14:15], 0
	v_mov_b64_e32 v[4:5], v[2:3]
.LBB167_2:                              ; =>This Inner Loop Header: Depth=1
	global_load_dwordx4 v[8:11], v[6:7], off offset:-120
	global_load_dwordx4 v[12:15], v[6:7], off offset:-104
	;; [unrolled: 1-line block ×8, first 2 shown]
	v_add_u32_e32 v1, s16, v1
	v_cmp_le_i32_e32 vcc, s5, v1
	v_lshl_add_u64 v[6:7], v[6:7], 0, s[10:11]
	s_or_b64 s[14:15], vcc, s[14:15]
	s_waitcnt vmcnt(7)
	v_add_f64 v[4:5], v[4:5], v[8:9]
	v_add_f64 v[2:3], v[2:3], v[10:11]
	s_waitcnt vmcnt(6)
	v_add_f64 v[4:5], v[4:5], v[12:13]
	v_add_f64 v[2:3], v[2:3], v[14:15]
	;; [unrolled: 3-line block ×8, first 2 shown]
	s_andn2_b64 exec, exec, s[14:15]
	s_cbranch_execnz .LBB167_2
; %bb.3:
	s_or_b64 exec, exec, s[14:15]
.LBB167_4:
	s_or_b64 exec, exec, s[8:9]
	s_load_dwordx4 s[8:11], s[0:1], 0x8
	s_sub_i32 s5, s2, s5
	v_cmp_gt_u32_e32 vcc, s5, v0
	s_and_saveexec_b64 s[14:15], vcc
	s_cbranch_execz .LBB167_6
; %bb.5:
	s_lshl_b64 s[12:13], s[12:13], 4
	s_add_u32 s6, s6, s12
	s_addc_u32 s7, s7, s13
	v_xad_u32 v6, v0, -1, s2
	v_mov_b32_e32 v7, 0
	v_lshl_add_u64 v[6:7], v[6:7], 4, s[6:7]
	global_load_dwordx4 v[6:9], v[6:7], off
	s_waitcnt vmcnt(0)
	v_add_f64 v[4:5], v[4:5], v[6:7]
	v_add_f64 v[2:3], v[2:3], v[8:9]
.LBB167_6:
	s_or_b64 exec, exec, s[14:15]
	v_and_b32_e32 v10, 63, v0
	v_cmp_gt_u32_e32 vcc, 64, v0
	v_lshlrev_b32_e32 v1, 4, v10
	s_and_saveexec_b64 s[6:7], vcc
	s_cbranch_execz .LBB167_8
; %bb.7:
	v_mov_b32_e32 v6, 0
	v_mov_b32_e32 v7, v6
	;; [unrolled: 1-line block ×4, first 2 shown]
	ds_write_b128 v1, v[6:9]
.LBB167_8:
	s_or_b64 exec, exec, s[6:7]
	v_mbcnt_lo_u32_b32 v6, -1, 0
	v_mbcnt_hi_u32_b32 v12, -1, v6
	v_and_b32_e32 v13, 63, v12
	v_cmp_gt_u32_e64 s[6:7], 32, v13
	s_waitcnt lgkmcnt(0)
	s_barrier
	v_cndmask_b32_e64 v6, 0, 1, s[6:7]
	v_lshlrev_b32_e32 v6, 5, v6
	v_add_lshl_u32 v9, v6, v12, 2
	ds_bpermute_b32 v6, v9, v4
	ds_bpermute_b32 v7, v9, v5
	;; [unrolled: 1-line block ×4, first 2 shown]
	v_cmp_gt_u32_e64 s[6:7], 48, v13
	s_waitcnt lgkmcnt(0)
	v_add_f64 v[4:5], v[4:5], v[6:7]
	v_cndmask_b32_e64 v6, 0, 1, s[6:7]
	v_lshlrev_b32_e32 v6, 4, v6
	v_add_f64 v[2:3], v[2:3], v[8:9]
	v_add_lshl_u32 v9, v6, v12, 2
	ds_bpermute_b32 v6, v9, v4
	ds_bpermute_b32 v7, v9, v5
	ds_bpermute_b32 v8, v9, v2
	ds_bpermute_b32 v9, v9, v3
	v_cmp_gt_u32_e64 s[6:7], 56, v13
	s_waitcnt lgkmcnt(2)
	v_add_f64 v[4:5], v[4:5], v[6:7]
	v_cndmask_b32_e64 v6, 0, 1, s[6:7]
	v_lshlrev_b32_e32 v6, 3, v6
	s_waitcnt lgkmcnt(0)
	v_add_f64 v[2:3], v[2:3], v[8:9]
	v_add_lshl_u32 v9, v6, v12, 2
	ds_bpermute_b32 v6, v9, v4
	ds_bpermute_b32 v7, v9, v5
	;; [unrolled: 1-line block ×4, first 2 shown]
	v_cmp_gt_u32_e64 s[6:7], 60, v13
	s_waitcnt lgkmcnt(2)
	v_add_f64 v[4:5], v[4:5], v[6:7]
	v_cndmask_b32_e64 v6, 0, 1, s[6:7]
	v_lshlrev_b32_e32 v6, 2, v6
	s_waitcnt lgkmcnt(0)
	v_add_f64 v[2:3], v[2:3], v[8:9]
	v_add_lshl_u32 v9, v6, v12, 2
	ds_bpermute_b32 v6, v9, v4
	ds_bpermute_b32 v7, v9, v5
	ds_bpermute_b32 v8, v9, v2
	ds_bpermute_b32 v9, v9, v3
	v_cmp_gt_u32_e64 s[6:7], 62, v13
	s_waitcnt lgkmcnt(2)
	v_add_f64 v[4:5], v[4:5], v[6:7]
	s_waitcnt lgkmcnt(0)
	v_add_f64 v[6:7], v[2:3], v[8:9]
	v_cndmask_b32_e64 v2, 0, 1, s[6:7]
	v_lshlrev_b32_e32 v2, 1, v2
	v_add_lshl_u32 v11, v2, v12, 2
	ds_bpermute_b32 v2, v11, v4
	ds_bpermute_b32 v3, v11, v5
	;; [unrolled: 1-line block ×4, first 2 shown]
	v_cmp_ne_u32_e64 s[6:7], 63, v13
	s_waitcnt lgkmcnt(2)
	v_add_f64 v[2:3], v[4:5], v[2:3]
	v_addc_co_u32_e64 v4, s[6:7], 0, v12, s[6:7]
	s_waitcnt lgkmcnt(0)
	v_add_f64 v[6:7], v[6:7], v[8:9]
	v_lshlrev_b32_e32 v12, 2, v4
	ds_bpermute_b32 v4, v12, v2
	ds_bpermute_b32 v5, v12, v3
	;; [unrolled: 1-line block ×4, first 2 shown]
	v_cmp_eq_u32_e64 s[6:7], 0, v10
	s_and_saveexec_b64 s[12:13], s[6:7]
	s_cbranch_execz .LBB167_10
; %bb.9:
	v_lshrrev_b32_e32 v10, 2, v0
	v_and_b32_e32 v10, 48, v10
	s_waitcnt lgkmcnt(0)
	v_add_f64 v[6:7], v[6:7], v[8:9]
	v_add_f64 v[4:5], v[2:3], v[4:5]
	ds_write_b128 v10, v[4:7]
.LBB167_10:
	s_or_b64 exec, exec, s[12:13]
	s_waitcnt lgkmcnt(2)
	v_mov_b64_e32 v[4:5], 0
	v_cmp_gt_u32_e64 s[6:7], 4, v0
	v_mov_b64_e32 v[2:3], v[4:5]
	s_waitcnt lgkmcnt(0)
	s_barrier
	s_and_saveexec_b64 s[12:13], s[6:7]
	s_cbranch_execnz .LBB167_14
; %bb.11:
	s_or_b64 exec, exec, s[12:13]
	s_and_saveexec_b64 s[6:7], vcc
	s_cbranch_execnz .LBB167_15
.LBB167_12:
	s_or_b64 exec, exec, s[6:7]
	v_cmp_eq_u32_e32 vcc, 0, v0
	s_and_saveexec_b64 s[6:7], vcc
	s_cbranch_execnz .LBB167_16
.LBB167_13:
	s_endpgm
.LBB167_14:
	ds_read_b128 v[2:5], v1
	s_or_b64 exec, exec, s[12:13]
	s_and_saveexec_b64 s[6:7], vcc
	s_cbranch_execz .LBB167_12
.LBB167_15:
	s_waitcnt lgkmcnt(0)
	ds_bpermute_b32 v6, v11, v2
	ds_bpermute_b32 v7, v11, v3
	;; [unrolled: 1-line block ×4, first 2 shown]
	s_waitcnt lgkmcnt(2)
	v_add_f64 v[2:3], v[2:3], v[6:7]
	ds_bpermute_b32 v6, v12, v2
	s_waitcnt lgkmcnt(1)
	v_add_f64 v[4:5], v[4:5], v[8:9]
	ds_bpermute_b32 v7, v12, v3
	ds_bpermute_b32 v8, v12, v4
	;; [unrolled: 1-line block ×3, first 2 shown]
	s_waitcnt lgkmcnt(2)
	v_add_f64 v[2:3], v[2:3], v[6:7]
	s_waitcnt lgkmcnt(0)
	v_add_f64 v[4:5], v[4:5], v[8:9]
	s_or_b64 exec, exec, s[6:7]
	v_cmp_eq_u32_e32 vcc, 0, v0
	s_and_saveexec_b64 s[6:7], vcc
	s_cbranch_execz .LBB167_13
.LBB167_16:
	s_load_dword s5, s[0:1], 0x30
	s_load_dwordx2 s[6:7], s[0:1], 0x38
	s_load_dwordx4 s[12:15], s[0:1], 0x20
	s_waitcnt lgkmcnt(0)
	s_ashr_i32 s16, s5, 31
	s_mul_i32 s0, s4, s7
	s_mul_hi_u32 s1, s4, s6
	s_add_i32 s1, s1, s0
	s_mul_i32 s0, s4, s6
	s_lshl_b64 s[0:1], s[0:1], 4
	s_add_u32 s2, s12, s0
	s_addc_u32 s4, s13, s1
	s_lshl_b64 s[0:1], s[14:15], 4
	s_add_u32 s2, s2, s0
	v_cmp_neq_f64_e64 s[6:7], s[8:9], 0
	v_cmp_neq_f64_e64 s[12:13], s[10:11], 0
	s_addc_u32 s4, s4, s1
	s_mul_hi_u32 s0, s5, s3
	s_mul_i32 s16, s16, s3
	s_or_b64 s[6:7], s[6:7], s[12:13]
	s_add_i32 s1, s0, s16
	s_andn2_b64 vcc, exec, s[6:7]
	s_mul_i32 s0, s5, s3
	s_cbranch_vccnz .LBB167_18
; %bb.17:
	s_lshl_b64 s[6:7], s[0:1], 4
	s_add_u32 s6, s2, s6
	s_addc_u32 s7, s4, s7
	s_load_dwordx4 s[12:15], s[6:7], 0x0
	s_waitcnt lgkmcnt(0)
	v_mov_b64_e32 v[0:1], s[14:15]
	v_mov_b64_e32 v[6:7], s[12:13]
	v_mul_f64 v[8:9], s[10:11], v[0:1]
	v_mul_f64 v[0:1], s[8:9], v[0:1]
	v_fma_f64 v[8:9], s[8:9], v[6:7], -v[8:9]
	v_fmac_f64_e32 v[0:1], s[10:11], v[6:7]
	v_add_f64 v[2:3], v[2:3], v[8:9]
	v_add_f64 v[4:5], v[4:5], v[0:1]
.LBB167_18:
	s_lshl_b64 s[0:1], s[0:1], 4
	s_add_u32 s0, s2, s0
	s_addc_u32 s1, s4, s1
	v_mov_b32_e32 v0, 0
	global_store_dwordx4 v0, v[2:5], s[0:1]
	s_endpgm
	.section	.rodata,"a",@progbits
	.p2align	6, 0x0
	.amdhsa_kernel _ZL23rocblas_gemvt_sn_reduceILi256ELi8E19rocblas_complex_numIdES1_S1_EviT2_lPT3_lilPT1_i
		.amdhsa_group_segment_fixed_size 1024
		.amdhsa_private_segment_fixed_size 0
		.amdhsa_kernarg_size 336
		.amdhsa_user_sgpr_count 2
		.amdhsa_user_sgpr_dispatch_ptr 0
		.amdhsa_user_sgpr_queue_ptr 0
		.amdhsa_user_sgpr_kernarg_segment_ptr 1
		.amdhsa_user_sgpr_dispatch_id 0
		.amdhsa_user_sgpr_kernarg_preload_length 0
		.amdhsa_user_sgpr_kernarg_preload_offset 0
		.amdhsa_user_sgpr_private_segment_size 0
		.amdhsa_uses_dynamic_stack 0
		.amdhsa_enable_private_segment 0
		.amdhsa_system_sgpr_workgroup_id_x 1
		.amdhsa_system_sgpr_workgroup_id_y 1
		.amdhsa_system_sgpr_workgroup_id_z 1
		.amdhsa_system_sgpr_workgroup_info 0
		.amdhsa_system_vgpr_workitem_id 0
		.amdhsa_next_free_vgpr 40
		.amdhsa_next_free_sgpr 17
		.amdhsa_accum_offset 40
		.amdhsa_reserve_vcc 1
		.amdhsa_float_round_mode_32 0
		.amdhsa_float_round_mode_16_64 0
		.amdhsa_float_denorm_mode_32 3
		.amdhsa_float_denorm_mode_16_64 3
		.amdhsa_dx10_clamp 1
		.amdhsa_ieee_mode 1
		.amdhsa_fp16_overflow 0
		.amdhsa_tg_split 0
		.amdhsa_exception_fp_ieee_invalid_op 0
		.amdhsa_exception_fp_denorm_src 0
		.amdhsa_exception_fp_ieee_div_zero 0
		.amdhsa_exception_fp_ieee_overflow 0
		.amdhsa_exception_fp_ieee_underflow 0
		.amdhsa_exception_fp_ieee_inexact 0
		.amdhsa_exception_int_div_zero 0
	.end_amdhsa_kernel
	.section	.text._ZL23rocblas_gemvt_sn_reduceILi256ELi8E19rocblas_complex_numIdES1_S1_EviT2_lPT3_lilPT1_i,"axG",@progbits,_ZL23rocblas_gemvt_sn_reduceILi256ELi8E19rocblas_complex_numIdES1_S1_EviT2_lPT3_lilPT1_i,comdat
.Lfunc_end167:
	.size	_ZL23rocblas_gemvt_sn_reduceILi256ELi8E19rocblas_complex_numIdES1_S1_EviT2_lPT3_lilPT1_i, .Lfunc_end167-_ZL23rocblas_gemvt_sn_reduceILi256ELi8E19rocblas_complex_numIdES1_S1_EviT2_lPT3_lilPT1_i
                                        ; -- End function
	.section	.AMDGPU.csdata,"",@progbits
; Kernel info:
; codeLenInByte = 1580
; NumSgprs: 23
; NumVgprs: 40
; NumAgprs: 0
; TotalNumVgprs: 40
; ScratchSize: 0
; MemoryBound: 1
; FloatMode: 240
; IeeeMode: 1
; LDSByteSize: 1024 bytes/workgroup (compile time only)
; SGPRBlocks: 2
; VGPRBlocks: 4
; NumSGPRsForWavesPerEU: 23
; NumVGPRsForWavesPerEU: 40
; AccumOffset: 40
; Occupancy: 8
; WaveLimiterHint : 0
; COMPUTE_PGM_RSRC2:SCRATCH_EN: 0
; COMPUTE_PGM_RSRC2:USER_SGPR: 2
; COMPUTE_PGM_RSRC2:TRAP_HANDLER: 0
; COMPUTE_PGM_RSRC2:TGID_X_EN: 1
; COMPUTE_PGM_RSRC2:TGID_Y_EN: 1
; COMPUTE_PGM_RSRC2:TGID_Z_EN: 1
; COMPUTE_PGM_RSRC2:TIDIG_COMP_CNT: 0
; COMPUTE_PGM_RSRC3_GFX90A:ACCUM_OFFSET: 9
; COMPUTE_PGM_RSRC3_GFX90A:TG_SPLIT: 0
	.section	.text._ZL32rocblas_gemvt_warp_reduce_kernelILb0ELi256Ei19rocblas_complex_numIdEPKS1_S1_EviiT3_lPKT2_lT1_lS7_lS8_lS4_lPT4_lS8_li,"axG",@progbits,_ZL32rocblas_gemvt_warp_reduce_kernelILb0ELi256Ei19rocblas_complex_numIdEPKS1_S1_EviiT3_lPKT2_lT1_lS7_lS8_lS4_lPT4_lS8_li,comdat
	.globl	_ZL32rocblas_gemvt_warp_reduce_kernelILb0ELi256Ei19rocblas_complex_numIdEPKS1_S1_EviiT3_lPKT2_lT1_lS7_lS8_lS4_lPT4_lS8_li ; -- Begin function _ZL32rocblas_gemvt_warp_reduce_kernelILb0ELi256Ei19rocblas_complex_numIdEPKS1_S1_EviiT3_lPKT2_lT1_lS7_lS8_lS4_lPT4_lS8_li
	.p2align	8
	.type	_ZL32rocblas_gemvt_warp_reduce_kernelILb0ELi256Ei19rocblas_complex_numIdEPKS1_S1_EviiT3_lPKT2_lT1_lS7_lS8_lS4_lPT4_lS8_li,@function
_ZL32rocblas_gemvt_warp_reduce_kernelILb0ELi256Ei19rocblas_complex_numIdEPKS1_S1_EviiT3_lPKT2_lT1_lS7_lS8_lS4_lPT4_lS8_li: ; @_ZL32rocblas_gemvt_warp_reduce_kernelILb0ELi256Ei19rocblas_complex_numIdEPKS1_S1_EviiT3_lPKT2_lT1_lS7_lS8_lS4_lPT4_lS8_li
; %bb.0:
	s_load_dwordx8 s[4:11], s[0:1], 0x8
	s_load_dwordx8 s[12:19], s[0:1], 0x50
	s_waitcnt lgkmcnt(0)
	s_mul_i32 s7, s3, s7
	s_mul_hi_u32 s20, s3, s6
	s_add_i32 s7, s20, s7
	s_mul_i32 s6, s3, s6
	s_lshl_b64 s[6:7], s[6:7], 4
	s_add_u32 s4, s4, s6
	s_addc_u32 s5, s5, s7
	s_load_dwordx4 s[24:27], s[4:5], 0x0
	s_mul_i32 s4, s3, s17
	s_mul_hi_u32 s5, s3, s16
	s_add_i32 s5, s5, s4
	s_mul_i32 s4, s3, s16
	s_lshl_b64 s[4:5], s[4:5], 4
	s_add_u32 s4, s14, s4
	s_addc_u32 s5, s15, s5
	s_load_dwordx4 s[20:23], s[4:5], 0x0
	s_waitcnt lgkmcnt(0)
	v_cmp_neq_f64_e64 s[4:5], s[24:25], 0
	v_cmp_neq_f64_e64 s[6:7], s[26:27], 0
	s_or_b64 s[4:5], s[4:5], s[6:7]
	s_mov_b64 s[6:7], -1
	s_and_b64 vcc, exec, s[4:5]
	s_cbranch_vccnz .LBB168_2
; %bb.1:
	v_cmp_neq_f64_e64 s[6:7], s[20:21], 1.0
	v_cmp_neq_f64_e64 s[14:15], s[22:23], 0
	s_or_b64 s[6:7], s[6:7], s[14:15]
.LBB168_2:
	s_andn2_b64 vcc, exec, s[6:7]
	s_cbranch_vccnz .LBB168_31
; %bb.3:
	s_load_dwordx2 s[6:7], s[0:1], 0x80
	s_load_dwordx2 s[14:15], s[0:1], 0x70
	s_load_dword s33, s[0:1], 0x78
	s_xor_b64 s[4:5], s[4:5], -1
	s_waitcnt lgkmcnt(0)
	s_mul_i32 s7, s3, s7
	s_mul_hi_u32 s16, s3, s6
	s_mul_i32 s6, s3, s6
	s_add_i32 s7, s16, s7
	s_lshl_b64 s[6:7], s[6:7], 4
	s_add_u32 s16, s18, s6
	s_addc_u32 s17, s19, s7
	s_lshl_b64 s[6:7], s[14:15], 4
	s_add_u32 s30, s16, s6
	s_addc_u32 s31, s17, s7
	s_andn2_b64 vcc, exec, s[4:5]
	v_cmp_eq_u32_e64 s[4:5], 0, v0
	s_cbranch_vccnz .LBB168_8
; %bb.4:
	s_mov_b64 s[16:17], 0
	s_mov_b64 s[6:7], 0
                                        ; implicit-def: $vgpr4_vgpr5
                                        ; implicit-def: $sgpr14_sgpr15
	s_and_saveexec_b64 s[18:19], s[4:5]
	s_cbranch_execz .LBB168_9
; %bb.5:
	v_cmp_neq_f64_e64 s[4:5], s[20:21], 0
	v_cmp_neq_f64_e64 s[6:7], s[22:23], 0
	v_mov_b64_e32 v[4:5], 0
	s_mul_i32 s14, s2, s33
	s_or_b64 s[4:5], s[4:5], s[6:7]
	s_ashr_i32 s15, s14, 31
	s_andn2_b64 vcc, exec, s[4:5]
	v_mov_b64_e32 v[2:3], v[4:5]
	s_cbranch_vccnz .LBB168_7
; %bb.6:
	s_lshl_b64 s[4:5], s[14:15], 4
	s_add_u32 s4, s30, s4
	s_addc_u32 s5, s31, s5
	s_load_dwordx4 s[4:7], s[4:5], 0x0
	s_waitcnt lgkmcnt(0)
	v_mov_b64_e32 v[2:3], s[6:7]
	v_mov_b64_e32 v[6:7], s[4:5]
	v_mul_f64 v[8:9], s[22:23], v[2:3]
	v_mul_f64 v[4:5], s[20:21], v[2:3]
	v_fma_f64 v[2:3], s[20:21], v[6:7], -v[8:9]
	v_fmac_f64_e32 v[4:5], s[22:23], v[6:7]
.LBB168_7:
	s_mov_b64 s[6:7], exec
	s_or_b64 exec, exec, s[18:19]
	s_and_b64 vcc, exec, s[16:17]
	s_cbranch_vccnz .LBB168_10
	s_branch .LBB168_29
.LBB168_8:
	s_mov_b64 s[6:7], 0
                                        ; implicit-def: $vgpr4_vgpr5
                                        ; implicit-def: $sgpr14_sgpr15
	s_cbranch_execnz .LBB168_10
	s_branch .LBB168_29
.LBB168_9:
	s_or_b64 exec, exec, s[18:19]
	s_and_b64 vcc, exec, s[16:17]
	s_cbranch_vccz .LBB168_29
.LBB168_10:
	s_load_dword s15, s[0:1], 0x0
	s_load_dword s14, s[0:1], 0x28
	s_load_dwordx4 s[16:19], s[0:1], 0x30
	s_load_dwordx2 s[4:5], s[0:1], 0x40
	s_mul_i32 s13, s3, s13
	s_mul_hi_u32 s28, s3, s12
	s_add_i32 s13, s28, s13
	s_mul_i32 s12, s3, s12
	s_lshl_b64 s[12:13], s[12:13], 4
	s_waitcnt lgkmcnt(0)
	s_add_u32 s12, s18, s12
	s_addc_u32 s13, s19, s13
	s_lshl_b64 s[4:5], s[4:5], 4
	s_add_u32 s4, s12, s4
	s_load_dword s34, s[0:1], 0x48
	s_mul_i32 s0, s3, s17
	s_mul_hi_u32 s1, s3, s16
	s_addc_u32 s5, s13, s5
	s_add_i32 s1, s1, s0
	s_mul_i32 s0, s3, s16
	s_ashr_i32 s3, s15, 31
	s_lshr_b32 s3, s3, 24
	v_cmp_gt_i32_e32 vcc, s15, v0
	s_add_i32 s3, s15, s3
	s_mul_i32 s12, s2, s14
	v_cndmask_b32_e32 v1, 0, v0, vcc
	s_and_b32 s14, s3, 0xffffff00
	v_mov_b64_e32 v[2:3], 0
	v_mov_b32_e32 v7, 0
	s_ashr_i32 s13, s12, 31
	v_cmp_gt_i32_e32 vcc, s14, v0
	v_lshlrev_b32_e32 v6, 4, v1
	v_mov_b64_e32 v[4:5], v[2:3]
	s_and_saveexec_b64 s[16:17], vcc
	s_cbranch_execz .LBB168_14
; %bb.11:
	s_lshl_b64 s[18:19], s[0:1], 4
	s_lshl_b64 s[28:29], s[10:11], 4
	s_add_u32 s3, s18, s28
	s_addc_u32 s28, s19, s29
	s_lshl_b64 s[18:19], s[12:13], 4
	s_add_u32 s3, s3, s18
	s_addc_u32 s19, s28, s19
	s_add_u32 s18, s8, s3
	s_addc_u32 s19, s9, s19
	v_lshl_add_u64 v[2:3], s[18:19], 0, v[6:7]
	v_lshl_add_u64 v[8:9], v[2:3], 0, 8
	v_mov_b64_e32 v[2:3], 0
	s_waitcnt lgkmcnt(0)
	v_mul_lo_u32 v10, v0, s34
	s_lshl_b32 s3, s34, 8
	s_mov_b64 s[18:19], 0
	s_mov_b64 s[28:29], 0x1000
	v_mov_b32_e32 v1, v0
	v_mov_b64_e32 v[4:5], v[2:3]
.LBB168_12:                             ; =>This Inner Loop Header: Depth=1
	v_ashrrev_i32_e32 v11, 31, v10
	v_lshl_add_u64 v[16:17], v[10:11], 4, s[4:5]
	global_load_dwordx4 v[12:15], v[8:9], off offset:-8
	v_add_u32_e32 v1, 0x100, v1
	global_load_dwordx4 v[16:19], v[16:17], off
	v_cmp_le_i32_e32 vcc, s14, v1
	v_lshl_add_u64 v[8:9], v[8:9], 0, s[28:29]
	v_add_u32_e32 v10, s3, v10
	s_or_b64 s[18:19], vcc, s[18:19]
	s_waitcnt vmcnt(0)
	v_mul_f64 v[20:21], v[14:15], v[18:19]
	v_mul_f64 v[18:19], v[12:13], v[18:19]
	v_fma_f64 v[12:13], v[12:13], v[16:17], -v[20:21]
	v_fmac_f64_e32 v[18:19], v[14:15], v[16:17]
	v_add_f64 v[4:5], v[4:5], v[12:13]
	v_add_f64 v[2:3], v[2:3], v[18:19]
	s_andn2_b64 exec, exec, s[18:19]
	s_cbranch_execnz .LBB168_12
; %bb.13:
	s_or_b64 exec, exec, s[18:19]
.LBB168_14:
	s_or_b64 exec, exec, s[16:17]
	v_add_u32_e32 v1, s14, v0
	v_cmp_gt_i32_e32 vcc, s15, v1
	s_and_saveexec_b64 s[16:17], vcc
	s_cbranch_execz .LBB168_16
; %bb.15:
	s_lshl_b64 s[0:1], s[0:1], 4
	s_add_u32 s3, s8, s0
	s_addc_u32 s8, s9, s1
	s_lshl_b64 s[0:1], s[10:11], 4
	s_add_u32 s3, s3, s0
	s_addc_u32 s10, s8, s1
	s_ashr_i32 s15, s14, 31
	s_lshl_b64 s[0:1], s[12:13], 4
	s_lshl_b64 s[8:9], s[14:15], 4
	s_add_u32 s0, s8, s0
	s_waitcnt lgkmcnt(0)
	v_mul_lo_u32 v8, v1, s34
	s_addc_u32 s1, s9, s1
	v_ashrrev_i32_e32 v9, 31, v8
	s_add_u32 s0, s0, s3
	v_lshl_add_u64 v[16:17], v[8:9], 4, s[4:5]
	s_addc_u32 s1, s1, s10
	global_load_dwordx4 v[8:11], v[16:17], off
	global_load_dwordx4 v[12:15], v6, s[0:1]
	s_waitcnt vmcnt(0)
	v_mul_f64 v[6:7], v[14:15], v[10:11]
	v_mul_f64 v[10:11], v[12:13], v[10:11]
	v_fma_f64 v[6:7], v[12:13], v[8:9], -v[6:7]
	v_fmac_f64_e32 v[10:11], v[14:15], v[8:9]
	v_add_f64 v[4:5], v[4:5], v[6:7]
	v_add_f64 v[2:3], v[2:3], v[10:11]
.LBB168_16:
	s_or_b64 exec, exec, s[16:17]
	v_and_b32_e32 v10, 63, v0
	v_cmp_gt_u32_e32 vcc, 64, v0
	v_lshlrev_b32_e32 v1, 4, v10
	s_and_saveexec_b64 s[0:1], vcc
	s_cbranch_execz .LBB168_18
; %bb.17:
	v_mov_b32_e32 v6, 0
	v_mov_b32_e32 v7, v6
	v_mov_b32_e32 v8, v6
	v_mov_b32_e32 v9, v6
	ds_write_b128 v1, v[6:9]
.LBB168_18:
	s_or_b64 exec, exec, s[0:1]
	v_mbcnt_lo_u32_b32 v6, -1, 0
	v_mbcnt_hi_u32_b32 v12, -1, v6
	v_and_b32_e32 v13, 63, v12
	v_cmp_gt_u32_e64 s[0:1], 32, v13
	s_waitcnt lgkmcnt(0)
	s_barrier
	v_cndmask_b32_e64 v6, 0, 1, s[0:1]
	v_lshlrev_b32_e32 v6, 5, v6
	v_add_lshl_u32 v9, v6, v12, 2
	ds_bpermute_b32 v6, v9, v4
	ds_bpermute_b32 v7, v9, v5
	;; [unrolled: 1-line block ×4, first 2 shown]
	v_cmp_gt_u32_e64 s[0:1], 48, v13
	s_waitcnt lgkmcnt(0)
	v_add_f64 v[4:5], v[4:5], v[6:7]
	v_cndmask_b32_e64 v6, 0, 1, s[0:1]
	v_lshlrev_b32_e32 v6, 4, v6
	v_add_f64 v[2:3], v[2:3], v[8:9]
	v_add_lshl_u32 v9, v6, v12, 2
	ds_bpermute_b32 v6, v9, v4
	ds_bpermute_b32 v7, v9, v5
	;; [unrolled: 1-line block ×4, first 2 shown]
	v_cmp_gt_u32_e64 s[0:1], 56, v13
	s_waitcnt lgkmcnt(2)
	v_add_f64 v[4:5], v[4:5], v[6:7]
	v_cndmask_b32_e64 v6, 0, 1, s[0:1]
	v_lshlrev_b32_e32 v6, 3, v6
	s_waitcnt lgkmcnt(0)
	v_add_f64 v[2:3], v[2:3], v[8:9]
	v_add_lshl_u32 v9, v6, v12, 2
	ds_bpermute_b32 v6, v9, v4
	ds_bpermute_b32 v7, v9, v5
	;; [unrolled: 1-line block ×4, first 2 shown]
	v_cmp_gt_u32_e64 s[0:1], 60, v13
	s_waitcnt lgkmcnt(2)
	v_add_f64 v[4:5], v[4:5], v[6:7]
	v_cndmask_b32_e64 v6, 0, 1, s[0:1]
	v_lshlrev_b32_e32 v6, 2, v6
	s_waitcnt lgkmcnt(0)
	v_add_f64 v[2:3], v[2:3], v[8:9]
	v_add_lshl_u32 v9, v6, v12, 2
	ds_bpermute_b32 v6, v9, v4
	ds_bpermute_b32 v7, v9, v5
	;; [unrolled: 1-line block ×4, first 2 shown]
	v_cmp_gt_u32_e64 s[0:1], 62, v13
	s_waitcnt lgkmcnt(2)
	v_add_f64 v[4:5], v[4:5], v[6:7]
	s_waitcnt lgkmcnt(0)
	v_add_f64 v[6:7], v[2:3], v[8:9]
	v_cndmask_b32_e64 v2, 0, 1, s[0:1]
	v_lshlrev_b32_e32 v2, 1, v2
	v_add_lshl_u32 v11, v2, v12, 2
	ds_bpermute_b32 v2, v11, v4
	ds_bpermute_b32 v3, v11, v5
	;; [unrolled: 1-line block ×4, first 2 shown]
	v_cmp_ne_u32_e64 s[0:1], 63, v13
	s_waitcnt lgkmcnt(2)
	v_add_f64 v[2:3], v[4:5], v[2:3]
	v_addc_co_u32_e64 v4, s[0:1], 0, v12, s[0:1]
	s_waitcnt lgkmcnt(0)
	v_add_f64 v[6:7], v[6:7], v[8:9]
	v_lshlrev_b32_e32 v12, 2, v4
	ds_bpermute_b32 v4, v12, v2
	ds_bpermute_b32 v5, v12, v3
	;; [unrolled: 1-line block ×4, first 2 shown]
	v_cmp_eq_u32_e64 s[0:1], 0, v10
	s_and_saveexec_b64 s[4:5], s[0:1]
	s_cbranch_execz .LBB168_20
; %bb.19:
	v_lshrrev_b32_e32 v10, 2, v0
	v_and_b32_e32 v10, 48, v10
	s_waitcnt lgkmcnt(0)
	v_add_f64 v[6:7], v[6:7], v[8:9]
	v_add_f64 v[4:5], v[2:3], v[4:5]
	ds_write_b128 v10, v[4:7]
.LBB168_20:
	s_or_b64 exec, exec, s[4:5]
	s_waitcnt lgkmcnt(0)
	v_mov_b64_e32 v[8:9], 0
	v_cmp_gt_u32_e64 s[0:1], 4, v0
	v_mov_b64_e32 v[6:7], v[8:9]
	s_barrier
	s_and_saveexec_b64 s[4:5], s[0:1]
	s_cbranch_execz .LBB168_22
; %bb.21:
	ds_read_b128 v[6:9], v1
	s_or_b64 exec, exec, s[4:5]
	s_and_saveexec_b64 s[0:1], vcc
	s_cbranch_execz .LBB168_24
	s_branch .LBB168_23
.LBB168_22:
	s_or_b64 exec, exec, s[4:5]
	s_and_saveexec_b64 s[0:1], vcc
	s_cbranch_execz .LBB168_24
.LBB168_23:
	s_waitcnt lgkmcnt(0)
	ds_bpermute_b32 v2, v11, v6
	ds_bpermute_b32 v3, v11, v7
	;; [unrolled: 1-line block ×4, first 2 shown]
	s_waitcnt lgkmcnt(2)
	v_add_f64 v[2:3], v[6:7], v[2:3]
	ds_bpermute_b32 v6, v12, v2
	s_waitcnt lgkmcnt(1)
	v_add_f64 v[4:5], v[8:9], v[4:5]
	ds_bpermute_b32 v7, v12, v3
	ds_bpermute_b32 v8, v12, v4
	;; [unrolled: 1-line block ×3, first 2 shown]
	s_waitcnt lgkmcnt(2)
	v_add_f64 v[6:7], v[2:3], v[6:7]
	s_waitcnt lgkmcnt(0)
	v_add_f64 v[8:9], v[4:5], v[8:9]
.LBB168_24:
	s_or_b64 exec, exec, s[0:1]
	v_cmp_eq_u32_e32 vcc, 0, v0
                                        ; implicit-def: $vgpr4_vgpr5
                                        ; implicit-def: $sgpr14_sgpr15
	s_and_saveexec_b64 s[0:1], vcc
	s_cbranch_execz .LBB168_28
; %bb.25:
	v_cmp_neq_f64_e64 s[4:5], s[20:21], 0
	v_cmp_neq_f64_e64 s[8:9], s[22:23], 0
	s_waitcnt lgkmcnt(0)
	v_mul_f64 v[0:1], s[26:27], v[8:9]
	v_mul_f64 v[4:5], s[24:25], v[8:9]
	s_mul_i32 s14, s2, s33
	s_or_b64 s[2:3], s[4:5], s[8:9]
	v_fma_f64 v[2:3], s[24:25], v[6:7], -v[0:1]
	v_fmac_f64_e32 v[4:5], s[26:27], v[6:7]
	s_andn2_b64 vcc, exec, s[2:3]
	s_ashr_i32 s15, s14, 31
	s_cbranch_vccnz .LBB168_27
; %bb.26:
	s_lshl_b64 s[2:3], s[14:15], 4
	s_add_u32 s2, s30, s2
	s_addc_u32 s3, s31, s3
	s_load_dwordx4 s[8:11], s[2:3], 0x0
	s_waitcnt lgkmcnt(0)
	v_mov_b64_e32 v[0:1], s[10:11]
	v_mov_b64_e32 v[6:7], s[8:9]
	v_mul_f64 v[8:9], s[22:23], v[0:1]
	v_mul_f64 v[0:1], s[20:21], v[0:1]
	v_fma_f64 v[8:9], s[20:21], v[6:7], -v[8:9]
	v_fmac_f64_e32 v[0:1], s[22:23], v[6:7]
	v_add_f64 v[2:3], v[2:3], v[8:9]
	v_add_f64 v[4:5], v[4:5], v[0:1]
.LBB168_27:
	s_or_b64 s[6:7], s[6:7], exec
.LBB168_28:
	s_or_b64 exec, exec, s[0:1]
.LBB168_29:
	s_and_saveexec_b64 s[0:1], s[6:7]
	s_cbranch_execz .LBB168_31
; %bb.30:
	s_lshl_b64 s[0:1], s[14:15], 4
	s_add_u32 s0, s30, s0
	s_addc_u32 s1, s31, s1
	v_mov_b32_e32 v0, 0
	global_store_dwordx4 v0, v[2:5], s[0:1]
.LBB168_31:
	s_endpgm
	.section	.rodata,"a",@progbits
	.p2align	6, 0x0
	.amdhsa_kernel _ZL32rocblas_gemvt_warp_reduce_kernelILb0ELi256Ei19rocblas_complex_numIdEPKS1_S1_EviiT3_lPKT2_lT1_lS7_lS8_lS4_lPT4_lS8_li
		.amdhsa_group_segment_fixed_size 1024
		.amdhsa_private_segment_fixed_size 0
		.amdhsa_kernarg_size 140
		.amdhsa_user_sgpr_count 2
		.amdhsa_user_sgpr_dispatch_ptr 0
		.amdhsa_user_sgpr_queue_ptr 0
		.amdhsa_user_sgpr_kernarg_segment_ptr 1
		.amdhsa_user_sgpr_dispatch_id 0
		.amdhsa_user_sgpr_kernarg_preload_length 0
		.amdhsa_user_sgpr_kernarg_preload_offset 0
		.amdhsa_user_sgpr_private_segment_size 0
		.amdhsa_uses_dynamic_stack 0
		.amdhsa_enable_private_segment 0
		.amdhsa_system_sgpr_workgroup_id_x 1
		.amdhsa_system_sgpr_workgroup_id_y 0
		.amdhsa_system_sgpr_workgroup_id_z 1
		.amdhsa_system_sgpr_workgroup_info 0
		.amdhsa_system_vgpr_workitem_id 0
		.amdhsa_next_free_vgpr 22
		.amdhsa_next_free_sgpr 35
		.amdhsa_accum_offset 24
		.amdhsa_reserve_vcc 1
		.amdhsa_float_round_mode_32 0
		.amdhsa_float_round_mode_16_64 0
		.amdhsa_float_denorm_mode_32 3
		.amdhsa_float_denorm_mode_16_64 3
		.amdhsa_dx10_clamp 1
		.amdhsa_ieee_mode 1
		.amdhsa_fp16_overflow 0
		.amdhsa_tg_split 0
		.amdhsa_exception_fp_ieee_invalid_op 0
		.amdhsa_exception_fp_denorm_src 0
		.amdhsa_exception_fp_ieee_div_zero 0
		.amdhsa_exception_fp_ieee_overflow 0
		.amdhsa_exception_fp_ieee_underflow 0
		.amdhsa_exception_fp_ieee_inexact 0
		.amdhsa_exception_int_div_zero 0
	.end_amdhsa_kernel
	.section	.text._ZL32rocblas_gemvt_warp_reduce_kernelILb0ELi256Ei19rocblas_complex_numIdEPKS1_S1_EviiT3_lPKT2_lT1_lS7_lS8_lS4_lPT4_lS8_li,"axG",@progbits,_ZL32rocblas_gemvt_warp_reduce_kernelILb0ELi256Ei19rocblas_complex_numIdEPKS1_S1_EviiT3_lPKT2_lT1_lS7_lS8_lS4_lPT4_lS8_li,comdat
.Lfunc_end168:
	.size	_ZL32rocblas_gemvt_warp_reduce_kernelILb0ELi256Ei19rocblas_complex_numIdEPKS1_S1_EviiT3_lPKT2_lT1_lS7_lS8_lS4_lPT4_lS8_li, .Lfunc_end168-_ZL32rocblas_gemvt_warp_reduce_kernelILb0ELi256Ei19rocblas_complex_numIdEPKS1_S1_EviiT3_lPKT2_lT1_lS7_lS8_lS4_lPT4_lS8_li
                                        ; -- End function
	.section	.AMDGPU.csdata,"",@progbits
; Kernel info:
; codeLenInByte = 1932
; NumSgprs: 41
; NumVgprs: 22
; NumAgprs: 0
; TotalNumVgprs: 22
; ScratchSize: 0
; MemoryBound: 0
; FloatMode: 240
; IeeeMode: 1
; LDSByteSize: 1024 bytes/workgroup (compile time only)
; SGPRBlocks: 5
; VGPRBlocks: 2
; NumSGPRsForWavesPerEU: 41
; NumVGPRsForWavesPerEU: 22
; AccumOffset: 24
; Occupancy: 8
; WaveLimiterHint : 1
; COMPUTE_PGM_RSRC2:SCRATCH_EN: 0
; COMPUTE_PGM_RSRC2:USER_SGPR: 2
; COMPUTE_PGM_RSRC2:TRAP_HANDLER: 0
; COMPUTE_PGM_RSRC2:TGID_X_EN: 1
; COMPUTE_PGM_RSRC2:TGID_Y_EN: 0
; COMPUTE_PGM_RSRC2:TGID_Z_EN: 1
; COMPUTE_PGM_RSRC2:TIDIG_COMP_CNT: 0
; COMPUTE_PGM_RSRC3_GFX90A:ACCUM_OFFSET: 5
; COMPUTE_PGM_RSRC3_GFX90A:TG_SPLIT: 0
	.section	.text._ZL32rocblas_gemvt_warp_reduce_kernelILb0ELi256El19rocblas_complex_numIdEPKS1_S1_EviiT3_lPKT2_lT1_lS7_lS8_lS4_lPT4_lS8_li,"axG",@progbits,_ZL32rocblas_gemvt_warp_reduce_kernelILb0ELi256El19rocblas_complex_numIdEPKS1_S1_EviiT3_lPKT2_lT1_lS7_lS8_lS4_lPT4_lS8_li,comdat
	.globl	_ZL32rocblas_gemvt_warp_reduce_kernelILb0ELi256El19rocblas_complex_numIdEPKS1_S1_EviiT3_lPKT2_lT1_lS7_lS8_lS4_lPT4_lS8_li ; -- Begin function _ZL32rocblas_gemvt_warp_reduce_kernelILb0ELi256El19rocblas_complex_numIdEPKS1_S1_EviiT3_lPKT2_lT1_lS7_lS8_lS4_lPT4_lS8_li
	.p2align	8
	.type	_ZL32rocblas_gemvt_warp_reduce_kernelILb0ELi256El19rocblas_complex_numIdEPKS1_S1_EviiT3_lPKT2_lT1_lS7_lS8_lS4_lPT4_lS8_li,@function
_ZL32rocblas_gemvt_warp_reduce_kernelILb0ELi256El19rocblas_complex_numIdEPKS1_S1_EviiT3_lPKT2_lT1_lS7_lS8_lS4_lPT4_lS8_li: ; @_ZL32rocblas_gemvt_warp_reduce_kernelILb0ELi256El19rocblas_complex_numIdEPKS1_S1_EviiT3_lPKT2_lT1_lS7_lS8_lS4_lPT4_lS8_li
; %bb.0:
	s_load_dwordx16 s[36:51], s[0:1], 0x8
	s_load_dwordx16 s[8:23], s[0:1], 0x48
	s_waitcnt lgkmcnt(0)
	s_mul_i32 s4, s3, s39
	s_mul_hi_u32 s5, s3, s38
	s_add_i32 s5, s5, s4
	s_mul_i32 s4, s3, s38
	s_lshl_b64 s[4:5], s[4:5], 4
	s_add_u32 s4, s36, s4
	s_addc_u32 s5, s37, s5
	s_load_dwordx4 s[24:27], s[4:5], 0x0
	s_mul_i32 s4, s3, s15
	s_mul_hi_u32 s5, s3, s14
	s_add_i32 s5, s5, s4
	s_mul_i32 s4, s3, s14
	s_lshl_b64 s[4:5], s[4:5], 4
	s_add_u32 s4, s12, s4
	s_addc_u32 s5, s13, s5
	s_load_dwordx4 s[12:15], s[4:5], 0x0
	s_waitcnt lgkmcnt(0)
	v_cmp_neq_f64_e64 s[4:5], s[24:25], 0
	v_cmp_neq_f64_e64 s[6:7], s[26:27], 0
	s_or_b64 s[4:5], s[4:5], s[6:7]
	s_mov_b64 s[6:7], -1
	s_and_b64 vcc, exec, s[4:5]
	s_cbranch_vccnz .LBB169_2
; %bb.1:
	v_cmp_neq_f64_e64 s[6:7], s[12:13], 1.0
	v_cmp_neq_f64_e64 s[28:29], s[14:15], 0
	s_or_b64 s[6:7], s[6:7], s[28:29]
.LBB169_2:
	s_andn2_b64 vcc, exec, s[6:7]
	s_cbranch_vccnz .LBB169_31
; %bb.3:
	s_mul_i32 s6, s3, s23
	s_mul_hi_u32 s7, s3, s22
	s_add_i32 s7, s7, s6
	s_mul_i32 s6, s3, s22
	s_lshl_b64 s[6:7], s[6:7], 4
	s_xor_b64 s[4:5], s[4:5], -1
	s_add_u32 s16, s16, s6
	s_addc_u32 s17, s17, s7
	s_lshl_b64 s[6:7], s[18:19], 4
	s_add_u32 s33, s16, s6
	s_addc_u32 s34, s17, s7
	s_andn2_b64 vcc, exec, s[4:5]
	v_cmp_eq_u32_e64 s[4:5], 0, v0
	s_cbranch_vccnz .LBB169_8
; %bb.4:
	s_mov_b64 s[18:19], 0
	s_mov_b64 s[6:7], 0
                                        ; implicit-def: $vgpr4_vgpr5
                                        ; implicit-def: $sgpr16_sgpr17
	s_and_saveexec_b64 s[22:23], s[4:5]
	s_cbranch_execz .LBB169_9
; %bb.5:
	v_cmp_neq_f64_e64 s[4:5], s[12:13], 0
	v_cmp_neq_f64_e64 s[6:7], s[14:15], 0
	s_ashr_i32 s16, s2, 31
	s_mul_i32 s17, s2, s21
	s_mul_hi_u32 s28, s2, s20
	v_mov_b64_e32 v[4:5], 0
	s_add_i32 s17, s28, s17
	s_mul_i32 s16, s16, s20
	s_or_b64 s[4:5], s[4:5], s[6:7]
	s_add_i32 s17, s17, s16
	s_mul_i32 s16, s2, s20
	s_andn2_b64 vcc, exec, s[4:5]
	v_mov_b64_e32 v[2:3], v[4:5]
	s_cbranch_vccnz .LBB169_7
; %bb.6:
	s_lshl_b64 s[4:5], s[16:17], 4
	s_add_u32 s4, s33, s4
	s_addc_u32 s5, s34, s5
	s_load_dwordx4 s[4:7], s[4:5], 0x0
	s_waitcnt lgkmcnt(0)
	v_mov_b64_e32 v[2:3], s[6:7]
	v_mov_b64_e32 v[6:7], s[4:5]
	v_mul_f64 v[8:9], s[14:15], v[2:3]
	v_mul_f64 v[4:5], s[12:13], v[2:3]
	v_fma_f64 v[2:3], s[12:13], v[6:7], -v[8:9]
	v_fmac_f64_e32 v[4:5], s[14:15], v[6:7]
.LBB169_7:
	s_mov_b64 s[6:7], exec
	s_or_b64 exec, exec, s[22:23]
	s_and_b64 vcc, exec, s[18:19]
	s_cbranch_vccnz .LBB169_10
	s_branch .LBB169_29
.LBB169_8:
	s_mov_b64 s[6:7], 0
                                        ; implicit-def: $vgpr4_vgpr5
                                        ; implicit-def: $sgpr16_sgpr17
	s_cbranch_execnz .LBB169_10
	s_branch .LBB169_29
.LBB169_9:
	s_or_b64 exec, exec, s[22:23]
	s_and_b64 vcc, exec, s[18:19]
	s_cbranch_vccz .LBB169_29
.LBB169_10:
	s_mul_i32 s4, s3, s11
	s_load_dword s11, s[0:1], 0x0
	s_mul_hi_u32 s5, s3, s10
	s_mul_i32 s0, s3, s47
	s_mul_hi_u32 s1, s3, s46
	s_add_i32 s5, s5, s4
	s_mul_i32 s4, s3, s10
	s_add_i32 s1, s1, s0
	s_mul_i32 s0, s3, s46
	s_ashr_i32 s3, s2, 31
	s_mul_i32 s10, s2, s45
	s_mul_hi_u32 s16, s2, s44
	s_add_i32 s10, s16, s10
	s_mul_i32 s16, s3, s44
	s_add_i32 s17, s10, s16
	s_waitcnt lgkmcnt(0)
	s_ashr_i32 s10, s11, 31
	s_lshr_b32 s10, s10, 24
	v_cmp_gt_i32_e32 vcc, s11, v0
	s_add_i32 s10, s11, s10
	s_and_b32 s10, s10, 0xffffff00
	v_cndmask_b32_e32 v1, 0, v0, vcc
	v_mov_b64_e32 v[2:3], 0
	v_mov_b32_e32 v7, 0
	s_mul_i32 s16, s2, s44
	v_cmp_gt_i32_e32 vcc, s10, v0
	v_lshlrev_b32_e32 v6, 4, v1
	v_mov_b64_e32 v[4:5], v[2:3]
	s_and_saveexec_b64 s[18:19], vcc
	s_cbranch_execz .LBB169_14
; %bb.11:
	v_mad_u64_u32 v[2:3], s[28:29], s8, v0, 0
	v_mov_b32_e32 v4, v3
	v_mad_u64_u32 v[4:5], s[28:29], s9, v0, v[4:5]
	s_lshl_b64 s[22:23], s[4:5], 4
	s_lshl_b64 s[28:29], s[50:51], 4
	s_add_u32 s28, s48, s28
	s_addc_u32 s29, s49, s29
	s_add_u32 s22, s28, s22
	v_mov_b32_e32 v3, v4
	s_addc_u32 s23, s29, s23
	v_lshl_add_u64 v[2:3], v[2:3], 4, s[22:23]
	s_lshl_b64 s[22:23], s[8:9], 12
	s_lshl_b64 s[28:29], s[16:17], 4
	;; [unrolled: 1-line block ×3, first 2 shown]
	s_add_u32 s30, s28, s30
	s_addc_u32 s31, s29, s31
	s_lshl_b64 s[28:29], s[42:43], 4
	s_add_u32 s28, s30, s28
	s_addc_u32 s29, s31, s29
	s_add_u32 s28, s40, s28
	s_addc_u32 s29, s41, s29
	v_lshl_add_u64 v[8:9], v[2:3], 0, 8
	v_lshl_add_u64 v[2:3], s[28:29], 0, v[6:7]
	;; [unrolled: 1-line block ×3, first 2 shown]
	v_mov_b64_e32 v[2:3], 0
	s_mov_b64 s[28:29], 0
	s_mov_b64 s[30:31], 0x1000
	v_mov_b32_e32 v1, v0
	v_mov_b64_e32 v[4:5], v[2:3]
.LBB169_12:                             ; =>This Inner Loop Header: Depth=1
	global_load_dwordx4 v[12:15], v[10:11], off offset:-8
	global_load_dwordx4 v[16:19], v[8:9], off offset:-8
	v_add_u32_e32 v1, 0x100, v1
	v_cmp_le_i32_e32 vcc, s10, v1
	v_lshl_add_u64 v[8:9], v[8:9], 0, s[22:23]
	v_lshl_add_u64 v[10:11], v[10:11], 0, s[30:31]
	s_or_b64 s[28:29], vcc, s[28:29]
	s_waitcnt vmcnt(0)
	v_mul_f64 v[20:21], v[14:15], v[18:19]
	v_mul_f64 v[18:19], v[12:13], v[18:19]
	v_fma_f64 v[12:13], v[12:13], v[16:17], -v[20:21]
	v_fmac_f64_e32 v[18:19], v[14:15], v[16:17]
	v_add_f64 v[4:5], v[4:5], v[12:13]
	v_add_f64 v[2:3], v[2:3], v[18:19]
	s_andn2_b64 exec, exec, s[28:29]
	s_cbranch_execnz .LBB169_12
; %bb.13:
	s_or_b64 exec, exec, s[28:29]
.LBB169_14:
	s_or_b64 exec, exec, s[18:19]
	v_add_u32_e32 v1, s10, v0
	v_cmp_gt_i32_e32 vcc, s11, v1
	s_and_saveexec_b64 s[18:19], vcc
	s_cbranch_execz .LBB169_16
; %bb.15:
	s_lshl_b64 s[0:1], s[0:1], 4
	s_add_u32 s11, s40, s0
	s_addc_u32 s22, s41, s1
	s_lshl_b64 s[0:1], s[42:43], 4
	s_add_u32 s23, s11, s0
	s_addc_u32 s22, s22, s1
	s_lshl_b64 s[0:1], s[16:17], 4
	s_lshl_b64 s[4:5], s[4:5], 4
	s_add_u32 s11, s48, s4
	s_addc_u32 s16, s49, s5
	s_lshl_b64 s[4:5], s[50:51], 4
	s_add_u32 s4, s11, s4
	s_addc_u32 s5, s16, s5
	s_ashr_i32 s11, s10, 31
	s_lshl_b64 s[10:11], s[10:11], 4
	v_ashrrev_i32_e32 v7, 31, v1
	s_add_u32 s0, s10, s0
	v_mul_lo_u32 v10, v1, s9
	v_mul_lo_u32 v7, v7, s8
	v_mad_u64_u32 v[8:9], s[8:9], v1, s8, 0
	s_addc_u32 s1, s11, s1
	v_add3_u32 v9, v9, v10, v7
	s_add_u32 s0, s0, s23
	v_lshl_add_u64 v[16:17], v[8:9], 4, s[4:5]
	s_addc_u32 s1, s1, s22
	global_load_dwordx4 v[8:11], v[16:17], off
	global_load_dwordx4 v[12:15], v6, s[0:1]
	s_waitcnt vmcnt(0)
	v_mul_f64 v[6:7], v[14:15], v[10:11]
	v_mul_f64 v[10:11], v[12:13], v[10:11]
	v_fma_f64 v[6:7], v[12:13], v[8:9], -v[6:7]
	v_fmac_f64_e32 v[10:11], v[14:15], v[8:9]
	v_add_f64 v[4:5], v[4:5], v[6:7]
	v_add_f64 v[2:3], v[2:3], v[10:11]
.LBB169_16:
	s_or_b64 exec, exec, s[18:19]
	v_and_b32_e32 v10, 63, v0
	v_cmp_gt_u32_e32 vcc, 64, v0
	v_lshlrev_b32_e32 v1, 4, v10
	s_and_saveexec_b64 s[0:1], vcc
	s_cbranch_execz .LBB169_18
; %bb.17:
	v_mov_b32_e32 v6, 0
	v_mov_b32_e32 v7, v6
	;; [unrolled: 1-line block ×4, first 2 shown]
	ds_write_b128 v1, v[6:9]
.LBB169_18:
	s_or_b64 exec, exec, s[0:1]
	v_mbcnt_lo_u32_b32 v6, -1, 0
	v_mbcnt_hi_u32_b32 v12, -1, v6
	v_and_b32_e32 v13, 63, v12
	v_cmp_gt_u32_e64 s[0:1], 32, v13
	s_waitcnt lgkmcnt(0)
	s_barrier
	v_cndmask_b32_e64 v6, 0, 1, s[0:1]
	v_lshlrev_b32_e32 v6, 5, v6
	v_add_lshl_u32 v9, v6, v12, 2
	ds_bpermute_b32 v6, v9, v4
	ds_bpermute_b32 v7, v9, v5
	ds_bpermute_b32 v8, v9, v2
	ds_bpermute_b32 v9, v9, v3
	v_cmp_gt_u32_e64 s[0:1], 48, v13
	s_waitcnt lgkmcnt(0)
	v_add_f64 v[4:5], v[4:5], v[6:7]
	v_cndmask_b32_e64 v6, 0, 1, s[0:1]
	v_lshlrev_b32_e32 v6, 4, v6
	v_add_f64 v[2:3], v[2:3], v[8:9]
	v_add_lshl_u32 v9, v6, v12, 2
	ds_bpermute_b32 v6, v9, v4
	ds_bpermute_b32 v7, v9, v5
	;; [unrolled: 1-line block ×4, first 2 shown]
	v_cmp_gt_u32_e64 s[0:1], 56, v13
	s_waitcnt lgkmcnt(2)
	v_add_f64 v[4:5], v[4:5], v[6:7]
	v_cndmask_b32_e64 v6, 0, 1, s[0:1]
	v_lshlrev_b32_e32 v6, 3, v6
	s_waitcnt lgkmcnt(0)
	v_add_f64 v[2:3], v[2:3], v[8:9]
	v_add_lshl_u32 v9, v6, v12, 2
	ds_bpermute_b32 v6, v9, v4
	ds_bpermute_b32 v7, v9, v5
	;; [unrolled: 1-line block ×4, first 2 shown]
	v_cmp_gt_u32_e64 s[0:1], 60, v13
	s_waitcnt lgkmcnt(2)
	v_add_f64 v[4:5], v[4:5], v[6:7]
	v_cndmask_b32_e64 v6, 0, 1, s[0:1]
	v_lshlrev_b32_e32 v6, 2, v6
	s_waitcnt lgkmcnt(0)
	v_add_f64 v[2:3], v[2:3], v[8:9]
	v_add_lshl_u32 v9, v6, v12, 2
	ds_bpermute_b32 v6, v9, v4
	ds_bpermute_b32 v7, v9, v5
	;; [unrolled: 1-line block ×4, first 2 shown]
	v_cmp_gt_u32_e64 s[0:1], 62, v13
	s_waitcnt lgkmcnt(2)
	v_add_f64 v[4:5], v[4:5], v[6:7]
	s_waitcnt lgkmcnt(0)
	v_add_f64 v[6:7], v[2:3], v[8:9]
	v_cndmask_b32_e64 v2, 0, 1, s[0:1]
	v_lshlrev_b32_e32 v2, 1, v2
	v_add_lshl_u32 v11, v2, v12, 2
	ds_bpermute_b32 v2, v11, v4
	ds_bpermute_b32 v3, v11, v5
	;; [unrolled: 1-line block ×4, first 2 shown]
	v_cmp_ne_u32_e64 s[0:1], 63, v13
	s_waitcnt lgkmcnt(2)
	v_add_f64 v[2:3], v[4:5], v[2:3]
	v_addc_co_u32_e64 v4, s[0:1], 0, v12, s[0:1]
	s_waitcnt lgkmcnt(0)
	v_add_f64 v[6:7], v[6:7], v[8:9]
	v_lshlrev_b32_e32 v12, 2, v4
	ds_bpermute_b32 v4, v12, v2
	ds_bpermute_b32 v5, v12, v3
	;; [unrolled: 1-line block ×4, first 2 shown]
	v_cmp_eq_u32_e64 s[0:1], 0, v10
	s_and_saveexec_b64 s[4:5], s[0:1]
	s_cbranch_execz .LBB169_20
; %bb.19:
	v_lshrrev_b32_e32 v10, 2, v0
	v_and_b32_e32 v10, 48, v10
	s_waitcnt lgkmcnt(0)
	v_add_f64 v[6:7], v[6:7], v[8:9]
	v_add_f64 v[4:5], v[2:3], v[4:5]
	ds_write_b128 v10, v[4:7]
.LBB169_20:
	s_or_b64 exec, exec, s[4:5]
	s_waitcnt lgkmcnt(0)
	v_mov_b64_e32 v[8:9], 0
	v_cmp_gt_u32_e64 s[0:1], 4, v0
	v_mov_b64_e32 v[6:7], v[8:9]
	s_barrier
	s_and_saveexec_b64 s[4:5], s[0:1]
	s_cbranch_execz .LBB169_22
; %bb.21:
	ds_read_b128 v[6:9], v1
	s_or_b64 exec, exec, s[4:5]
	s_and_saveexec_b64 s[0:1], vcc
	s_cbranch_execz .LBB169_24
	s_branch .LBB169_23
.LBB169_22:
	s_or_b64 exec, exec, s[4:5]
	s_and_saveexec_b64 s[0:1], vcc
	s_cbranch_execz .LBB169_24
.LBB169_23:
	s_waitcnt lgkmcnt(0)
	ds_bpermute_b32 v2, v11, v6
	ds_bpermute_b32 v3, v11, v7
	;; [unrolled: 1-line block ×4, first 2 shown]
	s_waitcnt lgkmcnt(2)
	v_add_f64 v[2:3], v[6:7], v[2:3]
	ds_bpermute_b32 v6, v12, v2
	s_waitcnt lgkmcnt(1)
	v_add_f64 v[4:5], v[8:9], v[4:5]
	ds_bpermute_b32 v7, v12, v3
	ds_bpermute_b32 v8, v12, v4
	;; [unrolled: 1-line block ×3, first 2 shown]
	s_waitcnt lgkmcnt(2)
	v_add_f64 v[6:7], v[2:3], v[6:7]
	s_waitcnt lgkmcnt(0)
	v_add_f64 v[8:9], v[4:5], v[8:9]
.LBB169_24:
	s_or_b64 exec, exec, s[0:1]
	v_cmp_eq_u32_e32 vcc, 0, v0
                                        ; implicit-def: $vgpr4_vgpr5
                                        ; implicit-def: $sgpr16_sgpr17
	s_and_saveexec_b64 s[0:1], vcc
	s_cbranch_execz .LBB169_28
; %bb.25:
	v_cmp_neq_f64_e64 s[4:5], s[12:13], 0
	v_cmp_neq_f64_e64 s[8:9], s[14:15], 0
	s_mul_i32 s10, s2, s21
	s_mul_hi_u32 s11, s2, s20
	s_waitcnt lgkmcnt(0)
	v_mul_f64 v[0:1], s[26:27], v[8:9]
	v_mul_f64 v[4:5], s[24:25], v[8:9]
	s_add_i32 s10, s11, s10
	s_mul_i32 s3, s3, s20
	s_or_b64 s[4:5], s[4:5], s[8:9]
	v_fma_f64 v[2:3], s[24:25], v[6:7], -v[0:1]
	v_fmac_f64_e32 v[4:5], s[26:27], v[6:7]
	s_add_i32 s17, s10, s3
	s_andn2_b64 vcc, exec, s[4:5]
	s_mul_i32 s16, s2, s20
	s_cbranch_vccnz .LBB169_27
; %bb.26:
	s_lshl_b64 s[2:3], s[16:17], 4
	s_add_u32 s2, s33, s2
	s_addc_u32 s3, s34, s3
	s_load_dwordx4 s[8:11], s[2:3], 0x0
	s_waitcnt lgkmcnt(0)
	v_mov_b64_e32 v[0:1], s[10:11]
	v_mov_b64_e32 v[6:7], s[8:9]
	v_mul_f64 v[8:9], s[14:15], v[0:1]
	v_mul_f64 v[0:1], s[12:13], v[0:1]
	v_fma_f64 v[8:9], s[12:13], v[6:7], -v[8:9]
	v_fmac_f64_e32 v[0:1], s[14:15], v[6:7]
	v_add_f64 v[2:3], v[2:3], v[8:9]
	v_add_f64 v[4:5], v[4:5], v[0:1]
.LBB169_27:
	s_or_b64 s[6:7], s[6:7], exec
.LBB169_28:
	s_or_b64 exec, exec, s[0:1]
.LBB169_29:
	s_and_saveexec_b64 s[0:1], s[6:7]
	s_cbranch_execz .LBB169_31
; %bb.30:
	s_lshl_b64 s[0:1], s[16:17], 4
	s_add_u32 s0, s33, s0
	s_addc_u32 s1, s34, s1
	v_mov_b32_e32 v0, 0
	global_store_dwordx4 v0, v[2:5], s[0:1]
.LBB169_31:
	s_endpgm
	.section	.rodata,"a",@progbits
	.p2align	6, 0x0
	.amdhsa_kernel _ZL32rocblas_gemvt_warp_reduce_kernelILb0ELi256El19rocblas_complex_numIdEPKS1_S1_EviiT3_lPKT2_lT1_lS7_lS8_lS4_lPT4_lS8_li
		.amdhsa_group_segment_fixed_size 1024
		.amdhsa_private_segment_fixed_size 0
		.amdhsa_kernarg_size 140
		.amdhsa_user_sgpr_count 2
		.amdhsa_user_sgpr_dispatch_ptr 0
		.amdhsa_user_sgpr_queue_ptr 0
		.amdhsa_user_sgpr_kernarg_segment_ptr 1
		.amdhsa_user_sgpr_dispatch_id 0
		.amdhsa_user_sgpr_kernarg_preload_length 0
		.amdhsa_user_sgpr_kernarg_preload_offset 0
		.amdhsa_user_sgpr_private_segment_size 0
		.amdhsa_uses_dynamic_stack 0
		.amdhsa_enable_private_segment 0
		.amdhsa_system_sgpr_workgroup_id_x 1
		.amdhsa_system_sgpr_workgroup_id_y 0
		.amdhsa_system_sgpr_workgroup_id_z 1
		.amdhsa_system_sgpr_workgroup_info 0
		.amdhsa_system_vgpr_workitem_id 0
		.amdhsa_next_free_vgpr 22
		.amdhsa_next_free_sgpr 52
		.amdhsa_accum_offset 24
		.amdhsa_reserve_vcc 1
		.amdhsa_float_round_mode_32 0
		.amdhsa_float_round_mode_16_64 0
		.amdhsa_float_denorm_mode_32 3
		.amdhsa_float_denorm_mode_16_64 3
		.amdhsa_dx10_clamp 1
		.amdhsa_ieee_mode 1
		.amdhsa_fp16_overflow 0
		.amdhsa_tg_split 0
		.amdhsa_exception_fp_ieee_invalid_op 0
		.amdhsa_exception_fp_denorm_src 0
		.amdhsa_exception_fp_ieee_div_zero 0
		.amdhsa_exception_fp_ieee_overflow 0
		.amdhsa_exception_fp_ieee_underflow 0
		.amdhsa_exception_fp_ieee_inexact 0
		.amdhsa_exception_int_div_zero 0
	.end_amdhsa_kernel
	.section	.text._ZL32rocblas_gemvt_warp_reduce_kernelILb0ELi256El19rocblas_complex_numIdEPKS1_S1_EviiT3_lPKT2_lT1_lS7_lS8_lS4_lPT4_lS8_li,"axG",@progbits,_ZL32rocblas_gemvt_warp_reduce_kernelILb0ELi256El19rocblas_complex_numIdEPKS1_S1_EviiT3_lPKT2_lT1_lS7_lS8_lS4_lPT4_lS8_li,comdat
.Lfunc_end169:
	.size	_ZL32rocblas_gemvt_warp_reduce_kernelILb0ELi256El19rocblas_complex_numIdEPKS1_S1_EviiT3_lPKT2_lT1_lS7_lS8_lS4_lPT4_lS8_li, .Lfunc_end169-_ZL32rocblas_gemvt_warp_reduce_kernelILb0ELi256El19rocblas_complex_numIdEPKS1_S1_EviiT3_lPKT2_lT1_lS7_lS8_lS4_lPT4_lS8_li
                                        ; -- End function
	.section	.AMDGPU.csdata,"",@progbits
; Kernel info:
; codeLenInByte = 1992
; NumSgprs: 58
; NumVgprs: 22
; NumAgprs: 0
; TotalNumVgprs: 22
; ScratchSize: 0
; MemoryBound: 0
; FloatMode: 240
; IeeeMode: 1
; LDSByteSize: 1024 bytes/workgroup (compile time only)
; SGPRBlocks: 7
; VGPRBlocks: 2
; NumSGPRsForWavesPerEU: 58
; NumVGPRsForWavesPerEU: 22
; AccumOffset: 24
; Occupancy: 8
; WaveLimiterHint : 0
; COMPUTE_PGM_RSRC2:SCRATCH_EN: 0
; COMPUTE_PGM_RSRC2:USER_SGPR: 2
; COMPUTE_PGM_RSRC2:TRAP_HANDLER: 0
; COMPUTE_PGM_RSRC2:TGID_X_EN: 1
; COMPUTE_PGM_RSRC2:TGID_Y_EN: 0
; COMPUTE_PGM_RSRC2:TGID_Z_EN: 1
; COMPUTE_PGM_RSRC2:TIDIG_COMP_CNT: 0
; COMPUTE_PGM_RSRC3_GFX90A:ACCUM_OFFSET: 5
; COMPUTE_PGM_RSRC3_GFX90A:TG_SPLIT: 0
	.section	.text._ZL32rocblas_gemvt_warp_reduce_kernelILb0ELi256Ei19rocblas_complex_numIdES1_S1_EviiT3_lPKT2_lT1_lS5_lS6_lS2_lPT4_lS6_li,"axG",@progbits,_ZL32rocblas_gemvt_warp_reduce_kernelILb0ELi256Ei19rocblas_complex_numIdES1_S1_EviiT3_lPKT2_lT1_lS5_lS6_lS2_lPT4_lS6_li,comdat
	.globl	_ZL32rocblas_gemvt_warp_reduce_kernelILb0ELi256Ei19rocblas_complex_numIdES1_S1_EviiT3_lPKT2_lT1_lS5_lS6_lS2_lPT4_lS6_li ; -- Begin function _ZL32rocblas_gemvt_warp_reduce_kernelILb0ELi256Ei19rocblas_complex_numIdES1_S1_EviiT3_lPKT2_lT1_lS5_lS6_lS2_lPT4_lS6_li
	.p2align	8
	.type	_ZL32rocblas_gemvt_warp_reduce_kernelILb0ELi256Ei19rocblas_complex_numIdES1_S1_EviiT3_lPKT2_lT1_lS5_lS6_lS2_lPT4_lS6_li,@function
_ZL32rocblas_gemvt_warp_reduce_kernelILb0ELi256Ei19rocblas_complex_numIdES1_S1_EviiT3_lPKT2_lT1_lS5_lS6_lS2_lPT4_lS6_li: ; @_ZL32rocblas_gemvt_warp_reduce_kernelILb0ELi256Ei19rocblas_complex_numIdES1_S1_EviiT3_lPKT2_lT1_lS5_lS6_lS2_lPT4_lS6_li
; %bb.0:
	s_load_dwordx4 s[12:15], s[0:1], 0x8
	s_load_dwordx4 s[8:11], s[0:1], 0x58
	s_load_dwordx2 s[16:17], s[0:1], 0x68
	s_waitcnt lgkmcnt(0)
	v_cmp_neq_f64_e64 s[4:5], s[12:13], 0
	v_cmp_neq_f64_e64 s[6:7], s[14:15], 0
	s_or_b64 s[4:5], s[4:5], s[6:7]
	s_mov_b64 s[6:7], -1
	s_and_b64 vcc, exec, s[4:5]
	s_cbranch_vccnz .LBB170_2
; %bb.1:
	v_cmp_neq_f64_e64 s[6:7], s[10:11], 1.0
	v_cmp_neq_f64_e64 s[18:19], s[16:17], 0
	s_or_b64 s[6:7], s[6:7], s[18:19]
.LBB170_2:
	s_andn2_b64 vcc, exec, s[6:7]
	s_cbranch_vccnz .LBB170_31
; %bb.3:
	s_load_dwordx2 s[6:7], s[0:1], 0x90
	s_load_dwordx4 s[20:23], s[0:1], 0x78
	s_load_dword s33, s[0:1], 0x88
	s_xor_b64 s[4:5], s[4:5], -1
	s_waitcnt lgkmcnt(0)
	s_mul_i32 s7, s3, s7
	s_mul_hi_u32 s18, s3, s6
	s_mul_i32 s6, s3, s6
	s_add_i32 s7, s18, s7
	s_lshl_b64 s[6:7], s[6:7], 4
	s_add_u32 s18, s20, s6
	s_addc_u32 s19, s21, s7
	s_lshl_b64 s[6:7], s[22:23], 4
	s_add_u32 s30, s18, s6
	s_addc_u32 s31, s19, s7
	s_andn2_b64 vcc, exec, s[4:5]
	v_cmp_eq_u32_e64 s[4:5], 0, v0
	s_cbranch_vccnz .LBB170_8
; %bb.4:
	s_mov_b64 s[20:21], 0
	s_mov_b64 s[18:19], 0
                                        ; implicit-def: $vgpr4_vgpr5
                                        ; implicit-def: $sgpr6_sgpr7
	s_and_saveexec_b64 s[22:23], s[4:5]
	s_cbranch_execz .LBB170_9
; %bb.5:
	v_cmp_neq_f64_e64 s[4:5], s[10:11], 0
	v_cmp_neq_f64_e64 s[18:19], s[16:17], 0
	v_mov_b64_e32 v[4:5], 0
	s_mul_i32 s6, s2, s33
	s_or_b64 s[4:5], s[4:5], s[18:19]
	s_ashr_i32 s7, s6, 31
	s_andn2_b64 vcc, exec, s[4:5]
	v_mov_b64_e32 v[2:3], v[4:5]
	s_cbranch_vccnz .LBB170_7
; %bb.6:
	s_lshl_b64 s[4:5], s[6:7], 4
	s_add_u32 s4, s30, s4
	s_addc_u32 s5, s31, s5
	s_load_dwordx4 s[24:27], s[4:5], 0x0
	s_waitcnt lgkmcnt(0)
	v_mov_b64_e32 v[2:3], s[26:27]
	v_mov_b64_e32 v[6:7], s[24:25]
	v_mul_f64 v[8:9], s[16:17], v[2:3]
	v_mul_f64 v[4:5], s[10:11], v[2:3]
	v_fma_f64 v[2:3], s[10:11], v[6:7], -v[8:9]
	v_fmac_f64_e32 v[4:5], s[16:17], v[6:7]
.LBB170_7:
	s_mov_b64 s[18:19], exec
	s_or_b64 exec, exec, s[22:23]
	s_and_b64 vcc, exec, s[20:21]
	s_cbranch_vccnz .LBB170_10
	s_branch .LBB170_29
.LBB170_8:
	s_mov_b64 s[18:19], 0
                                        ; implicit-def: $vgpr4_vgpr5
                                        ; implicit-def: $sgpr6_sgpr7
	s_cbranch_execnz .LBB170_10
	s_branch .LBB170_29
.LBB170_9:
	s_or_b64 exec, exec, s[22:23]
	s_and_b64 vcc, exec, s[20:21]
	s_cbranch_vccz .LBB170_29
.LBB170_10:
	s_load_dword s23, s[0:1], 0x0
	s_load_dwordx4 s[4:7], s[0:1], 0x20
	s_load_dword s22, s[0:1], 0x30
	s_load_dwordx4 s[24:27], s[0:1], 0x38
	s_load_dwordx2 s[20:21], s[0:1], 0x48
	s_mul_i32 s9, s3, s9
	s_mul_hi_u32 s28, s3, s8
	s_add_i32 s9, s28, s9
	s_mul_i32 s8, s3, s8
	s_lshl_b64 s[8:9], s[8:9], 4
	s_waitcnt lgkmcnt(0)
	s_add_u32 s26, s26, s8
	s_addc_u32 s27, s27, s9
	s_lshl_b64 s[8:9], s[20:21], 4
	s_add_u32 s8, s26, s8
	s_load_dword s34, s[0:1], 0x50
	s_mul_i32 s0, s3, s25
	s_mul_hi_u32 s1, s3, s24
	s_addc_u32 s9, s27, s9
	s_add_i32 s1, s1, s0
	s_mul_i32 s0, s3, s24
	s_ashr_i32 s3, s23, 31
	s_lshr_b32 s3, s3, 24
	v_cmp_gt_i32_e32 vcc, s23, v0
	s_add_i32 s3, s23, s3
	s_mul_i32 s20, s2, s22
	v_cndmask_b32_e32 v1, 0, v0, vcc
	s_and_b32 s22, s3, 0xffffff00
	v_mov_b64_e32 v[2:3], 0
	v_mov_b32_e32 v7, 0
	s_ashr_i32 s21, s20, 31
	v_cmp_gt_i32_e32 vcc, s22, v0
	v_lshlrev_b32_e32 v6, 4, v1
	v_mov_b64_e32 v[4:5], v[2:3]
	s_and_saveexec_b64 s[24:25], vcc
	s_cbranch_execz .LBB170_14
; %bb.11:
	s_lshl_b64 s[26:27], s[0:1], 4
	s_lshl_b64 s[28:29], s[6:7], 4
	s_add_u32 s3, s26, s28
	s_addc_u32 s28, s27, s29
	s_lshl_b64 s[26:27], s[20:21], 4
	s_add_u32 s3, s3, s26
	s_addc_u32 s27, s28, s27
	s_add_u32 s26, s4, s3
	s_addc_u32 s27, s5, s27
	v_lshl_add_u64 v[2:3], s[26:27], 0, v[6:7]
	v_lshl_add_u64 v[8:9], v[2:3], 0, 8
	v_mov_b64_e32 v[2:3], 0
	s_waitcnt lgkmcnt(0)
	v_mul_lo_u32 v10, v0, s34
	s_lshl_b32 s3, s34, 8
	s_mov_b64 s[26:27], 0
	s_mov_b64 s[28:29], 0x1000
	v_mov_b32_e32 v1, v0
	v_mov_b64_e32 v[4:5], v[2:3]
.LBB170_12:                             ; =>This Inner Loop Header: Depth=1
	v_ashrrev_i32_e32 v11, 31, v10
	v_lshl_add_u64 v[16:17], v[10:11], 4, s[8:9]
	global_load_dwordx4 v[12:15], v[8:9], off offset:-8
	v_add_u32_e32 v1, 0x100, v1
	global_load_dwordx4 v[16:19], v[16:17], off
	v_cmp_le_i32_e32 vcc, s22, v1
	v_lshl_add_u64 v[8:9], v[8:9], 0, s[28:29]
	v_add_u32_e32 v10, s3, v10
	s_or_b64 s[26:27], vcc, s[26:27]
	s_waitcnt vmcnt(0)
	v_mul_f64 v[20:21], v[14:15], v[18:19]
	v_mul_f64 v[18:19], v[12:13], v[18:19]
	v_fma_f64 v[12:13], v[12:13], v[16:17], -v[20:21]
	v_fmac_f64_e32 v[18:19], v[14:15], v[16:17]
	v_add_f64 v[4:5], v[4:5], v[12:13]
	v_add_f64 v[2:3], v[2:3], v[18:19]
	s_andn2_b64 exec, exec, s[26:27]
	s_cbranch_execnz .LBB170_12
; %bb.13:
	s_or_b64 exec, exec, s[26:27]
.LBB170_14:
	s_or_b64 exec, exec, s[24:25]
	v_add_u32_e32 v1, s22, v0
	v_cmp_gt_i32_e32 vcc, s23, v1
	s_and_saveexec_b64 s[24:25], vcc
	s_cbranch_execz .LBB170_16
; %bb.15:
	s_lshl_b64 s[0:1], s[0:1], 4
	s_add_u32 s3, s4, s0
	s_addc_u32 s4, s5, s1
	s_lshl_b64 s[0:1], s[6:7], 4
	s_add_u32 s3, s3, s0
	s_addc_u32 s6, s4, s1
	s_ashr_i32 s23, s22, 31
	s_lshl_b64 s[0:1], s[20:21], 4
	s_lshl_b64 s[4:5], s[22:23], 4
	s_add_u32 s0, s4, s0
	s_waitcnt lgkmcnt(0)
	v_mul_lo_u32 v8, v1, s34
	s_addc_u32 s1, s5, s1
	v_ashrrev_i32_e32 v9, 31, v8
	s_add_u32 s0, s0, s3
	v_lshl_add_u64 v[16:17], v[8:9], 4, s[8:9]
	s_addc_u32 s1, s1, s6
	global_load_dwordx4 v[8:11], v[16:17], off
	global_load_dwordx4 v[12:15], v6, s[0:1]
	s_waitcnt vmcnt(0)
	v_mul_f64 v[6:7], v[14:15], v[10:11]
	v_mul_f64 v[10:11], v[12:13], v[10:11]
	v_fma_f64 v[6:7], v[12:13], v[8:9], -v[6:7]
	v_fmac_f64_e32 v[10:11], v[14:15], v[8:9]
	v_add_f64 v[4:5], v[4:5], v[6:7]
	v_add_f64 v[2:3], v[2:3], v[10:11]
.LBB170_16:
	s_or_b64 exec, exec, s[24:25]
	v_and_b32_e32 v10, 63, v0
	v_cmp_gt_u32_e32 vcc, 64, v0
	v_lshlrev_b32_e32 v1, 4, v10
	s_and_saveexec_b64 s[0:1], vcc
	s_cbranch_execz .LBB170_18
; %bb.17:
	v_mov_b32_e32 v6, 0
	v_mov_b32_e32 v7, v6
	v_mov_b32_e32 v8, v6
	v_mov_b32_e32 v9, v6
	ds_write_b128 v1, v[6:9]
.LBB170_18:
	s_or_b64 exec, exec, s[0:1]
	v_mbcnt_lo_u32_b32 v6, -1, 0
	v_mbcnt_hi_u32_b32 v12, -1, v6
	v_and_b32_e32 v13, 63, v12
	v_cmp_gt_u32_e64 s[0:1], 32, v13
	s_waitcnt lgkmcnt(0)
	s_barrier
	v_cndmask_b32_e64 v6, 0, 1, s[0:1]
	v_lshlrev_b32_e32 v6, 5, v6
	v_add_lshl_u32 v9, v6, v12, 2
	ds_bpermute_b32 v6, v9, v4
	ds_bpermute_b32 v7, v9, v5
	;; [unrolled: 1-line block ×4, first 2 shown]
	v_cmp_gt_u32_e64 s[0:1], 48, v13
	s_waitcnt lgkmcnt(0)
	v_add_f64 v[4:5], v[4:5], v[6:7]
	v_cndmask_b32_e64 v6, 0, 1, s[0:1]
	v_lshlrev_b32_e32 v6, 4, v6
	v_add_f64 v[2:3], v[2:3], v[8:9]
	v_add_lshl_u32 v9, v6, v12, 2
	ds_bpermute_b32 v6, v9, v4
	ds_bpermute_b32 v7, v9, v5
	ds_bpermute_b32 v8, v9, v2
	ds_bpermute_b32 v9, v9, v3
	v_cmp_gt_u32_e64 s[0:1], 56, v13
	s_waitcnt lgkmcnt(2)
	v_add_f64 v[4:5], v[4:5], v[6:7]
	v_cndmask_b32_e64 v6, 0, 1, s[0:1]
	v_lshlrev_b32_e32 v6, 3, v6
	s_waitcnt lgkmcnt(0)
	v_add_f64 v[2:3], v[2:3], v[8:9]
	v_add_lshl_u32 v9, v6, v12, 2
	ds_bpermute_b32 v6, v9, v4
	ds_bpermute_b32 v7, v9, v5
	;; [unrolled: 1-line block ×4, first 2 shown]
	v_cmp_gt_u32_e64 s[0:1], 60, v13
	s_waitcnt lgkmcnt(2)
	v_add_f64 v[4:5], v[4:5], v[6:7]
	v_cndmask_b32_e64 v6, 0, 1, s[0:1]
	v_lshlrev_b32_e32 v6, 2, v6
	s_waitcnt lgkmcnt(0)
	v_add_f64 v[2:3], v[2:3], v[8:9]
	v_add_lshl_u32 v9, v6, v12, 2
	ds_bpermute_b32 v6, v9, v4
	ds_bpermute_b32 v7, v9, v5
	ds_bpermute_b32 v8, v9, v2
	ds_bpermute_b32 v9, v9, v3
	v_cmp_gt_u32_e64 s[0:1], 62, v13
	s_waitcnt lgkmcnt(2)
	v_add_f64 v[4:5], v[4:5], v[6:7]
	s_waitcnt lgkmcnt(0)
	v_add_f64 v[6:7], v[2:3], v[8:9]
	v_cndmask_b32_e64 v2, 0, 1, s[0:1]
	v_lshlrev_b32_e32 v2, 1, v2
	v_add_lshl_u32 v11, v2, v12, 2
	ds_bpermute_b32 v2, v11, v4
	ds_bpermute_b32 v3, v11, v5
	;; [unrolled: 1-line block ×4, first 2 shown]
	v_cmp_ne_u32_e64 s[0:1], 63, v13
	s_waitcnt lgkmcnt(2)
	v_add_f64 v[2:3], v[4:5], v[2:3]
	v_addc_co_u32_e64 v4, s[0:1], 0, v12, s[0:1]
	s_waitcnt lgkmcnt(0)
	v_add_f64 v[6:7], v[6:7], v[8:9]
	v_lshlrev_b32_e32 v12, 2, v4
	ds_bpermute_b32 v4, v12, v2
	ds_bpermute_b32 v5, v12, v3
	ds_bpermute_b32 v8, v12, v6
	ds_bpermute_b32 v9, v12, v7
	v_cmp_eq_u32_e64 s[0:1], 0, v10
	s_and_saveexec_b64 s[4:5], s[0:1]
	s_cbranch_execz .LBB170_20
; %bb.19:
	v_lshrrev_b32_e32 v10, 2, v0
	v_and_b32_e32 v10, 48, v10
	s_waitcnt lgkmcnt(0)
	v_add_f64 v[6:7], v[6:7], v[8:9]
	v_add_f64 v[4:5], v[2:3], v[4:5]
	ds_write_b128 v10, v[4:7]
.LBB170_20:
	s_or_b64 exec, exec, s[4:5]
	s_waitcnt lgkmcnt(0)
	v_mov_b64_e32 v[8:9], 0
	v_cmp_gt_u32_e64 s[0:1], 4, v0
	v_mov_b64_e32 v[6:7], v[8:9]
	s_barrier
	s_and_saveexec_b64 s[4:5], s[0:1]
	s_cbranch_execz .LBB170_22
; %bb.21:
	ds_read_b128 v[6:9], v1
	s_or_b64 exec, exec, s[4:5]
	s_and_saveexec_b64 s[0:1], vcc
	s_cbranch_execz .LBB170_24
	s_branch .LBB170_23
.LBB170_22:
	s_or_b64 exec, exec, s[4:5]
	s_and_saveexec_b64 s[0:1], vcc
	s_cbranch_execz .LBB170_24
.LBB170_23:
	s_waitcnt lgkmcnt(0)
	ds_bpermute_b32 v2, v11, v6
	ds_bpermute_b32 v3, v11, v7
	;; [unrolled: 1-line block ×4, first 2 shown]
	s_waitcnt lgkmcnt(2)
	v_add_f64 v[2:3], v[6:7], v[2:3]
	ds_bpermute_b32 v6, v12, v2
	s_waitcnt lgkmcnt(1)
	v_add_f64 v[4:5], v[8:9], v[4:5]
	ds_bpermute_b32 v7, v12, v3
	ds_bpermute_b32 v8, v12, v4
	;; [unrolled: 1-line block ×3, first 2 shown]
	s_waitcnt lgkmcnt(2)
	v_add_f64 v[6:7], v[2:3], v[6:7]
	s_waitcnt lgkmcnt(0)
	v_add_f64 v[8:9], v[4:5], v[8:9]
.LBB170_24:
	s_or_b64 exec, exec, s[0:1]
	v_cmp_eq_u32_e32 vcc, 0, v0
                                        ; implicit-def: $vgpr4_vgpr5
                                        ; implicit-def: $sgpr6_sgpr7
	s_and_saveexec_b64 s[0:1], vcc
	s_cbranch_execz .LBB170_28
; %bb.25:
	v_cmp_neq_f64_e64 s[4:5], s[10:11], 0
	v_cmp_neq_f64_e64 s[8:9], s[16:17], 0
	s_waitcnt lgkmcnt(0)
	v_mul_f64 v[0:1], s[14:15], v[8:9]
	v_mul_f64 v[4:5], s[12:13], v[8:9]
	s_mul_i32 s6, s2, s33
	s_or_b64 s[2:3], s[4:5], s[8:9]
	v_fma_f64 v[2:3], s[12:13], v[6:7], -v[0:1]
	v_fmac_f64_e32 v[4:5], s[14:15], v[6:7]
	s_andn2_b64 vcc, exec, s[2:3]
	s_ashr_i32 s7, s6, 31
	s_cbranch_vccnz .LBB170_27
; %bb.26:
	s_lshl_b64 s[2:3], s[6:7], 4
	s_add_u32 s2, s30, s2
	s_addc_u32 s3, s31, s3
	s_load_dwordx4 s[12:15], s[2:3], 0x0
	s_waitcnt lgkmcnt(0)
	v_mov_b64_e32 v[0:1], s[14:15]
	v_mov_b64_e32 v[6:7], s[12:13]
	v_mul_f64 v[8:9], s[16:17], v[0:1]
	v_mul_f64 v[0:1], s[10:11], v[0:1]
	v_fma_f64 v[8:9], s[10:11], v[6:7], -v[8:9]
	v_fmac_f64_e32 v[0:1], s[16:17], v[6:7]
	v_add_f64 v[2:3], v[2:3], v[8:9]
	v_add_f64 v[4:5], v[4:5], v[0:1]
.LBB170_27:
	s_or_b64 s[18:19], s[18:19], exec
.LBB170_28:
	s_or_b64 exec, exec, s[0:1]
.LBB170_29:
	s_and_saveexec_b64 s[0:1], s[18:19]
	s_cbranch_execz .LBB170_31
; %bb.30:
	s_lshl_b64 s[0:1], s[6:7], 4
	s_add_u32 s0, s30, s0
	s_addc_u32 s1, s31, s1
	v_mov_b32_e32 v0, 0
	global_store_dwordx4 v0, v[2:5], s[0:1]
.LBB170_31:
	s_endpgm
	.section	.rodata,"a",@progbits
	.p2align	6, 0x0
	.amdhsa_kernel _ZL32rocblas_gemvt_warp_reduce_kernelILb0ELi256Ei19rocblas_complex_numIdES1_S1_EviiT3_lPKT2_lT1_lS5_lS6_lS2_lPT4_lS6_li
		.amdhsa_group_segment_fixed_size 1024
		.amdhsa_private_segment_fixed_size 0
		.amdhsa_kernarg_size 156
		.amdhsa_user_sgpr_count 2
		.amdhsa_user_sgpr_dispatch_ptr 0
		.amdhsa_user_sgpr_queue_ptr 0
		.amdhsa_user_sgpr_kernarg_segment_ptr 1
		.amdhsa_user_sgpr_dispatch_id 0
		.amdhsa_user_sgpr_kernarg_preload_length 0
		.amdhsa_user_sgpr_kernarg_preload_offset 0
		.amdhsa_user_sgpr_private_segment_size 0
		.amdhsa_uses_dynamic_stack 0
		.amdhsa_enable_private_segment 0
		.amdhsa_system_sgpr_workgroup_id_x 1
		.amdhsa_system_sgpr_workgroup_id_y 0
		.amdhsa_system_sgpr_workgroup_id_z 1
		.amdhsa_system_sgpr_workgroup_info 0
		.amdhsa_system_vgpr_workitem_id 0
		.amdhsa_next_free_vgpr 22
		.amdhsa_next_free_sgpr 35
		.amdhsa_accum_offset 24
		.amdhsa_reserve_vcc 1
		.amdhsa_float_round_mode_32 0
		.amdhsa_float_round_mode_16_64 0
		.amdhsa_float_denorm_mode_32 3
		.amdhsa_float_denorm_mode_16_64 3
		.amdhsa_dx10_clamp 1
		.amdhsa_ieee_mode 1
		.amdhsa_fp16_overflow 0
		.amdhsa_tg_split 0
		.amdhsa_exception_fp_ieee_invalid_op 0
		.amdhsa_exception_fp_denorm_src 0
		.amdhsa_exception_fp_ieee_div_zero 0
		.amdhsa_exception_fp_ieee_overflow 0
		.amdhsa_exception_fp_ieee_underflow 0
		.amdhsa_exception_fp_ieee_inexact 0
		.amdhsa_exception_int_div_zero 0
	.end_amdhsa_kernel
	.section	.text._ZL32rocblas_gemvt_warp_reduce_kernelILb0ELi256Ei19rocblas_complex_numIdES1_S1_EviiT3_lPKT2_lT1_lS5_lS6_lS2_lPT4_lS6_li,"axG",@progbits,_ZL32rocblas_gemvt_warp_reduce_kernelILb0ELi256Ei19rocblas_complex_numIdES1_S1_EviiT3_lPKT2_lT1_lS5_lS6_lS2_lPT4_lS6_li,comdat
.Lfunc_end170:
	.size	_ZL32rocblas_gemvt_warp_reduce_kernelILb0ELi256Ei19rocblas_complex_numIdES1_S1_EviiT3_lPKT2_lT1_lS5_lS6_lS2_lPT4_lS6_li, .Lfunc_end170-_ZL32rocblas_gemvt_warp_reduce_kernelILb0ELi256Ei19rocblas_complex_numIdES1_S1_EviiT3_lPKT2_lT1_lS5_lS6_lS2_lPT4_lS6_li
                                        ; -- End function
	.section	.AMDGPU.csdata,"",@progbits
; Kernel info:
; codeLenInByte = 1872
; NumSgprs: 41
; NumVgprs: 22
; NumAgprs: 0
; TotalNumVgprs: 22
; ScratchSize: 0
; MemoryBound: 0
; FloatMode: 240
; IeeeMode: 1
; LDSByteSize: 1024 bytes/workgroup (compile time only)
; SGPRBlocks: 5
; VGPRBlocks: 2
; NumSGPRsForWavesPerEU: 41
; NumVGPRsForWavesPerEU: 22
; AccumOffset: 24
; Occupancy: 8
; WaveLimiterHint : 1
; COMPUTE_PGM_RSRC2:SCRATCH_EN: 0
; COMPUTE_PGM_RSRC2:USER_SGPR: 2
; COMPUTE_PGM_RSRC2:TRAP_HANDLER: 0
; COMPUTE_PGM_RSRC2:TGID_X_EN: 1
; COMPUTE_PGM_RSRC2:TGID_Y_EN: 0
; COMPUTE_PGM_RSRC2:TGID_Z_EN: 1
; COMPUTE_PGM_RSRC2:TIDIG_COMP_CNT: 0
; COMPUTE_PGM_RSRC3_GFX90A:ACCUM_OFFSET: 5
; COMPUTE_PGM_RSRC3_GFX90A:TG_SPLIT: 0
	.section	.text._ZL32rocblas_gemvt_warp_reduce_kernelILb0ELi256El19rocblas_complex_numIdES1_S1_EviiT3_lPKT2_lT1_lS5_lS6_lS2_lPT4_lS6_li,"axG",@progbits,_ZL32rocblas_gemvt_warp_reduce_kernelILb0ELi256El19rocblas_complex_numIdES1_S1_EviiT3_lPKT2_lT1_lS5_lS6_lS2_lPT4_lS6_li,comdat
	.globl	_ZL32rocblas_gemvt_warp_reduce_kernelILb0ELi256El19rocblas_complex_numIdES1_S1_EviiT3_lPKT2_lT1_lS5_lS6_lS2_lPT4_lS6_li ; -- Begin function _ZL32rocblas_gemvt_warp_reduce_kernelILb0ELi256El19rocblas_complex_numIdES1_S1_EviiT3_lPKT2_lT1_lS5_lS6_lS2_lPT4_lS6_li
	.p2align	8
	.type	_ZL32rocblas_gemvt_warp_reduce_kernelILb0ELi256El19rocblas_complex_numIdES1_S1_EviiT3_lPKT2_lT1_lS5_lS6_lS2_lPT4_lS6_li,@function
_ZL32rocblas_gemvt_warp_reduce_kernelILb0ELi256El19rocblas_complex_numIdES1_S1_EviiT3_lPKT2_lT1_lS5_lS6_lS2_lPT4_lS6_li: ; @_ZL32rocblas_gemvt_warp_reduce_kernelILb0ELi256El19rocblas_complex_numIdES1_S1_EviiT3_lPKT2_lT1_lS5_lS6_lS2_lPT4_lS6_li
; %bb.0:
	s_load_dwordx4 s[28:31], s[0:1], 0x8
	s_load_dwordx4 s[24:27], s[0:1], 0x60
	s_waitcnt lgkmcnt(0)
	v_cmp_neq_f64_e64 s[4:5], s[28:29], 0
	v_cmp_neq_f64_e64 s[6:7], s[30:31], 0
	s_or_b64 s[4:5], s[4:5], s[6:7]
	s_mov_b64 s[6:7], -1
	s_and_b64 vcc, exec, s[4:5]
	s_cbranch_vccnz .LBB171_2
; %bb.1:
	v_cmp_neq_f64_e64 s[6:7], s[24:25], 1.0
	v_cmp_neq_f64_e64 s[8:9], s[26:27], 0
	s_or_b64 s[6:7], s[6:7], s[8:9]
.LBB171_2:
	s_andn2_b64 vcc, exec, s[6:7]
	s_cbranch_vccnz .LBB171_31
; %bb.3:
	s_load_dwordx8 s[16:23], s[0:1], 0x78
	s_xor_b64 s[4:5], s[4:5], -1
	s_waitcnt lgkmcnt(0)
	s_mul_i32 s7, s3, s23
	s_mul_hi_u32 s8, s3, s22
	s_mul_i32 s6, s3, s22
	s_add_i32 s7, s8, s7
	s_lshl_b64 s[6:7], s[6:7], 4
	s_add_u32 s8, s16, s6
	s_addc_u32 s9, s17, s7
	s_lshl_b64 s[6:7], s[18:19], 4
	s_add_u32 s33, s8, s6
	s_addc_u32 s42, s9, s7
	s_andn2_b64 vcc, exec, s[4:5]
	v_cmp_eq_u32_e64 s[4:5], 0, v0
	s_cbranch_vccnz .LBB171_8
; %bb.4:
	s_mov_b64 s[8:9], 0
	s_mov_b64 s[22:23], 0
                                        ; implicit-def: $vgpr4_vgpr5
                                        ; implicit-def: $sgpr6_sgpr7
	s_and_saveexec_b64 s[10:11], s[4:5]
	s_cbranch_execz .LBB171_9
; %bb.5:
	v_cmp_neq_f64_e64 s[4:5], s[24:25], 0
	v_cmp_neq_f64_e64 s[12:13], s[26:27], 0
	s_ashr_i32 s6, s2, 31
	s_mul_i32 s7, s2, s21
	s_mul_hi_u32 s14, s2, s20
	v_mov_b64_e32 v[4:5], 0
	s_add_i32 s7, s14, s7
	s_mul_i32 s6, s6, s20
	s_or_b64 s[4:5], s[4:5], s[12:13]
	s_add_i32 s7, s7, s6
	s_mul_i32 s6, s2, s20
	s_andn2_b64 vcc, exec, s[4:5]
	v_mov_b64_e32 v[2:3], v[4:5]
	s_cbranch_vccnz .LBB171_7
; %bb.6:
	s_lshl_b64 s[4:5], s[6:7], 4
	s_add_u32 s4, s33, s4
	s_addc_u32 s5, s42, s5
	s_load_dwordx4 s[12:15], s[4:5], 0x0
	s_waitcnt lgkmcnt(0)
	v_mov_b64_e32 v[2:3], s[14:15]
	v_mov_b64_e32 v[6:7], s[12:13]
	v_mul_f64 v[8:9], s[26:27], v[2:3]
	v_mul_f64 v[4:5], s[24:25], v[2:3]
	v_fma_f64 v[2:3], s[24:25], v[6:7], -v[8:9]
	v_fmac_f64_e32 v[4:5], s[26:27], v[6:7]
.LBB171_7:
	s_mov_b64 s[22:23], exec
	s_or_b64 exec, exec, s[10:11]
	s_and_b64 vcc, exec, s[8:9]
	s_cbranch_vccnz .LBB171_10
	s_branch .LBB171_29
.LBB171_8:
	s_mov_b64 s[22:23], 0
                                        ; implicit-def: $vgpr4_vgpr5
                                        ; implicit-def: $sgpr6_sgpr7
	s_cbranch_execnz .LBB171_10
	s_branch .LBB171_29
.LBB171_9:
	s_or_b64 exec, exec, s[10:11]
	s_and_b64 vcc, exec, s[8:9]
	s_cbranch_vccz .LBB171_29
.LBB171_10:
	s_load_dwordx16 s[4:19], s[0:1], 0x20
	s_load_dword s43, s[0:1], 0x0
	v_mov_b64_e32 v[2:3], 0
	v_mov_b32_e32 v7, 0
	v_mov_b64_e32 v[4:5], v[2:3]
	s_waitcnt lgkmcnt(0)
	s_mul_i32 s1, s3, s19
	s_mul_hi_u32 s19, s3, s18
	s_mul_i32 s0, s3, s18
	s_mul_i32 s11, s3, s11
	s_mul_hi_u32 s18, s3, s10
	s_add_i32 s11, s18, s11
	s_mul_i32 s10, s3, s10
	s_ashr_i32 s3, s2, 31
	s_mul_i32 s9, s2, s9
	s_mul_hi_u32 s18, s2, s8
	s_add_i32 s9, s18, s9
	s_mul_i32 s18, s3, s8
	s_add_i32 s1, s19, s1
	s_add_i32 s19, s9, s18
	s_mul_i32 s18, s2, s8
	s_ashr_i32 s8, s43, 31
	s_lshr_b32 s8, s8, 24
	v_cmp_gt_i32_e32 vcc, s43, v0
	s_add_i32 s8, s43, s8
	s_and_b32 s8, s8, 0xffffff00
	v_cndmask_b32_e32 v1, 0, v0, vcc
	v_cmp_gt_i32_e32 vcc, s8, v0
	v_lshlrev_b32_e32 v6, 4, v1
	s_and_saveexec_b64 s[34:35], vcc
	s_cbranch_execz .LBB171_14
; %bb.11:
	v_mad_u64_u32 v[2:3], s[38:39], s16, v0, 0
	v_mov_b32_e32 v4, v3
	v_mad_u64_u32 v[4:5], s[38:39], s17, v0, v[4:5]
	s_lshl_b64 s[36:37], s[0:1], 4
	s_lshl_b64 s[38:39], s[14:15], 4
	s_add_u32 s9, s12, s38
	s_addc_u32 s38, s13, s39
	s_add_u32 s36, s9, s36
	v_mov_b32_e32 v3, v4
	s_addc_u32 s37, s38, s37
	v_lshl_add_u64 v[2:3], v[2:3], 4, s[36:37]
	s_lshl_b64 s[36:37], s[16:17], 12
	s_lshl_b64 s[38:39], s[18:19], 4
	;; [unrolled: 1-line block ×3, first 2 shown]
	s_add_u32 s9, s38, s40
	s_addc_u32 s40, s39, s41
	s_lshl_b64 s[38:39], s[6:7], 4
	s_add_u32 s9, s9, s38
	s_addc_u32 s39, s40, s39
	s_add_u32 s38, s4, s9
	s_addc_u32 s39, s5, s39
	v_lshl_add_u64 v[8:9], v[2:3], 0, 8
	v_lshl_add_u64 v[2:3], s[38:39], 0, v[6:7]
	;; [unrolled: 1-line block ×3, first 2 shown]
	v_mov_b64_e32 v[2:3], 0
	s_mov_b64 s[38:39], 0
	s_mov_b64 s[40:41], 0x1000
	v_mov_b32_e32 v1, v0
	v_mov_b64_e32 v[4:5], v[2:3]
.LBB171_12:                             ; =>This Inner Loop Header: Depth=1
	global_load_dwordx4 v[12:15], v[10:11], off offset:-8
	global_load_dwordx4 v[16:19], v[8:9], off offset:-8
	v_add_u32_e32 v1, 0x100, v1
	v_cmp_le_i32_e32 vcc, s8, v1
	v_lshl_add_u64 v[8:9], v[8:9], 0, s[36:37]
	v_lshl_add_u64 v[10:11], v[10:11], 0, s[40:41]
	s_or_b64 s[38:39], vcc, s[38:39]
	s_waitcnt vmcnt(0)
	v_mul_f64 v[20:21], v[14:15], v[18:19]
	v_mul_f64 v[18:19], v[12:13], v[18:19]
	v_fma_f64 v[12:13], v[12:13], v[16:17], -v[20:21]
	v_fmac_f64_e32 v[18:19], v[14:15], v[16:17]
	v_add_f64 v[4:5], v[4:5], v[12:13]
	v_add_f64 v[2:3], v[2:3], v[18:19]
	s_andn2_b64 exec, exec, s[38:39]
	s_cbranch_execnz .LBB171_12
; %bb.13:
	s_or_b64 exec, exec, s[38:39]
.LBB171_14:
	s_or_b64 exec, exec, s[34:35]
	v_add_u32_e32 v1, s8, v0
	v_cmp_gt_i32_e32 vcc, s43, v1
	s_and_saveexec_b64 s[34:35], vcc
	s_cbranch_execz .LBB171_16
; %bb.15:
	s_lshl_b64 s[10:11], s[10:11], 4
	s_add_u32 s9, s4, s10
	s_addc_u32 s10, s5, s11
	s_lshl_b64 s[4:5], s[6:7], 4
	s_add_u32 s11, s9, s4
	s_addc_u32 s10, s10, s5
	s_lshl_b64 s[4:5], s[18:19], 4
	s_lshl_b64 s[0:1], s[0:1], 4
	s_add_u32 s6, s12, s0
	s_addc_u32 s7, s13, s1
	s_lshl_b64 s[0:1], s[14:15], 4
	s_add_u32 s0, s6, s0
	s_addc_u32 s1, s7, s1
	s_ashr_i32 s9, s8, 31
	s_lshl_b64 s[6:7], s[8:9], 4
	s_add_u32 s4, s6, s4
	v_ashrrev_i32_e32 v7, 31, v1
	s_addc_u32 s5, s7, s5
	v_mul_lo_u32 v10, v1, s17
	v_mul_lo_u32 v7, v7, s16
	v_mad_u64_u32 v[8:9], s[6:7], v1, s16, 0
	v_add3_u32 v9, v9, v10, v7
	s_add_u32 s4, s4, s11
	v_lshl_add_u64 v[16:17], v[8:9], 4, s[0:1]
	s_addc_u32 s5, s5, s10
	global_load_dwordx4 v[8:11], v[16:17], off
	global_load_dwordx4 v[12:15], v6, s[4:5]
	s_waitcnt vmcnt(0)
	v_mul_f64 v[6:7], v[14:15], v[10:11]
	v_mul_f64 v[10:11], v[12:13], v[10:11]
	v_fma_f64 v[6:7], v[12:13], v[8:9], -v[6:7]
	v_fmac_f64_e32 v[10:11], v[14:15], v[8:9]
	v_add_f64 v[4:5], v[4:5], v[6:7]
	v_add_f64 v[2:3], v[2:3], v[10:11]
.LBB171_16:
	s_or_b64 exec, exec, s[34:35]
	v_and_b32_e32 v10, 63, v0
	v_cmp_gt_u32_e32 vcc, 64, v0
	v_lshlrev_b32_e32 v1, 4, v10
	s_and_saveexec_b64 s[0:1], vcc
	s_cbranch_execz .LBB171_18
; %bb.17:
	v_mov_b32_e32 v6, 0
	v_mov_b32_e32 v7, v6
	;; [unrolled: 1-line block ×4, first 2 shown]
	ds_write_b128 v1, v[6:9]
.LBB171_18:
	s_or_b64 exec, exec, s[0:1]
	v_mbcnt_lo_u32_b32 v6, -1, 0
	v_mbcnt_hi_u32_b32 v12, -1, v6
	v_and_b32_e32 v13, 63, v12
	v_cmp_gt_u32_e64 s[0:1], 32, v13
	s_waitcnt lgkmcnt(0)
	s_barrier
	v_cndmask_b32_e64 v6, 0, 1, s[0:1]
	v_lshlrev_b32_e32 v6, 5, v6
	v_add_lshl_u32 v9, v6, v12, 2
	ds_bpermute_b32 v6, v9, v4
	ds_bpermute_b32 v7, v9, v5
	;; [unrolled: 1-line block ×4, first 2 shown]
	v_cmp_gt_u32_e64 s[0:1], 48, v13
	s_waitcnt lgkmcnt(0)
	v_add_f64 v[4:5], v[4:5], v[6:7]
	v_cndmask_b32_e64 v6, 0, 1, s[0:1]
	v_lshlrev_b32_e32 v6, 4, v6
	v_add_f64 v[2:3], v[2:3], v[8:9]
	v_add_lshl_u32 v9, v6, v12, 2
	ds_bpermute_b32 v6, v9, v4
	ds_bpermute_b32 v7, v9, v5
	;; [unrolled: 1-line block ×4, first 2 shown]
	v_cmp_gt_u32_e64 s[0:1], 56, v13
	s_waitcnt lgkmcnt(2)
	v_add_f64 v[4:5], v[4:5], v[6:7]
	v_cndmask_b32_e64 v6, 0, 1, s[0:1]
	v_lshlrev_b32_e32 v6, 3, v6
	s_waitcnt lgkmcnt(0)
	v_add_f64 v[2:3], v[2:3], v[8:9]
	v_add_lshl_u32 v9, v6, v12, 2
	ds_bpermute_b32 v6, v9, v4
	ds_bpermute_b32 v7, v9, v5
	;; [unrolled: 1-line block ×4, first 2 shown]
	v_cmp_gt_u32_e64 s[0:1], 60, v13
	s_waitcnt lgkmcnt(2)
	v_add_f64 v[4:5], v[4:5], v[6:7]
	v_cndmask_b32_e64 v6, 0, 1, s[0:1]
	v_lshlrev_b32_e32 v6, 2, v6
	s_waitcnt lgkmcnt(0)
	v_add_f64 v[2:3], v[2:3], v[8:9]
	v_add_lshl_u32 v9, v6, v12, 2
	ds_bpermute_b32 v6, v9, v4
	ds_bpermute_b32 v7, v9, v5
	;; [unrolled: 1-line block ×4, first 2 shown]
	v_cmp_gt_u32_e64 s[0:1], 62, v13
	s_waitcnt lgkmcnt(2)
	v_add_f64 v[4:5], v[4:5], v[6:7]
	s_waitcnt lgkmcnt(0)
	v_add_f64 v[6:7], v[2:3], v[8:9]
	v_cndmask_b32_e64 v2, 0, 1, s[0:1]
	v_lshlrev_b32_e32 v2, 1, v2
	v_add_lshl_u32 v11, v2, v12, 2
	ds_bpermute_b32 v2, v11, v4
	ds_bpermute_b32 v3, v11, v5
	ds_bpermute_b32 v8, v11, v6
	ds_bpermute_b32 v9, v11, v7
	v_cmp_ne_u32_e64 s[0:1], 63, v13
	s_waitcnt lgkmcnt(2)
	v_add_f64 v[2:3], v[4:5], v[2:3]
	v_addc_co_u32_e64 v4, s[0:1], 0, v12, s[0:1]
	s_waitcnt lgkmcnt(0)
	v_add_f64 v[6:7], v[6:7], v[8:9]
	v_lshlrev_b32_e32 v12, 2, v4
	ds_bpermute_b32 v4, v12, v2
	ds_bpermute_b32 v5, v12, v3
	;; [unrolled: 1-line block ×4, first 2 shown]
	v_cmp_eq_u32_e64 s[0:1], 0, v10
	s_and_saveexec_b64 s[4:5], s[0:1]
	s_cbranch_execz .LBB171_20
; %bb.19:
	v_lshrrev_b32_e32 v10, 2, v0
	v_and_b32_e32 v10, 48, v10
	s_waitcnt lgkmcnt(0)
	v_add_f64 v[6:7], v[6:7], v[8:9]
	v_add_f64 v[4:5], v[2:3], v[4:5]
	ds_write_b128 v10, v[4:7]
.LBB171_20:
	s_or_b64 exec, exec, s[4:5]
	s_waitcnt lgkmcnt(0)
	v_mov_b64_e32 v[8:9], 0
	v_cmp_gt_u32_e64 s[0:1], 4, v0
	v_mov_b64_e32 v[6:7], v[8:9]
	s_barrier
	s_and_saveexec_b64 s[4:5], s[0:1]
	s_cbranch_execz .LBB171_22
; %bb.21:
	ds_read_b128 v[6:9], v1
	s_or_b64 exec, exec, s[4:5]
	s_and_saveexec_b64 s[0:1], vcc
	s_cbranch_execz .LBB171_24
	s_branch .LBB171_23
.LBB171_22:
	s_or_b64 exec, exec, s[4:5]
	s_and_saveexec_b64 s[0:1], vcc
	s_cbranch_execz .LBB171_24
.LBB171_23:
	s_waitcnt lgkmcnt(0)
	ds_bpermute_b32 v2, v11, v6
	ds_bpermute_b32 v3, v11, v7
	;; [unrolled: 1-line block ×4, first 2 shown]
	s_waitcnt lgkmcnt(2)
	v_add_f64 v[2:3], v[6:7], v[2:3]
	ds_bpermute_b32 v6, v12, v2
	s_waitcnt lgkmcnt(1)
	v_add_f64 v[4:5], v[8:9], v[4:5]
	ds_bpermute_b32 v7, v12, v3
	ds_bpermute_b32 v8, v12, v4
	;; [unrolled: 1-line block ×3, first 2 shown]
	s_waitcnt lgkmcnt(2)
	v_add_f64 v[6:7], v[2:3], v[6:7]
	s_waitcnt lgkmcnt(0)
	v_add_f64 v[8:9], v[4:5], v[8:9]
.LBB171_24:
	s_or_b64 exec, exec, s[0:1]
	v_cmp_eq_u32_e32 vcc, 0, v0
                                        ; implicit-def: $vgpr4_vgpr5
                                        ; implicit-def: $sgpr6_sgpr7
	s_and_saveexec_b64 s[0:1], vcc
	s_cbranch_execz .LBB171_28
; %bb.25:
	v_cmp_neq_f64_e64 s[4:5], s[24:25], 0
	v_cmp_neq_f64_e64 s[8:9], s[26:27], 0
	s_mul_i32 s6, s2, s21
	s_mul_hi_u32 s7, s2, s20
	s_waitcnt lgkmcnt(0)
	v_mul_f64 v[0:1], s[30:31], v[8:9]
	v_mul_f64 v[4:5], s[28:29], v[8:9]
	s_add_i32 s6, s7, s6
	s_mul_i32 s3, s3, s20
	s_or_b64 s[4:5], s[4:5], s[8:9]
	v_fma_f64 v[2:3], s[28:29], v[6:7], -v[0:1]
	v_fmac_f64_e32 v[4:5], s[30:31], v[6:7]
	s_add_i32 s7, s6, s3
	s_andn2_b64 vcc, exec, s[4:5]
	s_mul_i32 s6, s2, s20
	s_cbranch_vccnz .LBB171_27
; %bb.26:
	s_lshl_b64 s[2:3], s[6:7], 4
	s_add_u32 s2, s33, s2
	s_addc_u32 s3, s42, s3
	s_load_dwordx4 s[8:11], s[2:3], 0x0
	s_waitcnt lgkmcnt(0)
	v_mov_b64_e32 v[0:1], s[10:11]
	v_mov_b64_e32 v[6:7], s[8:9]
	v_mul_f64 v[8:9], s[26:27], v[0:1]
	v_mul_f64 v[0:1], s[24:25], v[0:1]
	v_fma_f64 v[8:9], s[24:25], v[6:7], -v[8:9]
	v_fmac_f64_e32 v[0:1], s[26:27], v[6:7]
	v_add_f64 v[2:3], v[2:3], v[8:9]
	v_add_f64 v[4:5], v[4:5], v[0:1]
.LBB171_27:
	s_or_b64 s[22:23], s[22:23], exec
.LBB171_28:
	s_or_b64 exec, exec, s[0:1]
.LBB171_29:
	s_and_saveexec_b64 s[0:1], s[22:23]
	s_cbranch_execz .LBB171_31
; %bb.30:
	s_lshl_b64 s[0:1], s[6:7], 4
	s_add_u32 s0, s33, s0
	s_addc_u32 s1, s42, s1
	v_mov_b32_e32 v0, 0
	global_store_dwordx4 v0, v[2:5], s[0:1]
.LBB171_31:
	s_endpgm
	.section	.rodata,"a",@progbits
	.p2align	6, 0x0
	.amdhsa_kernel _ZL32rocblas_gemvt_warp_reduce_kernelILb0ELi256El19rocblas_complex_numIdES1_S1_EviiT3_lPKT2_lT1_lS5_lS6_lS2_lPT4_lS6_li
		.amdhsa_group_segment_fixed_size 1024
		.amdhsa_private_segment_fixed_size 0
		.amdhsa_kernarg_size 156
		.amdhsa_user_sgpr_count 2
		.amdhsa_user_sgpr_dispatch_ptr 0
		.amdhsa_user_sgpr_queue_ptr 0
		.amdhsa_user_sgpr_kernarg_segment_ptr 1
		.amdhsa_user_sgpr_dispatch_id 0
		.amdhsa_user_sgpr_kernarg_preload_length 0
		.amdhsa_user_sgpr_kernarg_preload_offset 0
		.amdhsa_user_sgpr_private_segment_size 0
		.amdhsa_uses_dynamic_stack 0
		.amdhsa_enable_private_segment 0
		.amdhsa_system_sgpr_workgroup_id_x 1
		.amdhsa_system_sgpr_workgroup_id_y 0
		.amdhsa_system_sgpr_workgroup_id_z 1
		.amdhsa_system_sgpr_workgroup_info 0
		.amdhsa_system_vgpr_workitem_id 0
		.amdhsa_next_free_vgpr 22
		.amdhsa_next_free_sgpr 44
		.amdhsa_accum_offset 24
		.amdhsa_reserve_vcc 1
		.amdhsa_float_round_mode_32 0
		.amdhsa_float_round_mode_16_64 0
		.amdhsa_float_denorm_mode_32 3
		.amdhsa_float_denorm_mode_16_64 3
		.amdhsa_dx10_clamp 1
		.amdhsa_ieee_mode 1
		.amdhsa_fp16_overflow 0
		.amdhsa_tg_split 0
		.amdhsa_exception_fp_ieee_invalid_op 0
		.amdhsa_exception_fp_denorm_src 0
		.amdhsa_exception_fp_ieee_div_zero 0
		.amdhsa_exception_fp_ieee_overflow 0
		.amdhsa_exception_fp_ieee_underflow 0
		.amdhsa_exception_fp_ieee_inexact 0
		.amdhsa_exception_int_div_zero 0
	.end_amdhsa_kernel
	.section	.text._ZL32rocblas_gemvt_warp_reduce_kernelILb0ELi256El19rocblas_complex_numIdES1_S1_EviiT3_lPKT2_lT1_lS5_lS6_lS2_lPT4_lS6_li,"axG",@progbits,_ZL32rocblas_gemvt_warp_reduce_kernelILb0ELi256El19rocblas_complex_numIdES1_S1_EviiT3_lPKT2_lT1_lS5_lS6_lS2_lPT4_lS6_li,comdat
.Lfunc_end171:
	.size	_ZL32rocblas_gemvt_warp_reduce_kernelILb0ELi256El19rocblas_complex_numIdES1_S1_EviiT3_lPKT2_lT1_lS5_lS6_lS2_lPT4_lS6_li, .Lfunc_end171-_ZL32rocblas_gemvt_warp_reduce_kernelILb0ELi256El19rocblas_complex_numIdES1_S1_EviiT3_lPKT2_lT1_lS5_lS6_lS2_lPT4_lS6_li
                                        ; -- End function
	.section	.AMDGPU.csdata,"",@progbits
; Kernel info:
; codeLenInByte = 1936
; NumSgprs: 50
; NumVgprs: 22
; NumAgprs: 0
; TotalNumVgprs: 22
; ScratchSize: 0
; MemoryBound: 0
; FloatMode: 240
; IeeeMode: 1
; LDSByteSize: 1024 bytes/workgroup (compile time only)
; SGPRBlocks: 6
; VGPRBlocks: 2
; NumSGPRsForWavesPerEU: 50
; NumVGPRsForWavesPerEU: 22
; AccumOffset: 24
; Occupancy: 8
; WaveLimiterHint : 1
; COMPUTE_PGM_RSRC2:SCRATCH_EN: 0
; COMPUTE_PGM_RSRC2:USER_SGPR: 2
; COMPUTE_PGM_RSRC2:TRAP_HANDLER: 0
; COMPUTE_PGM_RSRC2:TGID_X_EN: 1
; COMPUTE_PGM_RSRC2:TGID_Y_EN: 0
; COMPUTE_PGM_RSRC2:TGID_Z_EN: 1
; COMPUTE_PGM_RSRC2:TIDIG_COMP_CNT: 0
; COMPUTE_PGM_RSRC3_GFX90A:ACCUM_OFFSET: 5
; COMPUTE_PGM_RSRC3_GFX90A:TG_SPLIT: 0
	.section	.text._ZL20rocblas_gemvt_kernelILb0ELi256E19rocblas_complex_numIdEPKS1_S1_EviiT2_lPKT1_lilS7_lilS4_lPT3_lili,"axG",@progbits,_ZL20rocblas_gemvt_kernelILb0ELi256E19rocblas_complex_numIdEPKS1_S1_EviiT2_lPKT1_lilS7_lilS4_lPT3_lili,comdat
	.globl	_ZL20rocblas_gemvt_kernelILb0ELi256E19rocblas_complex_numIdEPKS1_S1_EviiT2_lPKT1_lilS7_lilS4_lPT3_lili ; -- Begin function _ZL20rocblas_gemvt_kernelILb0ELi256E19rocblas_complex_numIdEPKS1_S1_EviiT2_lPKT1_lilS7_lilS4_lPT3_lili
	.p2align	8
	.type	_ZL20rocblas_gemvt_kernelILb0ELi256E19rocblas_complex_numIdEPKS1_S1_EviiT2_lPKT1_lilS7_lilS4_lPT3_lili,@function
_ZL20rocblas_gemvt_kernelILb0ELi256E19rocblas_complex_numIdEPKS1_S1_EviiT2_lPKT1_lilS7_lilS4_lPT3_lili: ; @_ZL20rocblas_gemvt_kernelILb0ELi256E19rocblas_complex_numIdEPKS1_S1_EviiT2_lPKT1_lilS7_lilS4_lPT3_lili
; %bb.0:
	s_load_dwordx8 s[4:11], s[0:1], 0x8
	s_load_dwordx8 s[12:19], s[0:1], 0x50
	s_waitcnt lgkmcnt(0)
	s_mul_i32 s7, s3, s7
	s_mul_hi_u32 s20, s3, s6
	s_add_i32 s7, s20, s7
	s_mul_i32 s6, s3, s6
	s_lshl_b64 s[6:7], s[6:7], 4
	s_add_u32 s4, s4, s6
	s_addc_u32 s5, s5, s7
	s_load_dwordx4 s[24:27], s[4:5], 0x0
	s_mul_i32 s4, s3, s17
	s_mul_hi_u32 s5, s3, s16
	s_add_i32 s5, s5, s4
	s_mul_i32 s4, s3, s16
	s_lshl_b64 s[4:5], s[4:5], 4
	s_add_u32 s4, s14, s4
	s_addc_u32 s5, s15, s5
	s_load_dwordx4 s[20:23], s[4:5], 0x0
	s_waitcnt lgkmcnt(0)
	v_cmp_neq_f64_e64 s[4:5], s[24:25], 0
	v_cmp_neq_f64_e64 s[6:7], s[26:27], 0
	s_or_b64 s[4:5], s[4:5], s[6:7]
	s_mov_b64 s[6:7], -1
	s_and_b64 vcc, exec, s[4:5]
	s_cbranch_vccnz .LBB172_2
; %bb.1:
	v_cmp_neq_f64_e64 s[6:7], s[20:21], 1.0
	v_cmp_neq_f64_e64 s[14:15], s[22:23], 0
	s_or_b64 s[6:7], s[6:7], s[14:15]
.LBB172_2:
	s_andn2_b64 vcc, exec, s[6:7]
	s_cbranch_vccnz .LBB172_38
; %bb.3:
	s_load_dwordx2 s[6:7], s[0:1], 0x80
	s_load_dwordx2 s[14:15], s[0:1], 0x70
	s_load_dword s37, s[0:1], 0x78
	s_xor_b64 s[4:5], s[4:5], -1
	s_waitcnt lgkmcnt(0)
	s_mul_i32 s7, s3, s7
	s_mul_hi_u32 s16, s3, s6
	s_mul_i32 s6, s3, s6
	s_add_i32 s7, s16, s7
	s_lshl_b64 s[6:7], s[6:7], 4
	s_add_u32 s16, s18, s6
	s_addc_u32 s17, s19, s7
	s_lshl_b64 s[6:7], s[14:15], 4
	s_add_u32 s33, s16, s6
	s_addc_u32 s36, s17, s7
	s_andn2_b64 vcc, exec, s[4:5]
	v_cmp_eq_u32_e64 s[4:5], 0, v0
	s_cbranch_vccnz .LBB172_8
; %bb.4:
	s_mov_b64 s[16:17], 0
	s_mov_b64 s[14:15], 0
                                        ; implicit-def: $vgpr4_vgpr5
                                        ; implicit-def: $sgpr6_sgpr7
	s_and_saveexec_b64 s[18:19], s[4:5]
	s_cbranch_execz .LBB172_9
; %bb.5:
	v_cmp_neq_f64_e64 s[4:5], s[20:21], 0
	v_cmp_neq_f64_e64 s[14:15], s[22:23], 0
	v_mov_b64_e32 v[4:5], 0
	s_or_b64 s[4:5], s[4:5], s[14:15]
	s_mul_hi_i32 s7, s37, s2
	s_mul_i32 s6, s37, s2
	s_andn2_b64 vcc, exec, s[4:5]
	v_mov_b64_e32 v[2:3], v[4:5]
	s_cbranch_vccnz .LBB172_7
; %bb.6:
	s_lshl_b64 s[4:5], s[6:7], 4
	s_add_u32 s4, s33, s4
	s_addc_u32 s5, s36, s5
	s_load_dwordx4 s[28:31], s[4:5], 0x0
	s_waitcnt lgkmcnt(0)
	v_mov_b64_e32 v[2:3], s[30:31]
	v_mov_b64_e32 v[6:7], s[28:29]
	v_mul_f64 v[8:9], s[22:23], v[2:3]
	v_mul_f64 v[4:5], s[20:21], v[2:3]
	v_fma_f64 v[2:3], s[20:21], v[6:7], -v[8:9]
	v_fmac_f64_e32 v[4:5], s[22:23], v[6:7]
.LBB172_7:
	s_mov_b64 s[14:15], exec
	s_or_b64 exec, exec, s[18:19]
	s_and_b64 vcc, exec, s[16:17]
	s_cbranch_vccnz .LBB172_10
	s_branch .LBB172_36
.LBB172_8:
	s_mov_b64 s[14:15], 0
                                        ; implicit-def: $vgpr4_vgpr5
                                        ; implicit-def: $sgpr6_sgpr7
	s_cbranch_execnz .LBB172_10
	s_branch .LBB172_36
.LBB172_9:
	s_or_b64 exec, exec, s[18:19]
	s_and_b64 vcc, exec, s[16:17]
	s_cbranch_vccz .LBB172_36
.LBB172_10:
	s_load_dword s38, s[0:1], 0x0
	s_load_dword s28, s[0:1], 0x28
	s_load_dwordx4 s[4:7], s[0:1], 0x30
	s_load_dwordx2 s[16:17], s[0:1], 0x40
	s_mul_i32 s13, s3, s13
	s_load_dword s0, s[0:1], 0x48
	s_mul_hi_u32 s18, s3, s12
	s_waitcnt lgkmcnt(0)
	s_mul_i32 s1, s3, s5
	s_mul_hi_u32 s5, s3, s4
	s_add_i32 s19, s5, s1
	s_ashr_i32 s1, s38, 31
	s_lshr_b32 s1, s1, 24
	v_cmp_gt_i32_e32 vcc, s38, v0
	s_add_i32 s1, s38, s1
	s_add_i32 s13, s18, s13
	s_mul_i32 s18, s3, s4
	v_cndmask_b32_e32 v1, 0, v0, vcc
	s_and_b32 s4, s1, 0xffffff00
	v_mov_b64_e32 v[4:5], 0
	s_mul_i32 s12, s3, s12
	s_mov_b32 s3, 0
	v_mov_b32_e32 v7, 0
	s_mul_hi_i32 s29, s28, s2
	s_mul_i32 s28, s28, s2
	s_cmpk_lt_i32 s38, 0x100
	v_lshlrev_b32_e32 v6, 4, v1
	v_mov_b64_e32 v[2:3], v[4:5]
	s_cbranch_scc1 .LBB172_13
; %bb.11:
	s_ashr_i32 s1, s0, 31
	s_lshl_b64 s[30:31], s[28:29], 4
	s_lshl_b64 s[34:35], s[18:19], 4
	s_add_u32 s5, s30, s34
	s_addc_u32 s34, s31, s35
	s_lshl_b64 s[30:31], s[10:11], 4
	s_add_u32 s5, s5, s30
	s_addc_u32 s31, s34, s31
	s_add_u32 s30, s8, s5
	s_addc_u32 s31, s9, s31
	v_lshl_add_u64 v[2:3], s[30:31], 0, v[6:7]
	v_lshl_add_u64 v[8:9], v[2:3], 0, 8
	v_mad_i64_i32 v[2:3], s[34:35], s0, v0, 0
	s_lshl_b64 s[30:31], s[12:13], 4
	s_lshl_b64 s[34:35], s[16:17], 4
	s_add_u32 s5, s6, s34
	s_addc_u32 s34, s7, s35
	s_add_u32 s30, s5, s30
	s_addc_u32 s31, s34, s31
	v_lshl_add_u64 v[2:3], v[2:3], 4, s[30:31]
	v_mov_b64_e32 v[4:5], 0
	v_lshl_add_u64 v[10:11], v[2:3], 0, 8
	s_lshl_b64 s[30:31], s[0:1], 12
	s_mov_b64 s[34:35], 0x1000
	v_mov_b64_e32 v[2:3], v[4:5]
.LBB172_12:                             ; =>This Inner Loop Header: Depth=1
	global_load_dwordx4 v[12:15], v[8:9], off offset:-8
	global_load_dwordx4 v[16:19], v[10:11], off offset:-8
	s_addk_i32 s3, 0x100
	v_lshl_add_u64 v[8:9], v[8:9], 0, s[34:35]
	v_lshl_add_u64 v[10:11], v[10:11], 0, s[30:31]
	s_cmp_ge_i32 s3, s4
	s_waitcnt vmcnt(0)
	v_mul_f64 v[20:21], v[14:15], v[18:19]
	v_mul_f64 v[18:19], v[12:13], v[18:19]
	v_fma_f64 v[12:13], v[12:13], v[16:17], -v[20:21]
	v_fmac_f64_e32 v[18:19], v[14:15], v[16:17]
	v_add_f64 v[2:3], v[2:3], v[12:13]
	v_add_f64 v[4:5], v[4:5], v[18:19]
	s_cbranch_scc0 .LBB172_12
.LBB172_13:
	v_add_u32_e32 v1, s4, v0
	v_cmp_gt_i32_e32 vcc, s38, v1
	s_and_saveexec_b64 s[30:31], vcc
	s_cbranch_execz .LBB172_15
; %bb.14:
	s_lshl_b64 s[18:19], s[18:19], 4
	s_add_u32 s1, s8, s18
	s_addc_u32 s3, s9, s19
	s_lshl_b64 s[8:9], s[10:11], 4
	s_add_u32 s1, s1, s8
	s_addc_u32 s3, s3, s9
	s_lshl_b64 s[8:9], s[28:29], 4
	s_lshl_b64 s[10:11], s[12:13], 4
	s_add_u32 s5, s6, s10
	s_addc_u32 s10, s7, s11
	s_lshl_b64 s[6:7], s[16:17], 4
	s_add_u32 s6, s5, s6
	s_addc_u32 s7, s10, s7
	s_ashr_i32 s5, s4, 31
	s_lshl_b64 s[4:5], s[4:5], 4
	s_add_u32 s4, s4, s8
	s_addc_u32 s5, s5, s9
	s_add_u32 s4, s4, s1
	v_mad_i64_i32 v[8:9], s[0:1], s0, v1, 0
	v_lshl_add_u64 v[16:17], v[8:9], 4, s[6:7]
	s_addc_u32 s5, s5, s3
	global_load_dwordx4 v[8:11], v[16:17], off
	global_load_dwordx4 v[12:15], v6, s[4:5]
	s_waitcnt vmcnt(0)
	v_mul_f64 v[6:7], v[14:15], v[10:11]
	v_mul_f64 v[10:11], v[12:13], v[10:11]
	v_fma_f64 v[6:7], v[12:13], v[8:9], -v[6:7]
	v_fmac_f64_e32 v[10:11], v[14:15], v[8:9]
	v_add_f64 v[2:3], v[2:3], v[6:7]
	v_add_f64 v[4:5], v[4:5], v[10:11]
.LBB172_15:
	s_or_b64 exec, exec, s[30:31]
	s_movk_i32 s0, 0x80
	v_lshlrev_b32_e32 v1, 4, v0
	v_cmp_gt_u32_e32 vcc, s0, v0
	ds_write_b128 v1, v[2:5]
	s_waitcnt lgkmcnt(0)
	s_barrier
	s_and_saveexec_b64 s[0:1], vcc
	s_cbranch_execz .LBB172_17
; %bb.16:
	ds_read_b128 v[2:5], v1 offset:2048
	ds_read_b128 v[6:9], v1
	s_waitcnt lgkmcnt(0)
	v_add_f64 v[2:3], v[2:3], v[6:7]
	v_add_f64 v[4:5], v[4:5], v[8:9]
	ds_write_b128 v1, v[2:5]
.LBB172_17:
	s_or_b64 exec, exec, s[0:1]
	v_cmp_gt_u32_e32 vcc, 64, v0
	s_waitcnt lgkmcnt(0)
	s_barrier
	s_and_saveexec_b64 s[0:1], vcc
	s_cbranch_execz .LBB172_19
; %bb.18:
	ds_read_b128 v[2:5], v1 offset:1024
	ds_read_b128 v[6:9], v1
	s_waitcnt lgkmcnt(0)
	v_add_f64 v[2:3], v[2:3], v[6:7]
	v_add_f64 v[4:5], v[4:5], v[8:9]
	ds_write_b128 v1, v[2:5]
.LBB172_19:
	s_or_b64 exec, exec, s[0:1]
	v_cmp_gt_u32_e32 vcc, 32, v0
	;; [unrolled: 14-line block ×6, first 2 shown]
	s_waitcnt lgkmcnt(0)
	s_barrier
	s_and_saveexec_b64 s[0:1], vcc
	s_cbranch_execz .LBB172_29
; %bb.28:
	ds_read_b128 v[2:5], v1
	ds_read_b128 v[6:9], v1 offset:32
	s_waitcnt lgkmcnt(0)
	v_add_f64 v[2:3], v[6:7], v[2:3]
	v_add_f64 v[4:5], v[8:9], v[4:5]
	ds_write_b128 v1, v[2:5]
.LBB172_29:
	s_or_b64 exec, exec, s[0:1]
	v_cmp_eq_u32_e32 vcc, 0, v0
	s_waitcnt lgkmcnt(0)
	s_barrier
	s_and_saveexec_b64 s[0:1], vcc
	s_cbranch_execz .LBB172_31
; %bb.30:
	v_mov_b32_e32 v8, 0
	ds_read_b128 v[0:3], v8
	ds_read_b128 v[4:7], v8 offset:16
	s_waitcnt lgkmcnt(0)
	v_add_f64 v[0:1], v[4:5], v[0:1]
	v_add_f64 v[2:3], v[6:7], v[2:3]
	ds_write_b128 v8, v[0:3]
.LBB172_31:
	s_or_b64 exec, exec, s[0:1]
	s_waitcnt lgkmcnt(0)
	s_barrier
	s_waitcnt lgkmcnt(0)
                                        ; implicit-def: $vgpr4_vgpr5
                                        ; implicit-def: $sgpr6_sgpr7
	s_and_saveexec_b64 s[0:1], vcc
	s_cbranch_execz .LBB172_35
; %bb.32:
	v_mov_b32_e32 v0, 0
	ds_read_b128 v[0:3], v0
	v_cmp_neq_f64_e64 s[4:5], s[20:21], 0
	v_cmp_neq_f64_e64 s[8:9], s[22:23], 0
	s_or_b64 s[4:5], s[4:5], s[8:9]
	s_mul_hi_i32 s7, s37, s2
	s_waitcnt lgkmcnt(0)
	v_mul_f64 v[6:7], s[26:27], v[2:3]
	v_mul_f64 v[4:5], s[24:25], v[2:3]
	v_fma_f64 v[2:3], s[24:25], v[0:1], -v[6:7]
	v_fmac_f64_e32 v[4:5], s[26:27], v[0:1]
	s_andn2_b64 vcc, exec, s[4:5]
	s_mul_i32 s6, s37, s2
	s_cbranch_vccnz .LBB172_34
; %bb.33:
	s_lshl_b64 s[2:3], s[6:7], 4
	s_add_u32 s2, s33, s2
	s_addc_u32 s3, s36, s3
	s_load_dwordx4 s[8:11], s[2:3], 0x0
	s_waitcnt lgkmcnt(0)
	v_mov_b64_e32 v[0:1], s[10:11]
	v_mov_b64_e32 v[6:7], s[8:9]
	v_mul_f64 v[8:9], s[22:23], v[0:1]
	v_mul_f64 v[0:1], s[20:21], v[0:1]
	v_fma_f64 v[8:9], s[20:21], v[6:7], -v[8:9]
	v_fmac_f64_e32 v[0:1], s[22:23], v[6:7]
	v_add_f64 v[2:3], v[2:3], v[8:9]
	v_add_f64 v[4:5], v[4:5], v[0:1]
.LBB172_34:
	s_or_b64 s[14:15], s[14:15], exec
.LBB172_35:
	s_or_b64 exec, exec, s[0:1]
.LBB172_36:
	s_and_saveexec_b64 s[0:1], s[14:15]
	s_cbranch_execz .LBB172_38
; %bb.37:
	s_lshl_b64 s[0:1], s[6:7], 4
	s_add_u32 s0, s33, s0
	s_addc_u32 s1, s36, s1
	v_mov_b32_e32 v0, 0
	global_store_dwordx4 v0, v[2:5], s[0:1]
.LBB172_38:
	s_endpgm
	.section	.rodata,"a",@progbits
	.p2align	6, 0x0
	.amdhsa_kernel _ZL20rocblas_gemvt_kernelILb0ELi256E19rocblas_complex_numIdEPKS1_S1_EviiT2_lPKT1_lilS7_lilS4_lPT3_lili
		.amdhsa_group_segment_fixed_size 4096
		.amdhsa_private_segment_fixed_size 0
		.amdhsa_kernarg_size 140
		.amdhsa_user_sgpr_count 2
		.amdhsa_user_sgpr_dispatch_ptr 0
		.amdhsa_user_sgpr_queue_ptr 0
		.amdhsa_user_sgpr_kernarg_segment_ptr 1
		.amdhsa_user_sgpr_dispatch_id 0
		.amdhsa_user_sgpr_kernarg_preload_length 0
		.amdhsa_user_sgpr_kernarg_preload_offset 0
		.amdhsa_user_sgpr_private_segment_size 0
		.amdhsa_uses_dynamic_stack 0
		.amdhsa_enable_private_segment 0
		.amdhsa_system_sgpr_workgroup_id_x 1
		.amdhsa_system_sgpr_workgroup_id_y 0
		.amdhsa_system_sgpr_workgroup_id_z 1
		.amdhsa_system_sgpr_workgroup_info 0
		.amdhsa_system_vgpr_workitem_id 0
		.amdhsa_next_free_vgpr 22
		.amdhsa_next_free_sgpr 39
		.amdhsa_accum_offset 24
		.amdhsa_reserve_vcc 1
		.amdhsa_float_round_mode_32 0
		.amdhsa_float_round_mode_16_64 0
		.amdhsa_float_denorm_mode_32 3
		.amdhsa_float_denorm_mode_16_64 3
		.amdhsa_dx10_clamp 1
		.amdhsa_ieee_mode 1
		.amdhsa_fp16_overflow 0
		.amdhsa_tg_split 0
		.amdhsa_exception_fp_ieee_invalid_op 0
		.amdhsa_exception_fp_denorm_src 0
		.amdhsa_exception_fp_ieee_div_zero 0
		.amdhsa_exception_fp_ieee_overflow 0
		.amdhsa_exception_fp_ieee_underflow 0
		.amdhsa_exception_fp_ieee_inexact 0
		.amdhsa_exception_int_div_zero 0
	.end_amdhsa_kernel
	.section	.text._ZL20rocblas_gemvt_kernelILb0ELi256E19rocblas_complex_numIdEPKS1_S1_EviiT2_lPKT1_lilS7_lilS4_lPT3_lili,"axG",@progbits,_ZL20rocblas_gemvt_kernelILb0ELi256E19rocblas_complex_numIdEPKS1_S1_EviiT2_lPKT1_lilS7_lilS4_lPT3_lili,comdat
.Lfunc_end172:
	.size	_ZL20rocblas_gemvt_kernelILb0ELi256E19rocblas_complex_numIdEPKS1_S1_EviiT2_lPKT1_lilS7_lilS4_lPT3_lili, .Lfunc_end172-_ZL20rocblas_gemvt_kernelILb0ELi256E19rocblas_complex_numIdEPKS1_S1_EviiT2_lPKT1_lilS7_lilS4_lPT3_lili
                                        ; -- End function
	.section	.AMDGPU.csdata,"",@progbits
; Kernel info:
; codeLenInByte = 1724
; NumSgprs: 45
; NumVgprs: 22
; NumAgprs: 0
; TotalNumVgprs: 22
; ScratchSize: 0
; MemoryBound: 0
; FloatMode: 240
; IeeeMode: 1
; LDSByteSize: 4096 bytes/workgroup (compile time only)
; SGPRBlocks: 5
; VGPRBlocks: 2
; NumSGPRsForWavesPerEU: 45
; NumVGPRsForWavesPerEU: 22
; AccumOffset: 24
; Occupancy: 8
; WaveLimiterHint : 1
; COMPUTE_PGM_RSRC2:SCRATCH_EN: 0
; COMPUTE_PGM_RSRC2:USER_SGPR: 2
; COMPUTE_PGM_RSRC2:TRAP_HANDLER: 0
; COMPUTE_PGM_RSRC2:TGID_X_EN: 1
; COMPUTE_PGM_RSRC2:TGID_Y_EN: 0
; COMPUTE_PGM_RSRC2:TGID_Z_EN: 1
; COMPUTE_PGM_RSRC2:TIDIG_COMP_CNT: 0
; COMPUTE_PGM_RSRC3_GFX90A:ACCUM_OFFSET: 5
; COMPUTE_PGM_RSRC3_GFX90A:TG_SPLIT: 0
	.section	.text._ZL20rocblas_gemvt_kernelILb0ELi256E19rocblas_complex_numIdES1_S1_EviiT2_lPKT1_lilS5_lilS2_lPT3_lili,"axG",@progbits,_ZL20rocblas_gemvt_kernelILb0ELi256E19rocblas_complex_numIdES1_S1_EviiT2_lPKT1_lilS5_lilS2_lPT3_lili,comdat
	.globl	_ZL20rocblas_gemvt_kernelILb0ELi256E19rocblas_complex_numIdES1_S1_EviiT2_lPKT1_lilS5_lilS2_lPT3_lili ; -- Begin function _ZL20rocblas_gemvt_kernelILb0ELi256E19rocblas_complex_numIdES1_S1_EviiT2_lPKT1_lilS5_lilS2_lPT3_lili
	.p2align	8
	.type	_ZL20rocblas_gemvt_kernelILb0ELi256E19rocblas_complex_numIdES1_S1_EviiT2_lPKT1_lilS5_lilS2_lPT3_lili,@function
_ZL20rocblas_gemvt_kernelILb0ELi256E19rocblas_complex_numIdES1_S1_EviiT2_lPKT1_lilS5_lilS2_lPT3_lili: ; @_ZL20rocblas_gemvt_kernelILb0ELi256E19rocblas_complex_numIdES1_S1_EviiT2_lPKT1_lilS5_lilS2_lPT3_lili
; %bb.0:
	s_load_dwordx4 s[12:15], s[0:1], 0x8
	s_load_dwordx4 s[8:11], s[0:1], 0x58
	s_load_dwordx2 s[20:21], s[0:1], 0x68
	s_waitcnt lgkmcnt(0)
	v_cmp_neq_f64_e64 s[4:5], s[12:13], 0
	v_cmp_neq_f64_e64 s[6:7], s[14:15], 0
	s_or_b64 s[4:5], s[4:5], s[6:7]
	s_mov_b64 s[6:7], -1
	s_and_b64 vcc, exec, s[4:5]
	s_cbranch_vccnz .LBB173_2
; %bb.1:
	v_cmp_neq_f64_e64 s[6:7], s[10:11], 1.0
	v_cmp_neq_f64_e64 s[16:17], s[20:21], 0
	s_or_b64 s[6:7], s[6:7], s[16:17]
.LBB173_2:
	s_andn2_b64 vcc, exec, s[6:7]
	s_cbranch_vccnz .LBB173_38
; %bb.3:
	s_load_dwordx2 s[6:7], s[0:1], 0x90
	s_load_dwordx4 s[16:19], s[0:1], 0x78
	s_load_dword s37, s[0:1], 0x88
	s_xor_b64 s[4:5], s[4:5], -1
	s_waitcnt lgkmcnt(0)
	s_mul_i32 s7, s3, s7
	s_mul_hi_u32 s22, s3, s6
	s_mul_i32 s6, s3, s6
	s_add_i32 s7, s22, s7
	s_lshl_b64 s[6:7], s[6:7], 4
	s_add_u32 s16, s16, s6
	s_addc_u32 s17, s17, s7
	s_lshl_b64 s[6:7], s[18:19], 4
	s_add_u32 s33, s16, s6
	s_addc_u32 s36, s17, s7
	s_andn2_b64 vcc, exec, s[4:5]
	v_cmp_eq_u32_e64 s[4:5], 0, v0
	s_cbranch_vccnz .LBB173_8
; %bb.4:
	s_mov_b64 s[16:17], 0
	s_mov_b64 s[22:23], 0
                                        ; implicit-def: $vgpr4_vgpr5
                                        ; implicit-def: $sgpr6_sgpr7
	s_and_saveexec_b64 s[18:19], s[4:5]
	s_cbranch_execz .LBB173_9
; %bb.5:
	v_cmp_neq_f64_e64 s[4:5], s[10:11], 0
	v_cmp_neq_f64_e64 s[22:23], s[20:21], 0
	v_mov_b64_e32 v[4:5], 0
	s_or_b64 s[4:5], s[4:5], s[22:23]
	s_mul_hi_i32 s7, s37, s2
	s_mul_i32 s6, s37, s2
	s_andn2_b64 vcc, exec, s[4:5]
	v_mov_b64_e32 v[2:3], v[4:5]
	s_cbranch_vccnz .LBB173_7
; %bb.6:
	s_lshl_b64 s[4:5], s[6:7], 4
	s_add_u32 s4, s33, s4
	s_addc_u32 s5, s36, s5
	s_load_dwordx4 s[24:27], s[4:5], 0x0
	s_waitcnt lgkmcnt(0)
	v_mov_b64_e32 v[2:3], s[26:27]
	v_mov_b64_e32 v[6:7], s[24:25]
	v_mul_f64 v[8:9], s[20:21], v[2:3]
	v_mul_f64 v[4:5], s[10:11], v[2:3]
	v_fma_f64 v[2:3], s[10:11], v[6:7], -v[8:9]
	v_fmac_f64_e32 v[4:5], s[20:21], v[6:7]
.LBB173_7:
	s_mov_b64 s[22:23], exec
	s_or_b64 exec, exec, s[18:19]
	s_and_b64 vcc, exec, s[16:17]
	s_cbranch_vccnz .LBB173_10
	s_branch .LBB173_36
.LBB173_8:
	s_mov_b64 s[22:23], 0
                                        ; implicit-def: $vgpr4_vgpr5
                                        ; implicit-def: $sgpr6_sgpr7
	s_cbranch_execnz .LBB173_10
	s_branch .LBB173_36
.LBB173_9:
	s_or_b64 exec, exec, s[18:19]
	s_and_b64 vcc, exec, s[16:17]
	s_cbranch_vccz .LBB173_36
.LBB173_10:
	s_load_dword s38, s[0:1], 0x0
	s_load_dwordx4 s[16:19], s[0:1], 0x20
	s_load_dword s28, s[0:1], 0x30
	s_load_dwordx4 s[4:7], s[0:1], 0x38
	s_load_dwordx2 s[24:25], s[0:1], 0x48
	s_mul_i32 s9, s3, s9
	s_load_dword s0, s[0:1], 0x50
	s_mul_hi_u32 s26, s3, s8
	s_waitcnt lgkmcnt(0)
	s_mul_i32 s1, s3, s5
	s_mul_hi_u32 s5, s3, s4
	s_add_i32 s27, s5, s1
	s_ashr_i32 s1, s38, 31
	s_lshr_b32 s1, s1, 24
	v_cmp_gt_i32_e32 vcc, s38, v0
	s_add_i32 s1, s38, s1
	s_add_i32 s9, s26, s9
	s_mul_i32 s26, s3, s4
	v_cndmask_b32_e32 v1, 0, v0, vcc
	s_and_b32 s4, s1, 0xffffff00
	v_mov_b64_e32 v[4:5], 0
	s_mul_i32 s8, s3, s8
	s_mov_b32 s3, 0
	v_mov_b32_e32 v7, 0
	s_mul_hi_i32 s29, s28, s2
	s_mul_i32 s28, s28, s2
	s_cmpk_lt_i32 s38, 0x100
	v_lshlrev_b32_e32 v6, 4, v1
	v_mov_b64_e32 v[2:3], v[4:5]
	s_cbranch_scc1 .LBB173_13
; %bb.11:
	s_ashr_i32 s1, s0, 31
	s_lshl_b64 s[30:31], s[28:29], 4
	s_lshl_b64 s[34:35], s[26:27], 4
	s_add_u32 s5, s30, s34
	s_addc_u32 s34, s31, s35
	s_lshl_b64 s[30:31], s[18:19], 4
	s_add_u32 s5, s5, s30
	s_addc_u32 s31, s34, s31
	s_add_u32 s30, s16, s5
	s_addc_u32 s31, s17, s31
	v_lshl_add_u64 v[2:3], s[30:31], 0, v[6:7]
	v_lshl_add_u64 v[8:9], v[2:3], 0, 8
	v_mad_i64_i32 v[2:3], s[34:35], s0, v0, 0
	s_lshl_b64 s[30:31], s[8:9], 4
	s_lshl_b64 s[34:35], s[24:25], 4
	s_add_u32 s5, s6, s34
	s_addc_u32 s34, s7, s35
	s_add_u32 s30, s5, s30
	s_addc_u32 s31, s34, s31
	v_lshl_add_u64 v[2:3], v[2:3], 4, s[30:31]
	v_mov_b64_e32 v[4:5], 0
	v_lshl_add_u64 v[10:11], v[2:3], 0, 8
	s_lshl_b64 s[30:31], s[0:1], 12
	s_mov_b64 s[34:35], 0x1000
	v_mov_b64_e32 v[2:3], v[4:5]
.LBB173_12:                             ; =>This Inner Loop Header: Depth=1
	global_load_dwordx4 v[12:15], v[8:9], off offset:-8
	global_load_dwordx4 v[16:19], v[10:11], off offset:-8
	s_addk_i32 s3, 0x100
	v_lshl_add_u64 v[8:9], v[8:9], 0, s[34:35]
	v_lshl_add_u64 v[10:11], v[10:11], 0, s[30:31]
	s_cmp_ge_i32 s3, s4
	s_waitcnt vmcnt(0)
	v_mul_f64 v[20:21], v[14:15], v[18:19]
	v_mul_f64 v[18:19], v[12:13], v[18:19]
	v_fma_f64 v[12:13], v[12:13], v[16:17], -v[20:21]
	v_fmac_f64_e32 v[18:19], v[14:15], v[16:17]
	v_add_f64 v[2:3], v[2:3], v[12:13]
	v_add_f64 v[4:5], v[4:5], v[18:19]
	s_cbranch_scc0 .LBB173_12
.LBB173_13:
	v_add_u32_e32 v1, s4, v0
	v_cmp_gt_i32_e32 vcc, s38, v1
	s_and_saveexec_b64 s[30:31], vcc
	s_cbranch_execz .LBB173_15
; %bb.14:
	s_lshl_b64 s[26:27], s[26:27], 4
	s_add_u32 s1, s16, s26
	s_addc_u32 s3, s17, s27
	s_lshl_b64 s[16:17], s[18:19], 4
	s_add_u32 s1, s1, s16
	s_addc_u32 s3, s3, s17
	s_lshl_b64 s[16:17], s[28:29], 4
	s_lshl_b64 s[8:9], s[8:9], 4
	s_add_u32 s5, s6, s8
	s_addc_u32 s8, s7, s9
	s_lshl_b64 s[6:7], s[24:25], 4
	s_add_u32 s6, s5, s6
	s_addc_u32 s7, s8, s7
	s_ashr_i32 s5, s4, 31
	s_lshl_b64 s[4:5], s[4:5], 4
	s_add_u32 s4, s4, s16
	s_addc_u32 s5, s5, s17
	s_add_u32 s4, s4, s1
	v_mad_i64_i32 v[8:9], s[0:1], s0, v1, 0
	v_lshl_add_u64 v[16:17], v[8:9], 4, s[6:7]
	s_addc_u32 s5, s5, s3
	global_load_dwordx4 v[8:11], v[16:17], off
	global_load_dwordx4 v[12:15], v6, s[4:5]
	s_waitcnt vmcnt(0)
	v_mul_f64 v[6:7], v[14:15], v[10:11]
	v_mul_f64 v[10:11], v[12:13], v[10:11]
	v_fma_f64 v[6:7], v[12:13], v[8:9], -v[6:7]
	v_fmac_f64_e32 v[10:11], v[14:15], v[8:9]
	v_add_f64 v[2:3], v[2:3], v[6:7]
	v_add_f64 v[4:5], v[4:5], v[10:11]
.LBB173_15:
	s_or_b64 exec, exec, s[30:31]
	s_movk_i32 s0, 0x80
	v_lshlrev_b32_e32 v1, 4, v0
	v_cmp_gt_u32_e32 vcc, s0, v0
	ds_write_b128 v1, v[2:5]
	s_waitcnt lgkmcnt(0)
	s_barrier
	s_and_saveexec_b64 s[0:1], vcc
	s_cbranch_execz .LBB173_17
; %bb.16:
	ds_read_b128 v[2:5], v1 offset:2048
	ds_read_b128 v[6:9], v1
	s_waitcnt lgkmcnt(0)
	v_add_f64 v[2:3], v[2:3], v[6:7]
	v_add_f64 v[4:5], v[4:5], v[8:9]
	ds_write_b128 v1, v[2:5]
.LBB173_17:
	s_or_b64 exec, exec, s[0:1]
	v_cmp_gt_u32_e32 vcc, 64, v0
	s_waitcnt lgkmcnt(0)
	s_barrier
	s_and_saveexec_b64 s[0:1], vcc
	s_cbranch_execz .LBB173_19
; %bb.18:
	ds_read_b128 v[2:5], v1 offset:1024
	ds_read_b128 v[6:9], v1
	s_waitcnt lgkmcnt(0)
	v_add_f64 v[2:3], v[2:3], v[6:7]
	v_add_f64 v[4:5], v[4:5], v[8:9]
	ds_write_b128 v1, v[2:5]
.LBB173_19:
	s_or_b64 exec, exec, s[0:1]
	v_cmp_gt_u32_e32 vcc, 32, v0
	;; [unrolled: 14-line block ×6, first 2 shown]
	s_waitcnt lgkmcnt(0)
	s_barrier
	s_and_saveexec_b64 s[0:1], vcc
	s_cbranch_execz .LBB173_29
; %bb.28:
	ds_read_b128 v[2:5], v1
	ds_read_b128 v[6:9], v1 offset:32
	s_waitcnt lgkmcnt(0)
	v_add_f64 v[2:3], v[6:7], v[2:3]
	v_add_f64 v[4:5], v[8:9], v[4:5]
	ds_write_b128 v1, v[2:5]
.LBB173_29:
	s_or_b64 exec, exec, s[0:1]
	v_cmp_eq_u32_e32 vcc, 0, v0
	s_waitcnt lgkmcnt(0)
	s_barrier
	s_and_saveexec_b64 s[0:1], vcc
	s_cbranch_execz .LBB173_31
; %bb.30:
	v_mov_b32_e32 v8, 0
	ds_read_b128 v[0:3], v8
	ds_read_b128 v[4:7], v8 offset:16
	s_waitcnt lgkmcnt(0)
	v_add_f64 v[0:1], v[4:5], v[0:1]
	v_add_f64 v[2:3], v[6:7], v[2:3]
	ds_write_b128 v8, v[0:3]
.LBB173_31:
	s_or_b64 exec, exec, s[0:1]
	s_waitcnt lgkmcnt(0)
	s_barrier
	s_waitcnt lgkmcnt(0)
                                        ; implicit-def: $vgpr4_vgpr5
                                        ; implicit-def: $sgpr6_sgpr7
	s_and_saveexec_b64 s[0:1], vcc
	s_cbranch_execz .LBB173_35
; %bb.32:
	v_mov_b32_e32 v0, 0
	ds_read_b128 v[0:3], v0
	v_cmp_neq_f64_e64 s[4:5], s[10:11], 0
	v_cmp_neq_f64_e64 s[8:9], s[20:21], 0
	s_or_b64 s[4:5], s[4:5], s[8:9]
	s_mul_hi_i32 s7, s37, s2
	s_waitcnt lgkmcnt(0)
	v_mul_f64 v[6:7], s[14:15], v[2:3]
	v_mul_f64 v[4:5], s[12:13], v[2:3]
	v_fma_f64 v[2:3], s[12:13], v[0:1], -v[6:7]
	v_fmac_f64_e32 v[4:5], s[14:15], v[0:1]
	s_andn2_b64 vcc, exec, s[4:5]
	s_mul_i32 s6, s37, s2
	s_cbranch_vccnz .LBB173_34
; %bb.33:
	s_lshl_b64 s[2:3], s[6:7], 4
	s_add_u32 s2, s33, s2
	s_addc_u32 s3, s36, s3
	s_load_dwordx4 s[12:15], s[2:3], 0x0
	s_waitcnt lgkmcnt(0)
	v_mov_b64_e32 v[0:1], s[14:15]
	v_mov_b64_e32 v[6:7], s[12:13]
	v_mul_f64 v[8:9], s[20:21], v[0:1]
	v_mul_f64 v[0:1], s[10:11], v[0:1]
	v_fma_f64 v[8:9], s[10:11], v[6:7], -v[8:9]
	v_fmac_f64_e32 v[0:1], s[20:21], v[6:7]
	v_add_f64 v[2:3], v[2:3], v[8:9]
	v_add_f64 v[4:5], v[4:5], v[0:1]
.LBB173_34:
	s_or_b64 s[22:23], s[22:23], exec
.LBB173_35:
	s_or_b64 exec, exec, s[0:1]
.LBB173_36:
	s_and_saveexec_b64 s[0:1], s[22:23]
	s_cbranch_execz .LBB173_38
; %bb.37:
	s_lshl_b64 s[0:1], s[6:7], 4
	s_add_u32 s0, s33, s0
	s_addc_u32 s1, s36, s1
	v_mov_b32_e32 v0, 0
	global_store_dwordx4 v0, v[2:5], s[0:1]
.LBB173_38:
	s_endpgm
	.section	.rodata,"a",@progbits
	.p2align	6, 0x0
	.amdhsa_kernel _ZL20rocblas_gemvt_kernelILb0ELi256E19rocblas_complex_numIdES1_S1_EviiT2_lPKT1_lilS5_lilS2_lPT3_lili
		.amdhsa_group_segment_fixed_size 4096
		.amdhsa_private_segment_fixed_size 0
		.amdhsa_kernarg_size 156
		.amdhsa_user_sgpr_count 2
		.amdhsa_user_sgpr_dispatch_ptr 0
		.amdhsa_user_sgpr_queue_ptr 0
		.amdhsa_user_sgpr_kernarg_segment_ptr 1
		.amdhsa_user_sgpr_dispatch_id 0
		.amdhsa_user_sgpr_kernarg_preload_length 0
		.amdhsa_user_sgpr_kernarg_preload_offset 0
		.amdhsa_user_sgpr_private_segment_size 0
		.amdhsa_uses_dynamic_stack 0
		.amdhsa_enable_private_segment 0
		.amdhsa_system_sgpr_workgroup_id_x 1
		.amdhsa_system_sgpr_workgroup_id_y 0
		.amdhsa_system_sgpr_workgroup_id_z 1
		.amdhsa_system_sgpr_workgroup_info 0
		.amdhsa_system_vgpr_workitem_id 0
		.amdhsa_next_free_vgpr 22
		.amdhsa_next_free_sgpr 39
		.amdhsa_accum_offset 24
		.amdhsa_reserve_vcc 1
		.amdhsa_float_round_mode_32 0
		.amdhsa_float_round_mode_16_64 0
		.amdhsa_float_denorm_mode_32 3
		.amdhsa_float_denorm_mode_16_64 3
		.amdhsa_dx10_clamp 1
		.amdhsa_ieee_mode 1
		.amdhsa_fp16_overflow 0
		.amdhsa_tg_split 0
		.amdhsa_exception_fp_ieee_invalid_op 0
		.amdhsa_exception_fp_denorm_src 0
		.amdhsa_exception_fp_ieee_div_zero 0
		.amdhsa_exception_fp_ieee_overflow 0
		.amdhsa_exception_fp_ieee_underflow 0
		.amdhsa_exception_fp_ieee_inexact 0
		.amdhsa_exception_int_div_zero 0
	.end_amdhsa_kernel
	.section	.text._ZL20rocblas_gemvt_kernelILb0ELi256E19rocblas_complex_numIdES1_S1_EviiT2_lPKT1_lilS5_lilS2_lPT3_lili,"axG",@progbits,_ZL20rocblas_gemvt_kernelILb0ELi256E19rocblas_complex_numIdES1_S1_EviiT2_lPKT1_lilS5_lilS2_lPT3_lili,comdat
.Lfunc_end173:
	.size	_ZL20rocblas_gemvt_kernelILb0ELi256E19rocblas_complex_numIdES1_S1_EviiT2_lPKT1_lilS5_lilS2_lPT3_lili, .Lfunc_end173-_ZL20rocblas_gemvt_kernelILb0ELi256E19rocblas_complex_numIdES1_S1_EviiT2_lPKT1_lilS5_lilS2_lPT3_lili
                                        ; -- End function
	.section	.AMDGPU.csdata,"",@progbits
; Kernel info:
; codeLenInByte = 1664
; NumSgprs: 45
; NumVgprs: 22
; NumAgprs: 0
; TotalNumVgprs: 22
; ScratchSize: 0
; MemoryBound: 0
; FloatMode: 240
; IeeeMode: 1
; LDSByteSize: 4096 bytes/workgroup (compile time only)
; SGPRBlocks: 5
; VGPRBlocks: 2
; NumSGPRsForWavesPerEU: 45
; NumVGPRsForWavesPerEU: 22
; AccumOffset: 24
; Occupancy: 8
; WaveLimiterHint : 1
; COMPUTE_PGM_RSRC2:SCRATCH_EN: 0
; COMPUTE_PGM_RSRC2:USER_SGPR: 2
; COMPUTE_PGM_RSRC2:TRAP_HANDLER: 0
; COMPUTE_PGM_RSRC2:TGID_X_EN: 1
; COMPUTE_PGM_RSRC2:TGID_Y_EN: 0
; COMPUTE_PGM_RSRC2:TGID_Z_EN: 1
; COMPUTE_PGM_RSRC2:TIDIG_COMP_CNT: 0
; COMPUTE_PGM_RSRC3_GFX90A:ACCUM_OFFSET: 5
; COMPUTE_PGM_RSRC3_GFX90A:TG_SPLIT: 0
	.section	.text._ZL32rocblas_gemvt_warp_reduce_kernelILb0ELi1024Ei19rocblas_complex_numIdEPKS1_S1_EviiT3_lPKT2_lT1_lS7_lS8_lS4_lPT4_lS8_li,"axG",@progbits,_ZL32rocblas_gemvt_warp_reduce_kernelILb0ELi1024Ei19rocblas_complex_numIdEPKS1_S1_EviiT3_lPKT2_lT1_lS7_lS8_lS4_lPT4_lS8_li,comdat
	.globl	_ZL32rocblas_gemvt_warp_reduce_kernelILb0ELi1024Ei19rocblas_complex_numIdEPKS1_S1_EviiT3_lPKT2_lT1_lS7_lS8_lS4_lPT4_lS8_li ; -- Begin function _ZL32rocblas_gemvt_warp_reduce_kernelILb0ELi1024Ei19rocblas_complex_numIdEPKS1_S1_EviiT3_lPKT2_lT1_lS7_lS8_lS4_lPT4_lS8_li
	.p2align	8
	.type	_ZL32rocblas_gemvt_warp_reduce_kernelILb0ELi1024Ei19rocblas_complex_numIdEPKS1_S1_EviiT3_lPKT2_lT1_lS7_lS8_lS4_lPT4_lS8_li,@function
_ZL32rocblas_gemvt_warp_reduce_kernelILb0ELi1024Ei19rocblas_complex_numIdEPKS1_S1_EviiT3_lPKT2_lT1_lS7_lS8_lS4_lPT4_lS8_li: ; @_ZL32rocblas_gemvt_warp_reduce_kernelILb0ELi1024Ei19rocblas_complex_numIdEPKS1_S1_EviiT3_lPKT2_lT1_lS7_lS8_lS4_lPT4_lS8_li
; %bb.0:
	s_load_dwordx8 s[4:11], s[0:1], 0x8
	s_load_dwordx8 s[12:19], s[0:1], 0x50
	s_waitcnt lgkmcnt(0)
	s_mul_i32 s7, s3, s7
	s_mul_hi_u32 s20, s3, s6
	s_add_i32 s7, s20, s7
	s_mul_i32 s6, s3, s6
	s_lshl_b64 s[6:7], s[6:7], 4
	s_add_u32 s4, s4, s6
	s_addc_u32 s5, s5, s7
	s_load_dwordx4 s[24:27], s[4:5], 0x0
	s_mul_i32 s4, s3, s17
	s_mul_hi_u32 s5, s3, s16
	s_add_i32 s5, s5, s4
	s_mul_i32 s4, s3, s16
	s_lshl_b64 s[4:5], s[4:5], 4
	s_add_u32 s4, s14, s4
	s_addc_u32 s5, s15, s5
	s_load_dwordx4 s[20:23], s[4:5], 0x0
	s_waitcnt lgkmcnt(0)
	v_cmp_neq_f64_e64 s[4:5], s[24:25], 0
	v_cmp_neq_f64_e64 s[6:7], s[26:27], 0
	s_or_b64 s[4:5], s[4:5], s[6:7]
	s_mov_b64 s[6:7], -1
	s_and_b64 vcc, exec, s[4:5]
	s_cbranch_vccnz .LBB174_2
; %bb.1:
	v_cmp_neq_f64_e64 s[6:7], s[20:21], 1.0
	v_cmp_neq_f64_e64 s[14:15], s[22:23], 0
	s_or_b64 s[6:7], s[6:7], s[14:15]
.LBB174_2:
	s_andn2_b64 vcc, exec, s[6:7]
	s_cbranch_vccnz .LBB174_31
; %bb.3:
	s_load_dwordx2 s[6:7], s[0:1], 0x80
	s_load_dwordx2 s[14:15], s[0:1], 0x70
	s_load_dword s33, s[0:1], 0x78
	s_xor_b64 s[4:5], s[4:5], -1
	s_waitcnt lgkmcnt(0)
	s_mul_i32 s7, s3, s7
	s_mul_hi_u32 s16, s3, s6
	s_mul_i32 s6, s3, s6
	s_add_i32 s7, s16, s7
	s_lshl_b64 s[6:7], s[6:7], 4
	s_add_u32 s16, s18, s6
	s_addc_u32 s17, s19, s7
	s_lshl_b64 s[6:7], s[14:15], 4
	s_add_u32 s30, s16, s6
	s_addc_u32 s31, s17, s7
	s_andn2_b64 vcc, exec, s[4:5]
	v_cmp_eq_u32_e64 s[4:5], 0, v0
	s_cbranch_vccnz .LBB174_8
; %bb.4:
	s_mov_b64 s[16:17], 0
	s_mov_b64 s[6:7], 0
                                        ; implicit-def: $vgpr4_vgpr5
                                        ; implicit-def: $sgpr14_sgpr15
	s_and_saveexec_b64 s[18:19], s[4:5]
	s_cbranch_execz .LBB174_9
; %bb.5:
	v_cmp_neq_f64_e64 s[4:5], s[20:21], 0
	v_cmp_neq_f64_e64 s[6:7], s[22:23], 0
	v_mov_b64_e32 v[4:5], 0
	s_mul_i32 s14, s2, s33
	s_or_b64 s[4:5], s[4:5], s[6:7]
	s_ashr_i32 s15, s14, 31
	s_andn2_b64 vcc, exec, s[4:5]
	v_mov_b64_e32 v[2:3], v[4:5]
	s_cbranch_vccnz .LBB174_7
; %bb.6:
	s_lshl_b64 s[4:5], s[14:15], 4
	s_add_u32 s4, s30, s4
	s_addc_u32 s5, s31, s5
	s_load_dwordx4 s[4:7], s[4:5], 0x0
	s_waitcnt lgkmcnt(0)
	v_mov_b64_e32 v[2:3], s[6:7]
	v_mov_b64_e32 v[6:7], s[4:5]
	v_mul_f64 v[8:9], s[22:23], v[2:3]
	v_mul_f64 v[4:5], s[20:21], v[2:3]
	v_fma_f64 v[2:3], s[20:21], v[6:7], -v[8:9]
	v_fmac_f64_e32 v[4:5], s[22:23], v[6:7]
.LBB174_7:
	s_mov_b64 s[6:7], exec
	s_or_b64 exec, exec, s[18:19]
	s_and_b64 vcc, exec, s[16:17]
	s_cbranch_vccnz .LBB174_10
	s_branch .LBB174_29
.LBB174_8:
	s_mov_b64 s[6:7], 0
                                        ; implicit-def: $vgpr4_vgpr5
                                        ; implicit-def: $sgpr14_sgpr15
	s_cbranch_execnz .LBB174_10
	s_branch .LBB174_29
.LBB174_9:
	s_or_b64 exec, exec, s[18:19]
	s_and_b64 vcc, exec, s[16:17]
	s_cbranch_vccz .LBB174_29
.LBB174_10:
	s_load_dword s15, s[0:1], 0x0
	s_load_dword s14, s[0:1], 0x28
	s_load_dwordx4 s[16:19], s[0:1], 0x30
	s_load_dwordx2 s[4:5], s[0:1], 0x40
	s_mul_i32 s13, s3, s13
	s_mul_hi_u32 s28, s3, s12
	s_add_i32 s13, s28, s13
	s_mul_i32 s12, s3, s12
	s_lshl_b64 s[12:13], s[12:13], 4
	s_waitcnt lgkmcnt(0)
	s_add_u32 s12, s18, s12
	s_addc_u32 s13, s19, s13
	s_lshl_b64 s[4:5], s[4:5], 4
	s_add_u32 s4, s12, s4
	s_load_dword s34, s[0:1], 0x48
	s_mul_i32 s0, s3, s17
	s_mul_hi_u32 s1, s3, s16
	s_addc_u32 s5, s13, s5
	s_add_i32 s1, s1, s0
	s_mul_i32 s0, s3, s16
	s_ashr_i32 s3, s15, 31
	s_lshr_b32 s3, s3, 22
	v_cmp_gt_i32_e32 vcc, s15, v0
	s_add_i32 s3, s15, s3
	s_mul_i32 s12, s2, s14
	v_cndmask_b32_e32 v1, 0, v0, vcc
	s_and_b32 s14, s3, 0xfffffc00
	v_mov_b64_e32 v[2:3], 0
	v_mov_b32_e32 v7, 0
	s_ashr_i32 s13, s12, 31
	v_cmp_gt_i32_e32 vcc, s14, v0
	v_lshlrev_b32_e32 v6, 4, v1
	v_mov_b64_e32 v[4:5], v[2:3]
	s_and_saveexec_b64 s[16:17], vcc
	s_cbranch_execz .LBB174_14
; %bb.11:
	s_waitcnt lgkmcnt(0)
	s_lshl_b32 s3, s34, 10
	s_lshl_b64 s[18:19], s[0:1], 4
	s_lshl_b64 s[28:29], s[10:11], 4
	s_add_u32 s28, s18, s28
	s_addc_u32 s29, s19, s29
	s_lshl_b64 s[18:19], s[12:13], 4
	s_add_u32 s18, s28, s18
	s_addc_u32 s19, s29, s19
	s_add_u32 s18, s8, s18
	s_addc_u32 s19, s9, s19
	v_lshl_add_u64 v[2:3], s[18:19], 0, v[6:7]
	v_lshl_add_u64 v[10:11], v[2:3], 0, 8
	v_mov_b64_e32 v[2:3], 0
	v_mul_lo_u32 v8, v0, s34
	s_mov_b64 s[18:19], 0
	s_mov_b64 s[28:29], 0x4000
	v_mov_b32_e32 v1, v0
	v_mov_b64_e32 v[4:5], v[2:3]
.LBB174_12:                             ; =>This Inner Loop Header: Depth=1
	v_ashrrev_i32_e32 v9, 31, v8
	v_lshl_add_u64 v[16:17], v[8:9], 4, s[4:5]
	global_load_dwordx4 v[12:15], v[10:11], off offset:-8
	v_add_u32_e32 v1, 0x400, v1
	global_load_dwordx4 v[16:19], v[16:17], off
	v_cmp_le_i32_e32 vcc, s14, v1
	v_lshl_add_u64 v[10:11], v[10:11], 0, s[28:29]
	v_add_u32_e32 v8, s3, v8
	s_or_b64 s[18:19], vcc, s[18:19]
	s_waitcnt vmcnt(0)
	v_mul_f64 v[20:21], v[14:15], v[18:19]
	v_mul_f64 v[18:19], v[12:13], v[18:19]
	v_fma_f64 v[12:13], v[12:13], v[16:17], -v[20:21]
	v_fmac_f64_e32 v[18:19], v[14:15], v[16:17]
	v_add_f64 v[4:5], v[4:5], v[12:13]
	v_add_f64 v[2:3], v[2:3], v[18:19]
	s_andn2_b64 exec, exec, s[18:19]
	s_cbranch_execnz .LBB174_12
; %bb.13:
	s_or_b64 exec, exec, s[18:19]
.LBB174_14:
	s_or_b64 exec, exec, s[16:17]
	v_or_b32_e32 v1, s14, v0
	v_cmp_gt_i32_e32 vcc, s15, v1
	s_and_saveexec_b64 s[16:17], vcc
	s_cbranch_execz .LBB174_16
; %bb.15:
	s_lshl_b64 s[0:1], s[0:1], 4
	s_add_u32 s3, s8, s0
	s_addc_u32 s8, s9, s1
	s_lshl_b64 s[0:1], s[10:11], 4
	s_add_u32 s3, s3, s0
	s_addc_u32 s10, s8, s1
	s_ashr_i32 s15, s14, 31
	s_lshl_b64 s[0:1], s[12:13], 4
	s_lshl_b64 s[8:9], s[14:15], 4
	s_add_u32 s0, s8, s0
	s_waitcnt lgkmcnt(0)
	v_mul_lo_u32 v8, v1, s34
	s_addc_u32 s1, s9, s1
	v_ashrrev_i32_e32 v9, 31, v8
	s_add_u32 s0, s0, s3
	v_lshl_add_u64 v[16:17], v[8:9], 4, s[4:5]
	s_addc_u32 s1, s1, s10
	global_load_dwordx4 v[8:11], v[16:17], off
	global_load_dwordx4 v[12:15], v6, s[0:1]
	s_waitcnt vmcnt(0)
	v_mul_f64 v[6:7], v[14:15], v[10:11]
	v_mul_f64 v[10:11], v[12:13], v[10:11]
	v_fma_f64 v[6:7], v[12:13], v[8:9], -v[6:7]
	v_fmac_f64_e32 v[10:11], v[14:15], v[8:9]
	v_add_f64 v[4:5], v[4:5], v[6:7]
	v_add_f64 v[2:3], v[2:3], v[10:11]
.LBB174_16:
	s_or_b64 exec, exec, s[16:17]
	v_and_b32_e32 v13, 63, v0
	v_cmp_gt_u32_e32 vcc, 64, v0
	v_lshlrev_b32_e32 v1, 4, v13
	s_and_saveexec_b64 s[0:1], vcc
	s_cbranch_execz .LBB174_18
; %bb.17:
	v_mov_b32_e32 v6, 0
	v_mov_b32_e32 v7, v6
	;; [unrolled: 1-line block ×4, first 2 shown]
	ds_write_b128 v1, v[6:9]
.LBB174_18:
	s_or_b64 exec, exec, s[0:1]
	v_mbcnt_lo_u32_b32 v6, -1, 0
	v_mbcnt_hi_u32_b32 v14, -1, v6
	v_and_b32_e32 v15, 63, v14
	v_cmp_gt_u32_e64 s[0:1], 32, v15
	s_waitcnt lgkmcnt(0)
	s_barrier
	v_cndmask_b32_e64 v6, 0, 1, s[0:1]
	v_lshlrev_b32_e32 v6, 5, v6
	v_add_lshl_u32 v9, v6, v14, 2
	ds_bpermute_b32 v6, v9, v4
	ds_bpermute_b32 v7, v9, v5
	;; [unrolled: 1-line block ×4, first 2 shown]
	v_cmp_gt_u32_e64 s[0:1], 48, v15
	s_waitcnt lgkmcnt(0)
	v_add_f64 v[4:5], v[4:5], v[6:7]
	v_cndmask_b32_e64 v6, 0, 1, s[0:1]
	v_lshlrev_b32_e32 v6, 4, v6
	v_add_f64 v[2:3], v[2:3], v[8:9]
	v_add_lshl_u32 v9, v6, v14, 2
	ds_bpermute_b32 v6, v9, v4
	ds_bpermute_b32 v7, v9, v5
	;; [unrolled: 1-line block ×4, first 2 shown]
	v_cmp_gt_u32_e64 s[0:1], 56, v15
	s_waitcnt lgkmcnt(2)
	v_add_f64 v[4:5], v[4:5], v[6:7]
	v_cndmask_b32_e64 v6, 0, 1, s[0:1]
	v_lshlrev_b32_e32 v6, 3, v6
	v_add_lshl_u32 v10, v6, v14, 2
	ds_bpermute_b32 v6, v10, v4
	ds_bpermute_b32 v7, v10, v5
	s_waitcnt lgkmcnt(2)
	v_add_f64 v[2:3], v[2:3], v[8:9]
	ds_bpermute_b32 v8, v10, v2
	ds_bpermute_b32 v9, v10, v3
	v_cmp_gt_u32_e64 s[0:1], 60, v15
	s_waitcnt lgkmcnt(2)
	v_add_f64 v[4:5], v[4:5], v[6:7]
	s_waitcnt lgkmcnt(0)
	v_add_f64 v[2:3], v[2:3], v[8:9]
	v_cndmask_b32_e64 v6, 0, 1, s[0:1]
	v_lshlrev_b32_e32 v6, 2, v6
	v_add_lshl_u32 v11, v6, v14, 2
	ds_bpermute_b32 v6, v11, v4
	ds_bpermute_b32 v7, v11, v5
	;; [unrolled: 1-line block ×4, first 2 shown]
	v_cmp_gt_u32_e64 s[0:1], 62, v15
	s_waitcnt lgkmcnt(2)
	v_add_f64 v[4:5], v[4:5], v[6:7]
	s_waitcnt lgkmcnt(0)
	v_add_f64 v[6:7], v[2:3], v[8:9]
	v_cndmask_b32_e64 v2, 0, 1, s[0:1]
	v_lshlrev_b32_e32 v2, 1, v2
	v_add_lshl_u32 v12, v2, v14, 2
	ds_bpermute_b32 v2, v12, v4
	ds_bpermute_b32 v3, v12, v5
	;; [unrolled: 1-line block ×4, first 2 shown]
	v_cmp_ne_u32_e64 s[0:1], 63, v15
	s_waitcnt lgkmcnt(2)
	v_add_f64 v[2:3], v[4:5], v[2:3]
	v_addc_co_u32_e64 v4, s[0:1], 0, v14, s[0:1]
	s_waitcnt lgkmcnt(0)
	v_add_f64 v[6:7], v[6:7], v[8:9]
	v_lshlrev_b32_e32 v14, 2, v4
	ds_bpermute_b32 v4, v14, v2
	ds_bpermute_b32 v5, v14, v3
	;; [unrolled: 1-line block ×4, first 2 shown]
	v_cmp_eq_u32_e64 s[0:1], 0, v13
	s_and_saveexec_b64 s[4:5], s[0:1]
	s_cbranch_execz .LBB174_20
; %bb.19:
	v_lshrrev_b32_e32 v13, 2, v0
	v_and_b32_e32 v13, 0xf0, v13
	s_waitcnt lgkmcnt(0)
	v_add_f64 v[6:7], v[6:7], v[8:9]
	v_add_f64 v[4:5], v[2:3], v[4:5]
	ds_write_b128 v13, v[4:7]
.LBB174_20:
	s_or_b64 exec, exec, s[4:5]
	s_waitcnt lgkmcnt(0)
	v_mov_b64_e32 v[8:9], 0
	v_cmp_gt_u32_e64 s[0:1], 16, v0
	v_mov_b64_e32 v[6:7], v[8:9]
	s_barrier
	s_and_saveexec_b64 s[4:5], s[0:1]
	s_cbranch_execz .LBB174_22
; %bb.21:
	ds_read_b128 v[6:9], v1
	s_or_b64 exec, exec, s[4:5]
	s_and_saveexec_b64 s[0:1], vcc
	s_cbranch_execz .LBB174_24
	s_branch .LBB174_23
.LBB174_22:
	s_or_b64 exec, exec, s[4:5]
	s_and_saveexec_b64 s[0:1], vcc
	s_cbranch_execz .LBB174_24
.LBB174_23:
	s_waitcnt lgkmcnt(0)
	ds_bpermute_b32 v2, v10, v6
	ds_bpermute_b32 v3, v10, v7
	;; [unrolled: 1-line block ×4, first 2 shown]
	s_waitcnt lgkmcnt(2)
	v_add_f64 v[2:3], v[6:7], v[2:3]
	ds_bpermute_b32 v6, v11, v2
	s_waitcnt lgkmcnt(1)
	v_add_f64 v[4:5], v[8:9], v[4:5]
	ds_bpermute_b32 v7, v11, v3
	ds_bpermute_b32 v8, v11, v4
	ds_bpermute_b32 v9, v11, v5
	s_waitcnt lgkmcnt(2)
	v_add_f64 v[2:3], v[2:3], v[6:7]
	ds_bpermute_b32 v6, v12, v2
	s_waitcnt lgkmcnt(1)
	v_add_f64 v[4:5], v[4:5], v[8:9]
	ds_bpermute_b32 v7, v12, v3
	ds_bpermute_b32 v8, v12, v4
	ds_bpermute_b32 v9, v12, v5
	;; [unrolled: 8-line block ×3, first 2 shown]
	s_waitcnt lgkmcnt(2)
	v_add_f64 v[6:7], v[2:3], v[6:7]
	s_waitcnt lgkmcnt(0)
	v_add_f64 v[8:9], v[4:5], v[8:9]
.LBB174_24:
	s_or_b64 exec, exec, s[0:1]
	v_cmp_eq_u32_e32 vcc, 0, v0
                                        ; implicit-def: $vgpr4_vgpr5
                                        ; implicit-def: $sgpr14_sgpr15
	s_and_saveexec_b64 s[0:1], vcc
	s_cbranch_execz .LBB174_28
; %bb.25:
	v_cmp_neq_f64_e64 s[4:5], s[20:21], 0
	v_cmp_neq_f64_e64 s[8:9], s[22:23], 0
	s_waitcnt lgkmcnt(0)
	v_mul_f64 v[0:1], s[26:27], v[8:9]
	v_mul_f64 v[4:5], s[24:25], v[8:9]
	s_mul_i32 s14, s2, s33
	s_or_b64 s[2:3], s[4:5], s[8:9]
	v_fma_f64 v[2:3], s[24:25], v[6:7], -v[0:1]
	v_fmac_f64_e32 v[4:5], s[26:27], v[6:7]
	s_andn2_b64 vcc, exec, s[2:3]
	s_ashr_i32 s15, s14, 31
	s_cbranch_vccnz .LBB174_27
; %bb.26:
	s_lshl_b64 s[2:3], s[14:15], 4
	s_add_u32 s2, s30, s2
	s_addc_u32 s3, s31, s3
	s_load_dwordx4 s[8:11], s[2:3], 0x0
	s_waitcnt lgkmcnt(0)
	v_mov_b64_e32 v[0:1], s[10:11]
	v_mov_b64_e32 v[6:7], s[8:9]
	v_mul_f64 v[8:9], s[22:23], v[0:1]
	v_mul_f64 v[0:1], s[20:21], v[0:1]
	v_fma_f64 v[8:9], s[20:21], v[6:7], -v[8:9]
	v_fmac_f64_e32 v[0:1], s[22:23], v[6:7]
	v_add_f64 v[2:3], v[2:3], v[8:9]
	v_add_f64 v[4:5], v[4:5], v[0:1]
.LBB174_27:
	s_or_b64 s[6:7], s[6:7], exec
.LBB174_28:
	s_or_b64 exec, exec, s[0:1]
.LBB174_29:
	s_and_saveexec_b64 s[0:1], s[6:7]
	s_cbranch_execz .LBB174_31
; %bb.30:
	s_lshl_b64 s[0:1], s[14:15], 4
	s_add_u32 s0, s30, s0
	s_addc_u32 s1, s31, s1
	v_mov_b32_e32 v0, 0
	global_store_dwordx4 v0, v[2:5], s[0:1]
.LBB174_31:
	s_endpgm
	.section	.rodata,"a",@progbits
	.p2align	6, 0x0
	.amdhsa_kernel _ZL32rocblas_gemvt_warp_reduce_kernelILb0ELi1024Ei19rocblas_complex_numIdEPKS1_S1_EviiT3_lPKT2_lT1_lS7_lS8_lS4_lPT4_lS8_li
		.amdhsa_group_segment_fixed_size 1024
		.amdhsa_private_segment_fixed_size 0
		.amdhsa_kernarg_size 140
		.amdhsa_user_sgpr_count 2
		.amdhsa_user_sgpr_dispatch_ptr 0
		.amdhsa_user_sgpr_queue_ptr 0
		.amdhsa_user_sgpr_kernarg_segment_ptr 1
		.amdhsa_user_sgpr_dispatch_id 0
		.amdhsa_user_sgpr_kernarg_preload_length 0
		.amdhsa_user_sgpr_kernarg_preload_offset 0
		.amdhsa_user_sgpr_private_segment_size 0
		.amdhsa_uses_dynamic_stack 0
		.amdhsa_enable_private_segment 0
		.amdhsa_system_sgpr_workgroup_id_x 1
		.amdhsa_system_sgpr_workgroup_id_y 0
		.amdhsa_system_sgpr_workgroup_id_z 1
		.amdhsa_system_sgpr_workgroup_info 0
		.amdhsa_system_vgpr_workitem_id 0
		.amdhsa_next_free_vgpr 22
		.amdhsa_next_free_sgpr 35
		.amdhsa_accum_offset 24
		.amdhsa_reserve_vcc 1
		.amdhsa_float_round_mode_32 0
		.amdhsa_float_round_mode_16_64 0
		.amdhsa_float_denorm_mode_32 3
		.amdhsa_float_denorm_mode_16_64 3
		.amdhsa_dx10_clamp 1
		.amdhsa_ieee_mode 1
		.amdhsa_fp16_overflow 0
		.amdhsa_tg_split 0
		.amdhsa_exception_fp_ieee_invalid_op 0
		.amdhsa_exception_fp_denorm_src 0
		.amdhsa_exception_fp_ieee_div_zero 0
		.amdhsa_exception_fp_ieee_overflow 0
		.amdhsa_exception_fp_ieee_underflow 0
		.amdhsa_exception_fp_ieee_inexact 0
		.amdhsa_exception_int_div_zero 0
	.end_amdhsa_kernel
	.section	.text._ZL32rocblas_gemvt_warp_reduce_kernelILb0ELi1024Ei19rocblas_complex_numIdEPKS1_S1_EviiT3_lPKT2_lT1_lS7_lS8_lS4_lPT4_lS8_li,"axG",@progbits,_ZL32rocblas_gemvt_warp_reduce_kernelILb0ELi1024Ei19rocblas_complex_numIdEPKS1_S1_EviiT3_lPKT2_lT1_lS7_lS8_lS4_lPT4_lS8_li,comdat
.Lfunc_end174:
	.size	_ZL32rocblas_gemvt_warp_reduce_kernelILb0ELi1024Ei19rocblas_complex_numIdEPKS1_S1_EviiT3_lPKT2_lT1_lS7_lS8_lS4_lPT4_lS8_li, .Lfunc_end174-_ZL32rocblas_gemvt_warp_reduce_kernelILb0ELi1024Ei19rocblas_complex_numIdEPKS1_S1_EviiT3_lPKT2_lT1_lS7_lS8_lS4_lPT4_lS8_li
                                        ; -- End function
	.section	.AMDGPU.csdata,"",@progbits
; Kernel info:
; codeLenInByte = 2048
; NumSgprs: 41
; NumVgprs: 22
; NumAgprs: 0
; TotalNumVgprs: 22
; ScratchSize: 0
; MemoryBound: 0
; FloatMode: 240
; IeeeMode: 1
; LDSByteSize: 1024 bytes/workgroup (compile time only)
; SGPRBlocks: 5
; VGPRBlocks: 2
; NumSGPRsForWavesPerEU: 41
; NumVGPRsForWavesPerEU: 22
; AccumOffset: 24
; Occupancy: 8
; WaveLimiterHint : 1
; COMPUTE_PGM_RSRC2:SCRATCH_EN: 0
; COMPUTE_PGM_RSRC2:USER_SGPR: 2
; COMPUTE_PGM_RSRC2:TRAP_HANDLER: 0
; COMPUTE_PGM_RSRC2:TGID_X_EN: 1
; COMPUTE_PGM_RSRC2:TGID_Y_EN: 0
; COMPUTE_PGM_RSRC2:TGID_Z_EN: 1
; COMPUTE_PGM_RSRC2:TIDIG_COMP_CNT: 0
; COMPUTE_PGM_RSRC3_GFX90A:ACCUM_OFFSET: 5
; COMPUTE_PGM_RSRC3_GFX90A:TG_SPLIT: 0
	.section	.text._ZL32rocblas_gemvt_warp_reduce_kernelILb0ELi1024El19rocblas_complex_numIdEPKS1_S1_EviiT3_lPKT2_lT1_lS7_lS8_lS4_lPT4_lS8_li,"axG",@progbits,_ZL32rocblas_gemvt_warp_reduce_kernelILb0ELi1024El19rocblas_complex_numIdEPKS1_S1_EviiT3_lPKT2_lT1_lS7_lS8_lS4_lPT4_lS8_li,comdat
	.globl	_ZL32rocblas_gemvt_warp_reduce_kernelILb0ELi1024El19rocblas_complex_numIdEPKS1_S1_EviiT3_lPKT2_lT1_lS7_lS8_lS4_lPT4_lS8_li ; -- Begin function _ZL32rocblas_gemvt_warp_reduce_kernelILb0ELi1024El19rocblas_complex_numIdEPKS1_S1_EviiT3_lPKT2_lT1_lS7_lS8_lS4_lPT4_lS8_li
	.p2align	8
	.type	_ZL32rocblas_gemvt_warp_reduce_kernelILb0ELi1024El19rocblas_complex_numIdEPKS1_S1_EviiT3_lPKT2_lT1_lS7_lS8_lS4_lPT4_lS8_li,@function
_ZL32rocblas_gemvt_warp_reduce_kernelILb0ELi1024El19rocblas_complex_numIdEPKS1_S1_EviiT3_lPKT2_lT1_lS7_lS8_lS4_lPT4_lS8_li: ; @_ZL32rocblas_gemvt_warp_reduce_kernelILb0ELi1024El19rocblas_complex_numIdEPKS1_S1_EviiT3_lPKT2_lT1_lS7_lS8_lS4_lPT4_lS8_li
; %bb.0:
	s_load_dwordx16 s[36:51], s[0:1], 0x8
	s_load_dwordx16 s[8:23], s[0:1], 0x48
	s_waitcnt lgkmcnt(0)
	s_mul_i32 s4, s3, s39
	s_mul_hi_u32 s5, s3, s38
	s_add_i32 s5, s5, s4
	s_mul_i32 s4, s3, s38
	s_lshl_b64 s[4:5], s[4:5], 4
	s_add_u32 s4, s36, s4
	s_addc_u32 s5, s37, s5
	s_load_dwordx4 s[24:27], s[4:5], 0x0
	s_mul_i32 s4, s3, s15
	s_mul_hi_u32 s5, s3, s14
	s_add_i32 s5, s5, s4
	s_mul_i32 s4, s3, s14
	s_lshl_b64 s[4:5], s[4:5], 4
	s_add_u32 s4, s12, s4
	s_addc_u32 s5, s13, s5
	s_load_dwordx4 s[12:15], s[4:5], 0x0
	s_waitcnt lgkmcnt(0)
	v_cmp_neq_f64_e64 s[4:5], s[24:25], 0
	v_cmp_neq_f64_e64 s[6:7], s[26:27], 0
	s_or_b64 s[4:5], s[4:5], s[6:7]
	s_mov_b64 s[6:7], -1
	s_and_b64 vcc, exec, s[4:5]
	s_cbranch_vccnz .LBB175_2
; %bb.1:
	v_cmp_neq_f64_e64 s[6:7], s[12:13], 1.0
	v_cmp_neq_f64_e64 s[28:29], s[14:15], 0
	s_or_b64 s[6:7], s[6:7], s[28:29]
.LBB175_2:
	s_andn2_b64 vcc, exec, s[6:7]
	s_cbranch_vccnz .LBB175_31
; %bb.3:
	s_mul_i32 s6, s3, s23
	s_mul_hi_u32 s7, s3, s22
	s_add_i32 s7, s7, s6
	s_mul_i32 s6, s3, s22
	s_lshl_b64 s[6:7], s[6:7], 4
	s_xor_b64 s[4:5], s[4:5], -1
	s_add_u32 s16, s16, s6
	s_addc_u32 s17, s17, s7
	s_lshl_b64 s[6:7], s[18:19], 4
	s_add_u32 s33, s16, s6
	s_addc_u32 s34, s17, s7
	s_andn2_b64 vcc, exec, s[4:5]
	v_cmp_eq_u32_e64 s[4:5], 0, v0
	s_cbranch_vccnz .LBB175_8
; %bb.4:
	s_mov_b64 s[18:19], 0
	s_mov_b64 s[6:7], 0
                                        ; implicit-def: $vgpr4_vgpr5
                                        ; implicit-def: $sgpr16_sgpr17
	s_and_saveexec_b64 s[22:23], s[4:5]
	s_cbranch_execz .LBB175_9
; %bb.5:
	v_cmp_neq_f64_e64 s[4:5], s[12:13], 0
	v_cmp_neq_f64_e64 s[6:7], s[14:15], 0
	s_ashr_i32 s16, s2, 31
	s_mul_i32 s17, s2, s21
	s_mul_hi_u32 s28, s2, s20
	v_mov_b64_e32 v[4:5], 0
	s_add_i32 s17, s28, s17
	s_mul_i32 s16, s16, s20
	s_or_b64 s[4:5], s[4:5], s[6:7]
	s_add_i32 s17, s17, s16
	s_mul_i32 s16, s2, s20
	s_andn2_b64 vcc, exec, s[4:5]
	v_mov_b64_e32 v[2:3], v[4:5]
	s_cbranch_vccnz .LBB175_7
; %bb.6:
	s_lshl_b64 s[4:5], s[16:17], 4
	s_add_u32 s4, s33, s4
	s_addc_u32 s5, s34, s5
	s_load_dwordx4 s[4:7], s[4:5], 0x0
	s_waitcnt lgkmcnt(0)
	v_mov_b64_e32 v[2:3], s[6:7]
	v_mov_b64_e32 v[6:7], s[4:5]
	v_mul_f64 v[8:9], s[14:15], v[2:3]
	v_mul_f64 v[4:5], s[12:13], v[2:3]
	v_fma_f64 v[2:3], s[12:13], v[6:7], -v[8:9]
	v_fmac_f64_e32 v[4:5], s[14:15], v[6:7]
.LBB175_7:
	s_mov_b64 s[6:7], exec
	s_or_b64 exec, exec, s[22:23]
	s_and_b64 vcc, exec, s[18:19]
	s_cbranch_vccnz .LBB175_10
	s_branch .LBB175_29
.LBB175_8:
	s_mov_b64 s[6:7], 0
                                        ; implicit-def: $vgpr4_vgpr5
                                        ; implicit-def: $sgpr16_sgpr17
	s_cbranch_execnz .LBB175_10
	s_branch .LBB175_29
.LBB175_9:
	s_or_b64 exec, exec, s[22:23]
	s_and_b64 vcc, exec, s[18:19]
	s_cbranch_vccz .LBB175_29
.LBB175_10:
	s_mul_i32 s4, s3, s11
	s_load_dword s11, s[0:1], 0x0
	s_mul_hi_u32 s5, s3, s10
	s_mul_i32 s0, s3, s47
	s_mul_hi_u32 s1, s3, s46
	s_add_i32 s5, s5, s4
	s_mul_i32 s4, s3, s10
	s_add_i32 s1, s1, s0
	s_mul_i32 s0, s3, s46
	s_ashr_i32 s3, s2, 31
	s_mul_i32 s10, s2, s45
	s_mul_hi_u32 s16, s2, s44
	s_add_i32 s10, s16, s10
	s_mul_i32 s16, s3, s44
	s_add_i32 s17, s10, s16
	s_waitcnt lgkmcnt(0)
	s_ashr_i32 s10, s11, 31
	s_lshr_b32 s10, s10, 22
	v_cmp_gt_i32_e32 vcc, s11, v0
	s_add_i32 s10, s11, s10
	s_and_b32 s10, s10, 0xfffffc00
	v_cndmask_b32_e32 v1, 0, v0, vcc
	v_mov_b64_e32 v[2:3], 0
	v_mov_b32_e32 v7, 0
	s_mul_i32 s16, s2, s44
	v_cmp_gt_i32_e32 vcc, s10, v0
	v_lshlrev_b32_e32 v6, 4, v1
	v_mov_b64_e32 v[4:5], v[2:3]
	s_and_saveexec_b64 s[18:19], vcc
	s_cbranch_execz .LBB175_14
; %bb.11:
	v_mad_u64_u32 v[2:3], s[28:29], s8, v0, 0
	v_mov_b32_e32 v4, v3
	v_mad_u64_u32 v[4:5], s[28:29], s9, v0, v[4:5]
	s_lshl_b64 s[22:23], s[4:5], 4
	s_lshl_b64 s[28:29], s[50:51], 4
	s_add_u32 s28, s48, s28
	s_addc_u32 s29, s49, s29
	s_add_u32 s22, s28, s22
	v_mov_b32_e32 v3, v4
	s_addc_u32 s23, s29, s23
	v_lshl_add_u64 v[2:3], v[2:3], 4, s[22:23]
	s_lshl_b64 s[22:23], s[8:9], 14
	s_lshl_b64 s[28:29], s[16:17], 4
	;; [unrolled: 1-line block ×3, first 2 shown]
	s_add_u32 s30, s28, s30
	s_addc_u32 s31, s29, s31
	s_lshl_b64 s[28:29], s[42:43], 4
	s_add_u32 s28, s30, s28
	s_addc_u32 s29, s31, s29
	s_add_u32 s28, s40, s28
	s_addc_u32 s29, s41, s29
	v_lshl_add_u64 v[8:9], v[2:3], 0, 8
	v_lshl_add_u64 v[2:3], s[28:29], 0, v[6:7]
	;; [unrolled: 1-line block ×3, first 2 shown]
	v_mov_b64_e32 v[2:3], 0
	s_mov_b64 s[28:29], 0
	s_mov_b64 s[30:31], 0x4000
	v_mov_b32_e32 v1, v0
	v_mov_b64_e32 v[4:5], v[2:3]
.LBB175_12:                             ; =>This Inner Loop Header: Depth=1
	global_load_dwordx4 v[12:15], v[10:11], off offset:-8
	global_load_dwordx4 v[16:19], v[8:9], off offset:-8
	v_add_u32_e32 v1, 0x400, v1
	v_cmp_le_i32_e32 vcc, s10, v1
	v_lshl_add_u64 v[8:9], v[8:9], 0, s[22:23]
	v_lshl_add_u64 v[10:11], v[10:11], 0, s[30:31]
	s_or_b64 s[28:29], vcc, s[28:29]
	s_waitcnt vmcnt(0)
	v_mul_f64 v[20:21], v[14:15], v[18:19]
	v_mul_f64 v[18:19], v[12:13], v[18:19]
	v_fma_f64 v[12:13], v[12:13], v[16:17], -v[20:21]
	v_fmac_f64_e32 v[18:19], v[14:15], v[16:17]
	v_add_f64 v[4:5], v[4:5], v[12:13]
	v_add_f64 v[2:3], v[2:3], v[18:19]
	s_andn2_b64 exec, exec, s[28:29]
	s_cbranch_execnz .LBB175_12
; %bb.13:
	s_or_b64 exec, exec, s[28:29]
.LBB175_14:
	s_or_b64 exec, exec, s[18:19]
	v_or_b32_e32 v1, s10, v0
	v_cmp_gt_i32_e32 vcc, s11, v1
	s_and_saveexec_b64 s[18:19], vcc
	s_cbranch_execz .LBB175_16
; %bb.15:
	s_lshl_b64 s[0:1], s[0:1], 4
	s_add_u32 s11, s40, s0
	s_addc_u32 s22, s41, s1
	s_lshl_b64 s[0:1], s[42:43], 4
	s_add_u32 s23, s11, s0
	s_addc_u32 s22, s22, s1
	s_lshl_b64 s[0:1], s[16:17], 4
	s_lshl_b64 s[4:5], s[4:5], 4
	s_add_u32 s11, s48, s4
	s_addc_u32 s16, s49, s5
	s_lshl_b64 s[4:5], s[50:51], 4
	s_add_u32 s4, s11, s4
	s_addc_u32 s5, s16, s5
	s_ashr_i32 s11, s10, 31
	s_lshl_b64 s[10:11], s[10:11], 4
	v_ashrrev_i32_e32 v7, 31, v1
	s_add_u32 s0, s10, s0
	v_mul_lo_u32 v10, v1, s9
	v_mul_lo_u32 v7, v7, s8
	v_mad_u64_u32 v[8:9], s[8:9], v1, s8, 0
	s_addc_u32 s1, s11, s1
	v_add3_u32 v9, v9, v10, v7
	s_add_u32 s0, s0, s23
	v_lshl_add_u64 v[16:17], v[8:9], 4, s[4:5]
	s_addc_u32 s1, s1, s22
	global_load_dwordx4 v[8:11], v[16:17], off
	global_load_dwordx4 v[12:15], v6, s[0:1]
	s_waitcnt vmcnt(0)
	v_mul_f64 v[6:7], v[14:15], v[10:11]
	v_mul_f64 v[10:11], v[12:13], v[10:11]
	v_fma_f64 v[6:7], v[12:13], v[8:9], -v[6:7]
	v_fmac_f64_e32 v[10:11], v[14:15], v[8:9]
	v_add_f64 v[4:5], v[4:5], v[6:7]
	v_add_f64 v[2:3], v[2:3], v[10:11]
.LBB175_16:
	s_or_b64 exec, exec, s[18:19]
	v_and_b32_e32 v13, 63, v0
	v_cmp_gt_u32_e32 vcc, 64, v0
	v_lshlrev_b32_e32 v1, 4, v13
	s_and_saveexec_b64 s[0:1], vcc
	s_cbranch_execz .LBB175_18
; %bb.17:
	v_mov_b32_e32 v6, 0
	v_mov_b32_e32 v7, v6
	;; [unrolled: 1-line block ×4, first 2 shown]
	ds_write_b128 v1, v[6:9]
.LBB175_18:
	s_or_b64 exec, exec, s[0:1]
	v_mbcnt_lo_u32_b32 v6, -1, 0
	v_mbcnt_hi_u32_b32 v14, -1, v6
	v_and_b32_e32 v15, 63, v14
	v_cmp_gt_u32_e64 s[0:1], 32, v15
	s_waitcnt lgkmcnt(0)
	s_barrier
	v_cndmask_b32_e64 v6, 0, 1, s[0:1]
	v_lshlrev_b32_e32 v6, 5, v6
	v_add_lshl_u32 v9, v6, v14, 2
	ds_bpermute_b32 v6, v9, v4
	ds_bpermute_b32 v7, v9, v5
	;; [unrolled: 1-line block ×4, first 2 shown]
	v_cmp_gt_u32_e64 s[0:1], 48, v15
	s_waitcnt lgkmcnt(0)
	v_add_f64 v[4:5], v[4:5], v[6:7]
	v_cndmask_b32_e64 v6, 0, 1, s[0:1]
	v_lshlrev_b32_e32 v6, 4, v6
	v_add_f64 v[2:3], v[2:3], v[8:9]
	v_add_lshl_u32 v9, v6, v14, 2
	ds_bpermute_b32 v6, v9, v4
	ds_bpermute_b32 v7, v9, v5
	;; [unrolled: 1-line block ×4, first 2 shown]
	v_cmp_gt_u32_e64 s[0:1], 56, v15
	s_waitcnt lgkmcnt(2)
	v_add_f64 v[4:5], v[4:5], v[6:7]
	v_cndmask_b32_e64 v6, 0, 1, s[0:1]
	v_lshlrev_b32_e32 v6, 3, v6
	v_add_lshl_u32 v10, v6, v14, 2
	ds_bpermute_b32 v6, v10, v4
	ds_bpermute_b32 v7, v10, v5
	s_waitcnt lgkmcnt(2)
	v_add_f64 v[2:3], v[2:3], v[8:9]
	ds_bpermute_b32 v8, v10, v2
	ds_bpermute_b32 v9, v10, v3
	v_cmp_gt_u32_e64 s[0:1], 60, v15
	s_waitcnt lgkmcnt(2)
	v_add_f64 v[4:5], v[4:5], v[6:7]
	s_waitcnt lgkmcnt(0)
	v_add_f64 v[2:3], v[2:3], v[8:9]
	v_cndmask_b32_e64 v6, 0, 1, s[0:1]
	v_lshlrev_b32_e32 v6, 2, v6
	v_add_lshl_u32 v11, v6, v14, 2
	ds_bpermute_b32 v6, v11, v4
	ds_bpermute_b32 v7, v11, v5
	;; [unrolled: 1-line block ×4, first 2 shown]
	v_cmp_gt_u32_e64 s[0:1], 62, v15
	s_waitcnt lgkmcnt(2)
	v_add_f64 v[4:5], v[4:5], v[6:7]
	s_waitcnt lgkmcnt(0)
	v_add_f64 v[6:7], v[2:3], v[8:9]
	v_cndmask_b32_e64 v2, 0, 1, s[0:1]
	v_lshlrev_b32_e32 v2, 1, v2
	v_add_lshl_u32 v12, v2, v14, 2
	ds_bpermute_b32 v2, v12, v4
	ds_bpermute_b32 v3, v12, v5
	;; [unrolled: 1-line block ×4, first 2 shown]
	v_cmp_ne_u32_e64 s[0:1], 63, v15
	s_waitcnt lgkmcnt(2)
	v_add_f64 v[2:3], v[4:5], v[2:3]
	v_addc_co_u32_e64 v4, s[0:1], 0, v14, s[0:1]
	s_waitcnt lgkmcnt(0)
	v_add_f64 v[6:7], v[6:7], v[8:9]
	v_lshlrev_b32_e32 v14, 2, v4
	ds_bpermute_b32 v4, v14, v2
	ds_bpermute_b32 v5, v14, v3
	;; [unrolled: 1-line block ×4, first 2 shown]
	v_cmp_eq_u32_e64 s[0:1], 0, v13
	s_and_saveexec_b64 s[4:5], s[0:1]
	s_cbranch_execz .LBB175_20
; %bb.19:
	v_lshrrev_b32_e32 v13, 2, v0
	v_and_b32_e32 v13, 0xf0, v13
	s_waitcnt lgkmcnt(0)
	v_add_f64 v[6:7], v[6:7], v[8:9]
	v_add_f64 v[4:5], v[2:3], v[4:5]
	ds_write_b128 v13, v[4:7]
.LBB175_20:
	s_or_b64 exec, exec, s[4:5]
	s_waitcnt lgkmcnt(0)
	v_mov_b64_e32 v[8:9], 0
	v_cmp_gt_u32_e64 s[0:1], 16, v0
	v_mov_b64_e32 v[6:7], v[8:9]
	s_barrier
	s_and_saveexec_b64 s[4:5], s[0:1]
	s_cbranch_execz .LBB175_22
; %bb.21:
	ds_read_b128 v[6:9], v1
	s_or_b64 exec, exec, s[4:5]
	s_and_saveexec_b64 s[0:1], vcc
	s_cbranch_execz .LBB175_24
	s_branch .LBB175_23
.LBB175_22:
	s_or_b64 exec, exec, s[4:5]
	s_and_saveexec_b64 s[0:1], vcc
	s_cbranch_execz .LBB175_24
.LBB175_23:
	s_waitcnt lgkmcnt(0)
	ds_bpermute_b32 v2, v10, v6
	ds_bpermute_b32 v3, v10, v7
	;; [unrolled: 1-line block ×4, first 2 shown]
	s_waitcnt lgkmcnt(2)
	v_add_f64 v[2:3], v[6:7], v[2:3]
	ds_bpermute_b32 v6, v11, v2
	s_waitcnt lgkmcnt(1)
	v_add_f64 v[4:5], v[8:9], v[4:5]
	ds_bpermute_b32 v7, v11, v3
	ds_bpermute_b32 v8, v11, v4
	ds_bpermute_b32 v9, v11, v5
	s_waitcnt lgkmcnt(2)
	v_add_f64 v[2:3], v[2:3], v[6:7]
	ds_bpermute_b32 v6, v12, v2
	s_waitcnt lgkmcnt(1)
	v_add_f64 v[4:5], v[4:5], v[8:9]
	ds_bpermute_b32 v7, v12, v3
	ds_bpermute_b32 v8, v12, v4
	ds_bpermute_b32 v9, v12, v5
	;; [unrolled: 8-line block ×3, first 2 shown]
	s_waitcnt lgkmcnt(2)
	v_add_f64 v[6:7], v[2:3], v[6:7]
	s_waitcnt lgkmcnt(0)
	v_add_f64 v[8:9], v[4:5], v[8:9]
.LBB175_24:
	s_or_b64 exec, exec, s[0:1]
	v_cmp_eq_u32_e32 vcc, 0, v0
                                        ; implicit-def: $vgpr4_vgpr5
                                        ; implicit-def: $sgpr16_sgpr17
	s_and_saveexec_b64 s[0:1], vcc
	s_cbranch_execz .LBB175_28
; %bb.25:
	v_cmp_neq_f64_e64 s[4:5], s[12:13], 0
	v_cmp_neq_f64_e64 s[8:9], s[14:15], 0
	s_mul_i32 s10, s2, s21
	s_mul_hi_u32 s11, s2, s20
	s_waitcnt lgkmcnt(0)
	v_mul_f64 v[0:1], s[26:27], v[8:9]
	v_mul_f64 v[4:5], s[24:25], v[8:9]
	s_add_i32 s10, s11, s10
	s_mul_i32 s3, s3, s20
	s_or_b64 s[4:5], s[4:5], s[8:9]
	v_fma_f64 v[2:3], s[24:25], v[6:7], -v[0:1]
	v_fmac_f64_e32 v[4:5], s[26:27], v[6:7]
	s_add_i32 s17, s10, s3
	s_andn2_b64 vcc, exec, s[4:5]
	s_mul_i32 s16, s2, s20
	s_cbranch_vccnz .LBB175_27
; %bb.26:
	s_lshl_b64 s[2:3], s[16:17], 4
	s_add_u32 s2, s33, s2
	s_addc_u32 s3, s34, s3
	s_load_dwordx4 s[8:11], s[2:3], 0x0
	s_waitcnt lgkmcnt(0)
	v_mov_b64_e32 v[0:1], s[10:11]
	v_mov_b64_e32 v[6:7], s[8:9]
	v_mul_f64 v[8:9], s[14:15], v[0:1]
	v_mul_f64 v[0:1], s[12:13], v[0:1]
	v_fma_f64 v[8:9], s[12:13], v[6:7], -v[8:9]
	v_fmac_f64_e32 v[0:1], s[14:15], v[6:7]
	v_add_f64 v[2:3], v[2:3], v[8:9]
	v_add_f64 v[4:5], v[4:5], v[0:1]
.LBB175_27:
	s_or_b64 s[6:7], s[6:7], exec
.LBB175_28:
	s_or_b64 exec, exec, s[0:1]
.LBB175_29:
	s_and_saveexec_b64 s[0:1], s[6:7]
	s_cbranch_execz .LBB175_31
; %bb.30:
	s_lshl_b64 s[0:1], s[16:17], 4
	s_add_u32 s0, s33, s0
	s_addc_u32 s1, s34, s1
	v_mov_b32_e32 v0, 0
	global_store_dwordx4 v0, v[2:5], s[0:1]
.LBB175_31:
	s_endpgm
	.section	.rodata,"a",@progbits
	.p2align	6, 0x0
	.amdhsa_kernel _ZL32rocblas_gemvt_warp_reduce_kernelILb0ELi1024El19rocblas_complex_numIdEPKS1_S1_EviiT3_lPKT2_lT1_lS7_lS8_lS4_lPT4_lS8_li
		.amdhsa_group_segment_fixed_size 1024
		.amdhsa_private_segment_fixed_size 0
		.amdhsa_kernarg_size 140
		.amdhsa_user_sgpr_count 2
		.amdhsa_user_sgpr_dispatch_ptr 0
		.amdhsa_user_sgpr_queue_ptr 0
		.amdhsa_user_sgpr_kernarg_segment_ptr 1
		.amdhsa_user_sgpr_dispatch_id 0
		.amdhsa_user_sgpr_kernarg_preload_length 0
		.amdhsa_user_sgpr_kernarg_preload_offset 0
		.amdhsa_user_sgpr_private_segment_size 0
		.amdhsa_uses_dynamic_stack 0
		.amdhsa_enable_private_segment 0
		.amdhsa_system_sgpr_workgroup_id_x 1
		.amdhsa_system_sgpr_workgroup_id_y 0
		.amdhsa_system_sgpr_workgroup_id_z 1
		.amdhsa_system_sgpr_workgroup_info 0
		.amdhsa_system_vgpr_workitem_id 0
		.amdhsa_next_free_vgpr 22
		.amdhsa_next_free_sgpr 52
		.amdhsa_accum_offset 24
		.amdhsa_reserve_vcc 1
		.amdhsa_float_round_mode_32 0
		.amdhsa_float_round_mode_16_64 0
		.amdhsa_float_denorm_mode_32 3
		.amdhsa_float_denorm_mode_16_64 3
		.amdhsa_dx10_clamp 1
		.amdhsa_ieee_mode 1
		.amdhsa_fp16_overflow 0
		.amdhsa_tg_split 0
		.amdhsa_exception_fp_ieee_invalid_op 0
		.amdhsa_exception_fp_denorm_src 0
		.amdhsa_exception_fp_ieee_div_zero 0
		.amdhsa_exception_fp_ieee_overflow 0
		.amdhsa_exception_fp_ieee_underflow 0
		.amdhsa_exception_fp_ieee_inexact 0
		.amdhsa_exception_int_div_zero 0
	.end_amdhsa_kernel
	.section	.text._ZL32rocblas_gemvt_warp_reduce_kernelILb0ELi1024El19rocblas_complex_numIdEPKS1_S1_EviiT3_lPKT2_lT1_lS7_lS8_lS4_lPT4_lS8_li,"axG",@progbits,_ZL32rocblas_gemvt_warp_reduce_kernelILb0ELi1024El19rocblas_complex_numIdEPKS1_S1_EviiT3_lPKT2_lT1_lS7_lS8_lS4_lPT4_lS8_li,comdat
.Lfunc_end175:
	.size	_ZL32rocblas_gemvt_warp_reduce_kernelILb0ELi1024El19rocblas_complex_numIdEPKS1_S1_EviiT3_lPKT2_lT1_lS7_lS8_lS4_lPT4_lS8_li, .Lfunc_end175-_ZL32rocblas_gemvt_warp_reduce_kernelILb0ELi1024El19rocblas_complex_numIdEPKS1_S1_EviiT3_lPKT2_lT1_lS7_lS8_lS4_lPT4_lS8_li
                                        ; -- End function
	.section	.AMDGPU.csdata,"",@progbits
; Kernel info:
; codeLenInByte = 2108
; NumSgprs: 58
; NumVgprs: 22
; NumAgprs: 0
; TotalNumVgprs: 22
; ScratchSize: 0
; MemoryBound: 0
; FloatMode: 240
; IeeeMode: 1
; LDSByteSize: 1024 bytes/workgroup (compile time only)
; SGPRBlocks: 7
; VGPRBlocks: 2
; NumSGPRsForWavesPerEU: 58
; NumVGPRsForWavesPerEU: 22
; AccumOffset: 24
; Occupancy: 8
; WaveLimiterHint : 0
; COMPUTE_PGM_RSRC2:SCRATCH_EN: 0
; COMPUTE_PGM_RSRC2:USER_SGPR: 2
; COMPUTE_PGM_RSRC2:TRAP_HANDLER: 0
; COMPUTE_PGM_RSRC2:TGID_X_EN: 1
; COMPUTE_PGM_RSRC2:TGID_Y_EN: 0
; COMPUTE_PGM_RSRC2:TGID_Z_EN: 1
; COMPUTE_PGM_RSRC2:TIDIG_COMP_CNT: 0
; COMPUTE_PGM_RSRC3_GFX90A:ACCUM_OFFSET: 5
; COMPUTE_PGM_RSRC3_GFX90A:TG_SPLIT: 0
	.section	.text._ZL32rocblas_gemvt_warp_reduce_kernelILb0ELi1024Ei19rocblas_complex_numIdES1_S1_EviiT3_lPKT2_lT1_lS5_lS6_lS2_lPT4_lS6_li,"axG",@progbits,_ZL32rocblas_gemvt_warp_reduce_kernelILb0ELi1024Ei19rocblas_complex_numIdES1_S1_EviiT3_lPKT2_lT1_lS5_lS6_lS2_lPT4_lS6_li,comdat
	.globl	_ZL32rocblas_gemvt_warp_reduce_kernelILb0ELi1024Ei19rocblas_complex_numIdES1_S1_EviiT3_lPKT2_lT1_lS5_lS6_lS2_lPT4_lS6_li ; -- Begin function _ZL32rocblas_gemvt_warp_reduce_kernelILb0ELi1024Ei19rocblas_complex_numIdES1_S1_EviiT3_lPKT2_lT1_lS5_lS6_lS2_lPT4_lS6_li
	.p2align	8
	.type	_ZL32rocblas_gemvt_warp_reduce_kernelILb0ELi1024Ei19rocblas_complex_numIdES1_S1_EviiT3_lPKT2_lT1_lS5_lS6_lS2_lPT4_lS6_li,@function
_ZL32rocblas_gemvt_warp_reduce_kernelILb0ELi1024Ei19rocblas_complex_numIdES1_S1_EviiT3_lPKT2_lT1_lS5_lS6_lS2_lPT4_lS6_li: ; @_ZL32rocblas_gemvt_warp_reduce_kernelILb0ELi1024Ei19rocblas_complex_numIdES1_S1_EviiT3_lPKT2_lT1_lS5_lS6_lS2_lPT4_lS6_li
; %bb.0:
	s_load_dwordx4 s[12:15], s[0:1], 0x8
	s_load_dwordx4 s[8:11], s[0:1], 0x58
	s_load_dwordx2 s[16:17], s[0:1], 0x68
	s_waitcnt lgkmcnt(0)
	v_cmp_neq_f64_e64 s[4:5], s[12:13], 0
	v_cmp_neq_f64_e64 s[6:7], s[14:15], 0
	s_or_b64 s[4:5], s[4:5], s[6:7]
	s_mov_b64 s[6:7], -1
	s_and_b64 vcc, exec, s[4:5]
	s_cbranch_vccnz .LBB176_2
; %bb.1:
	v_cmp_neq_f64_e64 s[6:7], s[10:11], 1.0
	v_cmp_neq_f64_e64 s[18:19], s[16:17], 0
	s_or_b64 s[6:7], s[6:7], s[18:19]
.LBB176_2:
	s_andn2_b64 vcc, exec, s[6:7]
	s_cbranch_vccnz .LBB176_31
; %bb.3:
	s_load_dwordx2 s[6:7], s[0:1], 0x90
	s_load_dwordx4 s[20:23], s[0:1], 0x78
	s_load_dword s33, s[0:1], 0x88
	s_xor_b64 s[4:5], s[4:5], -1
	s_waitcnt lgkmcnt(0)
	s_mul_i32 s7, s3, s7
	s_mul_hi_u32 s18, s3, s6
	s_mul_i32 s6, s3, s6
	s_add_i32 s7, s18, s7
	s_lshl_b64 s[6:7], s[6:7], 4
	s_add_u32 s18, s20, s6
	s_addc_u32 s19, s21, s7
	s_lshl_b64 s[6:7], s[22:23], 4
	s_add_u32 s30, s18, s6
	s_addc_u32 s31, s19, s7
	s_andn2_b64 vcc, exec, s[4:5]
	v_cmp_eq_u32_e64 s[4:5], 0, v0
	s_cbranch_vccnz .LBB176_8
; %bb.4:
	s_mov_b64 s[20:21], 0
	s_mov_b64 s[18:19], 0
                                        ; implicit-def: $vgpr4_vgpr5
                                        ; implicit-def: $sgpr6_sgpr7
	s_and_saveexec_b64 s[22:23], s[4:5]
	s_cbranch_execz .LBB176_9
; %bb.5:
	v_cmp_neq_f64_e64 s[4:5], s[10:11], 0
	v_cmp_neq_f64_e64 s[18:19], s[16:17], 0
	v_mov_b64_e32 v[4:5], 0
	s_mul_i32 s6, s2, s33
	s_or_b64 s[4:5], s[4:5], s[18:19]
	s_ashr_i32 s7, s6, 31
	s_andn2_b64 vcc, exec, s[4:5]
	v_mov_b64_e32 v[2:3], v[4:5]
	s_cbranch_vccnz .LBB176_7
; %bb.6:
	s_lshl_b64 s[4:5], s[6:7], 4
	s_add_u32 s4, s30, s4
	s_addc_u32 s5, s31, s5
	s_load_dwordx4 s[24:27], s[4:5], 0x0
	s_waitcnt lgkmcnt(0)
	v_mov_b64_e32 v[2:3], s[26:27]
	v_mov_b64_e32 v[6:7], s[24:25]
	v_mul_f64 v[8:9], s[16:17], v[2:3]
	v_mul_f64 v[4:5], s[10:11], v[2:3]
	v_fma_f64 v[2:3], s[10:11], v[6:7], -v[8:9]
	v_fmac_f64_e32 v[4:5], s[16:17], v[6:7]
.LBB176_7:
	s_mov_b64 s[18:19], exec
	s_or_b64 exec, exec, s[22:23]
	s_and_b64 vcc, exec, s[20:21]
	s_cbranch_vccnz .LBB176_10
	s_branch .LBB176_29
.LBB176_8:
	s_mov_b64 s[18:19], 0
                                        ; implicit-def: $vgpr4_vgpr5
                                        ; implicit-def: $sgpr6_sgpr7
	s_cbranch_execnz .LBB176_10
	s_branch .LBB176_29
.LBB176_9:
	s_or_b64 exec, exec, s[22:23]
	s_and_b64 vcc, exec, s[20:21]
	s_cbranch_vccz .LBB176_29
.LBB176_10:
	s_load_dword s23, s[0:1], 0x0
	s_load_dwordx4 s[4:7], s[0:1], 0x20
	s_load_dword s22, s[0:1], 0x30
	s_load_dwordx4 s[24:27], s[0:1], 0x38
	s_load_dwordx2 s[20:21], s[0:1], 0x48
	s_mul_i32 s9, s3, s9
	s_mul_hi_u32 s28, s3, s8
	s_add_i32 s9, s28, s9
	s_mul_i32 s8, s3, s8
	s_lshl_b64 s[8:9], s[8:9], 4
	s_waitcnt lgkmcnt(0)
	s_add_u32 s26, s26, s8
	s_addc_u32 s27, s27, s9
	s_lshl_b64 s[8:9], s[20:21], 4
	s_add_u32 s8, s26, s8
	s_load_dword s34, s[0:1], 0x50
	s_mul_i32 s0, s3, s25
	s_mul_hi_u32 s1, s3, s24
	s_addc_u32 s9, s27, s9
	s_add_i32 s1, s1, s0
	s_mul_i32 s0, s3, s24
	s_ashr_i32 s3, s23, 31
	s_lshr_b32 s3, s3, 22
	v_cmp_gt_i32_e32 vcc, s23, v0
	s_add_i32 s3, s23, s3
	s_mul_i32 s20, s2, s22
	v_cndmask_b32_e32 v1, 0, v0, vcc
	s_and_b32 s22, s3, 0xfffffc00
	v_mov_b64_e32 v[2:3], 0
	v_mov_b32_e32 v7, 0
	s_ashr_i32 s21, s20, 31
	v_cmp_gt_i32_e32 vcc, s22, v0
	v_lshlrev_b32_e32 v6, 4, v1
	v_mov_b64_e32 v[4:5], v[2:3]
	s_and_saveexec_b64 s[24:25], vcc
	s_cbranch_execz .LBB176_14
; %bb.11:
	s_waitcnt lgkmcnt(0)
	s_lshl_b32 s3, s34, 10
	s_lshl_b64 s[26:27], s[0:1], 4
	s_lshl_b64 s[28:29], s[6:7], 4
	s_add_u32 s28, s26, s28
	s_addc_u32 s29, s27, s29
	s_lshl_b64 s[26:27], s[20:21], 4
	s_add_u32 s26, s28, s26
	s_addc_u32 s27, s29, s27
	s_add_u32 s26, s4, s26
	s_addc_u32 s27, s5, s27
	v_lshl_add_u64 v[2:3], s[26:27], 0, v[6:7]
	v_lshl_add_u64 v[10:11], v[2:3], 0, 8
	v_mov_b64_e32 v[2:3], 0
	v_mul_lo_u32 v8, v0, s34
	s_mov_b64 s[26:27], 0
	s_mov_b64 s[28:29], 0x4000
	v_mov_b32_e32 v1, v0
	v_mov_b64_e32 v[4:5], v[2:3]
.LBB176_12:                             ; =>This Inner Loop Header: Depth=1
	v_ashrrev_i32_e32 v9, 31, v8
	v_lshl_add_u64 v[16:17], v[8:9], 4, s[8:9]
	global_load_dwordx4 v[12:15], v[10:11], off offset:-8
	v_add_u32_e32 v1, 0x400, v1
	global_load_dwordx4 v[16:19], v[16:17], off
	v_cmp_le_i32_e32 vcc, s22, v1
	v_lshl_add_u64 v[10:11], v[10:11], 0, s[28:29]
	v_add_u32_e32 v8, s3, v8
	s_or_b64 s[26:27], vcc, s[26:27]
	s_waitcnt vmcnt(0)
	v_mul_f64 v[20:21], v[14:15], v[18:19]
	v_mul_f64 v[18:19], v[12:13], v[18:19]
	v_fma_f64 v[12:13], v[12:13], v[16:17], -v[20:21]
	v_fmac_f64_e32 v[18:19], v[14:15], v[16:17]
	v_add_f64 v[4:5], v[4:5], v[12:13]
	v_add_f64 v[2:3], v[2:3], v[18:19]
	s_andn2_b64 exec, exec, s[26:27]
	s_cbranch_execnz .LBB176_12
; %bb.13:
	s_or_b64 exec, exec, s[26:27]
.LBB176_14:
	s_or_b64 exec, exec, s[24:25]
	v_or_b32_e32 v1, s22, v0
	v_cmp_gt_i32_e32 vcc, s23, v1
	s_and_saveexec_b64 s[24:25], vcc
	s_cbranch_execz .LBB176_16
; %bb.15:
	s_lshl_b64 s[0:1], s[0:1], 4
	s_add_u32 s3, s4, s0
	s_addc_u32 s4, s5, s1
	s_lshl_b64 s[0:1], s[6:7], 4
	s_add_u32 s3, s3, s0
	s_addc_u32 s6, s4, s1
	s_ashr_i32 s23, s22, 31
	s_lshl_b64 s[0:1], s[20:21], 4
	s_lshl_b64 s[4:5], s[22:23], 4
	s_add_u32 s0, s4, s0
	s_waitcnt lgkmcnt(0)
	v_mul_lo_u32 v8, v1, s34
	s_addc_u32 s1, s5, s1
	v_ashrrev_i32_e32 v9, 31, v8
	s_add_u32 s0, s0, s3
	v_lshl_add_u64 v[16:17], v[8:9], 4, s[8:9]
	s_addc_u32 s1, s1, s6
	global_load_dwordx4 v[8:11], v[16:17], off
	global_load_dwordx4 v[12:15], v6, s[0:1]
	s_waitcnt vmcnt(0)
	v_mul_f64 v[6:7], v[14:15], v[10:11]
	v_mul_f64 v[10:11], v[12:13], v[10:11]
	v_fma_f64 v[6:7], v[12:13], v[8:9], -v[6:7]
	v_fmac_f64_e32 v[10:11], v[14:15], v[8:9]
	v_add_f64 v[4:5], v[4:5], v[6:7]
	v_add_f64 v[2:3], v[2:3], v[10:11]
.LBB176_16:
	s_or_b64 exec, exec, s[24:25]
	v_and_b32_e32 v13, 63, v0
	v_cmp_gt_u32_e32 vcc, 64, v0
	v_lshlrev_b32_e32 v1, 4, v13
	s_and_saveexec_b64 s[0:1], vcc
	s_cbranch_execz .LBB176_18
; %bb.17:
	v_mov_b32_e32 v6, 0
	v_mov_b32_e32 v7, v6
	;; [unrolled: 1-line block ×4, first 2 shown]
	ds_write_b128 v1, v[6:9]
.LBB176_18:
	s_or_b64 exec, exec, s[0:1]
	v_mbcnt_lo_u32_b32 v6, -1, 0
	v_mbcnt_hi_u32_b32 v14, -1, v6
	v_and_b32_e32 v15, 63, v14
	v_cmp_gt_u32_e64 s[0:1], 32, v15
	s_waitcnt lgkmcnt(0)
	s_barrier
	v_cndmask_b32_e64 v6, 0, 1, s[0:1]
	v_lshlrev_b32_e32 v6, 5, v6
	v_add_lshl_u32 v9, v6, v14, 2
	ds_bpermute_b32 v6, v9, v4
	ds_bpermute_b32 v7, v9, v5
	;; [unrolled: 1-line block ×4, first 2 shown]
	v_cmp_gt_u32_e64 s[0:1], 48, v15
	s_waitcnt lgkmcnt(0)
	v_add_f64 v[4:5], v[4:5], v[6:7]
	v_cndmask_b32_e64 v6, 0, 1, s[0:1]
	v_lshlrev_b32_e32 v6, 4, v6
	v_add_f64 v[2:3], v[2:3], v[8:9]
	v_add_lshl_u32 v9, v6, v14, 2
	ds_bpermute_b32 v6, v9, v4
	ds_bpermute_b32 v7, v9, v5
	;; [unrolled: 1-line block ×4, first 2 shown]
	v_cmp_gt_u32_e64 s[0:1], 56, v15
	s_waitcnt lgkmcnt(2)
	v_add_f64 v[4:5], v[4:5], v[6:7]
	v_cndmask_b32_e64 v6, 0, 1, s[0:1]
	v_lshlrev_b32_e32 v6, 3, v6
	v_add_lshl_u32 v10, v6, v14, 2
	ds_bpermute_b32 v6, v10, v4
	ds_bpermute_b32 v7, v10, v5
	s_waitcnt lgkmcnt(2)
	v_add_f64 v[2:3], v[2:3], v[8:9]
	ds_bpermute_b32 v8, v10, v2
	ds_bpermute_b32 v9, v10, v3
	v_cmp_gt_u32_e64 s[0:1], 60, v15
	s_waitcnt lgkmcnt(2)
	v_add_f64 v[4:5], v[4:5], v[6:7]
	s_waitcnt lgkmcnt(0)
	v_add_f64 v[2:3], v[2:3], v[8:9]
	v_cndmask_b32_e64 v6, 0, 1, s[0:1]
	v_lshlrev_b32_e32 v6, 2, v6
	v_add_lshl_u32 v11, v6, v14, 2
	ds_bpermute_b32 v6, v11, v4
	ds_bpermute_b32 v7, v11, v5
	;; [unrolled: 1-line block ×4, first 2 shown]
	v_cmp_gt_u32_e64 s[0:1], 62, v15
	s_waitcnt lgkmcnt(2)
	v_add_f64 v[4:5], v[4:5], v[6:7]
	s_waitcnt lgkmcnt(0)
	v_add_f64 v[6:7], v[2:3], v[8:9]
	v_cndmask_b32_e64 v2, 0, 1, s[0:1]
	v_lshlrev_b32_e32 v2, 1, v2
	v_add_lshl_u32 v12, v2, v14, 2
	ds_bpermute_b32 v2, v12, v4
	ds_bpermute_b32 v3, v12, v5
	;; [unrolled: 1-line block ×4, first 2 shown]
	v_cmp_ne_u32_e64 s[0:1], 63, v15
	s_waitcnt lgkmcnt(2)
	v_add_f64 v[2:3], v[4:5], v[2:3]
	v_addc_co_u32_e64 v4, s[0:1], 0, v14, s[0:1]
	s_waitcnt lgkmcnt(0)
	v_add_f64 v[6:7], v[6:7], v[8:9]
	v_lshlrev_b32_e32 v14, 2, v4
	ds_bpermute_b32 v4, v14, v2
	ds_bpermute_b32 v5, v14, v3
	;; [unrolled: 1-line block ×4, first 2 shown]
	v_cmp_eq_u32_e64 s[0:1], 0, v13
	s_and_saveexec_b64 s[4:5], s[0:1]
	s_cbranch_execz .LBB176_20
; %bb.19:
	v_lshrrev_b32_e32 v13, 2, v0
	v_and_b32_e32 v13, 0xf0, v13
	s_waitcnt lgkmcnt(0)
	v_add_f64 v[6:7], v[6:7], v[8:9]
	v_add_f64 v[4:5], v[2:3], v[4:5]
	ds_write_b128 v13, v[4:7]
.LBB176_20:
	s_or_b64 exec, exec, s[4:5]
	s_waitcnt lgkmcnt(0)
	v_mov_b64_e32 v[8:9], 0
	v_cmp_gt_u32_e64 s[0:1], 16, v0
	v_mov_b64_e32 v[6:7], v[8:9]
	s_barrier
	s_and_saveexec_b64 s[4:5], s[0:1]
	s_cbranch_execz .LBB176_22
; %bb.21:
	ds_read_b128 v[6:9], v1
	s_or_b64 exec, exec, s[4:5]
	s_and_saveexec_b64 s[0:1], vcc
	s_cbranch_execz .LBB176_24
	s_branch .LBB176_23
.LBB176_22:
	s_or_b64 exec, exec, s[4:5]
	s_and_saveexec_b64 s[0:1], vcc
	s_cbranch_execz .LBB176_24
.LBB176_23:
	s_waitcnt lgkmcnt(0)
	ds_bpermute_b32 v2, v10, v6
	ds_bpermute_b32 v3, v10, v7
	;; [unrolled: 1-line block ×4, first 2 shown]
	s_waitcnt lgkmcnt(2)
	v_add_f64 v[2:3], v[6:7], v[2:3]
	ds_bpermute_b32 v6, v11, v2
	s_waitcnt lgkmcnt(1)
	v_add_f64 v[4:5], v[8:9], v[4:5]
	ds_bpermute_b32 v7, v11, v3
	ds_bpermute_b32 v8, v11, v4
	ds_bpermute_b32 v9, v11, v5
	s_waitcnt lgkmcnt(2)
	v_add_f64 v[2:3], v[2:3], v[6:7]
	ds_bpermute_b32 v6, v12, v2
	s_waitcnt lgkmcnt(1)
	v_add_f64 v[4:5], v[4:5], v[8:9]
	ds_bpermute_b32 v7, v12, v3
	ds_bpermute_b32 v8, v12, v4
	ds_bpermute_b32 v9, v12, v5
	;; [unrolled: 8-line block ×3, first 2 shown]
	s_waitcnt lgkmcnt(2)
	v_add_f64 v[6:7], v[2:3], v[6:7]
	s_waitcnt lgkmcnt(0)
	v_add_f64 v[8:9], v[4:5], v[8:9]
.LBB176_24:
	s_or_b64 exec, exec, s[0:1]
	v_cmp_eq_u32_e32 vcc, 0, v0
                                        ; implicit-def: $vgpr4_vgpr5
                                        ; implicit-def: $sgpr6_sgpr7
	s_and_saveexec_b64 s[0:1], vcc
	s_cbranch_execz .LBB176_28
; %bb.25:
	v_cmp_neq_f64_e64 s[4:5], s[10:11], 0
	v_cmp_neq_f64_e64 s[8:9], s[16:17], 0
	s_waitcnt lgkmcnt(0)
	v_mul_f64 v[0:1], s[14:15], v[8:9]
	v_mul_f64 v[4:5], s[12:13], v[8:9]
	s_mul_i32 s6, s2, s33
	s_or_b64 s[2:3], s[4:5], s[8:9]
	v_fma_f64 v[2:3], s[12:13], v[6:7], -v[0:1]
	v_fmac_f64_e32 v[4:5], s[14:15], v[6:7]
	s_andn2_b64 vcc, exec, s[2:3]
	s_ashr_i32 s7, s6, 31
	s_cbranch_vccnz .LBB176_27
; %bb.26:
	s_lshl_b64 s[2:3], s[6:7], 4
	s_add_u32 s2, s30, s2
	s_addc_u32 s3, s31, s3
	s_load_dwordx4 s[12:15], s[2:3], 0x0
	s_waitcnt lgkmcnt(0)
	v_mov_b64_e32 v[0:1], s[14:15]
	v_mov_b64_e32 v[6:7], s[12:13]
	v_mul_f64 v[8:9], s[16:17], v[0:1]
	v_mul_f64 v[0:1], s[10:11], v[0:1]
	v_fma_f64 v[8:9], s[10:11], v[6:7], -v[8:9]
	v_fmac_f64_e32 v[0:1], s[16:17], v[6:7]
	v_add_f64 v[2:3], v[2:3], v[8:9]
	v_add_f64 v[4:5], v[4:5], v[0:1]
.LBB176_27:
	s_or_b64 s[18:19], s[18:19], exec
.LBB176_28:
	s_or_b64 exec, exec, s[0:1]
.LBB176_29:
	s_and_saveexec_b64 s[0:1], s[18:19]
	s_cbranch_execz .LBB176_31
; %bb.30:
	s_lshl_b64 s[0:1], s[6:7], 4
	s_add_u32 s0, s30, s0
	s_addc_u32 s1, s31, s1
	v_mov_b32_e32 v0, 0
	global_store_dwordx4 v0, v[2:5], s[0:1]
.LBB176_31:
	s_endpgm
	.section	.rodata,"a",@progbits
	.p2align	6, 0x0
	.amdhsa_kernel _ZL32rocblas_gemvt_warp_reduce_kernelILb0ELi1024Ei19rocblas_complex_numIdES1_S1_EviiT3_lPKT2_lT1_lS5_lS6_lS2_lPT4_lS6_li
		.amdhsa_group_segment_fixed_size 1024
		.amdhsa_private_segment_fixed_size 0
		.amdhsa_kernarg_size 156
		.amdhsa_user_sgpr_count 2
		.amdhsa_user_sgpr_dispatch_ptr 0
		.amdhsa_user_sgpr_queue_ptr 0
		.amdhsa_user_sgpr_kernarg_segment_ptr 1
		.amdhsa_user_sgpr_dispatch_id 0
		.amdhsa_user_sgpr_kernarg_preload_length 0
		.amdhsa_user_sgpr_kernarg_preload_offset 0
		.amdhsa_user_sgpr_private_segment_size 0
		.amdhsa_uses_dynamic_stack 0
		.amdhsa_enable_private_segment 0
		.amdhsa_system_sgpr_workgroup_id_x 1
		.amdhsa_system_sgpr_workgroup_id_y 0
		.amdhsa_system_sgpr_workgroup_id_z 1
		.amdhsa_system_sgpr_workgroup_info 0
		.amdhsa_system_vgpr_workitem_id 0
		.amdhsa_next_free_vgpr 22
		.amdhsa_next_free_sgpr 35
		.amdhsa_accum_offset 24
		.amdhsa_reserve_vcc 1
		.amdhsa_float_round_mode_32 0
		.amdhsa_float_round_mode_16_64 0
		.amdhsa_float_denorm_mode_32 3
		.amdhsa_float_denorm_mode_16_64 3
		.amdhsa_dx10_clamp 1
		.amdhsa_ieee_mode 1
		.amdhsa_fp16_overflow 0
		.amdhsa_tg_split 0
		.amdhsa_exception_fp_ieee_invalid_op 0
		.amdhsa_exception_fp_denorm_src 0
		.amdhsa_exception_fp_ieee_div_zero 0
		.amdhsa_exception_fp_ieee_overflow 0
		.amdhsa_exception_fp_ieee_underflow 0
		.amdhsa_exception_fp_ieee_inexact 0
		.amdhsa_exception_int_div_zero 0
	.end_amdhsa_kernel
	.section	.text._ZL32rocblas_gemvt_warp_reduce_kernelILb0ELi1024Ei19rocblas_complex_numIdES1_S1_EviiT3_lPKT2_lT1_lS5_lS6_lS2_lPT4_lS6_li,"axG",@progbits,_ZL32rocblas_gemvt_warp_reduce_kernelILb0ELi1024Ei19rocblas_complex_numIdES1_S1_EviiT3_lPKT2_lT1_lS5_lS6_lS2_lPT4_lS6_li,comdat
.Lfunc_end176:
	.size	_ZL32rocblas_gemvt_warp_reduce_kernelILb0ELi1024Ei19rocblas_complex_numIdES1_S1_EviiT3_lPKT2_lT1_lS5_lS6_lS2_lPT4_lS6_li, .Lfunc_end176-_ZL32rocblas_gemvt_warp_reduce_kernelILb0ELi1024Ei19rocblas_complex_numIdES1_S1_EviiT3_lPKT2_lT1_lS5_lS6_lS2_lPT4_lS6_li
                                        ; -- End function
	.section	.AMDGPU.csdata,"",@progbits
; Kernel info:
; codeLenInByte = 1988
; NumSgprs: 41
; NumVgprs: 22
; NumAgprs: 0
; TotalNumVgprs: 22
; ScratchSize: 0
; MemoryBound: 0
; FloatMode: 240
; IeeeMode: 1
; LDSByteSize: 1024 bytes/workgroup (compile time only)
; SGPRBlocks: 5
; VGPRBlocks: 2
; NumSGPRsForWavesPerEU: 41
; NumVGPRsForWavesPerEU: 22
; AccumOffset: 24
; Occupancy: 8
; WaveLimiterHint : 1
; COMPUTE_PGM_RSRC2:SCRATCH_EN: 0
; COMPUTE_PGM_RSRC2:USER_SGPR: 2
; COMPUTE_PGM_RSRC2:TRAP_HANDLER: 0
; COMPUTE_PGM_RSRC2:TGID_X_EN: 1
; COMPUTE_PGM_RSRC2:TGID_Y_EN: 0
; COMPUTE_PGM_RSRC2:TGID_Z_EN: 1
; COMPUTE_PGM_RSRC2:TIDIG_COMP_CNT: 0
; COMPUTE_PGM_RSRC3_GFX90A:ACCUM_OFFSET: 5
; COMPUTE_PGM_RSRC3_GFX90A:TG_SPLIT: 0
	.section	.text._ZL32rocblas_gemvt_warp_reduce_kernelILb0ELi1024El19rocblas_complex_numIdES1_S1_EviiT3_lPKT2_lT1_lS5_lS6_lS2_lPT4_lS6_li,"axG",@progbits,_ZL32rocblas_gemvt_warp_reduce_kernelILb0ELi1024El19rocblas_complex_numIdES1_S1_EviiT3_lPKT2_lT1_lS5_lS6_lS2_lPT4_lS6_li,comdat
	.globl	_ZL32rocblas_gemvt_warp_reduce_kernelILb0ELi1024El19rocblas_complex_numIdES1_S1_EviiT3_lPKT2_lT1_lS5_lS6_lS2_lPT4_lS6_li ; -- Begin function _ZL32rocblas_gemvt_warp_reduce_kernelILb0ELi1024El19rocblas_complex_numIdES1_S1_EviiT3_lPKT2_lT1_lS5_lS6_lS2_lPT4_lS6_li
	.p2align	8
	.type	_ZL32rocblas_gemvt_warp_reduce_kernelILb0ELi1024El19rocblas_complex_numIdES1_S1_EviiT3_lPKT2_lT1_lS5_lS6_lS2_lPT4_lS6_li,@function
_ZL32rocblas_gemvt_warp_reduce_kernelILb0ELi1024El19rocblas_complex_numIdES1_S1_EviiT3_lPKT2_lT1_lS5_lS6_lS2_lPT4_lS6_li: ; @_ZL32rocblas_gemvt_warp_reduce_kernelILb0ELi1024El19rocblas_complex_numIdES1_S1_EviiT3_lPKT2_lT1_lS5_lS6_lS2_lPT4_lS6_li
; %bb.0:
	s_load_dwordx4 s[28:31], s[0:1], 0x8
	s_load_dwordx4 s[24:27], s[0:1], 0x60
	s_waitcnt lgkmcnt(0)
	v_cmp_neq_f64_e64 s[4:5], s[28:29], 0
	v_cmp_neq_f64_e64 s[6:7], s[30:31], 0
	s_or_b64 s[4:5], s[4:5], s[6:7]
	s_mov_b64 s[6:7], -1
	s_and_b64 vcc, exec, s[4:5]
	s_cbranch_vccnz .LBB177_2
; %bb.1:
	v_cmp_neq_f64_e64 s[6:7], s[24:25], 1.0
	v_cmp_neq_f64_e64 s[8:9], s[26:27], 0
	s_or_b64 s[6:7], s[6:7], s[8:9]
.LBB177_2:
	s_andn2_b64 vcc, exec, s[6:7]
	s_cbranch_vccnz .LBB177_31
; %bb.3:
	s_load_dwordx8 s[16:23], s[0:1], 0x78
	s_xor_b64 s[4:5], s[4:5], -1
	s_waitcnt lgkmcnt(0)
	s_mul_i32 s7, s3, s23
	s_mul_hi_u32 s8, s3, s22
	s_mul_i32 s6, s3, s22
	s_add_i32 s7, s8, s7
	s_lshl_b64 s[6:7], s[6:7], 4
	s_add_u32 s8, s16, s6
	s_addc_u32 s9, s17, s7
	s_lshl_b64 s[6:7], s[18:19], 4
	s_add_u32 s33, s8, s6
	s_addc_u32 s42, s9, s7
	s_andn2_b64 vcc, exec, s[4:5]
	v_cmp_eq_u32_e64 s[4:5], 0, v0
	s_cbranch_vccnz .LBB177_8
; %bb.4:
	s_mov_b64 s[8:9], 0
	s_mov_b64 s[22:23], 0
                                        ; implicit-def: $vgpr4_vgpr5
                                        ; implicit-def: $sgpr6_sgpr7
	s_and_saveexec_b64 s[10:11], s[4:5]
	s_cbranch_execz .LBB177_9
; %bb.5:
	v_cmp_neq_f64_e64 s[4:5], s[24:25], 0
	v_cmp_neq_f64_e64 s[12:13], s[26:27], 0
	s_ashr_i32 s6, s2, 31
	s_mul_i32 s7, s2, s21
	s_mul_hi_u32 s14, s2, s20
	v_mov_b64_e32 v[4:5], 0
	s_add_i32 s7, s14, s7
	s_mul_i32 s6, s6, s20
	s_or_b64 s[4:5], s[4:5], s[12:13]
	s_add_i32 s7, s7, s6
	s_mul_i32 s6, s2, s20
	s_andn2_b64 vcc, exec, s[4:5]
	v_mov_b64_e32 v[2:3], v[4:5]
	s_cbranch_vccnz .LBB177_7
; %bb.6:
	s_lshl_b64 s[4:5], s[6:7], 4
	s_add_u32 s4, s33, s4
	s_addc_u32 s5, s42, s5
	s_load_dwordx4 s[12:15], s[4:5], 0x0
	s_waitcnt lgkmcnt(0)
	v_mov_b64_e32 v[2:3], s[14:15]
	v_mov_b64_e32 v[6:7], s[12:13]
	v_mul_f64 v[8:9], s[26:27], v[2:3]
	v_mul_f64 v[4:5], s[24:25], v[2:3]
	v_fma_f64 v[2:3], s[24:25], v[6:7], -v[8:9]
	v_fmac_f64_e32 v[4:5], s[26:27], v[6:7]
.LBB177_7:
	s_mov_b64 s[22:23], exec
	s_or_b64 exec, exec, s[10:11]
	s_and_b64 vcc, exec, s[8:9]
	s_cbranch_vccnz .LBB177_10
	s_branch .LBB177_29
.LBB177_8:
	s_mov_b64 s[22:23], 0
                                        ; implicit-def: $vgpr4_vgpr5
                                        ; implicit-def: $sgpr6_sgpr7
	s_cbranch_execnz .LBB177_10
	s_branch .LBB177_29
.LBB177_9:
	s_or_b64 exec, exec, s[10:11]
	s_and_b64 vcc, exec, s[8:9]
	s_cbranch_vccz .LBB177_29
.LBB177_10:
	s_load_dwordx16 s[4:19], s[0:1], 0x20
	s_load_dword s43, s[0:1], 0x0
	v_mov_b64_e32 v[2:3], 0
	v_mov_b32_e32 v7, 0
	v_mov_b64_e32 v[4:5], v[2:3]
	s_waitcnt lgkmcnt(0)
	s_mul_i32 s1, s3, s19
	s_mul_hi_u32 s19, s3, s18
	s_mul_i32 s0, s3, s18
	s_mul_i32 s11, s3, s11
	s_mul_hi_u32 s18, s3, s10
	s_add_i32 s11, s18, s11
	s_mul_i32 s10, s3, s10
	s_ashr_i32 s3, s2, 31
	s_mul_i32 s9, s2, s9
	s_mul_hi_u32 s18, s2, s8
	s_add_i32 s9, s18, s9
	s_mul_i32 s18, s3, s8
	s_add_i32 s1, s19, s1
	s_add_i32 s19, s9, s18
	s_mul_i32 s18, s2, s8
	s_ashr_i32 s8, s43, 31
	s_lshr_b32 s8, s8, 22
	v_cmp_gt_i32_e32 vcc, s43, v0
	s_add_i32 s8, s43, s8
	s_and_b32 s8, s8, 0xfffffc00
	v_cndmask_b32_e32 v1, 0, v0, vcc
	v_cmp_gt_i32_e32 vcc, s8, v0
	v_lshlrev_b32_e32 v6, 4, v1
	s_and_saveexec_b64 s[34:35], vcc
	s_cbranch_execz .LBB177_14
; %bb.11:
	v_mad_u64_u32 v[2:3], s[38:39], s16, v0, 0
	v_mov_b32_e32 v4, v3
	v_mad_u64_u32 v[4:5], s[38:39], s17, v0, v[4:5]
	s_lshl_b64 s[36:37], s[0:1], 4
	s_lshl_b64 s[38:39], s[14:15], 4
	s_add_u32 s9, s12, s38
	s_addc_u32 s38, s13, s39
	s_add_u32 s36, s9, s36
	v_mov_b32_e32 v3, v4
	s_addc_u32 s37, s38, s37
	v_lshl_add_u64 v[2:3], v[2:3], 4, s[36:37]
	s_lshl_b64 s[36:37], s[16:17], 14
	s_lshl_b64 s[38:39], s[18:19], 4
	;; [unrolled: 1-line block ×3, first 2 shown]
	s_add_u32 s9, s38, s40
	s_addc_u32 s40, s39, s41
	s_lshl_b64 s[38:39], s[6:7], 4
	s_add_u32 s9, s9, s38
	s_addc_u32 s39, s40, s39
	s_add_u32 s38, s4, s9
	s_addc_u32 s39, s5, s39
	v_lshl_add_u64 v[8:9], v[2:3], 0, 8
	v_lshl_add_u64 v[2:3], s[38:39], 0, v[6:7]
	;; [unrolled: 1-line block ×3, first 2 shown]
	v_mov_b64_e32 v[2:3], 0
	s_mov_b64 s[38:39], 0
	s_mov_b64 s[40:41], 0x4000
	v_mov_b32_e32 v1, v0
	v_mov_b64_e32 v[4:5], v[2:3]
.LBB177_12:                             ; =>This Inner Loop Header: Depth=1
	global_load_dwordx4 v[12:15], v[10:11], off offset:-8
	global_load_dwordx4 v[16:19], v[8:9], off offset:-8
	v_add_u32_e32 v1, 0x400, v1
	v_cmp_le_i32_e32 vcc, s8, v1
	v_lshl_add_u64 v[8:9], v[8:9], 0, s[36:37]
	v_lshl_add_u64 v[10:11], v[10:11], 0, s[40:41]
	s_or_b64 s[38:39], vcc, s[38:39]
	s_waitcnt vmcnt(0)
	v_mul_f64 v[20:21], v[14:15], v[18:19]
	v_mul_f64 v[18:19], v[12:13], v[18:19]
	v_fma_f64 v[12:13], v[12:13], v[16:17], -v[20:21]
	v_fmac_f64_e32 v[18:19], v[14:15], v[16:17]
	v_add_f64 v[4:5], v[4:5], v[12:13]
	v_add_f64 v[2:3], v[2:3], v[18:19]
	s_andn2_b64 exec, exec, s[38:39]
	s_cbranch_execnz .LBB177_12
; %bb.13:
	s_or_b64 exec, exec, s[38:39]
.LBB177_14:
	s_or_b64 exec, exec, s[34:35]
	v_or_b32_e32 v1, s8, v0
	v_cmp_gt_i32_e32 vcc, s43, v1
	s_and_saveexec_b64 s[34:35], vcc
	s_cbranch_execz .LBB177_16
; %bb.15:
	s_lshl_b64 s[10:11], s[10:11], 4
	s_add_u32 s9, s4, s10
	s_addc_u32 s10, s5, s11
	s_lshl_b64 s[4:5], s[6:7], 4
	s_add_u32 s11, s9, s4
	s_addc_u32 s10, s10, s5
	s_lshl_b64 s[4:5], s[18:19], 4
	s_lshl_b64 s[0:1], s[0:1], 4
	s_add_u32 s6, s12, s0
	s_addc_u32 s7, s13, s1
	s_lshl_b64 s[0:1], s[14:15], 4
	s_add_u32 s0, s6, s0
	s_addc_u32 s1, s7, s1
	s_ashr_i32 s9, s8, 31
	s_lshl_b64 s[6:7], s[8:9], 4
	s_add_u32 s4, s6, s4
	v_ashrrev_i32_e32 v7, 31, v1
	s_addc_u32 s5, s7, s5
	v_mul_lo_u32 v10, v1, s17
	v_mul_lo_u32 v7, v7, s16
	v_mad_u64_u32 v[8:9], s[6:7], v1, s16, 0
	v_add3_u32 v9, v9, v10, v7
	s_add_u32 s4, s4, s11
	v_lshl_add_u64 v[16:17], v[8:9], 4, s[0:1]
	s_addc_u32 s5, s5, s10
	global_load_dwordx4 v[8:11], v[16:17], off
	global_load_dwordx4 v[12:15], v6, s[4:5]
	s_waitcnt vmcnt(0)
	v_mul_f64 v[6:7], v[14:15], v[10:11]
	v_mul_f64 v[10:11], v[12:13], v[10:11]
	v_fma_f64 v[6:7], v[12:13], v[8:9], -v[6:7]
	v_fmac_f64_e32 v[10:11], v[14:15], v[8:9]
	v_add_f64 v[4:5], v[4:5], v[6:7]
	v_add_f64 v[2:3], v[2:3], v[10:11]
.LBB177_16:
	s_or_b64 exec, exec, s[34:35]
	v_and_b32_e32 v13, 63, v0
	v_cmp_gt_u32_e32 vcc, 64, v0
	v_lshlrev_b32_e32 v1, 4, v13
	s_and_saveexec_b64 s[0:1], vcc
	s_cbranch_execz .LBB177_18
; %bb.17:
	v_mov_b32_e32 v6, 0
	v_mov_b32_e32 v7, v6
	;; [unrolled: 1-line block ×4, first 2 shown]
	ds_write_b128 v1, v[6:9]
.LBB177_18:
	s_or_b64 exec, exec, s[0:1]
	v_mbcnt_lo_u32_b32 v6, -1, 0
	v_mbcnt_hi_u32_b32 v14, -1, v6
	v_and_b32_e32 v15, 63, v14
	v_cmp_gt_u32_e64 s[0:1], 32, v15
	s_waitcnt lgkmcnt(0)
	s_barrier
	v_cndmask_b32_e64 v6, 0, 1, s[0:1]
	v_lshlrev_b32_e32 v6, 5, v6
	v_add_lshl_u32 v9, v6, v14, 2
	ds_bpermute_b32 v6, v9, v4
	ds_bpermute_b32 v7, v9, v5
	;; [unrolled: 1-line block ×4, first 2 shown]
	v_cmp_gt_u32_e64 s[0:1], 48, v15
	s_waitcnt lgkmcnt(0)
	v_add_f64 v[4:5], v[4:5], v[6:7]
	v_cndmask_b32_e64 v6, 0, 1, s[0:1]
	v_lshlrev_b32_e32 v6, 4, v6
	v_add_f64 v[2:3], v[2:3], v[8:9]
	v_add_lshl_u32 v9, v6, v14, 2
	ds_bpermute_b32 v6, v9, v4
	ds_bpermute_b32 v7, v9, v5
	;; [unrolled: 1-line block ×4, first 2 shown]
	v_cmp_gt_u32_e64 s[0:1], 56, v15
	s_waitcnt lgkmcnt(2)
	v_add_f64 v[4:5], v[4:5], v[6:7]
	v_cndmask_b32_e64 v6, 0, 1, s[0:1]
	v_lshlrev_b32_e32 v6, 3, v6
	v_add_lshl_u32 v10, v6, v14, 2
	ds_bpermute_b32 v6, v10, v4
	ds_bpermute_b32 v7, v10, v5
	s_waitcnt lgkmcnt(2)
	v_add_f64 v[2:3], v[2:3], v[8:9]
	ds_bpermute_b32 v8, v10, v2
	ds_bpermute_b32 v9, v10, v3
	v_cmp_gt_u32_e64 s[0:1], 60, v15
	s_waitcnt lgkmcnt(2)
	v_add_f64 v[4:5], v[4:5], v[6:7]
	s_waitcnt lgkmcnt(0)
	v_add_f64 v[2:3], v[2:3], v[8:9]
	v_cndmask_b32_e64 v6, 0, 1, s[0:1]
	v_lshlrev_b32_e32 v6, 2, v6
	v_add_lshl_u32 v11, v6, v14, 2
	ds_bpermute_b32 v6, v11, v4
	ds_bpermute_b32 v7, v11, v5
	;; [unrolled: 1-line block ×4, first 2 shown]
	v_cmp_gt_u32_e64 s[0:1], 62, v15
	s_waitcnt lgkmcnt(2)
	v_add_f64 v[4:5], v[4:5], v[6:7]
	s_waitcnt lgkmcnt(0)
	v_add_f64 v[6:7], v[2:3], v[8:9]
	v_cndmask_b32_e64 v2, 0, 1, s[0:1]
	v_lshlrev_b32_e32 v2, 1, v2
	v_add_lshl_u32 v12, v2, v14, 2
	ds_bpermute_b32 v2, v12, v4
	ds_bpermute_b32 v3, v12, v5
	;; [unrolled: 1-line block ×4, first 2 shown]
	v_cmp_ne_u32_e64 s[0:1], 63, v15
	s_waitcnt lgkmcnt(2)
	v_add_f64 v[2:3], v[4:5], v[2:3]
	v_addc_co_u32_e64 v4, s[0:1], 0, v14, s[0:1]
	s_waitcnt lgkmcnt(0)
	v_add_f64 v[6:7], v[6:7], v[8:9]
	v_lshlrev_b32_e32 v14, 2, v4
	ds_bpermute_b32 v4, v14, v2
	ds_bpermute_b32 v5, v14, v3
	;; [unrolled: 1-line block ×4, first 2 shown]
	v_cmp_eq_u32_e64 s[0:1], 0, v13
	s_and_saveexec_b64 s[4:5], s[0:1]
	s_cbranch_execz .LBB177_20
; %bb.19:
	v_lshrrev_b32_e32 v13, 2, v0
	v_and_b32_e32 v13, 0xf0, v13
	s_waitcnt lgkmcnt(0)
	v_add_f64 v[6:7], v[6:7], v[8:9]
	v_add_f64 v[4:5], v[2:3], v[4:5]
	ds_write_b128 v13, v[4:7]
.LBB177_20:
	s_or_b64 exec, exec, s[4:5]
	s_waitcnt lgkmcnt(0)
	v_mov_b64_e32 v[8:9], 0
	v_cmp_gt_u32_e64 s[0:1], 16, v0
	v_mov_b64_e32 v[6:7], v[8:9]
	s_barrier
	s_and_saveexec_b64 s[4:5], s[0:1]
	s_cbranch_execz .LBB177_22
; %bb.21:
	ds_read_b128 v[6:9], v1
	s_or_b64 exec, exec, s[4:5]
	s_and_saveexec_b64 s[0:1], vcc
	s_cbranch_execz .LBB177_24
	s_branch .LBB177_23
.LBB177_22:
	s_or_b64 exec, exec, s[4:5]
	s_and_saveexec_b64 s[0:1], vcc
	s_cbranch_execz .LBB177_24
.LBB177_23:
	s_waitcnt lgkmcnt(0)
	ds_bpermute_b32 v2, v10, v6
	ds_bpermute_b32 v3, v10, v7
	ds_bpermute_b32 v4, v10, v8
	ds_bpermute_b32 v5, v10, v9
	s_waitcnt lgkmcnt(2)
	v_add_f64 v[2:3], v[6:7], v[2:3]
	ds_bpermute_b32 v6, v11, v2
	s_waitcnt lgkmcnt(1)
	v_add_f64 v[4:5], v[8:9], v[4:5]
	ds_bpermute_b32 v7, v11, v3
	ds_bpermute_b32 v8, v11, v4
	ds_bpermute_b32 v9, v11, v5
	s_waitcnt lgkmcnt(2)
	v_add_f64 v[2:3], v[2:3], v[6:7]
	ds_bpermute_b32 v6, v12, v2
	s_waitcnt lgkmcnt(1)
	v_add_f64 v[4:5], v[4:5], v[8:9]
	ds_bpermute_b32 v7, v12, v3
	ds_bpermute_b32 v8, v12, v4
	ds_bpermute_b32 v9, v12, v5
	;; [unrolled: 8-line block ×3, first 2 shown]
	s_waitcnt lgkmcnt(2)
	v_add_f64 v[6:7], v[2:3], v[6:7]
	s_waitcnt lgkmcnt(0)
	v_add_f64 v[8:9], v[4:5], v[8:9]
.LBB177_24:
	s_or_b64 exec, exec, s[0:1]
	v_cmp_eq_u32_e32 vcc, 0, v0
                                        ; implicit-def: $vgpr4_vgpr5
                                        ; implicit-def: $sgpr6_sgpr7
	s_and_saveexec_b64 s[0:1], vcc
	s_cbranch_execz .LBB177_28
; %bb.25:
	v_cmp_neq_f64_e64 s[4:5], s[24:25], 0
	v_cmp_neq_f64_e64 s[8:9], s[26:27], 0
	s_mul_i32 s6, s2, s21
	s_mul_hi_u32 s7, s2, s20
	s_waitcnt lgkmcnt(0)
	v_mul_f64 v[0:1], s[30:31], v[8:9]
	v_mul_f64 v[4:5], s[28:29], v[8:9]
	s_add_i32 s6, s7, s6
	s_mul_i32 s3, s3, s20
	s_or_b64 s[4:5], s[4:5], s[8:9]
	v_fma_f64 v[2:3], s[28:29], v[6:7], -v[0:1]
	v_fmac_f64_e32 v[4:5], s[30:31], v[6:7]
	s_add_i32 s7, s6, s3
	s_andn2_b64 vcc, exec, s[4:5]
	s_mul_i32 s6, s2, s20
	s_cbranch_vccnz .LBB177_27
; %bb.26:
	s_lshl_b64 s[2:3], s[6:7], 4
	s_add_u32 s2, s33, s2
	s_addc_u32 s3, s42, s3
	s_load_dwordx4 s[8:11], s[2:3], 0x0
	s_waitcnt lgkmcnt(0)
	v_mov_b64_e32 v[0:1], s[10:11]
	v_mov_b64_e32 v[6:7], s[8:9]
	v_mul_f64 v[8:9], s[26:27], v[0:1]
	v_mul_f64 v[0:1], s[24:25], v[0:1]
	v_fma_f64 v[8:9], s[24:25], v[6:7], -v[8:9]
	v_fmac_f64_e32 v[0:1], s[26:27], v[6:7]
	v_add_f64 v[2:3], v[2:3], v[8:9]
	v_add_f64 v[4:5], v[4:5], v[0:1]
.LBB177_27:
	s_or_b64 s[22:23], s[22:23], exec
.LBB177_28:
	s_or_b64 exec, exec, s[0:1]
.LBB177_29:
	s_and_saveexec_b64 s[0:1], s[22:23]
	s_cbranch_execz .LBB177_31
; %bb.30:
	s_lshl_b64 s[0:1], s[6:7], 4
	s_add_u32 s0, s33, s0
	s_addc_u32 s1, s42, s1
	v_mov_b32_e32 v0, 0
	global_store_dwordx4 v0, v[2:5], s[0:1]
.LBB177_31:
	s_endpgm
	.section	.rodata,"a",@progbits
	.p2align	6, 0x0
	.amdhsa_kernel _ZL32rocblas_gemvt_warp_reduce_kernelILb0ELi1024El19rocblas_complex_numIdES1_S1_EviiT3_lPKT2_lT1_lS5_lS6_lS2_lPT4_lS6_li
		.amdhsa_group_segment_fixed_size 1024
		.amdhsa_private_segment_fixed_size 0
		.amdhsa_kernarg_size 156
		.amdhsa_user_sgpr_count 2
		.amdhsa_user_sgpr_dispatch_ptr 0
		.amdhsa_user_sgpr_queue_ptr 0
		.amdhsa_user_sgpr_kernarg_segment_ptr 1
		.amdhsa_user_sgpr_dispatch_id 0
		.amdhsa_user_sgpr_kernarg_preload_length 0
		.amdhsa_user_sgpr_kernarg_preload_offset 0
		.amdhsa_user_sgpr_private_segment_size 0
		.amdhsa_uses_dynamic_stack 0
		.amdhsa_enable_private_segment 0
		.amdhsa_system_sgpr_workgroup_id_x 1
		.amdhsa_system_sgpr_workgroup_id_y 0
		.amdhsa_system_sgpr_workgroup_id_z 1
		.amdhsa_system_sgpr_workgroup_info 0
		.amdhsa_system_vgpr_workitem_id 0
		.amdhsa_next_free_vgpr 22
		.amdhsa_next_free_sgpr 44
		.amdhsa_accum_offset 24
		.amdhsa_reserve_vcc 1
		.amdhsa_float_round_mode_32 0
		.amdhsa_float_round_mode_16_64 0
		.amdhsa_float_denorm_mode_32 3
		.amdhsa_float_denorm_mode_16_64 3
		.amdhsa_dx10_clamp 1
		.amdhsa_ieee_mode 1
		.amdhsa_fp16_overflow 0
		.amdhsa_tg_split 0
		.amdhsa_exception_fp_ieee_invalid_op 0
		.amdhsa_exception_fp_denorm_src 0
		.amdhsa_exception_fp_ieee_div_zero 0
		.amdhsa_exception_fp_ieee_overflow 0
		.amdhsa_exception_fp_ieee_underflow 0
		.amdhsa_exception_fp_ieee_inexact 0
		.amdhsa_exception_int_div_zero 0
	.end_amdhsa_kernel
	.section	.text._ZL32rocblas_gemvt_warp_reduce_kernelILb0ELi1024El19rocblas_complex_numIdES1_S1_EviiT3_lPKT2_lT1_lS5_lS6_lS2_lPT4_lS6_li,"axG",@progbits,_ZL32rocblas_gemvt_warp_reduce_kernelILb0ELi1024El19rocblas_complex_numIdES1_S1_EviiT3_lPKT2_lT1_lS5_lS6_lS2_lPT4_lS6_li,comdat
.Lfunc_end177:
	.size	_ZL32rocblas_gemvt_warp_reduce_kernelILb0ELi1024El19rocblas_complex_numIdES1_S1_EviiT3_lPKT2_lT1_lS5_lS6_lS2_lPT4_lS6_li, .Lfunc_end177-_ZL32rocblas_gemvt_warp_reduce_kernelILb0ELi1024El19rocblas_complex_numIdES1_S1_EviiT3_lPKT2_lT1_lS5_lS6_lS2_lPT4_lS6_li
                                        ; -- End function
	.section	.AMDGPU.csdata,"",@progbits
; Kernel info:
; codeLenInByte = 2052
; NumSgprs: 50
; NumVgprs: 22
; NumAgprs: 0
; TotalNumVgprs: 22
; ScratchSize: 0
; MemoryBound: 0
; FloatMode: 240
; IeeeMode: 1
; LDSByteSize: 1024 bytes/workgroup (compile time only)
; SGPRBlocks: 6
; VGPRBlocks: 2
; NumSGPRsForWavesPerEU: 50
; NumVGPRsForWavesPerEU: 22
; AccumOffset: 24
; Occupancy: 8
; WaveLimiterHint : 1
; COMPUTE_PGM_RSRC2:SCRATCH_EN: 0
; COMPUTE_PGM_RSRC2:USER_SGPR: 2
; COMPUTE_PGM_RSRC2:TRAP_HANDLER: 0
; COMPUTE_PGM_RSRC2:TGID_X_EN: 1
; COMPUTE_PGM_RSRC2:TGID_Y_EN: 0
; COMPUTE_PGM_RSRC2:TGID_Z_EN: 1
; COMPUTE_PGM_RSRC2:TIDIG_COMP_CNT: 0
; COMPUTE_PGM_RSRC3_GFX90A:ACCUM_OFFSET: 5
; COMPUTE_PGM_RSRC3_GFX90A:TG_SPLIT: 0
	.section	.text._ZL22rocblas_gemvtsm_kernelILb1ELi256E19rocblas_complex_numIdEPKS1_S1_EviiT2_lPKT1_lilS7_lilS4_lPT3_lil,"axG",@progbits,_ZL22rocblas_gemvtsm_kernelILb1ELi256E19rocblas_complex_numIdEPKS1_S1_EviiT2_lPKT1_lilS7_lilS4_lPT3_lil,comdat
	.globl	_ZL22rocblas_gemvtsm_kernelILb1ELi256E19rocblas_complex_numIdEPKS1_S1_EviiT2_lPKT1_lilS7_lilS4_lPT3_lil ; -- Begin function _ZL22rocblas_gemvtsm_kernelILb1ELi256E19rocblas_complex_numIdEPKS1_S1_EviiT2_lPKT1_lilS7_lilS4_lPT3_lil
	.p2align	8
	.type	_ZL22rocblas_gemvtsm_kernelILb1ELi256E19rocblas_complex_numIdEPKS1_S1_EviiT2_lPKT1_lilS7_lilS4_lPT3_lil,@function
_ZL22rocblas_gemvtsm_kernelILb1ELi256E19rocblas_complex_numIdEPKS1_S1_EviiT2_lPKT1_lilS7_lilS4_lPT3_lil: ; @_ZL22rocblas_gemvtsm_kernelILb1ELi256E19rocblas_complex_numIdEPKS1_S1_EviiT2_lPKT1_lilS7_lilS4_lPT3_lil
; %bb.0:
	s_load_dwordx8 s[4:11], s[0:1], 0x8
	s_load_dwordx8 s[12:19], s[0:1], 0x50
	s_waitcnt lgkmcnt(0)
	s_mul_i32 s3, s2, s7
	s_mul_hi_u32 s7, s2, s6
	s_add_i32 s7, s7, s3
	s_mul_i32 s6, s2, s6
	s_lshl_b64 s[6:7], s[6:7], 4
	s_add_u32 s4, s4, s6
	s_mul_i32 s3, s2, s17
	s_mul_hi_u32 s17, s2, s16
	s_addc_u32 s5, s5, s7
	s_add_i32 s17, s17, s3
	s_mul_i32 s16, s2, s16
	s_load_dwordx4 s[4:7], s[4:5], 0x0
	s_lshl_b64 s[16:17], s[16:17], 4
	s_add_u32 s14, s14, s16
	s_addc_u32 s15, s15, s17
	s_load_dwordx4 s[20:23], s[14:15], 0x0
	s_waitcnt lgkmcnt(0)
	v_cmp_neq_f64_e64 s[14:15], s[4:5], 0
	v_cmp_neq_f64_e64 s[16:17], s[6:7], 0
	s_or_b64 s[24:25], s[14:15], s[16:17]
	s_mov_b64 s[14:15], -1
	s_and_b64 vcc, exec, s[24:25]
	s_cbranch_vccnz .LBB178_2
; %bb.1:
	v_cmp_neq_f64_e64 s[14:15], s[20:21], 1.0
	v_cmp_neq_f64_e64 s[16:17], s[22:23], 0
	s_or_b64 s[14:15], s[14:15], s[16:17]
.LBB178_2:
	s_andn2_b64 vcc, exec, s[14:15]
	s_cbranch_vccnz .LBB178_36
; %bb.3:
	s_load_dwordx2 s[26:27], s[0:1], 0x80
	s_load_dword s14, s[0:1], 0x78
	s_load_dwordx2 s[28:29], s[0:1], 0x70
	s_load_dwordx2 s[16:17], s[0:1], 0x0
	s_xor_b64 s[24:25], s[24:25], -1
	s_waitcnt lgkmcnt(0)
	s_mul_i32 s3, s2, s27
	s_mul_hi_u32 s15, s2, s26
	s_add_i32 s31, s15, s3
	s_mul_i32 s30, s2, s26
	s_andn2_b64 vcc, exec, s[24:25]
	s_mov_b64 s[24:25], -1
	s_cbranch_vccnz .LBB178_18
; %bb.4:
	v_cmp_neq_f64_e64 s[24:25], s[20:21], 0
	v_cmp_neq_f64_e64 s[26:27], s[22:23], 0
	s_or_b64 s[34:35], s[24:25], s[26:27]
	s_cmp_gt_i32 s17, 0
	s_mov_b64 s[26:27], -1
	s_cselect_b64 s[24:25], -1, 0
	s_and_b64 vcc, exec, s[34:35]
	s_cbranch_vccnz .LBB178_11
; %bb.5:
	s_andn2_b64 vcc, exec, s[24:25]
	s_cbranch_vccnz .LBB178_10
; %bb.6:
	v_mad_i64_i32 v[2:3], s[34:35], s14, v0, 0
	s_ashr_i32 s15, s14, 31
	s_lshl_b64 s[26:27], s[30:31], 4
	s_lshl_b64 s[34:35], s[28:29], 4
	s_add_u32 s3, s18, s34
	s_addc_u32 s33, s19, s35
	s_add_u32 s26, s3, s26
	s_addc_u32 s27, s33, s27
	v_lshl_add_u64 v[2:3], v[2:3], 4, s[26:27]
	v_lshl_add_u64 v[6:7], v[2:3], 0, 8
	s_lshl_b64 s[26:27], s[14:15], 12
	s_mov_b32 s3, 0
	v_mov_b32_e32 v2, 0
	s_branch .LBB178_8
.LBB178_7:                              ;   in Loop: Header=BB178_8 Depth=1
	s_or_b64 exec, exec, s[34:35]
	s_addk_i32 s3, 0x100
	s_cmp_ge_i32 s3, s17
	v_lshl_add_u64 v[6:7], v[6:7], 0, s[26:27]
	s_cbranch_scc1 .LBB178_10
.LBB178_8:                              ; =>This Inner Loop Header: Depth=1
	v_add_u32_e32 v1, s3, v0
	v_cmp_gt_i32_e32 vcc, s17, v1
	s_and_saveexec_b64 s[34:35], vcc
	s_cbranch_execz .LBB178_7
; %bb.9:                                ;   in Loop: Header=BB178_8 Depth=1
	v_mov_b32_e32 v3, v2
	v_mov_b32_e32 v4, v2
	;; [unrolled: 1-line block ×3, first 2 shown]
	global_store_dwordx4 v[6:7], v[2:5], off offset:-8
	s_branch .LBB178_7
.LBB178_10:
	s_mov_b64 s[26:27], 0
.LBB178_11:
	s_andn2_b64 vcc, exec, s[26:27]
	s_cbranch_vccnz .LBB178_17
; %bb.12:
	s_andn2_b64 vcc, exec, s[24:25]
	s_cbranch_vccnz .LBB178_17
; %bb.13:
	v_mad_i64_i32 v[2:3], s[26:27], s14, v0, 0
	s_ashr_i32 s15, s14, 31
	s_lshl_b64 s[24:25], s[30:31], 4
	s_lshl_b64 s[26:27], s[28:29], 4
	s_add_u32 s3, s18, s26
	s_addc_u32 s26, s19, s27
	s_add_u32 s24, s3, s24
	s_addc_u32 s25, s26, s25
	v_lshl_add_u64 v[2:3], v[2:3], 4, s[24:25]
	v_lshl_add_u64 v[2:3], v[2:3], 0, 8
	s_lshl_b64 s[24:25], s[14:15], 12
	s_mov_b32 s3, 0
	s_branch .LBB178_15
.LBB178_14:                             ;   in Loop: Header=BB178_15 Depth=1
	s_or_b64 exec, exec, s[26:27]
	s_addk_i32 s3, 0x100
	s_cmp_ge_i32 s3, s17
	v_lshl_add_u64 v[2:3], v[2:3], 0, s[24:25]
	s_cbranch_scc1 .LBB178_17
.LBB178_15:                             ; =>This Inner Loop Header: Depth=1
	v_add_u32_e32 v1, s3, v0
	v_cmp_gt_i32_e32 vcc, s17, v1
	s_and_saveexec_b64 s[26:27], vcc
	s_cbranch_execz .LBB178_14
; %bb.16:                               ;   in Loop: Header=BB178_15 Depth=1
	global_load_dwordx4 v[4:7], v[2:3], off offset:-8
	s_waitcnt vmcnt(0)
	v_mul_f64 v[10:11], s[22:23], v[6:7]
	v_mul_f64 v[8:9], s[20:21], v[6:7]
	v_fma_f64 v[6:7], s[20:21], v[4:5], -v[10:11]
	v_fmac_f64_e32 v[8:9], s[22:23], v[4:5]
	global_store_dwordx4 v[2:3], v[6:9], off offset:-8
	s_branch .LBB178_14
.LBB178_17:
	s_mov_b64 s[24:25], 0
.LBB178_18:
	s_andn2_b64 vcc, exec, s[24:25]
	s_cbranch_vccnz .LBB178_36
; %bb.19:
	s_load_dwordx4 s[24:27], s[0:1], 0x30
	s_load_dwordx2 s[36:37], s[0:1], 0x40
	v_cmp_gt_i32_e32 vcc, s16, v0
	s_and_saveexec_b64 s[34:35], vcc
	s_cbranch_execz .LBB178_21
; %bb.20:
	s_mul_i32 s3, s2, s13
	s_mul_hi_u32 s13, s2, s12
	s_add_i32 s13, s13, s3
	s_mul_i32 s12, s2, s12
	s_lshl_b64 s[12:13], s[12:13], 4
	s_waitcnt lgkmcnt(0)
	s_add_u32 s3, s26, s12
	s_load_dword s26, s[0:1], 0x48
	s_addc_u32 s15, s27, s13
	s_lshl_b64 s[12:13], s[36:37], 4
	s_add_u32 s12, s3, s12
	s_addc_u32 s13, s15, s13
	s_waitcnt lgkmcnt(0)
	v_mad_i64_i32 v[2:3], s[26:27], s26, v0, 0
	v_lshl_add_u64 v[2:3], v[2:3], 4, s[12:13]
	global_load_dwordx4 v[2:5], v[2:3], off
	v_lshlrev_b32_e32 v1, 4, v0
	s_waitcnt vmcnt(0)
	v_mul_f64 v[8:9], s[6:7], v[4:5]
	v_mul_f64 v[6:7], s[4:5], v[4:5]
	v_fma_f64 v[4:5], s[4:5], v[2:3], -v[8:9]
	v_fmac_f64_e32 v[6:7], s[6:7], v[2:3]
	ds_write_b128 v1, v[4:7]
.LBB178_21:
	s_or_b64 exec, exec, s[34:35]
	s_cmp_lt_i32 s17, 1
	s_waitcnt lgkmcnt(0)
	s_barrier
	s_cbranch_scc1 .LBB178_36
; %bb.22:
	s_lshl_b64 s[4:5], s[30:31], 4
	s_load_dword s0, s[0:1], 0x28
	s_add_u32 s3, s18, s4
	s_addc_u32 s1, s19, s5
	s_lshl_b64 s[4:5], s[28:29], 4
	s_add_u32 s6, s3, s4
	s_addc_u32 s7, s1, s5
	v_cmp_neq_f64_e64 s[4:5], s[20:21], 0
	v_cmp_neq_f64_e64 s[18:19], s[22:23], 0
	s_waitcnt lgkmcnt(0)
	s_ashr_i32 s1, s0, 31
	s_ashr_i32 s15, s14, 31
	s_or_b64 s[4:5], s[4:5], s[18:19]
	s_cmp_gt_i32 s16, 0
	s_cselect_b64 s[28:29], -1, 0
	s_and_b32 s26, s16, 7
	s_cmp_gt_u32 s16, 7
	s_cselect_b64 s[30:31], -1, 0
	s_and_b32 s16, s16, 0x7ffffff8
	s_cmp_lg_u32 s26, 0
	s_mul_i32 s3, s25, s2
	s_mul_hi_u32 s12, s24, s2
	s_cselect_b64 s[18:19], -1, 0
	s_add_i32 s3, s12, s3
	s_mul_i32 s2, s24, s2
	s_lshl_b64 s[2:3], s[2:3], 4
	s_lshl_b64 s[10:11], s[10:11], 4
	s_add_u32 s8, s8, s10
	s_addc_u32 s9, s9, s11
	s_add_u32 s2, s8, s2
	v_mad_i64_i32 v[2:3], s[24:25], s0, v0, 0
	s_addc_u32 s3, s9, s3
	v_lshl_add_u64 v[6:7], v[2:3], 4, s[2:3]
	s_mov_b64 s[2:3], 0x78
	v_cndmask_b32_e64 v1, 0, 1, s[4:5]
	v_cndmask_b32_e64 v2, 0, 1, s[28:29]
	;; [unrolled: 1-line block ×3, first 2 shown]
	s_mov_b32 s13, 0
	v_lshl_add_u64 v[8:9], v[6:7], 0, s[2:3]
	s_lshl_b64 s[8:9], s[0:1], 12
	s_mov_b64 s[10:11], 0x80
	v_cmp_ne_u32_e64 s[0:1], 1, v1
	v_cmp_ne_u32_e64 s[2:3], 1, v2
	;; [unrolled: 1-line block ×3, first 2 shown]
	s_mov_b32 s27, 0
	s_branch .LBB178_25
.LBB178_23:                             ;   in Loop: Header=BB178_25 Depth=1
	global_store_dwordx4 v[10:11], v[2:5], off
.LBB178_24:                             ;   in Loop: Header=BB178_25 Depth=1
	s_or_b64 exec, exec, s[24:25]
	s_addk_i32 s27, 0x100
	v_lshl_add_u64 v[8:9], v[8:9], 0, s[8:9]
	s_cmp_ge_i32 s27, s17
	v_lshl_add_u64 v[6:7], v[6:7], 0, s[8:9]
	s_cbranch_scc1 .LBB178_36
.LBB178_25:                             ; =>This Loop Header: Depth=1
                                        ;     Child Loop BB178_31 Depth 2
                                        ;     Child Loop BB178_35 Depth 2
	v_add_u32_e32 v1, s27, v0
	v_cmp_gt_i32_e32 vcc, s17, v1
	s_and_saveexec_b64 s[24:25], vcc
	s_cbranch_execz .LBB178_24
; %bb.26:                               ;   in Loop: Header=BB178_25 Depth=1
	v_mad_u64_u32 v[4:5], s[28:29], v1, s14, 0
	v_mov_b32_e32 v2, v5
	v_mad_u64_u32 v[2:3], s[28:29], v1, s15, v[2:3]
	v_mov_b32_e32 v5, v2
	v_mov_b64_e32 v[2:3], 0
	s_and_b64 vcc, exec, s[0:1]
	v_lshl_add_u64 v[10:11], v[4:5], 4, s[6:7]
	v_mov_b64_e32 v[4:5], v[2:3]
	s_cbranch_vccnz .LBB178_28
; %bb.27:                               ;   in Loop: Header=BB178_25 Depth=1
	global_load_dwordx4 v[12:15], v[10:11], off
	s_waitcnt vmcnt(0)
	v_mul_f64 v[2:3], s[22:23], v[14:15]
	v_mul_f64 v[4:5], s[20:21], v[14:15]
	v_fma_f64 v[2:3], s[20:21], v[12:13], -v[2:3]
	v_fmac_f64_e32 v[4:5], s[22:23], v[12:13]
.LBB178_28:                             ;   in Loop: Header=BB178_25 Depth=1
	s_and_b64 vcc, exec, s[2:3]
	s_cbranch_vccnz .LBB178_23
; %bb.29:                               ;   in Loop: Header=BB178_25 Depth=1
	s_mov_b32 s12, 0
	s_and_b64 vcc, exec, s[4:5]
	s_cbranch_vccnz .LBB178_33
; %bb.30:                               ;   in Loop: Header=BB178_25 Depth=1
	s_mov_b32 s28, 0
	v_mov_b64_e32 v[12:13], v[8:9]
.LBB178_31:                             ;   Parent Loop BB178_25 Depth=1
                                        ; =>  This Inner Loop Header: Depth=2
	global_load_dwordx4 v[14:17], v[12:13], off offset:-120
	global_load_dwordx4 v[18:21], v[12:13], off offset:-104
	;; [unrolled: 1-line block ×8, first 2 shown]
	v_mov_b32_e32 v1, s12
	ds_read_b128 v[46:49], v1
	ds_read_b128 v[50:53], v1 offset:16
	s_add_i32 s28, s28, 8
	s_addk_i32 s12, 0x80
	v_lshl_add_u64 v[12:13], v[12:13], 0, s[10:11]
	s_cmp_eq_u32 s16, s28
	s_waitcnt vmcnt(7) lgkmcnt(1)
	v_mul_f64 v[54:55], v[16:17], v[48:49]
	v_mul_f64 v[16:17], v[16:17], v[46:47]
	v_fmac_f64_e32 v[54:55], v[14:15], v[46:47]
	v_fma_f64 v[46:47], v[14:15], v[48:49], -v[16:17]
	ds_read_b128 v[14:17], v1 offset:32
	s_waitcnt vmcnt(6) lgkmcnt(1)
	v_mul_f64 v[48:49], v[20:21], v[52:53]
	v_mul_f64 v[20:21], v[20:21], v[50:51]
	v_fmac_f64_e32 v[48:49], v[18:19], v[50:51]
	v_fma_f64 v[50:51], v[18:19], v[52:53], -v[20:21]
	ds_read_b128 v[18:21], v1 offset:48
	;; [unrolled: 6-line block ×6, first 2 shown]
	v_add_f64 v[2:3], v[2:3], v[54:55]
	v_add_f64 v[4:5], v[4:5], v[46:47]
	;; [unrolled: 1-line block ×8, first 2 shown]
	s_waitcnt vmcnt(1) lgkmcnt(1)
	v_mul_f64 v[36:37], v[40:41], v[16:17]
	v_mul_f64 v[40:41], v[40:41], v[14:15]
	v_add_f64 v[2:3], v[2:3], v[28:29]
	v_add_f64 v[4:5], v[4:5], v[30:31]
	s_waitcnt vmcnt(0) lgkmcnt(0)
	v_mul_f64 v[56:57], v[44:45], v[20:21]
	v_fmac_f64_e32 v[36:37], v[38:39], v[14:15]
	v_fma_f64 v[14:15], v[38:39], v[16:17], -v[40:41]
	v_mul_f64 v[16:17], v[44:45], v[18:19]
	v_add_f64 v[2:3], v[2:3], v[32:33]
	v_add_f64 v[4:5], v[4:5], v[34:35]
	v_fmac_f64_e32 v[56:57], v[42:43], v[18:19]
	v_fma_f64 v[16:17], v[42:43], v[20:21], -v[16:17]
	v_add_f64 v[2:3], v[2:3], v[36:37]
	v_add_f64 v[4:5], v[4:5], v[14:15]
	;; [unrolled: 1-line block ×4, first 2 shown]
	s_cbranch_scc0 .LBB178_31
; %bb.32:                               ;   in Loop: Header=BB178_25 Depth=1
	s_mov_b32 s12, s16
.LBB178_33:                             ;   in Loop: Header=BB178_25 Depth=1
	s_andn2_b64 vcc, exec, s[18:19]
	s_cbranch_vccnz .LBB178_23
; %bb.34:                               ;   in Loop: Header=BB178_25 Depth=1
	s_lshl_b32 s28, s12, 4
	v_lshl_add_u64 v[12:13], s[12:13], 4, v[6:7]
	s_mov_b32 s12, s26
.LBB178_35:                             ;   Parent Loop BB178_25 Depth=1
                                        ; =>  This Inner Loop Header: Depth=2
	global_load_dwordx4 v[14:17], v[12:13], off
	v_mov_b32_e32 v1, s28
	ds_read_b128 v[18:21], v1
	s_add_i32 s28, s28, 16
	s_add_i32 s12, s12, -1
	v_lshl_add_u64 v[12:13], v[12:13], 0, 16
	s_cmp_lg_u32 s12, 0
	s_waitcnt vmcnt(0) lgkmcnt(0)
	v_mul_f64 v[22:23], v[16:17], v[20:21]
	v_mul_f64 v[16:17], v[16:17], v[18:19]
	v_fmac_f64_e32 v[22:23], v[14:15], v[18:19]
	v_fma_f64 v[14:15], v[14:15], v[20:21], -v[16:17]
	v_add_f64 v[2:3], v[2:3], v[22:23]
	v_add_f64 v[4:5], v[4:5], v[14:15]
	s_cbranch_scc1 .LBB178_35
	s_branch .LBB178_23
.LBB178_36:
	s_endpgm
	.section	.rodata,"a",@progbits
	.p2align	6, 0x0
	.amdhsa_kernel _ZL22rocblas_gemvtsm_kernelILb1ELi256E19rocblas_complex_numIdEPKS1_S1_EviiT2_lPKT1_lilS7_lilS4_lPT3_lil
		.amdhsa_group_segment_fixed_size 1024
		.amdhsa_private_segment_fixed_size 0
		.amdhsa_kernarg_size 136
		.amdhsa_user_sgpr_count 2
		.amdhsa_user_sgpr_dispatch_ptr 0
		.amdhsa_user_sgpr_queue_ptr 0
		.amdhsa_user_sgpr_kernarg_segment_ptr 1
		.amdhsa_user_sgpr_dispatch_id 0
		.amdhsa_user_sgpr_kernarg_preload_length 0
		.amdhsa_user_sgpr_kernarg_preload_offset 0
		.amdhsa_user_sgpr_private_segment_size 0
		.amdhsa_uses_dynamic_stack 0
		.amdhsa_enable_private_segment 0
		.amdhsa_system_sgpr_workgroup_id_x 1
		.amdhsa_system_sgpr_workgroup_id_y 0
		.amdhsa_system_sgpr_workgroup_id_z 0
		.amdhsa_system_sgpr_workgroup_info 0
		.amdhsa_system_vgpr_workitem_id 0
		.amdhsa_next_free_vgpr 58
		.amdhsa_next_free_sgpr 38
		.amdhsa_accum_offset 60
		.amdhsa_reserve_vcc 1
		.amdhsa_float_round_mode_32 0
		.amdhsa_float_round_mode_16_64 0
		.amdhsa_float_denorm_mode_32 3
		.amdhsa_float_denorm_mode_16_64 3
		.amdhsa_dx10_clamp 1
		.amdhsa_ieee_mode 1
		.amdhsa_fp16_overflow 0
		.amdhsa_tg_split 0
		.amdhsa_exception_fp_ieee_invalid_op 0
		.amdhsa_exception_fp_denorm_src 0
		.amdhsa_exception_fp_ieee_div_zero 0
		.amdhsa_exception_fp_ieee_overflow 0
		.amdhsa_exception_fp_ieee_underflow 0
		.amdhsa_exception_fp_ieee_inexact 0
		.amdhsa_exception_int_div_zero 0
	.end_amdhsa_kernel
	.section	.text._ZL22rocblas_gemvtsm_kernelILb1ELi256E19rocblas_complex_numIdEPKS1_S1_EviiT2_lPKT1_lilS7_lilS4_lPT3_lil,"axG",@progbits,_ZL22rocblas_gemvtsm_kernelILb1ELi256E19rocblas_complex_numIdEPKS1_S1_EviiT2_lPKT1_lilS7_lilS4_lPT3_lil,comdat
.Lfunc_end178:
	.size	_ZL22rocblas_gemvtsm_kernelILb1ELi256E19rocblas_complex_numIdEPKS1_S1_EviiT2_lPKT1_lilS7_lilS4_lPT3_lil, .Lfunc_end178-_ZL22rocblas_gemvtsm_kernelILb1ELi256E19rocblas_complex_numIdEPKS1_S1_EviiT2_lPKT1_lilS7_lilS4_lPT3_lil
                                        ; -- End function
	.section	.AMDGPU.csdata,"",@progbits
; Kernel info:
; codeLenInByte = 1848
; NumSgprs: 44
; NumVgprs: 58
; NumAgprs: 0
; TotalNumVgprs: 58
; ScratchSize: 0
; MemoryBound: 0
; FloatMode: 240
; IeeeMode: 1
; LDSByteSize: 1024 bytes/workgroup (compile time only)
; SGPRBlocks: 5
; VGPRBlocks: 7
; NumSGPRsForWavesPerEU: 44
; NumVGPRsForWavesPerEU: 58
; AccumOffset: 60
; Occupancy: 8
; WaveLimiterHint : 1
; COMPUTE_PGM_RSRC2:SCRATCH_EN: 0
; COMPUTE_PGM_RSRC2:USER_SGPR: 2
; COMPUTE_PGM_RSRC2:TRAP_HANDLER: 0
; COMPUTE_PGM_RSRC2:TGID_X_EN: 1
; COMPUTE_PGM_RSRC2:TGID_Y_EN: 0
; COMPUTE_PGM_RSRC2:TGID_Z_EN: 0
; COMPUTE_PGM_RSRC2:TIDIG_COMP_CNT: 0
; COMPUTE_PGM_RSRC3_GFX90A:ACCUM_OFFSET: 14
; COMPUTE_PGM_RSRC3_GFX90A:TG_SPLIT: 0
	.section	.text._ZL22rocblas_gemvtsm_kernelILb1ELi256E19rocblas_complex_numIdES1_S1_EviiT2_lPKT1_lilS5_lilS2_lPT3_lil,"axG",@progbits,_ZL22rocblas_gemvtsm_kernelILb1ELi256E19rocblas_complex_numIdES1_S1_EviiT2_lPKT1_lilS5_lilS2_lPT3_lil,comdat
	.globl	_ZL22rocblas_gemvtsm_kernelILb1ELi256E19rocblas_complex_numIdES1_S1_EviiT2_lPKT1_lilS5_lilS2_lPT3_lil ; -- Begin function _ZL22rocblas_gemvtsm_kernelILb1ELi256E19rocblas_complex_numIdES1_S1_EviiT2_lPKT1_lilS5_lilS2_lPT3_lil
	.p2align	8
	.type	_ZL22rocblas_gemvtsm_kernelILb1ELi256E19rocblas_complex_numIdES1_S1_EviiT2_lPKT1_lilS5_lilS2_lPT3_lil,@function
_ZL22rocblas_gemvtsm_kernelILb1ELi256E19rocblas_complex_numIdES1_S1_EviiT2_lPKT1_lilS5_lilS2_lPT3_lil: ; @_ZL22rocblas_gemvtsm_kernelILb1ELi256E19rocblas_complex_numIdES1_S1_EviiT2_lPKT1_lilS5_lilS2_lPT3_lil
; %bb.0:
	s_load_dwordx4 s[8:11], s[0:1], 0x8
	s_load_dwordx4 s[4:7], s[0:1], 0x58
	s_load_dwordx2 s[20:21], s[0:1], 0x68
	s_waitcnt lgkmcnt(0)
	v_cmp_neq_f64_e64 s[12:13], s[8:9], 0
	v_cmp_neq_f64_e64 s[14:15], s[10:11], 0
	s_or_b64 s[16:17], s[12:13], s[14:15]
	s_mov_b64 s[12:13], -1
	s_and_b64 vcc, exec, s[16:17]
	s_cbranch_vccnz .LBB179_2
; %bb.1:
	v_cmp_neq_f64_e64 s[12:13], s[6:7], 1.0
	v_cmp_neq_f64_e64 s[14:15], s[20:21], 0
	s_or_b64 s[12:13], s[12:13], s[14:15]
.LBB179_2:
	s_andn2_b64 vcc, exec, s[12:13]
	s_cbranch_vccnz .LBB179_36
; %bb.3:
	s_load_dwordx2 s[18:19], s[0:1], 0x90
	s_load_dword s22, s[0:1], 0x88
	s_load_dwordx2 s[24:25], s[0:1], 0x0
	s_load_dwordx4 s[12:15], s[0:1], 0x78
	s_xor_b64 s[16:17], s[16:17], -1
	s_waitcnt lgkmcnt(0)
	s_mul_i32 s3, s2, s19
	s_mul_hi_u32 s19, s2, s18
	s_add_i32 s27, s19, s3
	s_mul_i32 s26, s2, s18
	s_andn2_b64 vcc, exec, s[16:17]
	s_mov_b64 s[16:17], -1
	s_cbranch_vccnz .LBB179_18
; %bb.4:
	v_cmp_neq_f64_e64 s[16:17], s[6:7], 0
	v_cmp_neq_f64_e64 s[18:19], s[20:21], 0
	s_or_b64 s[28:29], s[16:17], s[18:19]
	s_cmp_gt_i32 s25, 0
	s_mov_b64 s[18:19], -1
	s_cselect_b64 s[16:17], -1, 0
	s_and_b64 vcc, exec, s[28:29]
	s_cbranch_vccnz .LBB179_11
; %bb.5:
	s_andn2_b64 vcc, exec, s[16:17]
	s_cbranch_vccnz .LBB179_10
; %bb.6:
	v_mad_i64_i32 v[2:3], s[28:29], s22, v0, 0
	s_ashr_i32 s23, s22, 31
	s_lshl_b64 s[18:19], s[26:27], 4
	s_lshl_b64 s[28:29], s[14:15], 4
	s_add_u32 s3, s12, s28
	s_addc_u32 s28, s13, s29
	s_add_u32 s18, s3, s18
	s_addc_u32 s19, s28, s19
	v_lshl_add_u64 v[2:3], v[2:3], 4, s[18:19]
	v_lshl_add_u64 v[6:7], v[2:3], 0, 8
	s_lshl_b64 s[18:19], s[22:23], 12
	s_mov_b32 s3, 0
	v_mov_b32_e32 v2, 0
	s_branch .LBB179_8
.LBB179_7:                              ;   in Loop: Header=BB179_8 Depth=1
	s_or_b64 exec, exec, s[28:29]
	s_addk_i32 s3, 0x100
	s_cmp_ge_i32 s3, s25
	v_lshl_add_u64 v[6:7], v[6:7], 0, s[18:19]
	s_cbranch_scc1 .LBB179_10
.LBB179_8:                              ; =>This Inner Loop Header: Depth=1
	v_add_u32_e32 v1, s3, v0
	v_cmp_gt_i32_e32 vcc, s25, v1
	s_and_saveexec_b64 s[28:29], vcc
	s_cbranch_execz .LBB179_7
; %bb.9:                                ;   in Loop: Header=BB179_8 Depth=1
	v_mov_b32_e32 v3, v2
	v_mov_b32_e32 v4, v2
	;; [unrolled: 1-line block ×3, first 2 shown]
	global_store_dwordx4 v[6:7], v[2:5], off offset:-8
	s_branch .LBB179_7
.LBB179_10:
	s_mov_b64 s[18:19], 0
.LBB179_11:
	s_andn2_b64 vcc, exec, s[18:19]
	s_cbranch_vccnz .LBB179_17
; %bb.12:
	s_andn2_b64 vcc, exec, s[16:17]
	s_cbranch_vccnz .LBB179_17
; %bb.13:
	v_mad_i64_i32 v[2:3], s[18:19], s22, v0, 0
	s_ashr_i32 s23, s22, 31
	s_lshl_b64 s[16:17], s[26:27], 4
	s_lshl_b64 s[18:19], s[14:15], 4
	s_add_u32 s3, s12, s18
	s_addc_u32 s18, s13, s19
	s_add_u32 s16, s3, s16
	s_addc_u32 s17, s18, s17
	v_lshl_add_u64 v[2:3], v[2:3], 4, s[16:17]
	v_lshl_add_u64 v[2:3], v[2:3], 0, 8
	s_lshl_b64 s[16:17], s[22:23], 12
	s_mov_b32 s3, 0
	s_branch .LBB179_15
.LBB179_14:                             ;   in Loop: Header=BB179_15 Depth=1
	s_or_b64 exec, exec, s[18:19]
	s_addk_i32 s3, 0x100
	s_cmp_ge_i32 s3, s25
	v_lshl_add_u64 v[2:3], v[2:3], 0, s[16:17]
	s_cbranch_scc1 .LBB179_17
.LBB179_15:                             ; =>This Inner Loop Header: Depth=1
	v_add_u32_e32 v1, s3, v0
	v_cmp_gt_i32_e32 vcc, s25, v1
	s_and_saveexec_b64 s[18:19], vcc
	s_cbranch_execz .LBB179_14
; %bb.16:                               ;   in Loop: Header=BB179_15 Depth=1
	global_load_dwordx4 v[4:7], v[2:3], off offset:-8
	s_waitcnt vmcnt(0)
	v_mul_f64 v[10:11], s[20:21], v[6:7]
	v_mul_f64 v[8:9], s[6:7], v[6:7]
	v_fma_f64 v[6:7], s[6:7], v[4:5], -v[10:11]
	v_fmac_f64_e32 v[8:9], s[20:21], v[4:5]
	global_store_dwordx4 v[2:3], v[6:9], off offset:-8
	s_branch .LBB179_14
.LBB179_17:
	s_mov_b64 s[16:17], 0
.LBB179_18:
	s_andn2_b64 vcc, exec, s[16:17]
	s_cbranch_vccnz .LBB179_36
; %bb.19:
	s_load_dwordx4 s[16:19], s[0:1], 0x38
	s_load_dwordx2 s[30:31], s[0:1], 0x48
	v_cmp_gt_i32_e32 vcc, s24, v0
	s_and_saveexec_b64 s[28:29], vcc
	s_cbranch_execz .LBB179_21
; %bb.20:
	s_mul_i32 s3, s2, s5
	s_mul_hi_u32 s5, s2, s4
	s_add_i32 s5, s5, s3
	s_mul_i32 s4, s2, s4
	s_lshl_b64 s[4:5], s[4:5], 4
	s_waitcnt lgkmcnt(0)
	s_add_u32 s3, s18, s4
	s_addc_u32 s18, s19, s5
	s_load_dword s19, s[0:1], 0x50
	s_lshl_b64 s[4:5], s[30:31], 4
	s_add_u32 s4, s3, s4
	s_addc_u32 s5, s18, s5
	v_lshlrev_b32_e32 v1, 4, v0
	s_waitcnt lgkmcnt(0)
	v_mad_i64_i32 v[2:3], s[18:19], s19, v0, 0
	v_lshl_add_u64 v[2:3], v[2:3], 4, s[4:5]
	global_load_dwordx4 v[2:5], v[2:3], off
	s_waitcnt vmcnt(0)
	v_mul_f64 v[8:9], s[10:11], v[4:5]
	v_mul_f64 v[6:7], s[8:9], v[4:5]
	v_fma_f64 v[4:5], s[8:9], v[2:3], -v[8:9]
	v_fmac_f64_e32 v[6:7], s[10:11], v[2:3]
	ds_write_b128 v1, v[4:7]
.LBB179_21:
	s_or_b64 exec, exec, s[28:29]
	s_cmp_lt_i32 s25, 1
	s_waitcnt lgkmcnt(0)
	s_barrier
	s_cbranch_scc1 .LBB179_36
; %bb.22:
	s_lshl_b64 s[4:5], s[26:27], 4
	s_add_u32 s3, s12, s4
	s_load_dwordx4 s[28:31], s[0:1], 0x20
	s_load_dword s4, s[0:1], 0x30
	s_addc_u32 s5, s13, s5
	s_lshl_b64 s[0:1], s[14:15], 4
	s_add_u32 s8, s3, s0
	s_addc_u32 s9, s5, s1
	v_cmp_neq_f64_e64 s[0:1], s[6:7], 0
	v_cmp_neq_f64_e64 s[12:13], s[20:21], 0
	s_waitcnt lgkmcnt(0)
	s_ashr_i32 s5, s4, 31
	s_ashr_i32 s23, s22, 31
	s_or_b64 s[0:1], s[0:1], s[12:13]
	s_cmp_gt_i32 s24, 0
	s_cselect_b64 s[18:19], -1, 0
	s_and_b32 s26, s24, 7
	s_cmp_gt_u32 s24, 7
	s_cselect_b64 s[34:35], -1, 0
	s_and_b32 s24, s24, 0x7ffffff8
	s_cmp_lg_u32 s26, 0
	s_mul_i32 s3, s17, s2
	s_mul_hi_u32 s10, s16, s2
	s_cselect_b64 s[12:13], -1, 0
	s_add_i32 s3, s10, s3
	s_mul_i32 s2, s16, s2
	v_mad_i64_i32 v[2:3], s[14:15], s4, v0, 0
	s_lshl_b64 s[2:3], s[2:3], 4
	s_lshl_b64 s[14:15], s[30:31], 4
	s_add_u32 s10, s28, s14
	s_addc_u32 s14, s29, s15
	s_add_u32 s2, s10, s2
	s_addc_u32 s3, s14, s3
	v_cndmask_b32_e64 v1, 0, 1, s[0:1]
	v_lshl_add_u64 v[6:7], v[2:3], 4, s[2:3]
	s_mov_b64 s[2:3], 0x78
	v_cmp_ne_u32_e64 s[0:1], 1, v1
	v_cndmask_b32_e64 v1, 0, 1, s[18:19]
	v_cndmask_b32_e64 v2, 0, 1, s[34:35]
	s_mov_b32 s11, 0
	v_lshl_add_u64 v[8:9], v[6:7], 0, s[2:3]
	s_lshl_b64 s[14:15], s[4:5], 12
	s_mov_b64 s[16:17], 0x80
	v_cmp_ne_u32_e64 s[2:3], 1, v1
	v_cmp_ne_u32_e64 s[4:5], 1, v2
	s_mov_b32 s27, 0
	s_branch .LBB179_25
.LBB179_23:                             ;   in Loop: Header=BB179_25 Depth=1
	global_store_dwordx4 v[10:11], v[2:5], off
.LBB179_24:                             ;   in Loop: Header=BB179_25 Depth=1
	s_or_b64 exec, exec, s[18:19]
	s_addk_i32 s27, 0x100
	v_lshl_add_u64 v[8:9], v[8:9], 0, s[14:15]
	s_cmp_ge_i32 s27, s25
	v_lshl_add_u64 v[6:7], v[6:7], 0, s[14:15]
	s_cbranch_scc1 .LBB179_36
.LBB179_25:                             ; =>This Loop Header: Depth=1
                                        ;     Child Loop BB179_31 Depth 2
                                        ;     Child Loop BB179_35 Depth 2
	v_add_u32_e32 v1, s27, v0
	v_cmp_gt_i32_e32 vcc, s25, v1
	s_and_saveexec_b64 s[18:19], vcc
	s_cbranch_execz .LBB179_24
; %bb.26:                               ;   in Loop: Header=BB179_25 Depth=1
	v_mad_u64_u32 v[4:5], s[28:29], v1, s22, 0
	v_mov_b32_e32 v2, v5
	v_mad_u64_u32 v[2:3], s[28:29], v1, s23, v[2:3]
	v_mov_b32_e32 v5, v2
	v_mov_b64_e32 v[2:3], 0
	s_and_b64 vcc, exec, s[0:1]
	v_lshl_add_u64 v[10:11], v[4:5], 4, s[8:9]
	v_mov_b64_e32 v[4:5], v[2:3]
	s_cbranch_vccnz .LBB179_28
; %bb.27:                               ;   in Loop: Header=BB179_25 Depth=1
	global_load_dwordx4 v[12:15], v[10:11], off
	s_waitcnt vmcnt(0)
	v_mul_f64 v[2:3], s[20:21], v[14:15]
	v_mul_f64 v[4:5], s[6:7], v[14:15]
	v_fma_f64 v[2:3], s[6:7], v[12:13], -v[2:3]
	v_fmac_f64_e32 v[4:5], s[20:21], v[12:13]
.LBB179_28:                             ;   in Loop: Header=BB179_25 Depth=1
	s_and_b64 vcc, exec, s[2:3]
	s_cbranch_vccnz .LBB179_23
; %bb.29:                               ;   in Loop: Header=BB179_25 Depth=1
	s_mov_b32 s10, 0
	s_and_b64 vcc, exec, s[4:5]
	s_cbranch_vccnz .LBB179_33
; %bb.30:                               ;   in Loop: Header=BB179_25 Depth=1
	s_mov_b32 s28, 0
	v_mov_b64_e32 v[12:13], v[8:9]
.LBB179_31:                             ;   Parent Loop BB179_25 Depth=1
                                        ; =>  This Inner Loop Header: Depth=2
	global_load_dwordx4 v[14:17], v[12:13], off offset:-120
	global_load_dwordx4 v[18:21], v[12:13], off offset:-104
	;; [unrolled: 1-line block ×8, first 2 shown]
	v_mov_b32_e32 v1, s10
	ds_read_b128 v[46:49], v1
	ds_read_b128 v[50:53], v1 offset:16
	s_add_i32 s28, s28, 8
	s_addk_i32 s10, 0x80
	v_lshl_add_u64 v[12:13], v[12:13], 0, s[16:17]
	s_cmp_eq_u32 s24, s28
	s_waitcnt vmcnt(7) lgkmcnt(1)
	v_mul_f64 v[54:55], v[16:17], v[48:49]
	v_mul_f64 v[16:17], v[16:17], v[46:47]
	v_fmac_f64_e32 v[54:55], v[14:15], v[46:47]
	v_fma_f64 v[46:47], v[14:15], v[48:49], -v[16:17]
	ds_read_b128 v[14:17], v1 offset:32
	s_waitcnt vmcnt(6) lgkmcnt(1)
	v_mul_f64 v[48:49], v[20:21], v[52:53]
	v_mul_f64 v[20:21], v[20:21], v[50:51]
	v_fmac_f64_e32 v[48:49], v[18:19], v[50:51]
	v_fma_f64 v[50:51], v[18:19], v[52:53], -v[20:21]
	ds_read_b128 v[18:21], v1 offset:48
	;; [unrolled: 6-line block ×6, first 2 shown]
	v_add_f64 v[2:3], v[2:3], v[54:55]
	v_add_f64 v[4:5], v[4:5], v[46:47]
	;; [unrolled: 1-line block ×8, first 2 shown]
	s_waitcnt vmcnt(1) lgkmcnt(1)
	v_mul_f64 v[36:37], v[40:41], v[16:17]
	v_mul_f64 v[40:41], v[40:41], v[14:15]
	v_add_f64 v[2:3], v[2:3], v[28:29]
	v_add_f64 v[4:5], v[4:5], v[30:31]
	s_waitcnt vmcnt(0) lgkmcnt(0)
	v_mul_f64 v[56:57], v[44:45], v[20:21]
	v_fmac_f64_e32 v[36:37], v[38:39], v[14:15]
	v_fma_f64 v[14:15], v[38:39], v[16:17], -v[40:41]
	v_mul_f64 v[16:17], v[44:45], v[18:19]
	v_add_f64 v[2:3], v[2:3], v[32:33]
	v_add_f64 v[4:5], v[4:5], v[34:35]
	v_fmac_f64_e32 v[56:57], v[42:43], v[18:19]
	v_fma_f64 v[16:17], v[42:43], v[20:21], -v[16:17]
	v_add_f64 v[2:3], v[2:3], v[36:37]
	v_add_f64 v[4:5], v[4:5], v[14:15]
	;; [unrolled: 1-line block ×4, first 2 shown]
	s_cbranch_scc0 .LBB179_31
; %bb.32:                               ;   in Loop: Header=BB179_25 Depth=1
	s_mov_b32 s10, s24
.LBB179_33:                             ;   in Loop: Header=BB179_25 Depth=1
	s_andn2_b64 vcc, exec, s[12:13]
	s_cbranch_vccnz .LBB179_23
; %bb.34:                               ;   in Loop: Header=BB179_25 Depth=1
	s_lshl_b32 s28, s10, 4
	v_lshl_add_u64 v[12:13], s[10:11], 4, v[6:7]
	s_mov_b32 s10, s26
.LBB179_35:                             ;   Parent Loop BB179_25 Depth=1
                                        ; =>  This Inner Loop Header: Depth=2
	global_load_dwordx4 v[14:17], v[12:13], off
	v_mov_b32_e32 v1, s28
	ds_read_b128 v[18:21], v1
	s_add_i32 s28, s28, 16
	s_add_i32 s10, s10, -1
	v_lshl_add_u64 v[12:13], v[12:13], 0, 16
	s_cmp_lg_u32 s10, 0
	s_waitcnt vmcnt(0) lgkmcnt(0)
	v_mul_f64 v[22:23], v[16:17], v[20:21]
	v_mul_f64 v[16:17], v[16:17], v[18:19]
	v_fmac_f64_e32 v[22:23], v[14:15], v[18:19]
	v_fma_f64 v[14:15], v[14:15], v[20:21], -v[16:17]
	v_add_f64 v[2:3], v[2:3], v[22:23]
	v_add_f64 v[4:5], v[4:5], v[14:15]
	s_cbranch_scc1 .LBB179_35
	s_branch .LBB179_23
.LBB179_36:
	s_endpgm
	.section	.rodata,"a",@progbits
	.p2align	6, 0x0
	.amdhsa_kernel _ZL22rocblas_gemvtsm_kernelILb1ELi256E19rocblas_complex_numIdES1_S1_EviiT2_lPKT1_lilS5_lilS2_lPT3_lil
		.amdhsa_group_segment_fixed_size 1024
		.amdhsa_private_segment_fixed_size 0
		.amdhsa_kernarg_size 152
		.amdhsa_user_sgpr_count 2
		.amdhsa_user_sgpr_dispatch_ptr 0
		.amdhsa_user_sgpr_queue_ptr 0
		.amdhsa_user_sgpr_kernarg_segment_ptr 1
		.amdhsa_user_sgpr_dispatch_id 0
		.amdhsa_user_sgpr_kernarg_preload_length 0
		.amdhsa_user_sgpr_kernarg_preload_offset 0
		.amdhsa_user_sgpr_private_segment_size 0
		.amdhsa_uses_dynamic_stack 0
		.amdhsa_enable_private_segment 0
		.amdhsa_system_sgpr_workgroup_id_x 1
		.amdhsa_system_sgpr_workgroup_id_y 0
		.amdhsa_system_sgpr_workgroup_id_z 0
		.amdhsa_system_sgpr_workgroup_info 0
		.amdhsa_system_vgpr_workitem_id 0
		.amdhsa_next_free_vgpr 58
		.amdhsa_next_free_sgpr 36
		.amdhsa_accum_offset 60
		.amdhsa_reserve_vcc 1
		.amdhsa_float_round_mode_32 0
		.amdhsa_float_round_mode_16_64 0
		.amdhsa_float_denorm_mode_32 3
		.amdhsa_float_denorm_mode_16_64 3
		.amdhsa_dx10_clamp 1
		.amdhsa_ieee_mode 1
		.amdhsa_fp16_overflow 0
		.amdhsa_tg_split 0
		.amdhsa_exception_fp_ieee_invalid_op 0
		.amdhsa_exception_fp_denorm_src 0
		.amdhsa_exception_fp_ieee_div_zero 0
		.amdhsa_exception_fp_ieee_overflow 0
		.amdhsa_exception_fp_ieee_underflow 0
		.amdhsa_exception_fp_ieee_inexact 0
		.amdhsa_exception_int_div_zero 0
	.end_amdhsa_kernel
	.section	.text._ZL22rocblas_gemvtsm_kernelILb1ELi256E19rocblas_complex_numIdES1_S1_EviiT2_lPKT1_lilS5_lilS2_lPT3_lil,"axG",@progbits,_ZL22rocblas_gemvtsm_kernelILb1ELi256E19rocblas_complex_numIdES1_S1_EviiT2_lPKT1_lilS5_lilS2_lPT3_lil,comdat
.Lfunc_end179:
	.size	_ZL22rocblas_gemvtsm_kernelILb1ELi256E19rocblas_complex_numIdES1_S1_EviiT2_lPKT1_lilS5_lilS2_lPT3_lil, .Lfunc_end179-_ZL22rocblas_gemvtsm_kernelILb1ELi256E19rocblas_complex_numIdES1_S1_EviiT2_lPKT1_lilS5_lilS2_lPT3_lil
                                        ; -- End function
	.section	.AMDGPU.csdata,"",@progbits
; Kernel info:
; codeLenInByte = 1788
; NumSgprs: 42
; NumVgprs: 58
; NumAgprs: 0
; TotalNumVgprs: 58
; ScratchSize: 0
; MemoryBound: 0
; FloatMode: 240
; IeeeMode: 1
; LDSByteSize: 1024 bytes/workgroup (compile time only)
; SGPRBlocks: 5
; VGPRBlocks: 7
; NumSGPRsForWavesPerEU: 42
; NumVGPRsForWavesPerEU: 58
; AccumOffset: 60
; Occupancy: 8
; WaveLimiterHint : 1
; COMPUTE_PGM_RSRC2:SCRATCH_EN: 0
; COMPUTE_PGM_RSRC2:USER_SGPR: 2
; COMPUTE_PGM_RSRC2:TRAP_HANDLER: 0
; COMPUTE_PGM_RSRC2:TGID_X_EN: 1
; COMPUTE_PGM_RSRC2:TGID_Y_EN: 0
; COMPUTE_PGM_RSRC2:TGID_Z_EN: 0
; COMPUTE_PGM_RSRC2:TIDIG_COMP_CNT: 0
; COMPUTE_PGM_RSRC3_GFX90A:ACCUM_OFFSET: 14
; COMPUTE_PGM_RSRC3_GFX90A:TG_SPLIT: 0
	.section	.text._ZL23rocblas_gemvt_sn_kernelILb1ELi256ELi4Ei19rocblas_complex_numIdEPKS1_S1_EviiT4_lPKT3_lilS7_lilPT5_i,"axG",@progbits,_ZL23rocblas_gemvt_sn_kernelILb1ELi256ELi4Ei19rocblas_complex_numIdEPKS1_S1_EviiT4_lPKT3_lilS7_lilPT5_i,comdat
	.globl	_ZL23rocblas_gemvt_sn_kernelILb1ELi256ELi4Ei19rocblas_complex_numIdEPKS1_S1_EviiT4_lPKT3_lilS7_lilPT5_i ; -- Begin function _ZL23rocblas_gemvt_sn_kernelILb1ELi256ELi4Ei19rocblas_complex_numIdEPKS1_S1_EviiT4_lPKT3_lilS7_lilPT5_i
	.p2align	8
	.type	_ZL23rocblas_gemvt_sn_kernelILb1ELi256ELi4Ei19rocblas_complex_numIdEPKS1_S1_EviiT4_lPKT3_lilS7_lilPT5_i,@function
_ZL23rocblas_gemvt_sn_kernelILb1ELi256ELi4Ei19rocblas_complex_numIdEPKS1_S1_EviiT4_lPKT3_lilS7_lilPT5_i: ; @_ZL23rocblas_gemvt_sn_kernelILb1ELi256ELi4Ei19rocblas_complex_numIdEPKS1_S1_EviiT4_lPKT3_lilS7_lilPT5_i
; %bb.0:
	s_load_dwordx8 s[12:19], s[0:1], 0x8
	s_load_dwordx2 s[24:25], s[0:1], 0x0
	s_mov_b32 s27, 0
	s_waitcnt lgkmcnt(0)
	s_mul_i32 s4, s3, s15
	s_mul_hi_u32 s5, s3, s14
	s_add_i32 s5, s5, s4
	s_mul_i32 s4, s3, s14
	s_lshl_b64 s[4:5], s[4:5], 4
	s_add_u32 s4, s12, s4
	s_addc_u32 s5, s13, s5
	s_load_dwordx4 s[20:23], s[4:5], 0x0
	s_load_dwordx4 s[8:11], s[0:1], 0x50
	s_load_dword s26, s[0:1], 0x68
	s_ashr_i32 s30, s25, 31
	s_mul_hi_u32 s4, s25, s3
	s_mul_i32 s5, s30, s3
	s_add_i32 s4, s4, s5
	s_mul_i32 s5, s25, s3
	s_waitcnt lgkmcnt(0)
	s_mul_i32 s4, s4, s26
	s_mul_hi_u32 s6, s5, s26
	s_add_i32 s7, s6, s4
	s_mul_i32 s6, s5, s26
	v_cmp_neq_f64_e64 s[4:5], s[20:21], 0
	v_cmp_neq_f64_e64 s[12:13], s[22:23], 0
	s_or_b64 s[4:5], s[4:5], s[12:13]
	s_mov_b64 s[12:13], -1
	s_and_b64 vcc, exec, s[4:5]
	v_cmp_eq_u32_e64 s[4:5], 0, v0
	s_cbranch_vccnz .LBB180_5
; %bb.1:
	s_cmp_gt_i32 s25, 0
	s_cselect_b64 s[12:13], -1, 0
	s_and_b64 s[12:13], s[4:5], s[12:13]
	s_and_saveexec_b64 s[4:5], s[12:13]
	s_cbranch_execz .LBB180_4
; %bb.2:
	s_mov_b32 s12, s3
	s_mov_b32 s3, 0
	s_lshl_b64 s[14:15], s[6:7], 4
	s_lshl_b64 s[28:29], s[2:3], 4
	s_mov_b32 s3, s12
	s_add_u32 s12, s14, s28
	s_addc_u32 s13, s15, s29
	s_add_u32 s12, s12, s10
	s_addc_u32 s13, s13, s11
	s_add_u32 s12, s12, 8
	v_mov_b32_e32 v2, 0
	s_addc_u32 s13, s13, 0
	s_lshl_b64 s[14:15], s[26:27], 4
	v_mov_b32_e32 v3, v2
	v_mov_b32_e32 v4, v2
	;; [unrolled: 1-line block ×3, first 2 shown]
	s_mov_b32 s27, s25
.LBB180_3:                              ; =>This Inner Loop Header: Depth=1
	s_add_i32 s27, s27, -1
	global_store_dwordx4 v2, v[2:5], s[12:13] offset:-8
	s_add_u32 s12, s12, s14
	s_addc_u32 s13, s13, s15
	s_cmp_eq_u32 s27, 0
	s_cbranch_scc0 .LBB180_3
.LBB180_4:
	s_or_b64 exec, exec, s[4:5]
	s_mov_b64 s[12:13], 0
.LBB180_5:
	s_andn2_b64 vcc, exec, s[12:13]
	s_cbranch_vccnz .LBB180_76
; %bb.6:
	s_load_dword s27, s[0:1], 0x28
	s_load_dwordx4 s[12:15], s[0:1], 0x30
	s_load_dwordx2 s[4:5], s[0:1], 0x40
	s_load_dword s33, s[0:1], 0x48
	s_mul_i32 s0, s3, s9
	s_mul_hi_u32 s1, s3, s8
	s_add_i32 s1, s1, s0
	s_mul_i32 s0, s3, s8
	s_lshl_b64 s[0:1], s[0:1], 4
	s_waitcnt lgkmcnt(0)
	s_add_u32 s8, s14, s0
	s_addc_u32 s9, s15, s1
	s_lshl_b64 s[0:1], s[4:5], 4
	s_add_u32 s14, s8, s0
	s_addc_u32 s15, s9, s1
	s_lshl_b64 s[0:1], s[6:7], 4
	s_add_u32 s50, s10, s0
	s_addc_u32 s51, s11, s1
	s_mul_i32 s0, s3, s13
	s_mul_hi_u32 s1, s3, s12
	s_add_i32 s1, s1, s0
	s_mul_i32 s0, s3, s12
	s_lshl_b64 s[28:29], s[0:1], 4
	s_add_u32 s0, s16, s28
	s_addc_u32 s1, s17, s29
	s_lshl_b64 s[18:19], s[18:19], 4
	s_add_u32 s0, s0, s18
	s_addc_u32 s1, s1, s19
	s_lshl_b32 s3, s2, 10
	v_lshl_or_b32 v32, v0, 2, s3
	v_ashrrev_i32_e32 v33, 31, v32
	v_lshl_add_u64 v[28:29], v[32:33], 4, s[0:1]
	s_lshr_b32 s0, s30, 30
	s_add_i32 s0, s25, s0
	s_and_b32 s3, s0, -4
	s_ashr_i32 s0, s24, 31
	s_lshr_b32 s0, s0, 30
	s_add_i32 s0, s24, s0
	s_and_b32 s0, s0, -4
	s_sub_i32 s48, s24, s0
	s_cmp_lt_i32 s3, 1
	v_add_u32_e32 v55, 4, v32
	v_add_u32_e32 v56, s48, v32
	v_and_b32_e32 v1, 63, v0
	v_cmp_gt_u32_e64 s[0:1], 64, v0
	v_mbcnt_lo_u32_b32 v54, -1, 0
	v_cmp_gt_u32_e64 s[4:5], 4, v0
	v_lshrrev_b32_e32 v31, 2, v0
	v_mul_lo_u32 v30, v32, s33
	s_cbranch_scc1 .LBB180_53
; %bb.7:
	v_mbcnt_hi_u32_b32 v2, -1, v54
	v_and_b32_e32 v3, 63, v2
	v_cmp_gt_u32_e32 vcc, 32, v3
	v_mul_lo_u32 v34, v32, s33
	s_cmp_gt_i32 s48, 0
	v_cndmask_b32_e64 v4, 0, 1, vcc
	v_lshlrev_b32_e32 v4, 5, v4
	v_cmp_gt_u32_e32 vcc, 48, v3
	v_add_lshl_u32 v57, v4, v2, 2
	s_cselect_b64 s[34:35], -1, 0
	v_cndmask_b32_e64 v4, 0, 1, vcc
	v_lshlrev_b32_e32 v4, 4, v4
	v_cmp_gt_u32_e32 vcc, 56, v3
	v_add_lshl_u32 v58, v4, v2, 2
	s_lshl_b32 s52, s27, 2
	v_cndmask_b32_e64 v4, 0, 1, vcc
	v_lshlrev_b32_e32 v4, 3, v4
	v_cmp_gt_u32_e32 vcc, 60, v3
	v_add_lshl_u32 v59, v4, v2, 2
	s_lshl_b32 s53, s27, 1
	v_cndmask_b32_e64 v4, 0, 1, vcc
	v_lshlrev_b32_e32 v4, 2, v4
	v_cmp_gt_u32_e32 vcc, 62, v3
	v_add_lshl_u32 v60, v4, v2, 2
	s_add_u32 s30, s28, s18
	v_cndmask_b32_e64 v4, 0, 1, vcc
	v_lshlrev_b32_e32 v4, 1, v4
	v_cmp_ne_u32_e32 vcc, 63, v3
	v_add_lshl_u32 v61, v4, v2, 2
	s_addc_u32 s37, s29, s19
	v_addc_co_u32_e32 v2, vcc, 0, v2, vcc
	v_lshlrev_b32_e32 v62, 2, v2
	v_add_u32_e32 v2, s33, v34
	v_ashrrev_i32_e32 v3, 31, v2
	v_lshl_add_u64 v[38:39], v[2:3], 4, s[14:15]
	v_add_u32_e32 v2, s33, v2
	v_ashrrev_i32_e32 v3, 31, v2
	v_lshl_add_u64 v[40:41], v[2:3], 4, s[14:15]
	v_add_u32_e32 v2, s33, v2
	s_add_u32 s36, s16, s30
	v_ashrrev_i32_e32 v3, 31, v2
	s_addc_u32 s37, s17, s37
	s_mov_b32 s31, 0
	v_ashrrev_i32_e32 v35, 31, v34
	v_mov_b32_e32 v4, 0
	v_lshl_add_u64 v[42:43], v[2:3], 4, s[14:15]
	v_lshl_add_u64 v[2:3], v[32:33], 4, s[36:37]
	v_cmp_ge_i32_e64 s[6:7], s24, v55
	v_cmp_ge_i32_e64 s[8:9], s24, v56
	v_cmp_eq_u32_e64 s[10:11], 0, v1
	v_lshlrev_b32_e32 v63, 4, v1
	v_and_b32_e32 v64, 48, v31
	v_cmp_eq_u32_e64 s[12:13], 0, v0
	v_lshl_add_u64 v[36:37], v[34:35], 4, s[14:15]
	v_add_u32_e32 v35, 16, v4
	v_add_u32_e32 v65, 32, v4
	;; [unrolled: 1-line block ×3, first 2 shown]
	s_mul_i32 s54, s27, 3
	v_lshl_add_u64 v[44:45], v[2:3], 0, 8
	v_mov_b32_e32 v2, 0
	s_mov_b32 s36, s31
	s_mov_b32 s55, s27
	;; [unrolled: 1-line block ×3, first 2 shown]
	s_branch .LBB180_9
.LBB180_8:                              ;   in Loop: Header=BB180_9 Depth=1
	s_or_b64 exec, exec, s[38:39]
	s_add_i32 s49, s49, 4
	s_add_i32 s55, s55, s52
	;; [unrolled: 1-line block ×5, first 2 shown]
	s_cmp_ge_i32 s49, s3
	s_cbranch_scc1 .LBB180_54
.LBB180_9:                              ; =>This Loop Header: Depth=1
                                        ;     Child Loop BB180_40 Depth 2
                                        ;     Child Loop BB180_42 Depth 2
                                        ; implicit-def: $vgpr18_vgpr19
                                        ; implicit-def: $vgpr20_vgpr21
                                        ; implicit-def: $vgpr14_vgpr15
                                        ; implicit-def: $vgpr16_vgpr17
                                        ; implicit-def: $vgpr10_vgpr11
                                        ; implicit-def: $vgpr12_vgpr13
                                        ; implicit-def: $vgpr8_vgpr9
                                        ; implicit-def: $vgpr6_vgpr7
	s_and_saveexec_b64 s[38:39], s[6:7]
	s_xor_b64 s[38:39], exec, s[38:39]
	s_cbranch_execnz .LBB180_36
; %bb.10:                               ;   in Loop: Header=BB180_9 Depth=1
	s_andn2_saveexec_b64 s[38:39], s[38:39]
	s_cbranch_execnz .LBB180_37
.LBB180_11:                             ;   in Loop: Header=BB180_9 Depth=1
	s_or_b64 exec, exec, s[38:39]
	s_and_saveexec_b64 s[38:39], s[0:1]
	s_cbranch_execz .LBB180_13
.LBB180_12:                             ;   in Loop: Header=BB180_9 Depth=1
	v_mov_b32_e32 v3, v2
	v_mov_b32_e32 v4, v2
	;; [unrolled: 1-line block ×3, first 2 shown]
	ds_write_b128 v63, v[2:5]
.LBB180_13:                             ;   in Loop: Header=BB180_9 Depth=1
	s_or_b64 exec, exec, s[38:39]
	ds_bpermute_b32 v4, v57, v8
	ds_bpermute_b32 v5, v57, v9
	;; [unrolled: 1-line block ×4, first 2 shown]
	s_waitcnt lgkmcnt(0)
	s_barrier
	v_add_f64 v[4:5], v[8:9], v[4:5]
	ds_bpermute_b32 v8, v58, v4
	v_add_f64 v[6:7], v[6:7], v[22:23]
	ds_bpermute_b32 v9, v58, v5
	ds_bpermute_b32 v22, v58, v6
	;; [unrolled: 1-line block ×3, first 2 shown]
	s_waitcnt lgkmcnt(0)
	v_add_f64 v[4:5], v[4:5], v[8:9]
	ds_bpermute_b32 v8, v59, v4
	v_add_f64 v[6:7], v[6:7], v[22:23]
	ds_bpermute_b32 v9, v59, v5
	ds_bpermute_b32 v22, v59, v6
	;; [unrolled: 1-line block ×3, first 2 shown]
	s_waitcnt lgkmcnt(2)
	v_add_f64 v[4:5], v[4:5], v[8:9]
	ds_bpermute_b32 v8, v60, v4
	s_waitcnt lgkmcnt(1)
	v_add_f64 v[6:7], v[6:7], v[22:23]
	ds_bpermute_b32 v9, v60, v5
	ds_bpermute_b32 v22, v60, v6
	;; [unrolled: 1-line block ×3, first 2 shown]
	s_waitcnt lgkmcnt(2)
	v_add_f64 v[4:5], v[4:5], v[8:9]
	ds_bpermute_b32 v8, v61, v4
	s_waitcnt lgkmcnt(1)
	v_add_f64 v[6:7], v[6:7], v[22:23]
	ds_bpermute_b32 v9, v61, v5
	ds_bpermute_b32 v22, v61, v6
	;; [unrolled: 1-line block ×3, first 2 shown]
	s_waitcnt lgkmcnt(2)
	v_add_f64 v[4:5], v[4:5], v[8:9]
	s_waitcnt lgkmcnt(0)
	v_add_f64 v[8:9], v[6:7], v[22:23]
	ds_bpermute_b32 v6, v62, v4
	ds_bpermute_b32 v7, v62, v5
	;; [unrolled: 1-line block ×4, first 2 shown]
	s_and_saveexec_b64 s[38:39], s[10:11]
	s_cbranch_execz .LBB180_15
; %bb.14:                               ;   in Loop: Header=BB180_9 Depth=1
	s_waitcnt lgkmcnt(0)
	v_add_f64 v[8:9], v[8:9], v[22:23]
	v_add_f64 v[6:7], v[4:5], v[6:7]
	ds_write_b128 v64, v[6:9]
.LBB180_15:                             ;   in Loop: Header=BB180_9 Depth=1
	s_or_b64 exec, exec, s[38:39]
	v_mov_b64_e32 v[8:9], 0
	s_waitcnt lgkmcnt(2)
	v_mov_b64_e32 v[6:7], v[8:9]
	s_waitcnt lgkmcnt(0)
	s_barrier
	s_and_saveexec_b64 s[38:39], s[4:5]
	s_cbranch_execnz .LBB180_44
; %bb.16:                               ;   in Loop: Header=BB180_9 Depth=1
	s_or_b64 exec, exec, s[38:39]
	s_and_saveexec_b64 s[38:39], s[0:1]
	s_cbranch_execnz .LBB180_45
.LBB180_17:                             ;   in Loop: Header=BB180_9 Depth=1
	s_or_b64 exec, exec, s[38:39]
	s_and_saveexec_b64 s[38:39], s[0:1]
	s_cbranch_execz .LBB180_19
.LBB180_18:                             ;   in Loop: Header=BB180_9 Depth=1
	v_mov_b32_e32 v3, v2
	v_mov_b32_e32 v4, v2
	;; [unrolled: 1-line block ×3, first 2 shown]
	ds_write_b128 v63, v[2:5]
.LBB180_19:                             ;   in Loop: Header=BB180_9 Depth=1
	s_or_b64 exec, exec, s[38:39]
	ds_bpermute_b32 v4, v57, v10
	ds_bpermute_b32 v5, v57, v11
	ds_bpermute_b32 v22, v57, v12
	ds_bpermute_b32 v23, v57, v13
	s_waitcnt lgkmcnt(0)
	s_barrier
	v_add_f64 v[4:5], v[10:11], v[4:5]
	v_add_f64 v[10:11], v[12:13], v[22:23]
	ds_bpermute_b32 v12, v58, v4
	ds_bpermute_b32 v13, v58, v5
	;; [unrolled: 1-line block ×4, first 2 shown]
	s_waitcnt lgkmcnt(2)
	v_add_f64 v[4:5], v[4:5], v[12:13]
	ds_bpermute_b32 v12, v59, v4
	s_waitcnt lgkmcnt(1)
	v_add_f64 v[10:11], v[10:11], v[22:23]
	ds_bpermute_b32 v13, v59, v5
	ds_bpermute_b32 v22, v59, v10
	ds_bpermute_b32 v23, v59, v11
	s_waitcnt lgkmcnt(2)
	v_add_f64 v[4:5], v[4:5], v[12:13]
	ds_bpermute_b32 v12, v60, v4
	s_waitcnt lgkmcnt(1)
	v_add_f64 v[10:11], v[10:11], v[22:23]
	ds_bpermute_b32 v13, v60, v5
	ds_bpermute_b32 v22, v60, v10
	ds_bpermute_b32 v23, v60, v11
	;; [unrolled: 8-line block ×3, first 2 shown]
	s_waitcnt lgkmcnt(2)
	v_add_f64 v[4:5], v[4:5], v[12:13]
	s_waitcnt lgkmcnt(0)
	v_add_f64 v[12:13], v[10:11], v[22:23]
	ds_bpermute_b32 v10, v62, v4
	ds_bpermute_b32 v11, v62, v5
	;; [unrolled: 1-line block ×4, first 2 shown]
	s_and_saveexec_b64 s[38:39], s[10:11]
	s_cbranch_execz .LBB180_21
; %bb.20:                               ;   in Loop: Header=BB180_9 Depth=1
	s_waitcnt lgkmcnt(0)
	v_add_f64 v[12:13], v[12:13], v[22:23]
	v_add_f64 v[10:11], v[4:5], v[10:11]
	ds_write_b128 v64, v[10:13]
.LBB180_21:                             ;   in Loop: Header=BB180_9 Depth=1
	s_or_b64 exec, exec, s[38:39]
	v_mov_b64_e32 v[12:13], 0
	s_waitcnt lgkmcnt(2)
	v_mov_b64_e32 v[10:11], v[12:13]
	s_waitcnt lgkmcnt(0)
	s_barrier
	s_and_saveexec_b64 s[38:39], s[4:5]
	s_cbranch_execnz .LBB180_46
; %bb.22:                               ;   in Loop: Header=BB180_9 Depth=1
	s_or_b64 exec, exec, s[38:39]
	s_and_saveexec_b64 s[38:39], s[0:1]
	s_cbranch_execnz .LBB180_47
.LBB180_23:                             ;   in Loop: Header=BB180_9 Depth=1
	s_or_b64 exec, exec, s[38:39]
	s_and_saveexec_b64 s[38:39], s[0:1]
	s_cbranch_execz .LBB180_25
.LBB180_24:                             ;   in Loop: Header=BB180_9 Depth=1
	v_mov_b32_e32 v3, v2
	v_mov_b32_e32 v4, v2
	;; [unrolled: 1-line block ×3, first 2 shown]
	ds_write_b128 v63, v[2:5]
.LBB180_25:                             ;   in Loop: Header=BB180_9 Depth=1
	s_or_b64 exec, exec, s[38:39]
	ds_bpermute_b32 v4, v57, v14
	ds_bpermute_b32 v5, v57, v15
	;; [unrolled: 1-line block ×4, first 2 shown]
	s_waitcnt lgkmcnt(0)
	s_barrier
	v_add_f64 v[4:5], v[14:15], v[4:5]
	v_add_f64 v[14:15], v[16:17], v[22:23]
	ds_bpermute_b32 v16, v58, v4
	ds_bpermute_b32 v17, v58, v5
	ds_bpermute_b32 v22, v58, v14
	ds_bpermute_b32 v23, v58, v15
	s_waitcnt lgkmcnt(2)
	v_add_f64 v[4:5], v[4:5], v[16:17]
	ds_bpermute_b32 v16, v59, v4
	s_waitcnt lgkmcnt(1)
	v_add_f64 v[14:15], v[14:15], v[22:23]
	ds_bpermute_b32 v17, v59, v5
	ds_bpermute_b32 v22, v59, v14
	ds_bpermute_b32 v23, v59, v15
	s_waitcnt lgkmcnt(2)
	v_add_f64 v[4:5], v[4:5], v[16:17]
	ds_bpermute_b32 v16, v60, v4
	s_waitcnt lgkmcnt(1)
	v_add_f64 v[14:15], v[14:15], v[22:23]
	ds_bpermute_b32 v17, v60, v5
	ds_bpermute_b32 v22, v60, v14
	ds_bpermute_b32 v23, v60, v15
	;; [unrolled: 8-line block ×3, first 2 shown]
	s_waitcnt lgkmcnt(2)
	v_add_f64 v[4:5], v[4:5], v[16:17]
	s_waitcnt lgkmcnt(0)
	v_add_f64 v[16:17], v[14:15], v[22:23]
	ds_bpermute_b32 v14, v62, v4
	ds_bpermute_b32 v15, v62, v5
	;; [unrolled: 1-line block ×4, first 2 shown]
	s_and_saveexec_b64 s[38:39], s[10:11]
	s_cbranch_execz .LBB180_27
; %bb.26:                               ;   in Loop: Header=BB180_9 Depth=1
	s_waitcnt lgkmcnt(0)
	v_add_f64 v[16:17], v[16:17], v[22:23]
	v_add_f64 v[14:15], v[4:5], v[14:15]
	ds_write_b128 v64, v[14:17]
.LBB180_27:                             ;   in Loop: Header=BB180_9 Depth=1
	s_or_b64 exec, exec, s[38:39]
	v_mov_b64_e32 v[16:17], 0
	s_waitcnt lgkmcnt(2)
	v_mov_b64_e32 v[14:15], v[16:17]
	s_waitcnt lgkmcnt(0)
	s_barrier
	s_and_saveexec_b64 s[38:39], s[4:5]
	s_cbranch_execnz .LBB180_48
; %bb.28:                               ;   in Loop: Header=BB180_9 Depth=1
	s_or_b64 exec, exec, s[38:39]
	s_and_saveexec_b64 s[38:39], s[0:1]
	s_cbranch_execnz .LBB180_49
.LBB180_29:                             ;   in Loop: Header=BB180_9 Depth=1
	s_or_b64 exec, exec, s[38:39]
	s_and_saveexec_b64 s[38:39], s[0:1]
	s_cbranch_execz .LBB180_31
.LBB180_30:                             ;   in Loop: Header=BB180_9 Depth=1
	v_mov_b32_e32 v3, v2
	v_mov_b32_e32 v4, v2
	;; [unrolled: 1-line block ×3, first 2 shown]
	ds_write_b128 v63, v[2:5]
.LBB180_31:                             ;   in Loop: Header=BB180_9 Depth=1
	s_or_b64 exec, exec, s[38:39]
	ds_bpermute_b32 v4, v57, v18
	ds_bpermute_b32 v5, v57, v19
	;; [unrolled: 1-line block ×4, first 2 shown]
	s_waitcnt lgkmcnt(0)
	s_barrier
	v_add_f64 v[4:5], v[18:19], v[4:5]
	v_add_f64 v[18:19], v[20:21], v[22:23]
	ds_bpermute_b32 v20, v58, v4
	ds_bpermute_b32 v21, v58, v5
	;; [unrolled: 1-line block ×4, first 2 shown]
	s_waitcnt lgkmcnt(2)
	v_add_f64 v[4:5], v[4:5], v[20:21]
	ds_bpermute_b32 v20, v59, v4
	s_waitcnt lgkmcnt(1)
	v_add_f64 v[18:19], v[18:19], v[22:23]
	ds_bpermute_b32 v21, v59, v5
	ds_bpermute_b32 v22, v59, v18
	ds_bpermute_b32 v23, v59, v19
	s_waitcnt lgkmcnt(2)
	v_add_f64 v[4:5], v[4:5], v[20:21]
	ds_bpermute_b32 v20, v60, v4
	s_waitcnt lgkmcnt(1)
	v_add_f64 v[18:19], v[18:19], v[22:23]
	ds_bpermute_b32 v21, v60, v5
	ds_bpermute_b32 v22, v60, v18
	ds_bpermute_b32 v23, v60, v19
	;; [unrolled: 8-line block ×3, first 2 shown]
	s_waitcnt lgkmcnt(2)
	v_add_f64 v[4:5], v[4:5], v[20:21]
	s_waitcnt lgkmcnt(0)
	v_add_f64 v[20:21], v[18:19], v[22:23]
	ds_bpermute_b32 v18, v62, v4
	ds_bpermute_b32 v19, v62, v5
	;; [unrolled: 1-line block ×4, first 2 shown]
	s_and_saveexec_b64 s[38:39], s[10:11]
	s_cbranch_execz .LBB180_33
; %bb.32:                               ;   in Loop: Header=BB180_9 Depth=1
	s_waitcnt lgkmcnt(0)
	v_add_f64 v[20:21], v[20:21], v[22:23]
	v_add_f64 v[18:19], v[4:5], v[18:19]
	ds_write_b128 v64, v[18:21]
.LBB180_33:                             ;   in Loop: Header=BB180_9 Depth=1
	s_or_b64 exec, exec, s[38:39]
	v_mov_b64_e32 v[20:21], 0
	s_waitcnt lgkmcnt(2)
	v_mov_b64_e32 v[18:19], v[20:21]
	s_waitcnt lgkmcnt(0)
	s_barrier
	s_and_saveexec_b64 s[38:39], s[4:5]
	s_cbranch_execnz .LBB180_50
; %bb.34:                               ;   in Loop: Header=BB180_9 Depth=1
	s_or_b64 exec, exec, s[38:39]
	s_and_saveexec_b64 s[38:39], s[0:1]
	s_cbranch_execnz .LBB180_51
.LBB180_35:                             ;   in Loop: Header=BB180_9 Depth=1
	s_or_b64 exec, exec, s[38:39]
	s_and_saveexec_b64 s[38:39], s[12:13]
	s_cbranch_execz .LBB180_8
	s_branch .LBB180_52
.LBB180_36:                             ;   in Loop: Header=BB180_9 Depth=1
	global_load_dwordx4 v[4:7], v[38:39], off
	global_load_dwordx4 v[24:27], v[40:41], off
	s_mul_i32 s40, s49, s27
	s_ashr_i32 s41, s40, 31
	v_lshl_add_u64 v[50:51], s[40:41], 4, v[28:29]
	s_add_i32 s40, s40, s27
	s_ashr_i32 s41, s40, 31
	v_lshl_add_u64 v[52:53], s[40:41], 4, v[28:29]
	s_add_i32 s40, s40, s27
	global_load_dwordx4 v[8:11], v[50:51], off offset:16
	s_ashr_i32 s41, s40, 31
	global_load_dwordx4 v[12:15], v[52:53], off offset:16
	v_lshl_add_u64 v[46:47], s[40:41], 4, v[28:29]
	s_waitcnt lgkmcnt(0)
	global_load_dwordx4 v[16:19], v[46:47], off offset:16
	s_add_i32 s40, s40, s27
	s_ashr_i32 s41, s40, 31
	v_lshl_add_u64 v[48:49], s[40:41], 4, v[28:29]
	s_waitcnt vmcnt(4)
	scratch_store_dwordx4 v35, v[4:7], off
	scratch_load_dwordx4 v[4:7], off, off offset:16
	s_nop 0
	global_load_dwordx4 v[20:23], v[48:49], off offset:16
	global_load_dwordx4 v[68:71], v[42:43], off
	global_load_dwordx4 v[72:75], v[50:51], off offset:32
	s_waitcnt vmcnt(3)
	v_mul_f64 v[104:105], v[6:7], v[10:11]
	scratch_store_dwordx4 v65, v[24:27], off
	scratch_load_dwordx4 v[24:27], off, off offset:32
	s_nop 0
	global_load_dwordx4 v[76:79], v[52:53], off offset:32
	global_load_dwordx4 v[80:83], v[36:37], off
	global_load_dwordx4 v[84:87], v[46:47], off offset:32
	global_load_dwordx4 v[88:91], v[50:51], off
	global_load_dwordx4 v[92:95], v[52:53], off
	;; [unrolled: 1-line block ×3, first 2 shown]
	global_load_dwordx4 v[100:103], v[48:49], off offset:32
	v_mul_f64 v[10:11], v[4:5], v[10:11]
	v_fmac_f64_e32 v[104:105], v[4:5], v[8:9]
	v_fma_f64 v[106:107], v[6:7], v[8:9], -v[10:11]
	v_mul_f64 v[8:9], v[4:5], v[14:15]
	v_fma_f64 v[110:111], v[6:7], v[12:13], -v[8:9]
	v_mul_f64 v[8:9], v[4:5], v[18:19]
	v_mul_f64 v[108:109], v[6:7], v[14:15]
	;; [unrolled: 1-line block ×3, first 2 shown]
	v_fma_f64 v[114:115], v[6:7], v[16:17], -v[8:9]
	s_waitcnt vmcnt(11)
	v_mul_f64 v[116:117], v[6:7], v[22:23]
	v_mul_f64 v[8:9], v[4:5], v[22:23]
	v_fmac_f64_e32 v[108:109], v[4:5], v[12:13]
	v_fmac_f64_e32 v[112:113], v[4:5], v[16:17]
	;; [unrolled: 1-line block ×3, first 2 shown]
	v_fma_f64 v[118:119], v[6:7], v[20:21], -v[8:9]
	global_load_dwordx4 v[4:7], v[48:49], off
	global_load_dwordx4 v[8:11], v[50:51], off offset:48
	global_load_dwordx4 v[12:15], v[52:53], off offset:48
	s_waitcnt vmcnt(10)
	v_mul_f64 v[16:17], v[24:25], v[74:75]
	v_fma_f64 v[52:53], v[26:27], v[72:73], -v[16:17]
	s_waitcnt vmcnt(9)
	v_mul_f64 v[16:17], v[24:25], v[78:79]
	scratch_store_dwordx4 v66, v[68:71], off
	v_mul_f64 v[50:51], v[26:27], v[74:75]
	v_fmac_f64_e32 v[50:51], v[24:25], v[72:73]
	v_mul_f64 v[68:69], v[26:27], v[78:79]
	v_fma_f64 v[70:71], v[26:27], v[76:77], -v[16:17]
	s_waitcnt vmcnt(8)
	v_mul_f64 v[16:17], v[24:25], v[86:87]
	v_fmac_f64_e32 v[68:69], v[24:25], v[76:77]
	v_mul_f64 v[72:73], v[26:27], v[86:87]
	v_fma_f64 v[74:75], v[26:27], v[84:85], -v[16:17]
	s_waitcnt vmcnt(4)
	v_mul_f64 v[76:77], v[26:27], v[102:103]
	v_mul_f64 v[16:17], v[24:25], v[102:103]
	v_mul_f64 v[20:21], v[80:81], v[90:91]
	v_fmac_f64_e32 v[72:73], v[24:25], v[84:85]
	v_fmac_f64_e32 v[76:77], v[24:25], v[100:101]
	v_fma_f64 v[24:25], v[26:27], v[100:101], -v[16:17]
	scratch_load_dwordx4 v[16:19], off, off offset:48
	v_fma_f64 v[78:79], v[82:83], v[88:89], -v[20:21]
	v_mul_f64 v[84:85], v[82:83], v[94:95]
	v_mul_f64 v[20:21], v[80:81], v[94:95]
	v_fmac_f64_e32 v[84:85], v[80:81], v[92:93]
	v_fma_f64 v[86:87], v[82:83], v[92:93], -v[20:21]
	v_mul_f64 v[20:21], v[80:81], v[98:99]
	s_waitcnt vmcnt(4)
	v_mul_f64 v[92:93], v[82:83], v[6:7]
	v_mul_f64 v[6:7], v[80:81], v[6:7]
	;; [unrolled: 1-line block ×3, first 2 shown]
	v_fma_f64 v[90:91], v[82:83], v[96:97], -v[20:21]
	v_fmac_f64_e32 v[92:93], v[80:81], v[4:5]
	v_fma_f64 v[94:95], v[82:83], v[4:5], -v[6:7]
	global_load_dwordx4 v[4:7], v[46:47], off offset:48
	global_load_dwordx4 v[20:23], v[48:49], off offset:48
	v_fmac_f64_e32 v[26:27], v[80:81], v[88:89]
	v_mul_f64 v[88:89], v[82:83], v[98:99]
	v_fmac_f64_e32 v[88:89], v[80:81], v[96:97]
	scratch_store_dwordx4 off, v[80:83], off
	v_add_f64 v[26:27], v[26:27], 0
	v_add_f64 v[46:47], v[78:79], 0
	;; [unrolled: 1-line block ×8, first 2 shown]
	s_waitcnt vmcnt(3)
	v_mul_f64 v[88:89], v[18:19], v[10:11]
	v_mul_f64 v[10:11], v[16:17], v[10:11]
	v_fmac_f64_e32 v[88:89], v[16:17], v[8:9]
	v_fma_f64 v[10:11], v[18:19], v[8:9], -v[10:11]
	v_mul_f64 v[90:91], v[18:19], v[14:15]
	v_mul_f64 v[8:9], v[16:17], v[14:15]
	v_fmac_f64_e32 v[90:91], v[16:17], v[12:13]
	v_fma_f64 v[12:13], v[18:19], v[12:13], -v[8:9]
	v_add_f64 v[8:9], v[46:47], v[106:107]
	v_add_f64 v[46:47], v[84:85], v[116:117]
	;; [unrolled: 1-line block ×3, first 2 shown]
	s_waitcnt vmcnt(2)
	v_mul_f64 v[14:15], v[18:19], v[6:7]
	v_mul_f64 v[6:7], v[16:17], v[6:7]
	v_fmac_f64_e32 v[14:15], v[16:17], v[4:5]
	v_fma_f64 v[4:5], v[18:19], v[4:5], -v[6:7]
	s_waitcnt vmcnt(1)
	v_mul_f64 v[92:93], v[18:19], v[22:23]
	v_mul_f64 v[6:7], v[16:17], v[22:23]
	v_fmac_f64_e32 v[92:93], v[16:17], v[20:21]
	v_fma_f64 v[20:21], v[18:19], v[20:21], -v[6:7]
	v_add_f64 v[6:7], v[26:27], v[104:105]
	v_add_f64 v[16:17], v[48:49], v[108:109]
	;; [unrolled: 1-line block ×21, first 2 shown]
	s_andn2_saveexec_b64 s[38:39], s[38:39]
	s_cbranch_execz .LBB180_11
.LBB180_37:                             ;   in Loop: Header=BB180_9 Depth=1
	s_waitcnt lgkmcnt(0)
	v_mov_b64_e32 v[18:19], 0
	v_mov_b64_e32 v[20:21], v[18:19]
	;; [unrolled: 1-line block ×8, first 2 shown]
	s_and_saveexec_b64 s[40:41], s[8:9]
	s_cbranch_execz .LBB180_43
; %bb.38:                               ;   in Loop: Header=BB180_9 Depth=1
	v_mov_b64_e32 v[18:19], 0
	s_andn2_b64 vcc, exec, s[34:35]
	v_mov_b64_e32 v[20:21], v[18:19]
	v_mov_b64_e32 v[14:15], v[18:19]
	;; [unrolled: 1-line block ×7, first 2 shown]
	s_cbranch_vccnz .LBB180_43
; %bb.39:                               ;   in Loop: Header=BB180_9 Depth=1
	v_mov_b32_e32 v3, 0
	v_mov_b32_e32 v4, v34
	s_mov_b32 s30, s48
.LBB180_40:                             ;   Parent Loop BB180_9 Depth=1
                                        ; =>  This Inner Loop Header: Depth=2
	v_ashrrev_i32_e32 v5, 31, v4
	v_lshl_add_u64 v[6:7], v[4:5], 4, s[14:15]
	global_load_dwordx4 v[6:9], v[6:7], off
	s_add_i32 s30, s30, -1
	v_add_u32_e32 v4, s33, v4
	s_cmp_eq_u32 s30, 0
	s_waitcnt vmcnt(0)
	scratch_store_dwordx4 v3, v[6:9], off
	v_add_u32_e32 v3, 16, v3
	s_cbranch_scc0 .LBB180_40
; %bb.41:                               ;   in Loop: Header=BB180_9 Depth=1
	s_ashr_i32 s37, s36, 31
	v_mov_b64_e32 v[6:7], 0
	v_lshl_add_u64 v[4:5], s[36:37], 4, v[44:45]
	v_mov_b32_e32 v3, 0
	s_mov_b32 s42, s54
	s_mov_b32 s44, s53
	;; [unrolled: 1-line block ×4, first 2 shown]
	v_mov_b64_e32 v[8:9], v[6:7]
	v_mov_b64_e32 v[12:13], v[6:7]
	;; [unrolled: 1-line block ×7, first 2 shown]
.LBB180_42:                             ;   Parent Loop BB180_9 Depth=1
                                        ; =>  This Inner Loop Header: Depth=2
	scratch_load_dwordx4 v[22:25], v3, off
	global_load_dwordx4 v[46:49], v[4:5], off offset:-8
	s_ashr_i32 s47, s46, 31
	s_ashr_i32 s45, s44, 31
	;; [unrolled: 1-line block ×3, first 2 shown]
	v_lshl_add_u64 v[26:27], s[46:47], 4, v[28:29]
	v_lshl_add_u64 v[68:69], s[44:45], 4, v[28:29]
	;; [unrolled: 1-line block ×3, first 2 shown]
	global_load_dwordx4 v[50:53], v[26:27], off
	s_nop 0
	global_load_dwordx4 v[68:71], v[68:69], off
	s_nop 0
	global_load_dwordx4 v[72:75], v[72:73], off
	s_add_i32 s30, s30, -1
	s_add_i32 s46, s46, 1
	s_add_i32 s44, s44, 1
	;; [unrolled: 1-line block ×3, first 2 shown]
	v_add_u32_e32 v3, 16, v3
	v_lshl_add_u64 v[4:5], v[4:5], 0, 16
	s_cmp_lg_u32 s30, 0
	s_waitcnt vmcnt(3)
	v_mul_f64 v[26:27], v[24:25], v[48:49]
	v_mul_f64 v[48:49], v[22:23], v[48:49]
	v_fmac_f64_e32 v[26:27], v[22:23], v[46:47]
	v_fma_f64 v[46:47], v[24:25], v[46:47], -v[48:49]
	v_add_f64 v[8:9], v[8:9], v[26:27]
	v_add_f64 v[6:7], v[6:7], v[46:47]
	s_waitcnt vmcnt(2)
	v_mul_f64 v[26:27], v[24:25], v[52:53]
	v_mul_f64 v[46:47], v[22:23], v[52:53]
	s_waitcnt vmcnt(1)
	v_mul_f64 v[48:49], v[24:25], v[70:71]
	v_mul_f64 v[52:53], v[22:23], v[70:71]
	;; [unrolled: 3-line block ×3, first 2 shown]
	v_fmac_f64_e32 v[26:27], v[22:23], v[50:51]
	v_fma_f64 v[46:47], v[24:25], v[50:51], -v[46:47]
	v_fmac_f64_e32 v[48:49], v[22:23], v[68:69]
	v_fma_f64 v[50:51], v[24:25], v[68:69], -v[52:53]
	;; [unrolled: 2-line block ×3, first 2 shown]
	v_add_f64 v[10:11], v[10:11], v[26:27]
	v_add_f64 v[12:13], v[12:13], v[46:47]
	;; [unrolled: 1-line block ×6, first 2 shown]
	s_cbranch_scc1 .LBB180_42
.LBB180_43:                             ;   in Loop: Header=BB180_9 Depth=1
	s_or_b64 exec, exec, s[40:41]
	s_or_b64 exec, exec, s[38:39]
	s_and_saveexec_b64 s[38:39], s[0:1]
	s_cbranch_execnz .LBB180_12
	s_branch .LBB180_13
.LBB180_44:                             ;   in Loop: Header=BB180_9 Depth=1
	ds_read_b128 v[6:9], v63
	s_or_b64 exec, exec, s[38:39]
	s_and_saveexec_b64 s[38:39], s[0:1]
	s_cbranch_execz .LBB180_17
.LBB180_45:                             ;   in Loop: Header=BB180_9 Depth=1
	s_waitcnt lgkmcnt(0)
	ds_bpermute_b32 v4, v61, v6
	ds_bpermute_b32 v5, v61, v7
	;; [unrolled: 1-line block ×4, first 2 shown]
	s_waitcnt lgkmcnt(2)
	v_add_f64 v[4:5], v[6:7], v[4:5]
	ds_bpermute_b32 v6, v62, v4
	s_waitcnt lgkmcnt(1)
	v_add_f64 v[8:9], v[8:9], v[22:23]
	ds_bpermute_b32 v7, v62, v5
	ds_bpermute_b32 v22, v62, v8
	;; [unrolled: 1-line block ×3, first 2 shown]
	s_waitcnt lgkmcnt(2)
	v_add_f64 v[6:7], v[4:5], v[6:7]
	s_waitcnt lgkmcnt(0)
	v_add_f64 v[8:9], v[8:9], v[22:23]
	s_or_b64 exec, exec, s[38:39]
	s_and_saveexec_b64 s[38:39], s[0:1]
	s_cbranch_execnz .LBB180_18
	s_branch .LBB180_19
.LBB180_46:                             ;   in Loop: Header=BB180_9 Depth=1
	ds_read_b128 v[10:13], v63
	s_or_b64 exec, exec, s[38:39]
	s_and_saveexec_b64 s[38:39], s[0:1]
	s_cbranch_execz .LBB180_23
.LBB180_47:                             ;   in Loop: Header=BB180_9 Depth=1
	s_waitcnt lgkmcnt(0)
	ds_bpermute_b32 v4, v61, v10
	ds_bpermute_b32 v5, v61, v11
	;; [unrolled: 1-line block ×4, first 2 shown]
	s_waitcnt lgkmcnt(2)
	v_add_f64 v[4:5], v[10:11], v[4:5]
	ds_bpermute_b32 v10, v62, v4
	s_waitcnt lgkmcnt(1)
	v_add_f64 v[12:13], v[12:13], v[22:23]
	ds_bpermute_b32 v11, v62, v5
	ds_bpermute_b32 v22, v62, v12
	;; [unrolled: 1-line block ×3, first 2 shown]
	s_waitcnt lgkmcnt(2)
	v_add_f64 v[10:11], v[4:5], v[10:11]
	s_waitcnt lgkmcnt(0)
	v_add_f64 v[12:13], v[12:13], v[22:23]
	s_or_b64 exec, exec, s[38:39]
	s_and_saveexec_b64 s[38:39], s[0:1]
	s_cbranch_execnz .LBB180_24
	s_branch .LBB180_25
.LBB180_48:                             ;   in Loop: Header=BB180_9 Depth=1
	ds_read_b128 v[14:17], v63
	s_or_b64 exec, exec, s[38:39]
	s_and_saveexec_b64 s[38:39], s[0:1]
	s_cbranch_execz .LBB180_29
.LBB180_49:                             ;   in Loop: Header=BB180_9 Depth=1
	s_waitcnt lgkmcnt(0)
	ds_bpermute_b32 v4, v61, v14
	ds_bpermute_b32 v5, v61, v15
	;; [unrolled: 1-line block ×4, first 2 shown]
	s_waitcnt lgkmcnt(2)
	v_add_f64 v[4:5], v[14:15], v[4:5]
	ds_bpermute_b32 v14, v62, v4
	s_waitcnt lgkmcnt(1)
	v_add_f64 v[16:17], v[16:17], v[22:23]
	ds_bpermute_b32 v15, v62, v5
	ds_bpermute_b32 v22, v62, v16
	;; [unrolled: 1-line block ×3, first 2 shown]
	s_waitcnt lgkmcnt(2)
	v_add_f64 v[14:15], v[4:5], v[14:15]
	s_waitcnt lgkmcnt(0)
	v_add_f64 v[16:17], v[16:17], v[22:23]
	s_or_b64 exec, exec, s[38:39]
	s_and_saveexec_b64 s[38:39], s[0:1]
	s_cbranch_execnz .LBB180_30
	s_branch .LBB180_31
.LBB180_50:                             ;   in Loop: Header=BB180_9 Depth=1
	ds_read_b128 v[18:21], v63
	s_or_b64 exec, exec, s[38:39]
	s_and_saveexec_b64 s[38:39], s[0:1]
	s_cbranch_execz .LBB180_35
.LBB180_51:                             ;   in Loop: Header=BB180_9 Depth=1
	s_waitcnt lgkmcnt(0)
	ds_bpermute_b32 v4, v61, v18
	ds_bpermute_b32 v5, v61, v19
	;; [unrolled: 1-line block ×4, first 2 shown]
	s_waitcnt lgkmcnt(2)
	v_add_f64 v[4:5], v[18:19], v[4:5]
	ds_bpermute_b32 v18, v62, v4
	s_waitcnt lgkmcnt(1)
	v_add_f64 v[20:21], v[20:21], v[22:23]
	ds_bpermute_b32 v19, v62, v5
	ds_bpermute_b32 v22, v62, v20
	;; [unrolled: 1-line block ×3, first 2 shown]
	s_waitcnt lgkmcnt(2)
	v_add_f64 v[18:19], v[4:5], v[18:19]
	s_waitcnt lgkmcnt(0)
	v_add_f64 v[20:21], v[20:21], v[22:23]
	s_or_b64 exec, exec, s[38:39]
	s_and_saveexec_b64 s[38:39], s[12:13]
	s_cbranch_execz .LBB180_8
.LBB180_52:                             ;   in Loop: Header=BB180_9 Depth=1
	s_mul_i32 s30, s49, s26
	s_add_i32 s30, s30, s2
	s_lshl_b64 s[40:41], s[30:31], 4
	v_mul_f64 v[4:5], s[22:23], v[8:9]
	v_mul_f64 v[24:25], s[20:21], v[8:9]
	s_add_u32 s40, s50, s40
	v_fma_f64 v[22:23], s[20:21], v[6:7], -v[4:5]
	v_fmac_f64_e32 v[24:25], s[22:23], v[6:7]
	s_addc_u32 s41, s51, s41
	s_add_i32 s30, s30, s26
	global_store_dwordx4 v2, v[22:25], s[40:41]
	s_lshl_b64 s[40:41], s[30:31], 4
	v_mul_f64 v[4:5], s[22:23], v[12:13]
	v_mul_f64 v[6:7], s[20:21], v[12:13]
	s_add_u32 s40, s50, s40
	v_fma_f64 v[4:5], s[20:21], v[10:11], -v[4:5]
	v_fmac_f64_e32 v[6:7], s[22:23], v[10:11]
	s_addc_u32 s41, s51, s41
	s_add_i32 s30, s30, s26
	global_store_dwordx4 v2, v[4:7], s[40:41]
	s_lshl_b64 s[40:41], s[30:31], 4
	s_add_u32 s40, s50, s40
	v_mul_f64 v[4:5], s[22:23], v[16:17]
	v_mul_f64 v[6:7], s[20:21], v[16:17]
	v_fma_f64 v[4:5], s[20:21], v[14:15], -v[4:5]
	v_fmac_f64_e32 v[6:7], s[22:23], v[14:15]
	s_addc_u32 s41, s51, s41
	s_add_i32 s30, s30, s26
	global_store_dwordx4 v2, v[4:7], s[40:41]
	s_lshl_b64 s[40:41], s[30:31], 4
	s_add_u32 s40, s50, s40
	s_waitcnt lgkmcnt(0)
	v_mul_f64 v[4:5], s[22:23], v[20:21]
	v_mul_f64 v[6:7], s[20:21], v[20:21]
	v_fma_f64 v[4:5], s[20:21], v[18:19], -v[4:5]
	v_fmac_f64_e32 v[6:7], s[22:23], v[18:19]
	s_addc_u32 s41, s51, s41
	global_store_dwordx4 v2, v[4:7], s[40:41]
	s_branch .LBB180_8
.LBB180_53:
	s_mov_b32 s49, 0
.LBB180_54:
	s_cmp_ge_i32 s49, s25
	s_cbranch_scc1 .LBB180_76
; %bb.55:
	v_mbcnt_hi_u32_b32 v2, -1, v54
	v_and_b32_e32 v3, 63, v2
	v_cmp_gt_u32_e64 s[4:5], 32, v3
	s_mov_b32 s3, 0
	s_cmp_gt_i32 s48, 0
	v_cndmask_b32_e64 v4, 0, 1, s[4:5]
	v_lshlrev_b32_e32 v4, 5, v4
	v_cmp_gt_u32_e64 s[4:5], 48, v3
	s_waitcnt lgkmcnt(0)
	v_add_lshl_u32 v21, v4, v2, 2
	s_cselect_b64 s[12:13], -1, 0
	v_cndmask_b32_e64 v4, 0, 1, s[4:5]
	v_lshlrev_b32_e32 v4, 4, v4
	v_cmp_gt_u32_e64 s[4:5], 56, v3
	v_add_lshl_u32 v22, v4, v2, 2
	s_lshl_b64 s[2:3], s[2:3], 4
	v_cndmask_b32_e64 v4, 0, 1, s[4:5]
	v_lshlrev_b32_e32 v4, 3, v4
	v_cmp_gt_u32_e64 s[4:5], 60, v3
	v_add_lshl_u32 v23, v4, v2, 2
	v_cmp_ge_i32_e32 vcc, s24, v55
	v_cndmask_b32_e64 v4, 0, 1, s[4:5]
	v_lshlrev_b32_e32 v4, 2, v4
	v_cmp_gt_u32_e64 s[4:5], 62, v3
	v_add_lshl_u32 v24, v4, v2, 2
	v_cmp_ge_i32_e64 s[10:11], s24, v56
	v_cndmask_b32_e64 v4, 0, 1, s[4:5]
	v_lshlrev_b32_e32 v4, 1, v4
	v_cmp_ne_u32_e64 s[4:5], 63, v3
	v_cmp_gt_u32_e64 s[0:1], 64, v0
	v_add_lshl_u32 v25, v4, v2, 2
	v_addc_co_u32_e64 v2, s[4:5], 0, v2, s[4:5]
	v_cmp_gt_u32_e64 s[6:7], 4, v0
	v_cmp_eq_u32_e64 s[8:9], 0, v0
	s_add_u32 s24, s50, s2
	v_add_u32_e32 v0, s33, v30
	v_lshlrev_b32_e32 v20, 4, v1
	v_cmp_eq_u32_e64 s[4:5], 0, v1
	s_addc_u32 s30, s51, s3
	v_ashrrev_i32_e32 v1, 31, v0
	s_and_b64 s[2:3], s[12:13], s[10:11]
	v_lshl_add_u64 v[8:9], v[0:1], 4, s[14:15]
	v_add_u32_e32 v0, s33, v0
	s_add_u32 s10, s28, s18
	v_ashrrev_i32_e32 v1, 31, v0
	s_addc_u32 s11, s29, s19
	v_lshl_add_u64 v[10:11], v[0:1], 4, s[14:15]
	v_add_u32_e32 v0, s33, v0
	s_add_u32 s10, s16, s10
	v_ashrrev_i32_e32 v1, 31, v0
	s_addc_u32 s11, s17, s11
	v_lshlrev_b32_e32 v26, 2, v2
	v_and_b32_e32 v27, 48, v31
	v_ashrrev_i32_e32 v31, 31, v30
	v_mov_b32_e32 v2, 0
	v_lshl_add_u64 v[12:13], v[0:1], 4, s[14:15]
	v_lshl_add_u64 v[0:1], v[32:33], 4, s[10:11]
	;; [unrolled: 1-line block ×3, first 2 shown]
	v_add_u32_e32 v31, 16, v2
	v_add_u32_e32 v34, 32, v2
	;; [unrolled: 1-line block ×3, first 2 shown]
	v_lshl_add_u64 v[14:15], v[0:1], 0, 8
	s_mul_i32 s10, s49, s27
	v_mov_b32_e32 v0, 0
	s_branch .LBB180_57
.LBB180_56:                             ;   in Loop: Header=BB180_57 Depth=1
	s_or_b64 exec, exec, s[12:13]
	s_add_i32 s49, s49, 1
	s_add_i32 s10, s10, s27
	s_cmp_lt_i32 s49, s25
	s_cbranch_scc0 .LBB180_76
.LBB180_57:                             ; =>This Loop Header: Depth=1
                                        ;     Child Loop BB180_69 Depth 2
                                        ;     Child Loop BB180_71 Depth 2
                                        ; implicit-def: $vgpr4_vgpr5
                                        ; implicit-def: $vgpr16_vgpr17
	s_and_saveexec_b64 s[12:13], vcc
	s_xor_b64 s[12:13], exec, s[12:13]
	s_cbranch_execnz .LBB180_66
; %bb.58:                               ;   in Loop: Header=BB180_57 Depth=1
	s_andn2_saveexec_b64 s[12:13], s[12:13]
	s_cbranch_execnz .LBB180_67
.LBB180_59:                             ;   in Loop: Header=BB180_57 Depth=1
	s_or_b64 exec, exec, s[12:13]
	s_and_saveexec_b64 s[12:13], s[0:1]
	s_cbranch_execz .LBB180_61
.LBB180_60:                             ;   in Loop: Header=BB180_57 Depth=1
	v_mov_b32_e32 v1, v0
	s_waitcnt lgkmcnt(0)
	v_mov_b32_e32 v2, v0
	v_mov_b32_e32 v3, v0
	ds_write_b128 v20, v[0:3]
.LBB180_61:                             ;   in Loop: Header=BB180_57 Depth=1
	s_or_b64 exec, exec, s[12:13]
	s_waitcnt lgkmcnt(0)
	ds_bpermute_b32 v2, v21, v4
	ds_bpermute_b32 v3, v21, v5
	;; [unrolled: 1-line block ×4, first 2 shown]
	s_waitcnt lgkmcnt(0)
	s_barrier
	v_add_f64 v[2:3], v[4:5], v[2:3]
	v_add_f64 v[4:5], v[16:17], v[18:19]
	ds_bpermute_b32 v16, v22, v2
	ds_bpermute_b32 v17, v22, v3
	;; [unrolled: 1-line block ×4, first 2 shown]
	s_waitcnt lgkmcnt(2)
	v_add_f64 v[2:3], v[2:3], v[16:17]
	ds_bpermute_b32 v16, v23, v2
	s_waitcnt lgkmcnt(1)
	v_add_f64 v[4:5], v[4:5], v[18:19]
	ds_bpermute_b32 v17, v23, v3
	ds_bpermute_b32 v18, v23, v4
	ds_bpermute_b32 v19, v23, v5
	s_waitcnt lgkmcnt(2)
	v_add_f64 v[2:3], v[2:3], v[16:17]
	ds_bpermute_b32 v16, v24, v2
	s_waitcnt lgkmcnt(1)
	v_add_f64 v[4:5], v[4:5], v[18:19]
	ds_bpermute_b32 v17, v24, v3
	ds_bpermute_b32 v18, v24, v4
	ds_bpermute_b32 v19, v24, v5
	;; [unrolled: 8-line block ×3, first 2 shown]
	s_waitcnt lgkmcnt(2)
	v_add_f64 v[2:3], v[2:3], v[16:17]
	s_waitcnt lgkmcnt(0)
	v_add_f64 v[16:17], v[4:5], v[18:19]
	ds_bpermute_b32 v4, v26, v2
	ds_bpermute_b32 v5, v26, v3
	;; [unrolled: 1-line block ×4, first 2 shown]
	s_and_saveexec_b64 s[12:13], s[4:5]
	s_cbranch_execz .LBB180_63
; %bb.62:                               ;   in Loop: Header=BB180_57 Depth=1
	s_waitcnt lgkmcnt(0)
	v_add_f64 v[18:19], v[16:17], v[18:19]
	v_add_f64 v[16:17], v[2:3], v[4:5]
	ds_write_b128 v27, v[16:19]
.LBB180_63:                             ;   in Loop: Header=BB180_57 Depth=1
	s_or_b64 exec, exec, s[12:13]
	s_waitcnt lgkmcnt(2)
	v_mov_b64_e32 v[4:5], 0
	v_mov_b64_e32 v[2:3], v[4:5]
	s_waitcnt lgkmcnt(0)
	s_barrier
	s_and_saveexec_b64 s[12:13], s[6:7]
	s_cbranch_execnz .LBB180_73
; %bb.64:                               ;   in Loop: Header=BB180_57 Depth=1
	s_or_b64 exec, exec, s[12:13]
	s_and_saveexec_b64 s[12:13], s[0:1]
	s_cbranch_execnz .LBB180_74
.LBB180_65:                             ;   in Loop: Header=BB180_57 Depth=1
	s_or_b64 exec, exec, s[12:13]
	s_and_saveexec_b64 s[12:13], s[8:9]
	s_cbranch_execz .LBB180_56
	s_branch .LBB180_75
.LBB180_66:                             ;   in Loop: Header=BB180_57 Depth=1
	s_waitcnt lgkmcnt(0)
	global_load_dwordx4 v[2:5], v[8:9], off
	global_load_dwordx4 v[16:19], v[10:11], off
	;; [unrolled: 1-line block ×4, first 2 shown]
	s_mul_i32 s16, s49, s27
	s_ashr_i32 s17, s16, 31
	v_lshl_add_u64 v[32:33], s[16:17], 4, v[28:29]
	global_load_dwordx4 v[44:47], v[32:33], off
	global_load_dwordx4 v[48:51], v[32:33], off offset:16
	global_load_dwordx4 v[52:55], v[32:33], off offset:48
	;; [unrolled: 1-line block ×3, first 2 shown]
	s_waitcnt vmcnt(3)
	v_mul_f64 v[32:33], v[46:47], v[42:43]
	scratch_store_dwordx4 v31, v[2:5], off
	scratch_load_dwordx4 v[2:5], off, off offset:16
	v_mul_f64 v[46:47], v[46:47], v[40:41]
	scratch_store_dwordx4 v34, v[16:19], off
	scratch_load_dwordx4 v[16:19], off, off offset:32
	v_fmac_f64_e32 v[32:33], v[44:45], v[40:41]
	scratch_store_dwordx4 v35, v[36:39], off
	scratch_load_dwordx4 v[36:39], off, off offset:48
	v_add_f64 v[32:33], v[32:33], 0
	scratch_store_dwordx4 off, v[40:43], off
	s_nop 1
	v_fma_f64 v[40:41], v[44:45], v[42:43], -v[46:47]
	v_add_f64 v[40:41], v[40:41], 0
	s_waitcnt vmcnt(5)
	v_mul_f64 v[42:43], v[50:51], v[4:5]
	v_mul_f64 v[44:45], v[50:51], v[2:3]
	v_fmac_f64_e32 v[42:43], v[48:49], v[2:3]
	s_waitcnt vmcnt(3)
	v_mul_f64 v[46:47], v[58:59], v[18:19]
	v_mul_f64 v[50:51], v[58:59], v[16:17]
	v_fma_f64 v[2:3], v[48:49], v[4:5], -v[44:45]
	s_waitcnt vmcnt(1)
	v_mul_f64 v[58:59], v[54:55], v[38:39]
	v_mul_f64 v[54:55], v[54:55], v[36:37]
	v_fmac_f64_e32 v[46:47], v[56:57], v[16:17]
	v_fma_f64 v[4:5], v[56:57], v[18:19], -v[50:51]
	v_add_f64 v[18:19], v[32:33], v[42:43]
	v_add_f64 v[2:3], v[40:41], v[2:3]
	v_fmac_f64_e32 v[58:59], v[52:53], v[36:37]
	v_fma_f64 v[16:17], v[52:53], v[38:39], -v[54:55]
	v_add_f64 v[18:19], v[18:19], v[46:47]
	v_add_f64 v[2:3], v[2:3], v[4:5]
	;; [unrolled: 1-line block ×4, first 2 shown]
	s_andn2_saveexec_b64 s[12:13], s[12:13]
	s_cbranch_execz .LBB180_59
.LBB180_67:                             ;   in Loop: Header=BB180_57 Depth=1
	s_waitcnt lgkmcnt(0)
	v_mov_b64_e32 v[4:5], 0
	v_mov_b64_e32 v[16:17], v[4:5]
	s_and_saveexec_b64 s[16:17], s[2:3]
	s_cbranch_execz .LBB180_72
; %bb.68:                               ;   in Loop: Header=BB180_57 Depth=1
	v_mov_b32_e32 v1, 0
	v_mov_b32_e32 v2, v30
	s_mov_b32 s11, s48
.LBB180_69:                             ;   Parent Loop BB180_57 Depth=1
                                        ; =>  This Inner Loop Header: Depth=2
	v_ashrrev_i32_e32 v3, 31, v2
	v_lshl_add_u64 v[4:5], v[2:3], 4, s[14:15]
	global_load_dwordx4 v[16:19], v[4:5], off
	s_add_i32 s11, s11, -1
	v_add_u32_e32 v2, s33, v2
	s_cmp_eq_u32 s11, 0
	s_waitcnt vmcnt(0)
	scratch_store_dwordx4 v1, v[16:19], off
	v_add_u32_e32 v1, 16, v1
	s_cbranch_scc0 .LBB180_69
; %bb.70:                               ;   in Loop: Header=BB180_57 Depth=1
	s_ashr_i32 s11, s10, 31
	v_mov_b64_e32 v[4:5], 0
	v_lshl_add_u64 v[2:3], s[10:11], 4, v[14:15]
	v_mov_b32_e32 v1, 0
	s_mov_b32 s11, s48
	v_mov_b64_e32 v[16:17], v[4:5]
.LBB180_71:                             ;   Parent Loop BB180_57 Depth=1
                                        ; =>  This Inner Loop Header: Depth=2
	global_load_dwordx4 v[36:39], v[2:3], off offset:-8
	scratch_load_dwordx4 v[40:43], v1, off
	s_add_i32 s11, s11, -1
	v_add_u32_e32 v1, 16, v1
	v_lshl_add_u64 v[2:3], v[2:3], 0, 16
	s_cmp_lg_u32 s11, 0
	s_waitcnt vmcnt(0)
	v_mul_f64 v[18:19], v[38:39], v[42:43]
	v_mul_f64 v[32:33], v[38:39], v[40:41]
	v_fmac_f64_e32 v[18:19], v[36:37], v[40:41]
	v_fma_f64 v[32:33], v[36:37], v[42:43], -v[32:33]
	v_add_f64 v[4:5], v[4:5], v[18:19]
	v_add_f64 v[16:17], v[16:17], v[32:33]
	s_cbranch_scc1 .LBB180_71
.LBB180_72:                             ;   in Loop: Header=BB180_57 Depth=1
	s_or_b64 exec, exec, s[16:17]
	s_or_b64 exec, exec, s[12:13]
	s_and_saveexec_b64 s[12:13], s[0:1]
	s_cbranch_execnz .LBB180_60
	s_branch .LBB180_61
.LBB180_73:                             ;   in Loop: Header=BB180_57 Depth=1
	ds_read_b128 v[2:5], v20
	s_or_b64 exec, exec, s[12:13]
	s_and_saveexec_b64 s[12:13], s[0:1]
	s_cbranch_execz .LBB180_65
.LBB180_74:                             ;   in Loop: Header=BB180_57 Depth=1
	s_waitcnt lgkmcnt(0)
	ds_bpermute_b32 v16, v25, v2
	ds_bpermute_b32 v17, v25, v3
	;; [unrolled: 1-line block ×4, first 2 shown]
	s_waitcnt lgkmcnt(2)
	v_add_f64 v[2:3], v[2:3], v[16:17]
	ds_bpermute_b32 v16, v26, v2
	s_waitcnt lgkmcnt(1)
	v_add_f64 v[4:5], v[4:5], v[18:19]
	ds_bpermute_b32 v17, v26, v3
	ds_bpermute_b32 v18, v26, v4
	;; [unrolled: 1-line block ×3, first 2 shown]
	s_waitcnt lgkmcnt(2)
	v_add_f64 v[2:3], v[2:3], v[16:17]
	s_waitcnt lgkmcnt(0)
	v_add_f64 v[4:5], v[4:5], v[18:19]
	s_or_b64 exec, exec, s[12:13]
	s_and_saveexec_b64 s[12:13], s[8:9]
	s_cbranch_execz .LBB180_56
.LBB180_75:                             ;   in Loop: Header=BB180_57 Depth=1
	s_mul_hi_u32 s17, s49, s26
	s_mul_i32 s16, s49, s26
	s_lshl_b64 s[16:17], s[16:17], 4
	s_waitcnt lgkmcnt(0)
	v_mul_f64 v[16:17], s[22:23], v[4:5]
	v_mul_f64 v[18:19], s[20:21], v[4:5]
	s_add_u32 s16, s24, s16
	v_fma_f64 v[16:17], s[20:21], v[2:3], -v[16:17]
	v_fmac_f64_e32 v[18:19], s[22:23], v[2:3]
	s_addc_u32 s17, s30, s17
	global_store_dwordx4 v0, v[16:19], s[16:17]
	s_branch .LBB180_56
.LBB180_76:
	s_endpgm
	.section	.rodata,"a",@progbits
	.p2align	6, 0x0
	.amdhsa_kernel _ZL23rocblas_gemvt_sn_kernelILb1ELi256ELi4Ei19rocblas_complex_numIdEPKS1_S1_EviiT4_lPKT3_lilS7_lilPT5_i
		.amdhsa_group_segment_fixed_size 1024
		.amdhsa_private_segment_fixed_size 80
		.amdhsa_kernarg_size 360
		.amdhsa_user_sgpr_count 2
		.amdhsa_user_sgpr_dispatch_ptr 0
		.amdhsa_user_sgpr_queue_ptr 0
		.amdhsa_user_sgpr_kernarg_segment_ptr 1
		.amdhsa_user_sgpr_dispatch_id 0
		.amdhsa_user_sgpr_kernarg_preload_length 0
		.amdhsa_user_sgpr_kernarg_preload_offset 0
		.amdhsa_user_sgpr_private_segment_size 0
		.amdhsa_uses_dynamic_stack 0
		.amdhsa_enable_private_segment 1
		.amdhsa_system_sgpr_workgroup_id_x 1
		.amdhsa_system_sgpr_workgroup_id_y 0
		.amdhsa_system_sgpr_workgroup_id_z 1
		.amdhsa_system_sgpr_workgroup_info 0
		.amdhsa_system_vgpr_workitem_id 0
		.amdhsa_next_free_vgpr 120
		.amdhsa_next_free_sgpr 56
		.amdhsa_accum_offset 120
		.amdhsa_reserve_vcc 1
		.amdhsa_float_round_mode_32 0
		.amdhsa_float_round_mode_16_64 0
		.amdhsa_float_denorm_mode_32 3
		.amdhsa_float_denorm_mode_16_64 3
		.amdhsa_dx10_clamp 1
		.amdhsa_ieee_mode 1
		.amdhsa_fp16_overflow 0
		.amdhsa_tg_split 0
		.amdhsa_exception_fp_ieee_invalid_op 0
		.amdhsa_exception_fp_denorm_src 0
		.amdhsa_exception_fp_ieee_div_zero 0
		.amdhsa_exception_fp_ieee_overflow 0
		.amdhsa_exception_fp_ieee_underflow 0
		.amdhsa_exception_fp_ieee_inexact 0
		.amdhsa_exception_int_div_zero 0
	.end_amdhsa_kernel
	.section	.text._ZL23rocblas_gemvt_sn_kernelILb1ELi256ELi4Ei19rocblas_complex_numIdEPKS1_S1_EviiT4_lPKT3_lilS7_lilPT5_i,"axG",@progbits,_ZL23rocblas_gemvt_sn_kernelILb1ELi256ELi4Ei19rocblas_complex_numIdEPKS1_S1_EviiT4_lPKT3_lilS7_lilPT5_i,comdat
.Lfunc_end180:
	.size	_ZL23rocblas_gemvt_sn_kernelILb1ELi256ELi4Ei19rocblas_complex_numIdEPKS1_S1_EviiT4_lPKT3_lilS7_lilPT5_i, .Lfunc_end180-_ZL23rocblas_gemvt_sn_kernelILb1ELi256ELi4Ei19rocblas_complex_numIdEPKS1_S1_EviiT4_lPKT3_lilS7_lilPT5_i
                                        ; -- End function
	.section	.AMDGPU.csdata,"",@progbits
; Kernel info:
; codeLenInByte = 6724
; NumSgprs: 62
; NumVgprs: 120
; NumAgprs: 0
; TotalNumVgprs: 120
; ScratchSize: 80
; MemoryBound: 0
; FloatMode: 240
; IeeeMode: 1
; LDSByteSize: 1024 bytes/workgroup (compile time only)
; SGPRBlocks: 7
; VGPRBlocks: 14
; NumSGPRsForWavesPerEU: 62
; NumVGPRsForWavesPerEU: 120
; AccumOffset: 120
; Occupancy: 4
; WaveLimiterHint : 1
; COMPUTE_PGM_RSRC2:SCRATCH_EN: 1
; COMPUTE_PGM_RSRC2:USER_SGPR: 2
; COMPUTE_PGM_RSRC2:TRAP_HANDLER: 0
; COMPUTE_PGM_RSRC2:TGID_X_EN: 1
; COMPUTE_PGM_RSRC2:TGID_Y_EN: 0
; COMPUTE_PGM_RSRC2:TGID_Z_EN: 1
; COMPUTE_PGM_RSRC2:TIDIG_COMP_CNT: 0
; COMPUTE_PGM_RSRC3_GFX90A:ACCUM_OFFSET: 29
; COMPUTE_PGM_RSRC3_GFX90A:TG_SPLIT: 0
	.section	.text._ZL23rocblas_gemvt_sn_kernelILb1ELi256ELi4El19rocblas_complex_numIdEPKS1_S1_EviiT4_lPKT3_lilS7_lilPT5_i,"axG",@progbits,_ZL23rocblas_gemvt_sn_kernelILb1ELi256ELi4El19rocblas_complex_numIdEPKS1_S1_EviiT4_lPKT3_lilS7_lilPT5_i,comdat
	.globl	_ZL23rocblas_gemvt_sn_kernelILb1ELi256ELi4El19rocblas_complex_numIdEPKS1_S1_EviiT4_lPKT3_lilS7_lilPT5_i ; -- Begin function _ZL23rocblas_gemvt_sn_kernelILb1ELi256ELi4El19rocblas_complex_numIdEPKS1_S1_EviiT4_lPKT3_lilS7_lilPT5_i
	.p2align	8
	.type	_ZL23rocblas_gemvt_sn_kernelILb1ELi256ELi4El19rocblas_complex_numIdEPKS1_S1_EviiT4_lPKT3_lilS7_lilPT5_i,@function
_ZL23rocblas_gemvt_sn_kernelILb1ELi256ELi4El19rocblas_complex_numIdEPKS1_S1_EviiT4_lPKT3_lilS7_lilPT5_i: ; @_ZL23rocblas_gemvt_sn_kernelILb1ELi256ELi4El19rocblas_complex_numIdEPKS1_S1_EviiT4_lPKT3_lilS7_lilPT5_i
; %bb.0:
	s_load_dwordx8 s[12:19], s[0:1], 0x8
	s_load_dwordx2 s[24:25], s[0:1], 0x0
	s_mov_b32 s27, 0
	s_waitcnt lgkmcnt(0)
	s_mul_i32 s4, s3, s15
	s_mul_hi_u32 s5, s3, s14
	s_add_i32 s5, s5, s4
	s_mul_i32 s4, s3, s14
	s_lshl_b64 s[4:5], s[4:5], 4
	s_add_u32 s4, s12, s4
	s_addc_u32 s5, s13, s5
	s_load_dwordx4 s[20:23], s[4:5], 0x0
	s_load_dwordx4 s[8:11], s[0:1], 0x50
	s_load_dword s26, s[0:1], 0x68
	s_ashr_i32 s42, s25, 31
	s_mul_hi_u32 s4, s25, s3
	s_mul_i32 s5, s42, s3
	s_add_i32 s4, s4, s5
	s_mul_i32 s5, s25, s3
	s_waitcnt lgkmcnt(0)
	s_mul_i32 s4, s4, s26
	s_mul_hi_u32 s6, s5, s26
	s_add_i32 s7, s6, s4
	s_mul_i32 s6, s5, s26
	v_cmp_neq_f64_e64 s[4:5], s[20:21], 0
	v_cmp_neq_f64_e64 s[12:13], s[22:23], 0
	s_or_b64 s[4:5], s[4:5], s[12:13]
	s_mov_b64 s[12:13], -1
	s_and_b64 vcc, exec, s[4:5]
	v_cmp_eq_u32_e64 s[4:5], 0, v0
	s_cbranch_vccnz .LBB181_5
; %bb.1:
	s_cmp_gt_i32 s25, 0
	s_cselect_b64 s[12:13], -1, 0
	s_and_b64 s[12:13], s[4:5], s[12:13]
	s_and_saveexec_b64 s[4:5], s[12:13]
	s_cbranch_execz .LBB181_4
; %bb.2:
	s_mov_b32 s12, s3
	s_mov_b32 s3, 0
	s_lshl_b64 s[14:15], s[6:7], 4
	s_lshl_b64 s[28:29], s[2:3], 4
	s_mov_b32 s3, s12
	s_add_u32 s12, s14, s28
	s_addc_u32 s13, s15, s29
	s_add_u32 s12, s12, s10
	s_addc_u32 s13, s13, s11
	s_add_u32 s12, s12, 8
	v_mov_b32_e32 v2, 0
	s_addc_u32 s13, s13, 0
	s_lshl_b64 s[14:15], s[26:27], 4
	v_mov_b32_e32 v3, v2
	v_mov_b32_e32 v4, v2
	;; [unrolled: 1-line block ×3, first 2 shown]
	s_mov_b32 s27, s25
.LBB181_3:                              ; =>This Inner Loop Header: Depth=1
	s_add_i32 s27, s27, -1
	global_store_dwordx4 v2, v[2:5], s[12:13] offset:-8
	s_add_u32 s12, s12, s14
	s_addc_u32 s13, s13, s15
	s_cmp_eq_u32 s27, 0
	s_cbranch_scc0 .LBB181_3
.LBB181_4:
	s_or_b64 exec, exec, s[4:5]
	s_mov_b64 s[12:13], 0
.LBB181_5:
	s_andn2_b64 vcc, exec, s[12:13]
	s_cbranch_vccnz .LBB181_76
; %bb.6:
	s_load_dword s28, s[0:1], 0x28
	s_load_dword s30, s[0:1], 0x48
	s_load_dwordx2 s[4:5], s[0:1], 0x40
	s_load_dwordx4 s[12:15], s[0:1], 0x30
	s_mul_i32 s0, s3, s9
	s_mul_hi_u32 s1, s3, s8
	s_add_i32 s1, s1, s0
	s_mul_i32 s0, s3, s8
	s_waitcnt lgkmcnt(0)
	s_ashr_i32 s29, s28, 31
	s_ashr_i32 s31, s30, 31
	s_lshl_b64 s[34:35], s[0:1], 4
	s_add_u32 s0, s14, s34
	s_addc_u32 s1, s15, s35
	s_lshl_b64 s[38:39], s[4:5], 4
	s_add_u32 s40, s0, s38
	s_addc_u32 s41, s1, s39
	;; [unrolled: 3-line block ×3, first 2 shown]
	s_mul_i32 s0, s3, s13
	s_mul_hi_u32 s1, s3, s12
	s_add_i32 s1, s1, s0
	s_mul_i32 s0, s3, s12
	s_lshl_b64 s[36:37], s[0:1], 4
	s_add_u32 s0, s16, s36
	s_addc_u32 s1, s17, s37
	s_lshl_b64 s[18:19], s[18:19], 4
	s_add_u32 s0, s0, s18
	s_addc_u32 s1, s1, s19
	s_lshl_b32 s3, s2, 10
	v_lshl_or_b32 v26, v0, 2, s3
	v_ashrrev_i32_e32 v27, 31, v26
	v_lshl_add_u64 v[24:25], v[26:27], 4, s[0:1]
	s_lshr_b32 s0, s42, 30
	s_add_i32 s0, s25, s0
	s_and_b32 s55, s0, -4
	s_ashr_i32 s0, s24, 31
	s_lshr_b32 s0, s0, 30
	s_add_i32 s0, s24, s0
	s_and_b32 s0, s0, -4
	s_sub_i32 s27, s24, s0
	s_cmp_lt_i32 s55, 1
	v_add_u32_e32 v53, 4, v26
	v_add_u32_e32 v54, s27, v26
	v_and_b32_e32 v50, 63, v0
	v_cmp_gt_u32_e64 s[0:1], 64, v0
	v_mbcnt_lo_u32_b32 v52, -1, 0
	v_cmp_gt_u32_e64 s[4:5], 4, v0
	v_lshrrev_b32_e32 v51, 2, v0
	v_or_b32_e32 v49, 1, v26
	v_or_b32_e32 v48, 2, v26
	;; [unrolled: 1-line block ×3, first 2 shown]
	s_cbranch_scc1 .LBB181_53
; %bb.7:
	v_mbcnt_hi_u32_b32 v2, -1, v52
	v_and_b32_e32 v3, 63, v2
	v_cmp_gt_u32_e32 vcc, 32, v3
	s_mov_b32 s3, 0
	s_cmp_gt_i32 s27, 0
	v_cndmask_b32_e64 v4, 0, 1, vcc
	v_lshlrev_b32_e32 v4, 5, v4
	v_cmp_gt_u32_e32 vcc, 48, v3
	v_add_lshl_u32 v55, v4, v2, 2
	s_cselect_b64 s[42:43], -1, 0
	v_cndmask_b32_e64 v4, 0, 1, vcc
	v_lshlrev_b32_e32 v4, 4, v4
	v_cmp_gt_u32_e32 vcc, 56, v3
	v_add_lshl_u32 v56, v4, v2, 2
	s_lshl_b64 s[44:45], s[2:3], 4
	v_cndmask_b32_e64 v4, 0, 1, vcc
	v_lshlrev_b32_e32 v4, 3, v4
	v_cmp_gt_u32_e32 vcc, 60, v3
	v_add_lshl_u32 v57, v4, v2, 2
	s_add_u32 s56, s33, s44
	v_cndmask_b32_e64 v4, 0, 1, vcc
	v_lshlrev_b32_e32 v4, 2, v4
	v_cmp_gt_u32_e32 vcc, 62, v3
	v_add_lshl_u32 v58, v4, v2, 2
	s_addc_u32 s57, s54, s45
	v_cndmask_b32_e64 v4, 0, 1, vcc
	v_lshlrev_b32_e32 v4, 1, v4
	v_add_lshl_u32 v59, v4, v2, 2
	v_cmp_ne_u32_e32 vcc, 63, v3
	v_mad_i64_i32 v[4:5], s[44:45], s30, v49, 0
	s_nop 0
	v_addc_co_u32_e32 v2, vcc, 0, v2, vcc
	v_lshl_add_u64 v[30:31], v[4:5], 4, s[40:41]
	v_mad_i64_i32 v[4:5], s[44:45], s30, v48, 0
	v_lshlrev_b32_e32 v60, 2, v2
	v_mad_i64_i32 v[2:3], s[44:45], s30, v26, 0
	v_lshl_add_u64 v[32:33], v[4:5], 4, s[40:41]
	v_mad_i64_i32 v[4:5], s[44:45], s30, v1, 0
	s_add_u32 s44, s14, s38
	s_addc_u32 s45, s15, s39
	s_add_u32 s44, s44, s34
	v_lshlrev_b64 v[2:3], 4, v[2:3]
	v_mov_b32_e32 v6, 0
	s_addc_u32 s45, s45, s35
	v_cmp_ge_i32_e64 s[6:7], s24, v53
	v_cmp_ge_i32_e64 s[8:9], s24, v54
	v_cmp_eq_u32_e64 s[10:11], 0, v50
	v_lshlrev_b32_e32 v61, 4, v50
	v_and_b32_e32 v62, 48, v51
	v_cmp_eq_u32_e64 s[12:13], 0, v0
	v_lshl_add_u64 v[28:29], s[40:41], 0, v[2:3]
	v_add_u32_e32 v63, 16, v6
	v_add_u32_e32 v64, 32, v6
	v_lshl_add_u64 v[34:35], v[4:5], 4, s[40:41]
	v_add_u32_e32 v65, 48, v6
	v_lshl_add_u64 v[36:37], s[44:45], 0, v[2:3]
	s_lshl_b64 s[44:45], s[30:31], 4
	s_lshl_b64 s[46:47], s[28:29], 6
	;; [unrolled: 1-line block ×3, first 2 shown]
	v_mov_b32_e32 v2, 0
	v_mov_b64_e32 v[38:39], v[24:25]
	s_branch .LBB181_9
.LBB181_8:                              ;   in Loop: Header=BB181_9 Depth=1
	s_or_b64 exec, exec, s[50:51]
	s_add_i32 s3, s3, 4
	s_cmp_ge_i32 s3, s55
	v_lshl_add_u64 v[38:39], v[38:39], 0, s[46:47]
	s_cbranch_scc1 .LBB181_54
.LBB181_9:                              ; =>This Loop Header: Depth=1
                                        ;     Child Loop BB181_40 Depth 2
                                        ;     Child Loop BB181_42 Depth 2
                                        ; implicit-def: $vgpr18_vgpr19
                                        ; implicit-def: $vgpr20_vgpr21
                                        ; implicit-def: $vgpr14_vgpr15
                                        ; implicit-def: $vgpr16_vgpr17
                                        ; implicit-def: $vgpr10_vgpr11
                                        ; implicit-def: $vgpr12_vgpr13
                                        ; implicit-def: $vgpr8_vgpr9
                                        ; implicit-def: $vgpr6_vgpr7
	s_and_saveexec_b64 s[50:51], s[6:7]
	s_xor_b64 s[50:51], exec, s[50:51]
	s_cbranch_execnz .LBB181_36
; %bb.10:                               ;   in Loop: Header=BB181_9 Depth=1
	s_andn2_saveexec_b64 s[50:51], s[50:51]
	s_cbranch_execnz .LBB181_37
.LBB181_11:                             ;   in Loop: Header=BB181_9 Depth=1
	s_or_b64 exec, exec, s[50:51]
	s_and_saveexec_b64 s[50:51], s[0:1]
	s_cbranch_execz .LBB181_13
.LBB181_12:                             ;   in Loop: Header=BB181_9 Depth=1
	v_mov_b32_e32 v3, v2
	v_mov_b32_e32 v4, v2
	;; [unrolled: 1-line block ×3, first 2 shown]
	ds_write_b128 v61, v[2:5]
.LBB181_13:                             ;   in Loop: Header=BB181_9 Depth=1
	s_or_b64 exec, exec, s[50:51]
	ds_bpermute_b32 v4, v55, v8
	ds_bpermute_b32 v5, v55, v9
	;; [unrolled: 1-line block ×4, first 2 shown]
	s_waitcnt lgkmcnt(0)
	s_barrier
	v_add_f64 v[4:5], v[8:9], v[4:5]
	ds_bpermute_b32 v8, v56, v4
	v_add_f64 v[6:7], v[6:7], v[22:23]
	ds_bpermute_b32 v9, v56, v5
	ds_bpermute_b32 v22, v56, v6
	;; [unrolled: 1-line block ×3, first 2 shown]
	s_waitcnt lgkmcnt(0)
	v_add_f64 v[4:5], v[4:5], v[8:9]
	ds_bpermute_b32 v8, v57, v4
	v_add_f64 v[6:7], v[6:7], v[22:23]
	ds_bpermute_b32 v9, v57, v5
	ds_bpermute_b32 v22, v57, v6
	;; [unrolled: 1-line block ×3, first 2 shown]
	s_waitcnt lgkmcnt(2)
	v_add_f64 v[4:5], v[4:5], v[8:9]
	ds_bpermute_b32 v8, v58, v4
	s_waitcnt lgkmcnt(1)
	v_add_f64 v[6:7], v[6:7], v[22:23]
	ds_bpermute_b32 v9, v58, v5
	ds_bpermute_b32 v22, v58, v6
	;; [unrolled: 1-line block ×3, first 2 shown]
	s_waitcnt lgkmcnt(2)
	v_add_f64 v[4:5], v[4:5], v[8:9]
	ds_bpermute_b32 v8, v59, v4
	s_waitcnt lgkmcnt(1)
	v_add_f64 v[6:7], v[6:7], v[22:23]
	ds_bpermute_b32 v9, v59, v5
	ds_bpermute_b32 v22, v59, v6
	;; [unrolled: 1-line block ×3, first 2 shown]
	s_waitcnt lgkmcnt(2)
	v_add_f64 v[4:5], v[4:5], v[8:9]
	s_waitcnt lgkmcnt(0)
	v_add_f64 v[8:9], v[6:7], v[22:23]
	ds_bpermute_b32 v6, v60, v4
	ds_bpermute_b32 v7, v60, v5
	;; [unrolled: 1-line block ×4, first 2 shown]
	s_and_saveexec_b64 s[50:51], s[10:11]
	s_cbranch_execz .LBB181_15
; %bb.14:                               ;   in Loop: Header=BB181_9 Depth=1
	s_waitcnt lgkmcnt(0)
	v_add_f64 v[8:9], v[8:9], v[22:23]
	v_add_f64 v[6:7], v[4:5], v[6:7]
	ds_write_b128 v62, v[6:9]
.LBB181_15:                             ;   in Loop: Header=BB181_9 Depth=1
	s_or_b64 exec, exec, s[50:51]
	v_mov_b64_e32 v[8:9], 0
	s_waitcnt lgkmcnt(2)
	v_mov_b64_e32 v[6:7], v[8:9]
	s_waitcnt lgkmcnt(0)
	s_barrier
	s_and_saveexec_b64 s[50:51], s[4:5]
	s_cbranch_execnz .LBB181_44
; %bb.16:                               ;   in Loop: Header=BB181_9 Depth=1
	s_or_b64 exec, exec, s[50:51]
	s_and_saveexec_b64 s[50:51], s[0:1]
	s_cbranch_execnz .LBB181_45
.LBB181_17:                             ;   in Loop: Header=BB181_9 Depth=1
	s_or_b64 exec, exec, s[50:51]
	s_and_saveexec_b64 s[50:51], s[0:1]
	s_cbranch_execz .LBB181_19
.LBB181_18:                             ;   in Loop: Header=BB181_9 Depth=1
	v_mov_b32_e32 v3, v2
	v_mov_b32_e32 v4, v2
	;; [unrolled: 1-line block ×3, first 2 shown]
	ds_write_b128 v61, v[2:5]
.LBB181_19:                             ;   in Loop: Header=BB181_9 Depth=1
	s_or_b64 exec, exec, s[50:51]
	ds_bpermute_b32 v4, v55, v10
	ds_bpermute_b32 v5, v55, v11
	;; [unrolled: 1-line block ×4, first 2 shown]
	s_waitcnt lgkmcnt(0)
	s_barrier
	v_add_f64 v[4:5], v[10:11], v[4:5]
	v_add_f64 v[10:11], v[12:13], v[22:23]
	ds_bpermute_b32 v12, v56, v4
	ds_bpermute_b32 v13, v56, v5
	;; [unrolled: 1-line block ×4, first 2 shown]
	s_waitcnt lgkmcnt(2)
	v_add_f64 v[4:5], v[4:5], v[12:13]
	ds_bpermute_b32 v12, v57, v4
	s_waitcnt lgkmcnt(1)
	v_add_f64 v[10:11], v[10:11], v[22:23]
	ds_bpermute_b32 v13, v57, v5
	ds_bpermute_b32 v22, v57, v10
	ds_bpermute_b32 v23, v57, v11
	s_waitcnt lgkmcnt(2)
	v_add_f64 v[4:5], v[4:5], v[12:13]
	ds_bpermute_b32 v12, v58, v4
	s_waitcnt lgkmcnt(1)
	v_add_f64 v[10:11], v[10:11], v[22:23]
	ds_bpermute_b32 v13, v58, v5
	ds_bpermute_b32 v22, v58, v10
	ds_bpermute_b32 v23, v58, v11
	s_waitcnt lgkmcnt(2)
	v_add_f64 v[4:5], v[4:5], v[12:13]
	ds_bpermute_b32 v12, v59, v4
	s_waitcnt lgkmcnt(1)
	v_add_f64 v[10:11], v[10:11], v[22:23]
	ds_bpermute_b32 v13, v59, v5
	ds_bpermute_b32 v22, v59, v10
	ds_bpermute_b32 v23, v59, v11
	s_waitcnt lgkmcnt(2)
	v_add_f64 v[4:5], v[4:5], v[12:13]
	s_waitcnt lgkmcnt(0)
	v_add_f64 v[12:13], v[10:11], v[22:23]
	ds_bpermute_b32 v10, v60, v4
	ds_bpermute_b32 v11, v60, v5
	;; [unrolled: 1-line block ×4, first 2 shown]
	s_and_saveexec_b64 s[50:51], s[10:11]
	s_cbranch_execz .LBB181_21
; %bb.20:                               ;   in Loop: Header=BB181_9 Depth=1
	s_waitcnt lgkmcnt(0)
	v_add_f64 v[12:13], v[12:13], v[22:23]
	v_add_f64 v[10:11], v[4:5], v[10:11]
	ds_write_b128 v62, v[10:13]
.LBB181_21:                             ;   in Loop: Header=BB181_9 Depth=1
	s_or_b64 exec, exec, s[50:51]
	v_mov_b64_e32 v[12:13], 0
	s_waitcnt lgkmcnt(2)
	v_mov_b64_e32 v[10:11], v[12:13]
	s_waitcnt lgkmcnt(0)
	s_barrier
	s_and_saveexec_b64 s[50:51], s[4:5]
	s_cbranch_execnz .LBB181_46
; %bb.22:                               ;   in Loop: Header=BB181_9 Depth=1
	s_or_b64 exec, exec, s[50:51]
	s_and_saveexec_b64 s[50:51], s[0:1]
	s_cbranch_execnz .LBB181_47
.LBB181_23:                             ;   in Loop: Header=BB181_9 Depth=1
	s_or_b64 exec, exec, s[50:51]
	s_and_saveexec_b64 s[50:51], s[0:1]
	s_cbranch_execz .LBB181_25
.LBB181_24:                             ;   in Loop: Header=BB181_9 Depth=1
	v_mov_b32_e32 v3, v2
	v_mov_b32_e32 v4, v2
	;; [unrolled: 1-line block ×3, first 2 shown]
	ds_write_b128 v61, v[2:5]
.LBB181_25:                             ;   in Loop: Header=BB181_9 Depth=1
	s_or_b64 exec, exec, s[50:51]
	ds_bpermute_b32 v4, v55, v14
	ds_bpermute_b32 v5, v55, v15
	;; [unrolled: 1-line block ×4, first 2 shown]
	s_waitcnt lgkmcnt(0)
	s_barrier
	v_add_f64 v[4:5], v[14:15], v[4:5]
	v_add_f64 v[14:15], v[16:17], v[22:23]
	ds_bpermute_b32 v16, v56, v4
	ds_bpermute_b32 v17, v56, v5
	;; [unrolled: 1-line block ×4, first 2 shown]
	s_waitcnt lgkmcnt(2)
	v_add_f64 v[4:5], v[4:5], v[16:17]
	ds_bpermute_b32 v16, v57, v4
	s_waitcnt lgkmcnt(1)
	v_add_f64 v[14:15], v[14:15], v[22:23]
	ds_bpermute_b32 v17, v57, v5
	ds_bpermute_b32 v22, v57, v14
	ds_bpermute_b32 v23, v57, v15
	s_waitcnt lgkmcnt(2)
	v_add_f64 v[4:5], v[4:5], v[16:17]
	ds_bpermute_b32 v16, v58, v4
	s_waitcnt lgkmcnt(1)
	v_add_f64 v[14:15], v[14:15], v[22:23]
	ds_bpermute_b32 v17, v58, v5
	ds_bpermute_b32 v22, v58, v14
	ds_bpermute_b32 v23, v58, v15
	;; [unrolled: 8-line block ×3, first 2 shown]
	s_waitcnt lgkmcnt(2)
	v_add_f64 v[4:5], v[4:5], v[16:17]
	s_waitcnt lgkmcnt(0)
	v_add_f64 v[16:17], v[14:15], v[22:23]
	ds_bpermute_b32 v14, v60, v4
	ds_bpermute_b32 v15, v60, v5
	;; [unrolled: 1-line block ×4, first 2 shown]
	s_and_saveexec_b64 s[50:51], s[10:11]
	s_cbranch_execz .LBB181_27
; %bb.26:                               ;   in Loop: Header=BB181_9 Depth=1
	s_waitcnt lgkmcnt(0)
	v_add_f64 v[16:17], v[16:17], v[22:23]
	v_add_f64 v[14:15], v[4:5], v[14:15]
	ds_write_b128 v62, v[14:17]
.LBB181_27:                             ;   in Loop: Header=BB181_9 Depth=1
	s_or_b64 exec, exec, s[50:51]
	v_mov_b64_e32 v[16:17], 0
	s_waitcnt lgkmcnt(2)
	v_mov_b64_e32 v[14:15], v[16:17]
	s_waitcnt lgkmcnt(0)
	s_barrier
	s_and_saveexec_b64 s[50:51], s[4:5]
	s_cbranch_execnz .LBB181_48
; %bb.28:                               ;   in Loop: Header=BB181_9 Depth=1
	s_or_b64 exec, exec, s[50:51]
	s_and_saveexec_b64 s[50:51], s[0:1]
	s_cbranch_execnz .LBB181_49
.LBB181_29:                             ;   in Loop: Header=BB181_9 Depth=1
	s_or_b64 exec, exec, s[50:51]
	s_and_saveexec_b64 s[50:51], s[0:1]
	s_cbranch_execz .LBB181_31
.LBB181_30:                             ;   in Loop: Header=BB181_9 Depth=1
	v_mov_b32_e32 v3, v2
	v_mov_b32_e32 v4, v2
	v_mov_b32_e32 v5, v2
	ds_write_b128 v61, v[2:5]
.LBB181_31:                             ;   in Loop: Header=BB181_9 Depth=1
	s_or_b64 exec, exec, s[50:51]
	ds_bpermute_b32 v4, v55, v18
	ds_bpermute_b32 v5, v55, v19
	;; [unrolled: 1-line block ×4, first 2 shown]
	s_waitcnt lgkmcnt(0)
	s_barrier
	v_add_f64 v[4:5], v[18:19], v[4:5]
	v_add_f64 v[18:19], v[20:21], v[22:23]
	ds_bpermute_b32 v20, v56, v4
	ds_bpermute_b32 v21, v56, v5
	;; [unrolled: 1-line block ×4, first 2 shown]
	s_waitcnt lgkmcnt(2)
	v_add_f64 v[4:5], v[4:5], v[20:21]
	ds_bpermute_b32 v20, v57, v4
	s_waitcnt lgkmcnt(1)
	v_add_f64 v[18:19], v[18:19], v[22:23]
	ds_bpermute_b32 v21, v57, v5
	ds_bpermute_b32 v22, v57, v18
	ds_bpermute_b32 v23, v57, v19
	s_waitcnt lgkmcnt(2)
	v_add_f64 v[4:5], v[4:5], v[20:21]
	ds_bpermute_b32 v20, v58, v4
	s_waitcnt lgkmcnt(1)
	v_add_f64 v[18:19], v[18:19], v[22:23]
	ds_bpermute_b32 v21, v58, v5
	ds_bpermute_b32 v22, v58, v18
	ds_bpermute_b32 v23, v58, v19
	;; [unrolled: 8-line block ×3, first 2 shown]
	s_waitcnt lgkmcnt(2)
	v_add_f64 v[4:5], v[4:5], v[20:21]
	s_waitcnt lgkmcnt(0)
	v_add_f64 v[20:21], v[18:19], v[22:23]
	ds_bpermute_b32 v18, v60, v4
	ds_bpermute_b32 v19, v60, v5
	ds_bpermute_b32 v22, v60, v20
	ds_bpermute_b32 v23, v60, v21
	s_and_saveexec_b64 s[50:51], s[10:11]
	s_cbranch_execz .LBB181_33
; %bb.32:                               ;   in Loop: Header=BB181_9 Depth=1
	s_waitcnt lgkmcnt(0)
	v_add_f64 v[20:21], v[20:21], v[22:23]
	v_add_f64 v[18:19], v[4:5], v[18:19]
	ds_write_b128 v62, v[18:21]
.LBB181_33:                             ;   in Loop: Header=BB181_9 Depth=1
	s_or_b64 exec, exec, s[50:51]
	v_mov_b64_e32 v[20:21], 0
	s_waitcnt lgkmcnt(2)
	v_mov_b64_e32 v[18:19], v[20:21]
	s_waitcnt lgkmcnt(0)
	s_barrier
	s_and_saveexec_b64 s[50:51], s[4:5]
	s_cbranch_execnz .LBB181_50
; %bb.34:                               ;   in Loop: Header=BB181_9 Depth=1
	s_or_b64 exec, exec, s[50:51]
	s_and_saveexec_b64 s[50:51], s[0:1]
	s_cbranch_execnz .LBB181_51
.LBB181_35:                             ;   in Loop: Header=BB181_9 Depth=1
	s_or_b64 exec, exec, s[50:51]
	s_and_saveexec_b64 s[50:51], s[12:13]
	s_cbranch_execz .LBB181_8
	s_branch .LBB181_52
.LBB181_36:                             ;   in Loop: Header=BB181_9 Depth=1
	global_load_dwordx4 v[4:7], v[30:31], off
	global_load_dwordx4 v[66:69], v[32:33], off
	s_mul_i32 s53, s3, s29
	s_mul_hi_u32 s58, s3, s28
	s_or_b32 s59, s3, 1
	s_mul_i32 s52, s3, s28
	s_or_b32 s60, s3, 2
	s_add_i32 s53, s58, s53
	s_mul_i32 s61, s59, s29
	s_mul_hi_u32 s63, s59, s28
	s_mul_i32 s58, s59, s28
	s_mul_i32 s64, s60, s29
	s_mul_hi_u32 s65, s60, s28
	v_lshl_add_u64 v[44:45], s[52:53], 4, v[24:25]
	s_add_i32 s59, s63, s61
	s_mul_i32 s60, s60, s28
	global_load_dwordx4 v[8:11], v[44:45], off offset:16
	v_lshl_add_u64 v[46:47], s[58:59], 4, v[24:25]
	s_add_i32 s61, s65, s64
	s_or_b32 s62, s3, 3
	global_load_dwordx4 v[12:15], v[46:47], off offset:16
	v_lshl_add_u64 v[40:41], s[60:61], 4, v[24:25]
	s_waitcnt lgkmcnt(0)
	global_load_dwordx4 v[16:19], v[40:41], off offset:16
	s_mul_i32 s53, s62, s29
	s_mul_hi_u32 s58, s62, s28
	s_mul_i32 s52, s62, s28
	s_add_i32 s53, s58, s53
	v_lshl_add_u64 v[42:43], s[52:53], 4, v[24:25]
	s_waitcnt vmcnt(4)
	scratch_store_dwordx4 v63, v[4:7], off
	scratch_load_dwordx4 v[4:7], off, off offset:16
	s_nop 0
	global_load_dwordx4 v[20:23], v[42:43], off offset:16
	global_load_dwordx4 v[70:73], v[34:35], off
	global_load_dwordx4 v[74:77], v[44:45], off offset:32
	s_waitcnt vmcnt(3)
	v_mul_f64 v[106:107], v[6:7], v[10:11]
	scratch_store_dwordx4 v64, v[66:69], off
	scratch_load_dwordx4 v[66:69], off, off offset:32
	s_nop 0
	global_load_dwordx4 v[78:81], v[46:47], off offset:32
	global_load_dwordx4 v[82:85], v[28:29], off
	global_load_dwordx4 v[86:89], v[40:41], off offset:32
	global_load_dwordx4 v[90:93], v[44:45], off
	global_load_dwordx4 v[94:97], v[46:47], off
	;; [unrolled: 1-line block ×3, first 2 shown]
	global_load_dwordx4 v[102:105], v[42:43], off offset:32
	v_mul_f64 v[10:11], v[4:5], v[10:11]
	v_fmac_f64_e32 v[106:107], v[4:5], v[8:9]
	v_fma_f64 v[108:109], v[6:7], v[8:9], -v[10:11]
	v_mul_f64 v[8:9], v[4:5], v[14:15]
	v_fma_f64 v[112:113], v[6:7], v[12:13], -v[8:9]
	v_mul_f64 v[8:9], v[4:5], v[18:19]
	v_mul_f64 v[110:111], v[6:7], v[14:15]
	;; [unrolled: 1-line block ×3, first 2 shown]
	v_fma_f64 v[116:117], v[6:7], v[16:17], -v[8:9]
	s_waitcnt vmcnt(11)
	v_mul_f64 v[118:119], v[6:7], v[22:23]
	v_mul_f64 v[8:9], v[4:5], v[22:23]
	v_fmac_f64_e32 v[110:111], v[4:5], v[12:13]
	v_fmac_f64_e32 v[114:115], v[4:5], v[16:17]
	;; [unrolled: 1-line block ×3, first 2 shown]
	v_fma_f64 v[120:121], v[6:7], v[20:21], -v[8:9]
	global_load_dwordx4 v[4:7], v[42:43], off
	global_load_dwordx4 v[8:11], v[44:45], off offset:48
	global_load_dwordx4 v[12:15], v[46:47], off offset:48
	s_waitcnt vmcnt(10)
	v_mul_f64 v[16:17], v[66:67], v[76:77]
	v_fma_f64 v[46:47], v[68:69], v[74:75], -v[16:17]
	s_waitcnt vmcnt(9)
	v_mul_f64 v[16:17], v[66:67], v[80:81]
	scratch_store_dwordx4 v65, v[70:73], off
	v_mul_f64 v[44:45], v[68:69], v[76:77]
	v_fmac_f64_e32 v[44:45], v[66:67], v[74:75]
	v_mul_f64 v[70:71], v[68:69], v[80:81]
	v_fma_f64 v[72:73], v[68:69], v[78:79], -v[16:17]
	s_waitcnt vmcnt(8)
	v_mul_f64 v[16:17], v[66:67], v[88:89]
	v_fmac_f64_e32 v[70:71], v[66:67], v[78:79]
	v_mul_f64 v[74:75], v[68:69], v[88:89]
	v_fma_f64 v[76:77], v[68:69], v[86:87], -v[16:17]
	s_waitcnt vmcnt(4)
	v_mul_f64 v[78:79], v[68:69], v[104:105]
	v_mul_f64 v[16:17], v[66:67], v[104:105]
	;; [unrolled: 1-line block ×3, first 2 shown]
	v_fmac_f64_e32 v[74:75], v[66:67], v[86:87]
	v_fmac_f64_e32 v[78:79], v[66:67], v[102:103]
	v_fma_f64 v[66:67], v[68:69], v[102:103], -v[16:17]
	scratch_load_dwordx4 v[16:19], off, off offset:48
	v_fma_f64 v[80:81], v[84:85], v[90:91], -v[20:21]
	v_mul_f64 v[86:87], v[84:85], v[96:97]
	v_mul_f64 v[20:21], v[82:83], v[96:97]
	v_fmac_f64_e32 v[86:87], v[82:83], v[94:95]
	v_fma_f64 v[88:89], v[84:85], v[94:95], -v[20:21]
	v_mul_f64 v[20:21], v[82:83], v[100:101]
	s_waitcnt vmcnt(4)
	v_mul_f64 v[94:95], v[84:85], v[6:7]
	v_mul_f64 v[6:7], v[82:83], v[6:7]
	;; [unrolled: 1-line block ×3, first 2 shown]
	v_fma_f64 v[92:93], v[84:85], v[98:99], -v[20:21]
	v_fmac_f64_e32 v[94:95], v[82:83], v[4:5]
	v_fma_f64 v[96:97], v[84:85], v[4:5], -v[6:7]
	global_load_dwordx4 v[4:7], v[40:41], off offset:48
	global_load_dwordx4 v[20:23], v[42:43], off offset:48
	v_fmac_f64_e32 v[68:69], v[82:83], v[90:91]
	v_mul_f64 v[90:91], v[84:85], v[100:101]
	v_fmac_f64_e32 v[90:91], v[82:83], v[98:99]
	scratch_store_dwordx4 off, v[82:85], off
	v_add_f64 v[40:41], v[68:69], 0
	v_add_f64 v[42:43], v[80:81], 0
	;; [unrolled: 1-line block ×8, first 2 shown]
	s_waitcnt vmcnt(3)
	v_mul_f64 v[90:91], v[18:19], v[10:11]
	v_mul_f64 v[10:11], v[16:17], v[10:11]
	v_fmac_f64_e32 v[90:91], v[16:17], v[8:9]
	v_fma_f64 v[10:11], v[18:19], v[8:9], -v[10:11]
	v_mul_f64 v[92:93], v[18:19], v[14:15]
	v_mul_f64 v[8:9], v[16:17], v[14:15]
	v_fmac_f64_e32 v[92:93], v[16:17], v[12:13]
	v_fma_f64 v[12:13], v[18:19], v[12:13], -v[8:9]
	v_add_f64 v[8:9], v[42:43], v[108:109]
	v_add_f64 v[42:43], v[86:87], v[118:119]
	;; [unrolled: 1-line block ×3, first 2 shown]
	s_waitcnt vmcnt(2)
	v_mul_f64 v[14:15], v[18:19], v[6:7]
	v_mul_f64 v[6:7], v[16:17], v[6:7]
	v_fmac_f64_e32 v[14:15], v[16:17], v[4:5]
	v_fma_f64 v[4:5], v[18:19], v[4:5], -v[6:7]
	s_waitcnt vmcnt(1)
	v_mul_f64 v[94:95], v[18:19], v[22:23]
	v_mul_f64 v[6:7], v[16:17], v[22:23]
	v_fmac_f64_e32 v[94:95], v[16:17], v[20:21]
	v_fma_f64 v[20:21], v[18:19], v[20:21], -v[6:7]
	v_add_f64 v[6:7], v[40:41], v[106:107]
	v_add_f64 v[16:17], v[68:69], v[110:111]
	;; [unrolled: 1-line block ×21, first 2 shown]
	s_andn2_saveexec_b64 s[50:51], s[50:51]
	s_cbranch_execz .LBB181_11
.LBB181_37:                             ;   in Loop: Header=BB181_9 Depth=1
	s_waitcnt lgkmcnt(0)
	v_mov_b64_e32 v[18:19], 0
	v_mov_b64_e32 v[20:21], v[18:19]
	v_mov_b64_e32 v[14:15], v[18:19]
	v_mov_b64_e32 v[16:17], v[18:19]
	v_mov_b64_e32 v[10:11], v[18:19]
	v_mov_b64_e32 v[12:13], v[18:19]
	v_mov_b64_e32 v[8:9], v[18:19]
	v_mov_b64_e32 v[6:7], v[18:19]
	s_and_saveexec_b64 s[52:53], s[8:9]
	s_cbranch_execz .LBB181_43
; %bb.38:                               ;   in Loop: Header=BB181_9 Depth=1
	v_mov_b64_e32 v[18:19], 0
	s_andn2_b64 vcc, exec, s[42:43]
	v_mov_b64_e32 v[20:21], v[18:19]
	v_mov_b64_e32 v[14:15], v[18:19]
	;; [unrolled: 1-line block ×7, first 2 shown]
	s_cbranch_vccnz .LBB181_43
; %bb.39:                               ;   in Loop: Header=BB181_9 Depth=1
	v_mov_b32_e32 v3, 0
	v_mov_b64_e32 v[4:5], v[36:37]
	s_mov_b32 s58, s27
.LBB181_40:                             ;   Parent Loop BB181_9 Depth=1
                                        ; =>  This Inner Loop Header: Depth=2
	global_load_dwordx4 v[6:9], v[4:5], off
	s_add_i32 s58, s58, -1
	v_lshl_add_u64 v[4:5], v[4:5], 0, s[44:45]
	s_cmp_eq_u32 s58, 0
	s_waitcnt vmcnt(0)
	scratch_store_dwordx4 v3, v[6:9], off
	v_add_u32_e32 v3, 16, v3
	s_cbranch_scc0 .LBB181_40
; %bb.41:                               ;   in Loop: Header=BB181_9 Depth=1
	v_mov_b64_e32 v[6:7], 0
	v_mov_b32_e32 v3, 0
	v_mov_b64_e32 v[4:5], v[38:39]
	s_mov_b32 s58, s27
	v_mov_b64_e32 v[8:9], v[6:7]
	v_mov_b64_e32 v[12:13], v[6:7]
	;; [unrolled: 1-line block ×7, first 2 shown]
.LBB181_42:                             ;   Parent Loop BB181_9 Depth=1
                                        ; =>  This Inner Loop Header: Depth=2
	scratch_load_dwordx4 v[40:43], v3, off
	global_load_dwordx4 v[44:47], v[4:5], off
	v_lshl_add_u64 v[22:23], v[4:5], 0, s[48:49]
	global_load_dwordx4 v[66:69], v[22:23], off
	v_lshl_add_u64 v[22:23], v[22:23], 0, s[48:49]
	;; [unrolled: 2-line block ×3, first 2 shown]
	global_load_dwordx4 v[74:77], v[22:23], off
	s_add_i32 s58, s58, -1
	v_add_u32_e32 v3, 16, v3
	s_cmp_lg_u32 s58, 0
	v_lshl_add_u64 v[4:5], v[4:5], 0, 16
	s_waitcnt vmcnt(3)
	v_mul_f64 v[22:23], v[42:43], v[46:47]
	v_mul_f64 v[46:47], v[40:41], v[46:47]
	v_fmac_f64_e32 v[22:23], v[40:41], v[44:45]
	v_fma_f64 v[44:45], v[42:43], v[44:45], -v[46:47]
	s_waitcnt vmcnt(2)
	v_mul_f64 v[46:47], v[42:43], v[68:69]
	v_mul_f64 v[68:69], v[40:41], v[68:69]
	v_add_f64 v[8:9], v[8:9], v[22:23]
	v_fmac_f64_e32 v[46:47], v[40:41], v[66:67]
	v_fma_f64 v[22:23], v[42:43], v[66:67], -v[68:69]
	s_waitcnt vmcnt(1)
	v_mul_f64 v[66:67], v[40:41], v[72:73]
	v_add_f64 v[6:7], v[6:7], v[44:45]
	v_mul_f64 v[44:45], v[42:43], v[72:73]
	v_add_f64 v[10:11], v[10:11], v[46:47]
	v_add_f64 v[12:13], v[12:13], v[22:23]
	v_fma_f64 v[22:23], v[42:43], v[70:71], -v[66:67]
	s_waitcnt vmcnt(0)
	v_mul_f64 v[46:47], v[42:43], v[76:77]
	v_mul_f64 v[66:67], v[40:41], v[76:77]
	v_fmac_f64_e32 v[44:45], v[40:41], v[70:71]
	v_add_f64 v[16:17], v[16:17], v[22:23]
	v_fmac_f64_e32 v[46:47], v[40:41], v[74:75]
	v_fma_f64 v[22:23], v[42:43], v[74:75], -v[66:67]
	v_add_f64 v[14:15], v[14:15], v[44:45]
	v_add_f64 v[18:19], v[18:19], v[46:47]
	;; [unrolled: 1-line block ×3, first 2 shown]
	s_cbranch_scc1 .LBB181_42
.LBB181_43:                             ;   in Loop: Header=BB181_9 Depth=1
	s_or_b64 exec, exec, s[52:53]
	s_or_b64 exec, exec, s[50:51]
	s_and_saveexec_b64 s[50:51], s[0:1]
	s_cbranch_execnz .LBB181_12
	s_branch .LBB181_13
.LBB181_44:                             ;   in Loop: Header=BB181_9 Depth=1
	ds_read_b128 v[6:9], v61
	s_or_b64 exec, exec, s[50:51]
	s_and_saveexec_b64 s[50:51], s[0:1]
	s_cbranch_execz .LBB181_17
.LBB181_45:                             ;   in Loop: Header=BB181_9 Depth=1
	s_waitcnt lgkmcnt(0)
	ds_bpermute_b32 v4, v59, v6
	ds_bpermute_b32 v5, v59, v7
	;; [unrolled: 1-line block ×4, first 2 shown]
	s_waitcnt lgkmcnt(2)
	v_add_f64 v[4:5], v[6:7], v[4:5]
	ds_bpermute_b32 v6, v60, v4
	s_waitcnt lgkmcnt(1)
	v_add_f64 v[8:9], v[8:9], v[22:23]
	ds_bpermute_b32 v7, v60, v5
	ds_bpermute_b32 v22, v60, v8
	;; [unrolled: 1-line block ×3, first 2 shown]
	s_waitcnt lgkmcnt(2)
	v_add_f64 v[6:7], v[4:5], v[6:7]
	s_waitcnt lgkmcnt(0)
	v_add_f64 v[8:9], v[8:9], v[22:23]
	s_or_b64 exec, exec, s[50:51]
	s_and_saveexec_b64 s[50:51], s[0:1]
	s_cbranch_execnz .LBB181_18
	s_branch .LBB181_19
.LBB181_46:                             ;   in Loop: Header=BB181_9 Depth=1
	ds_read_b128 v[10:13], v61
	s_or_b64 exec, exec, s[50:51]
	s_and_saveexec_b64 s[50:51], s[0:1]
	s_cbranch_execz .LBB181_23
.LBB181_47:                             ;   in Loop: Header=BB181_9 Depth=1
	s_waitcnt lgkmcnt(0)
	ds_bpermute_b32 v4, v59, v10
	ds_bpermute_b32 v5, v59, v11
	ds_bpermute_b32 v22, v59, v12
	ds_bpermute_b32 v23, v59, v13
	s_waitcnt lgkmcnt(2)
	v_add_f64 v[4:5], v[10:11], v[4:5]
	ds_bpermute_b32 v10, v60, v4
	s_waitcnt lgkmcnt(1)
	v_add_f64 v[12:13], v[12:13], v[22:23]
	ds_bpermute_b32 v11, v60, v5
	ds_bpermute_b32 v22, v60, v12
	;; [unrolled: 1-line block ×3, first 2 shown]
	s_waitcnt lgkmcnt(2)
	v_add_f64 v[10:11], v[4:5], v[10:11]
	s_waitcnt lgkmcnt(0)
	v_add_f64 v[12:13], v[12:13], v[22:23]
	s_or_b64 exec, exec, s[50:51]
	s_and_saveexec_b64 s[50:51], s[0:1]
	s_cbranch_execnz .LBB181_24
	s_branch .LBB181_25
.LBB181_48:                             ;   in Loop: Header=BB181_9 Depth=1
	ds_read_b128 v[14:17], v61
	s_or_b64 exec, exec, s[50:51]
	s_and_saveexec_b64 s[50:51], s[0:1]
	s_cbranch_execz .LBB181_29
.LBB181_49:                             ;   in Loop: Header=BB181_9 Depth=1
	s_waitcnt lgkmcnt(0)
	ds_bpermute_b32 v4, v59, v14
	ds_bpermute_b32 v5, v59, v15
	;; [unrolled: 1-line block ×4, first 2 shown]
	s_waitcnt lgkmcnt(2)
	v_add_f64 v[4:5], v[14:15], v[4:5]
	ds_bpermute_b32 v14, v60, v4
	s_waitcnt lgkmcnt(1)
	v_add_f64 v[16:17], v[16:17], v[22:23]
	ds_bpermute_b32 v15, v60, v5
	ds_bpermute_b32 v22, v60, v16
	;; [unrolled: 1-line block ×3, first 2 shown]
	s_waitcnt lgkmcnt(2)
	v_add_f64 v[14:15], v[4:5], v[14:15]
	s_waitcnt lgkmcnt(0)
	v_add_f64 v[16:17], v[16:17], v[22:23]
	s_or_b64 exec, exec, s[50:51]
	s_and_saveexec_b64 s[50:51], s[0:1]
	s_cbranch_execnz .LBB181_30
	s_branch .LBB181_31
.LBB181_50:                             ;   in Loop: Header=BB181_9 Depth=1
	ds_read_b128 v[18:21], v61
	s_or_b64 exec, exec, s[50:51]
	s_and_saveexec_b64 s[50:51], s[0:1]
	s_cbranch_execz .LBB181_35
.LBB181_51:                             ;   in Loop: Header=BB181_9 Depth=1
	s_waitcnt lgkmcnt(0)
	ds_bpermute_b32 v4, v59, v18
	ds_bpermute_b32 v5, v59, v19
	ds_bpermute_b32 v22, v59, v20
	ds_bpermute_b32 v23, v59, v21
	s_waitcnt lgkmcnt(2)
	v_add_f64 v[4:5], v[18:19], v[4:5]
	ds_bpermute_b32 v18, v60, v4
	s_waitcnt lgkmcnt(1)
	v_add_f64 v[20:21], v[20:21], v[22:23]
	ds_bpermute_b32 v19, v60, v5
	ds_bpermute_b32 v22, v60, v20
	;; [unrolled: 1-line block ×3, first 2 shown]
	s_waitcnt lgkmcnt(2)
	v_add_f64 v[18:19], v[4:5], v[18:19]
	s_waitcnt lgkmcnt(0)
	v_add_f64 v[20:21], v[20:21], v[22:23]
	s_or_b64 exec, exec, s[50:51]
	s_and_saveexec_b64 s[50:51], s[12:13]
	s_cbranch_execz .LBB181_8
.LBB181_52:                             ;   in Loop: Header=BB181_9 Depth=1
	s_mul_hi_u32 s53, s3, s26
	s_mul_i32 s52, s3, s26
	s_lshl_b64 s[52:53], s[52:53], 4
	v_mul_f64 v[4:5], s[22:23], v[8:9]
	v_mul_f64 v[42:43], s[20:21], v[8:9]
	s_add_u32 s52, s56, s52
	v_fma_f64 v[40:41], s[20:21], v[6:7], -v[4:5]
	v_fmac_f64_e32 v[42:43], s[22:23], v[6:7]
	s_addc_u32 s53, s57, s53
	global_store_dwordx4 v2, v[40:43], s[52:53]
	s_or_b32 s52, s3, 1
	s_mul_hi_u32 s53, s52, s26
	s_mul_i32 s52, s52, s26
	s_lshl_b64 s[52:53], s[52:53], 4
	v_mul_f64 v[4:5], s[22:23], v[12:13]
	v_mul_f64 v[6:7], s[20:21], v[12:13]
	s_add_u32 s52, s56, s52
	v_fma_f64 v[4:5], s[20:21], v[10:11], -v[4:5]
	v_fmac_f64_e32 v[6:7], s[22:23], v[10:11]
	s_addc_u32 s53, s57, s53
	global_store_dwordx4 v2, v[4:7], s[52:53]
	s_or_b32 s52, s3, 2
	;; [unrolled: 11-line block ×3, first 2 shown]
	s_mul_hi_u32 s53, s52, s26
	s_mul_i32 s52, s52, s26
	s_lshl_b64 s[52:53], s[52:53], 4
	s_waitcnt lgkmcnt(0)
	v_mul_f64 v[4:5], s[22:23], v[20:21]
	v_mul_f64 v[6:7], s[20:21], v[20:21]
	s_add_u32 s52, s56, s52
	v_fma_f64 v[4:5], s[20:21], v[18:19], -v[4:5]
	v_fmac_f64_e32 v[6:7], s[22:23], v[18:19]
	s_addc_u32 s53, s57, s53
	global_store_dwordx4 v2, v[4:7], s[52:53]
	s_branch .LBB181_8
.LBB181_53:
	s_mov_b32 s3, 0
.LBB181_54:
	s_cmp_ge_i32 s3, s25
	s_cbranch_scc1 .LBB181_76
; %bb.55:
	v_mbcnt_hi_u32_b32 v2, -1, v52
	v_and_b32_e32 v3, 63, v2
	v_cmp_gt_u32_e64 s[4:5], 32, v3
	s_mov_b32 s13, 0
	s_cmp_gt_i32 s27, 0
	v_cndmask_b32_e64 v4, 0, 1, s[4:5]
	v_lshlrev_b32_e32 v4, 5, v4
	v_cmp_gt_u32_e64 s[4:5], 48, v3
	v_add_lshl_u32 v23, v4, v2, 2
	s_mov_b32 s12, s2
	v_cndmask_b32_e64 v4, 0, 1, s[4:5]
	v_lshlrev_b32_e32 v4, 4, v4
	v_cmp_gt_u32_e64 s[4:5], 56, v3
	v_add_lshl_u32 v28, v4, v2, 2
	s_cselect_b64 s[42:43], -1, 0
	v_cndmask_b32_e64 v4, 0, 1, s[4:5]
	v_lshlrev_b32_e32 v4, 3, v4
	v_cmp_gt_u32_e64 s[4:5], 60, v3
	v_add_lshl_u32 v29, v4, v2, 2
	s_lshl_b64 s[12:13], s[12:13], 4
	v_cndmask_b32_e64 v4, 0, 1, s[4:5]
	v_lshlrev_b32_e32 v4, 2, v4
	v_cmp_gt_u32_e64 s[4:5], 62, v3
	v_add_lshl_u32 v30, v4, v2, 2
	s_add_u32 s2, s33, s12
	v_cndmask_b32_e64 v4, 0, 1, s[4:5]
	v_lshlrev_b32_e32 v4, 1, v4
	v_cmp_ne_u32_e64 s[4:5], 63, v3
	v_cmp_ge_i32_e32 vcc, s24, v53
	v_cmp_ge_i32_e64 s[10:11], s24, v54
	v_add_lshl_u32 v31, v4, v2, 2
	v_addc_co_u32_e64 v2, s[4:5], 0, v2, s[4:5]
	s_addc_u32 s24, s54, s13
	v_mad_i64_i32 v[4:5], s[12:13], s30, v49, 0
	v_cmp_gt_u32_e64 s[0:1], 64, v0
	v_lshlrev_b32_e32 v32, 2, v2
	v_cmp_gt_u32_e64 s[6:7], 4, v0
	v_cmp_eq_u32_e64 s[8:9], 0, v0
	v_mad_i64_i32 v[2:3], s[12:13], s30, v26, 0
	v_lshl_add_u64 v[8:9], v[4:5], 4, s[40:41]
	v_mad_i64_i32 v[4:5], s[12:13], s30, v48, 0
	v_mad_i64_i32 v[0:1], s[12:13], s30, v1, 0
	s_and_b64 s[10:11], s[42:43], s[10:11]
	s_add_u32 s12, s14, s38
	s_addc_u32 s13, s15, s39
	s_add_u32 s12, s12, s34
	s_mul_i32 s14, s29, s3
	s_mul_hi_u32 s15, s28, s3
	v_lshlrev_b64 v[2:3], 4, v[2:3]
	v_mov_b32_e32 v14, 0
	s_addc_u32 s13, s13, s35
	s_add_i32 s15, s15, s14
	s_mul_i32 s14, s28, s3
	v_add_u32_e32 v34, 16, v14
	v_add_u32_e32 v35, 32, v14
	;; [unrolled: 1-line block ×3, first 2 shown]
	v_lshl_add_u64 v[14:15], s[12:13], 0, v[2:3]
	s_lshl_b64 s[12:13], s[30:31], 4
	s_lshl_b64 s[14:15], s[14:15], 4
	s_add_u32 s14, s36, s14
	s_addc_u32 s15, s37, s15
	s_add_u32 s14, s14, s18
	s_addc_u32 s15, s15, s19
	;; [unrolled: 2-line block ×3, first 2 shown]
	v_lshl_add_u64 v[12:13], v[0:1], 4, s[40:41]
	v_lshl_add_u64 v[0:1], v[26:27], 4, s[14:15]
	v_lshlrev_b32_e32 v22, 4, v50
	v_cmp_eq_u32_e64 s[4:5], 0, v50
	v_and_b32_e32 v33, 48, v51
	v_lshl_add_u64 v[6:7], s[40:41], 0, v[2:3]
	v_lshl_add_u64 v[10:11], v[4:5], 4, s[40:41]
	v_lshl_add_u64 v[16:17], v[0:1], 0, 8
	s_lshl_b64 s[14:15], s[28:29], 4
	v_mov_b32_e32 v0, 0
	s_branch .LBB181_57
.LBB181_56:                             ;   in Loop: Header=BB181_57 Depth=1
	s_or_b64 exec, exec, s[16:17]
	s_add_i32 s3, s3, 1
	s_cmp_lt_i32 s3, s25
	v_lshl_add_u64 v[16:17], v[16:17], 0, s[14:15]
	s_cbranch_scc0 .LBB181_76
.LBB181_57:                             ; =>This Loop Header: Depth=1
                                        ;     Child Loop BB181_69 Depth 2
                                        ;     Child Loop BB181_71 Depth 2
                                        ; implicit-def: $vgpr4_vgpr5
                                        ; implicit-def: $vgpr18_vgpr19
	s_and_saveexec_b64 s[16:17], vcc
	s_xor_b64 s[16:17], exec, s[16:17]
	s_cbranch_execnz .LBB181_66
; %bb.58:                               ;   in Loop: Header=BB181_57 Depth=1
	s_andn2_saveexec_b64 s[16:17], s[16:17]
	s_cbranch_execnz .LBB181_67
.LBB181_59:                             ;   in Loop: Header=BB181_57 Depth=1
	s_or_b64 exec, exec, s[16:17]
	s_and_saveexec_b64 s[16:17], s[0:1]
	s_cbranch_execz .LBB181_61
.LBB181_60:                             ;   in Loop: Header=BB181_57 Depth=1
	v_mov_b32_e32 v1, v0
	s_waitcnt lgkmcnt(0)
	v_mov_b32_e32 v2, v0
	v_mov_b32_e32 v3, v0
	ds_write_b128 v22, v[0:3]
.LBB181_61:                             ;   in Loop: Header=BB181_57 Depth=1
	s_or_b64 exec, exec, s[16:17]
	s_waitcnt lgkmcnt(0)
	ds_bpermute_b32 v2, v23, v4
	ds_bpermute_b32 v3, v23, v5
	s_waitcnt lgkmcnt(2)
	ds_bpermute_b32 v20, v23, v18
	ds_bpermute_b32 v21, v23, v19
	s_waitcnt lgkmcnt(0)
	s_barrier
	v_add_f64 v[2:3], v[4:5], v[2:3]
	v_add_f64 v[4:5], v[18:19], v[20:21]
	ds_bpermute_b32 v18, v28, v2
	ds_bpermute_b32 v19, v28, v3
	;; [unrolled: 1-line block ×4, first 2 shown]
	s_waitcnt lgkmcnt(2)
	v_add_f64 v[2:3], v[2:3], v[18:19]
	ds_bpermute_b32 v18, v29, v2
	s_waitcnt lgkmcnt(1)
	v_add_f64 v[4:5], v[4:5], v[20:21]
	ds_bpermute_b32 v19, v29, v3
	ds_bpermute_b32 v20, v29, v4
	ds_bpermute_b32 v21, v29, v5
	s_waitcnt lgkmcnt(2)
	v_add_f64 v[2:3], v[2:3], v[18:19]
	ds_bpermute_b32 v18, v30, v2
	s_waitcnt lgkmcnt(1)
	v_add_f64 v[4:5], v[4:5], v[20:21]
	ds_bpermute_b32 v19, v30, v3
	ds_bpermute_b32 v20, v30, v4
	ds_bpermute_b32 v21, v30, v5
	;; [unrolled: 8-line block ×3, first 2 shown]
	s_waitcnt lgkmcnt(2)
	v_add_f64 v[2:3], v[2:3], v[18:19]
	s_waitcnt lgkmcnt(0)
	v_add_f64 v[18:19], v[4:5], v[20:21]
	ds_bpermute_b32 v4, v32, v2
	ds_bpermute_b32 v5, v32, v3
	;; [unrolled: 1-line block ×4, first 2 shown]
	s_and_saveexec_b64 s[16:17], s[4:5]
	s_cbranch_execz .LBB181_63
; %bb.62:                               ;   in Loop: Header=BB181_57 Depth=1
	s_waitcnt lgkmcnt(0)
	v_add_f64 v[20:21], v[18:19], v[20:21]
	v_add_f64 v[18:19], v[2:3], v[4:5]
	ds_write_b128 v33, v[18:21]
.LBB181_63:                             ;   in Loop: Header=BB181_57 Depth=1
	s_or_b64 exec, exec, s[16:17]
	s_waitcnt lgkmcnt(2)
	v_mov_b64_e32 v[4:5], 0
	v_mov_b64_e32 v[2:3], v[4:5]
	s_waitcnt lgkmcnt(0)
	s_barrier
	s_and_saveexec_b64 s[16:17], s[6:7]
	s_cbranch_execnz .LBB181_73
; %bb.64:                               ;   in Loop: Header=BB181_57 Depth=1
	s_or_b64 exec, exec, s[16:17]
	s_and_saveexec_b64 s[16:17], s[0:1]
	s_cbranch_execnz .LBB181_74
.LBB181_65:                             ;   in Loop: Header=BB181_57 Depth=1
	s_or_b64 exec, exec, s[16:17]
	s_and_saveexec_b64 s[16:17], s[8:9]
	s_cbranch_execz .LBB181_56
	s_branch .LBB181_75
.LBB181_66:                             ;   in Loop: Header=BB181_57 Depth=1
	s_waitcnt lgkmcnt(0)
	global_load_dwordx4 v[2:5], v[8:9], off
	s_waitcnt lgkmcnt(0)
	global_load_dwordx4 v[18:21], v[10:11], off
	global_load_dwordx4 v[38:41], v[12:13], off
	;; [unrolled: 1-line block ×3, first 2 shown]
	s_mul_i32 s19, s3, s29
	s_mul_hi_u32 s30, s3, s28
	s_mul_i32 s18, s3, s28
	s_add_i32 s19, s30, s19
	v_lshl_add_u64 v[26:27], s[18:19], 4, v[24:25]
	global_load_dwordx4 v[46:49], v[26:27], off
	global_load_dwordx4 v[50:53], v[26:27], off offset:16
	global_load_dwordx4 v[54:57], v[26:27], off offset:48
	;; [unrolled: 1-line block ×3, first 2 shown]
	s_waitcnt vmcnt(3)
	v_mul_f64 v[26:27], v[48:49], v[44:45]
	scratch_store_dwordx4 v34, v[2:5], off
	scratch_load_dwordx4 v[2:5], off, off offset:16
	v_mul_f64 v[48:49], v[48:49], v[42:43]
	scratch_store_dwordx4 v35, v[18:21], off
	scratch_load_dwordx4 v[18:21], off, off offset:32
	v_fmac_f64_e32 v[26:27], v[46:47], v[42:43]
	scratch_store_dwordx4 v36, v[38:41], off
	scratch_load_dwordx4 v[38:41], off, off offset:48
	v_add_f64 v[26:27], v[26:27], 0
	scratch_store_dwordx4 off, v[42:45], off
	s_nop 1
	v_fma_f64 v[42:43], v[46:47], v[44:45], -v[48:49]
	v_add_f64 v[42:43], v[42:43], 0
	s_waitcnt vmcnt(5)
	v_mul_f64 v[44:45], v[52:53], v[4:5]
	v_mul_f64 v[46:47], v[52:53], v[2:3]
	v_fmac_f64_e32 v[44:45], v[50:51], v[2:3]
	s_waitcnt vmcnt(3)
	v_mul_f64 v[48:49], v[60:61], v[20:21]
	v_mul_f64 v[52:53], v[60:61], v[18:19]
	v_fma_f64 v[2:3], v[50:51], v[4:5], -v[46:47]
	s_waitcnt vmcnt(1)
	v_mul_f64 v[60:61], v[56:57], v[40:41]
	v_mul_f64 v[56:57], v[56:57], v[38:39]
	v_fmac_f64_e32 v[48:49], v[58:59], v[18:19]
	v_fma_f64 v[4:5], v[58:59], v[20:21], -v[52:53]
	v_add_f64 v[20:21], v[26:27], v[44:45]
	v_add_f64 v[2:3], v[42:43], v[2:3]
	v_fmac_f64_e32 v[60:61], v[54:55], v[38:39]
	v_fma_f64 v[18:19], v[54:55], v[40:41], -v[56:57]
	v_add_f64 v[20:21], v[20:21], v[48:49]
	v_add_f64 v[2:3], v[2:3], v[4:5]
	;; [unrolled: 1-line block ×4, first 2 shown]
	s_andn2_saveexec_b64 s[16:17], s[16:17]
	s_cbranch_execz .LBB181_59
.LBB181_67:                             ;   in Loop: Header=BB181_57 Depth=1
	s_waitcnt lgkmcnt(0)
	v_mov_b64_e32 v[4:5], 0
	s_waitcnt lgkmcnt(0)
	v_mov_b64_e32 v[18:19], v[4:5]
	s_and_saveexec_b64 s[18:19], s[10:11]
	s_cbranch_execz .LBB181_72
; %bb.68:                               ;   in Loop: Header=BB181_57 Depth=1
	v_mov_b32_e32 v1, 0
	v_mov_b64_e32 v[2:3], v[14:15]
	s_mov_b32 s30, s27
.LBB181_69:                             ;   Parent Loop BB181_57 Depth=1
                                        ; =>  This Inner Loop Header: Depth=2
	global_load_dwordx4 v[18:21], v[2:3], off
	s_add_i32 s30, s30, -1
	v_lshl_add_u64 v[2:3], v[2:3], 0, s[12:13]
	s_cmp_eq_u32 s30, 0
	s_waitcnt vmcnt(0)
	scratch_store_dwordx4 v1, v[18:21], off
	v_add_u32_e32 v1, 16, v1
	s_cbranch_scc0 .LBB181_69
; %bb.70:                               ;   in Loop: Header=BB181_57 Depth=1
	v_mov_b64_e32 v[4:5], 0
	v_mov_b32_e32 v1, 0
	v_mov_b64_e32 v[2:3], v[16:17]
	s_mov_b32 s30, s27
	v_mov_b64_e32 v[18:19], v[4:5]
.LBB181_71:                             ;   Parent Loop BB181_57 Depth=1
                                        ; =>  This Inner Loop Header: Depth=2
	global_load_dwordx4 v[38:41], v[2:3], off offset:-8
	scratch_load_dwordx4 v[42:45], v1, off
	s_add_i32 s30, s30, -1
	v_add_u32_e32 v1, 16, v1
	v_lshl_add_u64 v[2:3], v[2:3], 0, 16
	s_cmp_lg_u32 s30, 0
	s_waitcnt vmcnt(0)
	v_mul_f64 v[20:21], v[40:41], v[44:45]
	v_mul_f64 v[26:27], v[40:41], v[42:43]
	v_fmac_f64_e32 v[20:21], v[38:39], v[42:43]
	v_fma_f64 v[26:27], v[38:39], v[44:45], -v[26:27]
	v_add_f64 v[4:5], v[4:5], v[20:21]
	v_add_f64 v[18:19], v[18:19], v[26:27]
	s_cbranch_scc1 .LBB181_71
.LBB181_72:                             ;   in Loop: Header=BB181_57 Depth=1
	s_or_b64 exec, exec, s[18:19]
	s_or_b64 exec, exec, s[16:17]
	s_and_saveexec_b64 s[16:17], s[0:1]
	s_cbranch_execnz .LBB181_60
	s_branch .LBB181_61
.LBB181_73:                             ;   in Loop: Header=BB181_57 Depth=1
	ds_read_b128 v[2:5], v22
	s_or_b64 exec, exec, s[16:17]
	s_and_saveexec_b64 s[16:17], s[0:1]
	s_cbranch_execz .LBB181_65
.LBB181_74:                             ;   in Loop: Header=BB181_57 Depth=1
	s_waitcnt lgkmcnt(0)
	ds_bpermute_b32 v18, v31, v2
	ds_bpermute_b32 v19, v31, v3
	;; [unrolled: 1-line block ×4, first 2 shown]
	s_waitcnt lgkmcnt(2)
	v_add_f64 v[2:3], v[2:3], v[18:19]
	ds_bpermute_b32 v18, v32, v2
	s_waitcnt lgkmcnt(1)
	v_add_f64 v[4:5], v[4:5], v[20:21]
	ds_bpermute_b32 v19, v32, v3
	ds_bpermute_b32 v20, v32, v4
	;; [unrolled: 1-line block ×3, first 2 shown]
	s_waitcnt lgkmcnt(2)
	v_add_f64 v[2:3], v[2:3], v[18:19]
	s_waitcnt lgkmcnt(0)
	v_add_f64 v[4:5], v[4:5], v[20:21]
	s_or_b64 exec, exec, s[16:17]
	s_and_saveexec_b64 s[16:17], s[8:9]
	s_cbranch_execz .LBB181_56
.LBB181_75:                             ;   in Loop: Header=BB181_57 Depth=1
	s_mul_hi_u32 s19, s3, s26
	s_mul_i32 s18, s3, s26
	s_lshl_b64 s[18:19], s[18:19], 4
	s_waitcnt lgkmcnt(0)
	v_mul_f64 v[18:19], s[22:23], v[4:5]
	v_mul_f64 v[20:21], s[20:21], v[4:5]
	s_add_u32 s18, s2, s18
	v_fma_f64 v[18:19], s[20:21], v[2:3], -v[18:19]
	v_fmac_f64_e32 v[20:21], s[22:23], v[2:3]
	s_addc_u32 s19, s24, s19
	global_store_dwordx4 v0, v[18:21], s[18:19]
	s_branch .LBB181_56
.LBB181_76:
	s_endpgm
	.section	.rodata,"a",@progbits
	.p2align	6, 0x0
	.amdhsa_kernel _ZL23rocblas_gemvt_sn_kernelILb1ELi256ELi4El19rocblas_complex_numIdEPKS1_S1_EviiT4_lPKT3_lilS7_lilPT5_i
		.amdhsa_group_segment_fixed_size 1024
		.amdhsa_private_segment_fixed_size 80
		.amdhsa_kernarg_size 360
		.amdhsa_user_sgpr_count 2
		.amdhsa_user_sgpr_dispatch_ptr 0
		.amdhsa_user_sgpr_queue_ptr 0
		.amdhsa_user_sgpr_kernarg_segment_ptr 1
		.amdhsa_user_sgpr_dispatch_id 0
		.amdhsa_user_sgpr_kernarg_preload_length 0
		.amdhsa_user_sgpr_kernarg_preload_offset 0
		.amdhsa_user_sgpr_private_segment_size 0
		.amdhsa_uses_dynamic_stack 0
		.amdhsa_enable_private_segment 1
		.amdhsa_system_sgpr_workgroup_id_x 1
		.amdhsa_system_sgpr_workgroup_id_y 0
		.amdhsa_system_sgpr_workgroup_id_z 1
		.amdhsa_system_sgpr_workgroup_info 0
		.amdhsa_system_vgpr_workitem_id 0
		.amdhsa_next_free_vgpr 122
		.amdhsa_next_free_sgpr 66
		.amdhsa_accum_offset 124
		.amdhsa_reserve_vcc 1
		.amdhsa_float_round_mode_32 0
		.amdhsa_float_round_mode_16_64 0
		.amdhsa_float_denorm_mode_32 3
		.amdhsa_float_denorm_mode_16_64 3
		.amdhsa_dx10_clamp 1
		.amdhsa_ieee_mode 1
		.amdhsa_fp16_overflow 0
		.amdhsa_tg_split 0
		.amdhsa_exception_fp_ieee_invalid_op 0
		.amdhsa_exception_fp_denorm_src 0
		.amdhsa_exception_fp_ieee_div_zero 0
		.amdhsa_exception_fp_ieee_overflow 0
		.amdhsa_exception_fp_ieee_underflow 0
		.amdhsa_exception_fp_ieee_inexact 0
		.amdhsa_exception_int_div_zero 0
	.end_amdhsa_kernel
	.section	.text._ZL23rocblas_gemvt_sn_kernelILb1ELi256ELi4El19rocblas_complex_numIdEPKS1_S1_EviiT4_lPKT3_lilS7_lilPT5_i,"axG",@progbits,_ZL23rocblas_gemvt_sn_kernelILb1ELi256ELi4El19rocblas_complex_numIdEPKS1_S1_EviiT4_lPKT3_lilS7_lilPT5_i,comdat
.Lfunc_end181:
	.size	_ZL23rocblas_gemvt_sn_kernelILb1ELi256ELi4El19rocblas_complex_numIdEPKS1_S1_EviiT4_lPKT3_lilS7_lilPT5_i, .Lfunc_end181-_ZL23rocblas_gemvt_sn_kernelILb1ELi256ELi4El19rocblas_complex_numIdEPKS1_S1_EviiT4_lPKT3_lilS7_lilPT5_i
                                        ; -- End function
	.section	.AMDGPU.csdata,"",@progbits
; Kernel info:
; codeLenInByte = 6816
; NumSgprs: 72
; NumVgprs: 122
; NumAgprs: 0
; TotalNumVgprs: 122
; ScratchSize: 80
; MemoryBound: 0
; FloatMode: 240
; IeeeMode: 1
; LDSByteSize: 1024 bytes/workgroup (compile time only)
; SGPRBlocks: 8
; VGPRBlocks: 15
; NumSGPRsForWavesPerEU: 72
; NumVGPRsForWavesPerEU: 122
; AccumOffset: 124
; Occupancy: 4
; WaveLimiterHint : 1
; COMPUTE_PGM_RSRC2:SCRATCH_EN: 1
; COMPUTE_PGM_RSRC2:USER_SGPR: 2
; COMPUTE_PGM_RSRC2:TRAP_HANDLER: 0
; COMPUTE_PGM_RSRC2:TGID_X_EN: 1
; COMPUTE_PGM_RSRC2:TGID_Y_EN: 0
; COMPUTE_PGM_RSRC2:TGID_Z_EN: 1
; COMPUTE_PGM_RSRC2:TIDIG_COMP_CNT: 0
; COMPUTE_PGM_RSRC3_GFX90A:ACCUM_OFFSET: 30
; COMPUTE_PGM_RSRC3_GFX90A:TG_SPLIT: 0
	.section	.text._ZL23rocblas_gemvt_sn_kernelILb1ELi256ELi4Ei19rocblas_complex_numIdES1_S1_EviiT4_lPKT3_lilS5_lilPT5_i,"axG",@progbits,_ZL23rocblas_gemvt_sn_kernelILb1ELi256ELi4Ei19rocblas_complex_numIdES1_S1_EviiT4_lPKT3_lilS5_lilPT5_i,comdat
	.globl	_ZL23rocblas_gemvt_sn_kernelILb1ELi256ELi4Ei19rocblas_complex_numIdES1_S1_EviiT4_lPKT3_lilS5_lilPT5_i ; -- Begin function _ZL23rocblas_gemvt_sn_kernelILb1ELi256ELi4Ei19rocblas_complex_numIdES1_S1_EviiT4_lPKT3_lilS5_lilPT5_i
	.p2align	8
	.type	_ZL23rocblas_gemvt_sn_kernelILb1ELi256ELi4Ei19rocblas_complex_numIdES1_S1_EviiT4_lPKT3_lilS5_lilPT5_i,@function
_ZL23rocblas_gemvt_sn_kernelILb1ELi256ELi4Ei19rocblas_complex_numIdES1_S1_EviiT4_lPKT3_lilS5_lilPT5_i: ; @_ZL23rocblas_gemvt_sn_kernelILb1ELi256ELi4Ei19rocblas_complex_numIdES1_S1_EviiT4_lPKT3_lilS5_lilPT5_i
; %bb.0:
	s_load_dwordx2 s[14:15], s[0:1], 0x0
	s_load_dwordx4 s[16:19], s[0:1], 0x8
	s_load_dwordx4 s[8:11], s[0:1], 0x58
	s_load_dword s24, s[0:1], 0x70
	s_mov_b32 s25, 0
	s_waitcnt lgkmcnt(0)
	s_ashr_i32 s30, s15, 31
	s_mul_hi_u32 s4, s15, s3
	s_mul_i32 s5, s30, s3
	s_add_i32 s4, s4, s5
	s_mul_i32 s5, s15, s3
	s_mul_i32 s4, s4, s24
	s_mul_hi_u32 s6, s5, s24
	s_add_i32 s7, s6, s4
	s_mul_i32 s6, s5, s24
	v_cmp_neq_f64_e64 s[4:5], s[16:17], 0
	v_cmp_neq_f64_e64 s[12:13], s[18:19], 0
	s_or_b64 s[4:5], s[4:5], s[12:13]
	s_mov_b64 s[12:13], -1
	s_and_b64 vcc, exec, s[4:5]
	v_cmp_eq_u32_e64 s[4:5], 0, v0
	s_cbranch_vccnz .LBB182_5
; %bb.1:
	s_cmp_gt_i32 s15, 0
	s_cselect_b64 s[12:13], -1, 0
	s_and_b64 s[12:13], s[4:5], s[12:13]
	s_and_saveexec_b64 s[4:5], s[12:13]
	s_cbranch_execz .LBB182_4
; %bb.2:
	s_mov_b32 s12, s3
	s_mov_b32 s3, 0
	s_lshl_b64 s[20:21], s[6:7], 4
	s_lshl_b64 s[22:23], s[2:3], 4
	s_mov_b32 s3, s12
	s_add_u32 s12, s20, s22
	s_addc_u32 s13, s21, s23
	s_add_u32 s12, s12, s10
	s_addc_u32 s13, s13, s11
	s_add_u32 s12, s12, 8
	v_mov_b32_e32 v2, 0
	s_addc_u32 s13, s13, 0
	s_lshl_b64 s[20:21], s[24:25], 4
	v_mov_b32_e32 v3, v2
	v_mov_b32_e32 v4, v2
	;; [unrolled: 1-line block ×3, first 2 shown]
	s_mov_b32 s22, s15
.LBB182_3:                              ; =>This Inner Loop Header: Depth=1
	s_add_i32 s22, s22, -1
	global_store_dwordx4 v2, v[2:5], s[12:13] offset:-8
	s_add_u32 s12, s12, s20
	s_addc_u32 s13, s13, s21
	s_cmp_eq_u32 s22, 0
	s_cbranch_scc0 .LBB182_3
.LBB182_4:
	s_or_b64 exec, exec, s[4:5]
	s_mov_b64 s[12:13], 0
.LBB182_5:
	s_andn2_b64 vcc, exec, s[12:13]
	s_cbranch_vccnz .LBB182_76
; %bb.6:
	s_load_dwordx4 s[20:23], s[0:1], 0x20
	s_load_dword s25, s[0:1], 0x30
	s_load_dwordx4 s[36:39], s[0:1], 0x38
	s_load_dwordx2 s[4:5], s[0:1], 0x48
	s_load_dword s33, s[0:1], 0x50
	s_mul_i32 s0, s3, s9
	s_mul_hi_u32 s1, s3, s8
	s_add_i32 s1, s1, s0
	s_mul_i32 s0, s3, s8
	s_lshl_b64 s[0:1], s[0:1], 4
	s_waitcnt lgkmcnt(0)
	s_add_u32 s8, s38, s0
	s_addc_u32 s9, s39, s1
	s_lshl_b64 s[0:1], s[4:5], 4
	s_add_u32 s26, s8, s0
	s_addc_u32 s27, s9, s1
	s_lshl_b64 s[0:1], s[6:7], 4
	s_add_u32 s50, s10, s0
	s_addc_u32 s51, s11, s1
	s_mul_i32 s0, s3, s37
	s_mul_hi_u32 s1, s3, s36
	s_add_i32 s1, s1, s0
	s_mul_i32 s0, s3, s36
	s_lshl_b64 s[28:29], s[0:1], 4
	s_add_u32 s0, s20, s28
	s_addc_u32 s1, s21, s29
	s_lshl_b64 s[22:23], s[22:23], 4
	s_add_u32 s0, s0, s22
	s_addc_u32 s1, s1, s23
	s_lshl_b32 s3, s2, 10
	v_lshl_or_b32 v32, v0, 2, s3
	v_ashrrev_i32_e32 v33, 31, v32
	v_lshl_add_u64 v[28:29], v[32:33], 4, s[0:1]
	s_lshr_b32 s0, s30, 30
	s_add_i32 s0, s15, s0
	s_and_b32 s3, s0, -4
	s_ashr_i32 s0, s14, 31
	s_lshr_b32 s0, s0, 30
	s_add_i32 s0, s14, s0
	s_and_b32 s0, s0, -4
	s_sub_i32 s48, s14, s0
	s_cmp_lt_i32 s3, 1
	v_add_u32_e32 v55, 4, v32
	v_add_u32_e32 v56, s48, v32
	v_and_b32_e32 v1, 63, v0
	v_cmp_gt_u32_e64 s[0:1], 64, v0
	v_mbcnt_lo_u32_b32 v54, -1, 0
	v_cmp_gt_u32_e64 s[4:5], 4, v0
	v_lshrrev_b32_e32 v31, 2, v0
	v_mul_lo_u32 v30, v32, s33
	s_cbranch_scc1 .LBB182_53
; %bb.7:
	v_mbcnt_hi_u32_b32 v2, -1, v54
	v_and_b32_e32 v3, 63, v2
	v_cmp_gt_u32_e32 vcc, 32, v3
	v_mul_lo_u32 v34, v32, s33
	s_cmp_gt_i32 s48, 0
	v_cndmask_b32_e64 v4, 0, 1, vcc
	v_lshlrev_b32_e32 v4, 5, v4
	v_cmp_gt_u32_e32 vcc, 48, v3
	v_add_lshl_u32 v57, v4, v2, 2
	s_cselect_b64 s[34:35], -1, 0
	v_cndmask_b32_e64 v4, 0, 1, vcc
	v_lshlrev_b32_e32 v4, 4, v4
	v_cmp_gt_u32_e32 vcc, 56, v3
	v_add_lshl_u32 v58, v4, v2, 2
	s_lshl_b32 s52, s25, 2
	v_cndmask_b32_e64 v4, 0, 1, vcc
	v_lshlrev_b32_e32 v4, 3, v4
	v_cmp_gt_u32_e32 vcc, 60, v3
	v_add_lshl_u32 v59, v4, v2, 2
	s_lshl_b32 s53, s25, 1
	v_cndmask_b32_e64 v4, 0, 1, vcc
	v_lshlrev_b32_e32 v4, 2, v4
	v_cmp_gt_u32_e32 vcc, 62, v3
	v_add_lshl_u32 v60, v4, v2, 2
	s_add_u32 s30, s28, s22
	v_cndmask_b32_e64 v4, 0, 1, vcc
	v_lshlrev_b32_e32 v4, 1, v4
	v_cmp_ne_u32_e32 vcc, 63, v3
	v_add_lshl_u32 v61, v4, v2, 2
	s_addc_u32 s37, s29, s23
	v_addc_co_u32_e32 v2, vcc, 0, v2, vcc
	v_lshlrev_b32_e32 v62, 2, v2
	v_add_u32_e32 v2, s33, v34
	v_ashrrev_i32_e32 v3, 31, v2
	v_lshl_add_u64 v[38:39], v[2:3], 4, s[26:27]
	v_add_u32_e32 v2, s33, v2
	v_ashrrev_i32_e32 v3, 31, v2
	v_lshl_add_u64 v[40:41], v[2:3], 4, s[26:27]
	v_add_u32_e32 v2, s33, v2
	s_add_u32 s36, s20, s30
	v_ashrrev_i32_e32 v3, 31, v2
	s_addc_u32 s37, s21, s37
	s_mov_b32 s31, 0
	v_ashrrev_i32_e32 v35, 31, v34
	v_mov_b32_e32 v4, 0
	v_lshl_add_u64 v[42:43], v[2:3], 4, s[26:27]
	v_lshl_add_u64 v[2:3], v[32:33], 4, s[36:37]
	v_cmp_ge_i32_e64 s[6:7], s14, v55
	v_cmp_ge_i32_e64 s[8:9], s14, v56
	v_cmp_eq_u32_e64 s[10:11], 0, v1
	v_lshlrev_b32_e32 v63, 4, v1
	v_and_b32_e32 v64, 48, v31
	v_cmp_eq_u32_e64 s[12:13], 0, v0
	v_lshl_add_u64 v[36:37], v[34:35], 4, s[26:27]
	v_add_u32_e32 v35, 16, v4
	v_add_u32_e32 v65, 32, v4
	;; [unrolled: 1-line block ×3, first 2 shown]
	s_mul_i32 s54, s25, 3
	v_lshl_add_u64 v[44:45], v[2:3], 0, 8
	v_mov_b32_e32 v2, 0
	s_mov_b32 s36, s31
	s_mov_b32 s55, s25
	;; [unrolled: 1-line block ×3, first 2 shown]
	s_branch .LBB182_9
.LBB182_8:                              ;   in Loop: Header=BB182_9 Depth=1
	s_or_b64 exec, exec, s[38:39]
	s_add_i32 s49, s49, 4
	s_add_i32 s55, s55, s52
	;; [unrolled: 1-line block ×5, first 2 shown]
	s_cmp_ge_i32 s49, s3
	s_cbranch_scc1 .LBB182_54
.LBB182_9:                              ; =>This Loop Header: Depth=1
                                        ;     Child Loop BB182_40 Depth 2
                                        ;     Child Loop BB182_42 Depth 2
                                        ; implicit-def: $vgpr18_vgpr19
                                        ; implicit-def: $vgpr20_vgpr21
                                        ; implicit-def: $vgpr14_vgpr15
                                        ; implicit-def: $vgpr16_vgpr17
                                        ; implicit-def: $vgpr10_vgpr11
                                        ; implicit-def: $vgpr12_vgpr13
                                        ; implicit-def: $vgpr8_vgpr9
                                        ; implicit-def: $vgpr6_vgpr7
	s_and_saveexec_b64 s[38:39], s[6:7]
	s_xor_b64 s[38:39], exec, s[38:39]
	s_cbranch_execnz .LBB182_36
; %bb.10:                               ;   in Loop: Header=BB182_9 Depth=1
	s_andn2_saveexec_b64 s[38:39], s[38:39]
	s_cbranch_execnz .LBB182_37
.LBB182_11:                             ;   in Loop: Header=BB182_9 Depth=1
	s_or_b64 exec, exec, s[38:39]
	s_and_saveexec_b64 s[38:39], s[0:1]
	s_cbranch_execz .LBB182_13
.LBB182_12:                             ;   in Loop: Header=BB182_9 Depth=1
	v_mov_b32_e32 v3, v2
	v_mov_b32_e32 v4, v2
	;; [unrolled: 1-line block ×3, first 2 shown]
	ds_write_b128 v63, v[2:5]
.LBB182_13:                             ;   in Loop: Header=BB182_9 Depth=1
	s_or_b64 exec, exec, s[38:39]
	ds_bpermute_b32 v4, v57, v8
	ds_bpermute_b32 v5, v57, v9
	;; [unrolled: 1-line block ×4, first 2 shown]
	s_waitcnt lgkmcnt(0)
	s_barrier
	v_add_f64 v[4:5], v[8:9], v[4:5]
	ds_bpermute_b32 v8, v58, v4
	v_add_f64 v[6:7], v[6:7], v[22:23]
	ds_bpermute_b32 v9, v58, v5
	ds_bpermute_b32 v22, v58, v6
	;; [unrolled: 1-line block ×3, first 2 shown]
	s_waitcnt lgkmcnt(0)
	v_add_f64 v[4:5], v[4:5], v[8:9]
	ds_bpermute_b32 v8, v59, v4
	v_add_f64 v[6:7], v[6:7], v[22:23]
	ds_bpermute_b32 v9, v59, v5
	ds_bpermute_b32 v22, v59, v6
	;; [unrolled: 1-line block ×3, first 2 shown]
	s_waitcnt lgkmcnt(2)
	v_add_f64 v[4:5], v[4:5], v[8:9]
	ds_bpermute_b32 v8, v60, v4
	s_waitcnt lgkmcnt(1)
	v_add_f64 v[6:7], v[6:7], v[22:23]
	ds_bpermute_b32 v9, v60, v5
	ds_bpermute_b32 v22, v60, v6
	;; [unrolled: 1-line block ×3, first 2 shown]
	s_waitcnt lgkmcnt(2)
	v_add_f64 v[4:5], v[4:5], v[8:9]
	ds_bpermute_b32 v8, v61, v4
	s_waitcnt lgkmcnt(1)
	v_add_f64 v[6:7], v[6:7], v[22:23]
	ds_bpermute_b32 v9, v61, v5
	ds_bpermute_b32 v22, v61, v6
	;; [unrolled: 1-line block ×3, first 2 shown]
	s_waitcnt lgkmcnt(2)
	v_add_f64 v[4:5], v[4:5], v[8:9]
	s_waitcnt lgkmcnt(0)
	v_add_f64 v[8:9], v[6:7], v[22:23]
	ds_bpermute_b32 v6, v62, v4
	ds_bpermute_b32 v7, v62, v5
	ds_bpermute_b32 v22, v62, v8
	ds_bpermute_b32 v23, v62, v9
	s_and_saveexec_b64 s[38:39], s[10:11]
	s_cbranch_execz .LBB182_15
; %bb.14:                               ;   in Loop: Header=BB182_9 Depth=1
	s_waitcnt lgkmcnt(0)
	v_add_f64 v[8:9], v[8:9], v[22:23]
	v_add_f64 v[6:7], v[4:5], v[6:7]
	ds_write_b128 v64, v[6:9]
.LBB182_15:                             ;   in Loop: Header=BB182_9 Depth=1
	s_or_b64 exec, exec, s[38:39]
	v_mov_b64_e32 v[8:9], 0
	s_waitcnt lgkmcnt(2)
	v_mov_b64_e32 v[6:7], v[8:9]
	s_waitcnt lgkmcnt(0)
	s_barrier
	s_and_saveexec_b64 s[38:39], s[4:5]
	s_cbranch_execnz .LBB182_44
; %bb.16:                               ;   in Loop: Header=BB182_9 Depth=1
	s_or_b64 exec, exec, s[38:39]
	s_and_saveexec_b64 s[38:39], s[0:1]
	s_cbranch_execnz .LBB182_45
.LBB182_17:                             ;   in Loop: Header=BB182_9 Depth=1
	s_or_b64 exec, exec, s[38:39]
	s_and_saveexec_b64 s[38:39], s[0:1]
	s_cbranch_execz .LBB182_19
.LBB182_18:                             ;   in Loop: Header=BB182_9 Depth=1
	v_mov_b32_e32 v3, v2
	v_mov_b32_e32 v4, v2
	v_mov_b32_e32 v5, v2
	ds_write_b128 v63, v[2:5]
.LBB182_19:                             ;   in Loop: Header=BB182_9 Depth=1
	s_or_b64 exec, exec, s[38:39]
	ds_bpermute_b32 v4, v57, v10
	ds_bpermute_b32 v5, v57, v11
	;; [unrolled: 1-line block ×4, first 2 shown]
	s_waitcnt lgkmcnt(0)
	s_barrier
	v_add_f64 v[4:5], v[10:11], v[4:5]
	v_add_f64 v[10:11], v[12:13], v[22:23]
	ds_bpermute_b32 v12, v58, v4
	ds_bpermute_b32 v13, v58, v5
	;; [unrolled: 1-line block ×4, first 2 shown]
	s_waitcnt lgkmcnt(2)
	v_add_f64 v[4:5], v[4:5], v[12:13]
	ds_bpermute_b32 v12, v59, v4
	s_waitcnt lgkmcnt(1)
	v_add_f64 v[10:11], v[10:11], v[22:23]
	ds_bpermute_b32 v13, v59, v5
	ds_bpermute_b32 v22, v59, v10
	ds_bpermute_b32 v23, v59, v11
	s_waitcnt lgkmcnt(2)
	v_add_f64 v[4:5], v[4:5], v[12:13]
	ds_bpermute_b32 v12, v60, v4
	s_waitcnt lgkmcnt(1)
	v_add_f64 v[10:11], v[10:11], v[22:23]
	ds_bpermute_b32 v13, v60, v5
	ds_bpermute_b32 v22, v60, v10
	ds_bpermute_b32 v23, v60, v11
	;; [unrolled: 8-line block ×3, first 2 shown]
	s_waitcnt lgkmcnt(2)
	v_add_f64 v[4:5], v[4:5], v[12:13]
	s_waitcnt lgkmcnt(0)
	v_add_f64 v[12:13], v[10:11], v[22:23]
	ds_bpermute_b32 v10, v62, v4
	ds_bpermute_b32 v11, v62, v5
	;; [unrolled: 1-line block ×4, first 2 shown]
	s_and_saveexec_b64 s[38:39], s[10:11]
	s_cbranch_execz .LBB182_21
; %bb.20:                               ;   in Loop: Header=BB182_9 Depth=1
	s_waitcnt lgkmcnt(0)
	v_add_f64 v[12:13], v[12:13], v[22:23]
	v_add_f64 v[10:11], v[4:5], v[10:11]
	ds_write_b128 v64, v[10:13]
.LBB182_21:                             ;   in Loop: Header=BB182_9 Depth=1
	s_or_b64 exec, exec, s[38:39]
	v_mov_b64_e32 v[12:13], 0
	s_waitcnt lgkmcnt(2)
	v_mov_b64_e32 v[10:11], v[12:13]
	s_waitcnt lgkmcnt(0)
	s_barrier
	s_and_saveexec_b64 s[38:39], s[4:5]
	s_cbranch_execnz .LBB182_46
; %bb.22:                               ;   in Loop: Header=BB182_9 Depth=1
	s_or_b64 exec, exec, s[38:39]
	s_and_saveexec_b64 s[38:39], s[0:1]
	s_cbranch_execnz .LBB182_47
.LBB182_23:                             ;   in Loop: Header=BB182_9 Depth=1
	s_or_b64 exec, exec, s[38:39]
	s_and_saveexec_b64 s[38:39], s[0:1]
	s_cbranch_execz .LBB182_25
.LBB182_24:                             ;   in Loop: Header=BB182_9 Depth=1
	v_mov_b32_e32 v3, v2
	v_mov_b32_e32 v4, v2
	;; [unrolled: 1-line block ×3, first 2 shown]
	ds_write_b128 v63, v[2:5]
.LBB182_25:                             ;   in Loop: Header=BB182_9 Depth=1
	s_or_b64 exec, exec, s[38:39]
	ds_bpermute_b32 v4, v57, v14
	ds_bpermute_b32 v5, v57, v15
	;; [unrolled: 1-line block ×4, first 2 shown]
	s_waitcnt lgkmcnt(0)
	s_barrier
	v_add_f64 v[4:5], v[14:15], v[4:5]
	v_add_f64 v[14:15], v[16:17], v[22:23]
	ds_bpermute_b32 v16, v58, v4
	ds_bpermute_b32 v17, v58, v5
	;; [unrolled: 1-line block ×4, first 2 shown]
	s_waitcnt lgkmcnt(2)
	v_add_f64 v[4:5], v[4:5], v[16:17]
	ds_bpermute_b32 v16, v59, v4
	s_waitcnt lgkmcnt(1)
	v_add_f64 v[14:15], v[14:15], v[22:23]
	ds_bpermute_b32 v17, v59, v5
	ds_bpermute_b32 v22, v59, v14
	ds_bpermute_b32 v23, v59, v15
	s_waitcnt lgkmcnt(2)
	v_add_f64 v[4:5], v[4:5], v[16:17]
	ds_bpermute_b32 v16, v60, v4
	s_waitcnt lgkmcnt(1)
	v_add_f64 v[14:15], v[14:15], v[22:23]
	ds_bpermute_b32 v17, v60, v5
	ds_bpermute_b32 v22, v60, v14
	ds_bpermute_b32 v23, v60, v15
	;; [unrolled: 8-line block ×3, first 2 shown]
	s_waitcnt lgkmcnt(2)
	v_add_f64 v[4:5], v[4:5], v[16:17]
	s_waitcnt lgkmcnt(0)
	v_add_f64 v[16:17], v[14:15], v[22:23]
	ds_bpermute_b32 v14, v62, v4
	ds_bpermute_b32 v15, v62, v5
	ds_bpermute_b32 v22, v62, v16
	ds_bpermute_b32 v23, v62, v17
	s_and_saveexec_b64 s[38:39], s[10:11]
	s_cbranch_execz .LBB182_27
; %bb.26:                               ;   in Loop: Header=BB182_9 Depth=1
	s_waitcnt lgkmcnt(0)
	v_add_f64 v[16:17], v[16:17], v[22:23]
	v_add_f64 v[14:15], v[4:5], v[14:15]
	ds_write_b128 v64, v[14:17]
.LBB182_27:                             ;   in Loop: Header=BB182_9 Depth=1
	s_or_b64 exec, exec, s[38:39]
	v_mov_b64_e32 v[16:17], 0
	s_waitcnt lgkmcnt(2)
	v_mov_b64_e32 v[14:15], v[16:17]
	s_waitcnt lgkmcnt(0)
	s_barrier
	s_and_saveexec_b64 s[38:39], s[4:5]
	s_cbranch_execnz .LBB182_48
; %bb.28:                               ;   in Loop: Header=BB182_9 Depth=1
	s_or_b64 exec, exec, s[38:39]
	s_and_saveexec_b64 s[38:39], s[0:1]
	s_cbranch_execnz .LBB182_49
.LBB182_29:                             ;   in Loop: Header=BB182_9 Depth=1
	s_or_b64 exec, exec, s[38:39]
	s_and_saveexec_b64 s[38:39], s[0:1]
	s_cbranch_execz .LBB182_31
.LBB182_30:                             ;   in Loop: Header=BB182_9 Depth=1
	v_mov_b32_e32 v3, v2
	v_mov_b32_e32 v4, v2
	;; [unrolled: 1-line block ×3, first 2 shown]
	ds_write_b128 v63, v[2:5]
.LBB182_31:                             ;   in Loop: Header=BB182_9 Depth=1
	s_or_b64 exec, exec, s[38:39]
	ds_bpermute_b32 v4, v57, v18
	ds_bpermute_b32 v5, v57, v19
	;; [unrolled: 1-line block ×4, first 2 shown]
	s_waitcnt lgkmcnt(0)
	s_barrier
	v_add_f64 v[4:5], v[18:19], v[4:5]
	v_add_f64 v[18:19], v[20:21], v[22:23]
	ds_bpermute_b32 v20, v58, v4
	ds_bpermute_b32 v21, v58, v5
	;; [unrolled: 1-line block ×4, first 2 shown]
	s_waitcnt lgkmcnt(2)
	v_add_f64 v[4:5], v[4:5], v[20:21]
	ds_bpermute_b32 v20, v59, v4
	s_waitcnt lgkmcnt(1)
	v_add_f64 v[18:19], v[18:19], v[22:23]
	ds_bpermute_b32 v21, v59, v5
	ds_bpermute_b32 v22, v59, v18
	ds_bpermute_b32 v23, v59, v19
	s_waitcnt lgkmcnt(2)
	v_add_f64 v[4:5], v[4:5], v[20:21]
	ds_bpermute_b32 v20, v60, v4
	s_waitcnt lgkmcnt(1)
	v_add_f64 v[18:19], v[18:19], v[22:23]
	ds_bpermute_b32 v21, v60, v5
	ds_bpermute_b32 v22, v60, v18
	ds_bpermute_b32 v23, v60, v19
	;; [unrolled: 8-line block ×3, first 2 shown]
	s_waitcnt lgkmcnt(2)
	v_add_f64 v[4:5], v[4:5], v[20:21]
	s_waitcnt lgkmcnt(0)
	v_add_f64 v[20:21], v[18:19], v[22:23]
	ds_bpermute_b32 v18, v62, v4
	ds_bpermute_b32 v19, v62, v5
	ds_bpermute_b32 v22, v62, v20
	ds_bpermute_b32 v23, v62, v21
	s_and_saveexec_b64 s[38:39], s[10:11]
	s_cbranch_execz .LBB182_33
; %bb.32:                               ;   in Loop: Header=BB182_9 Depth=1
	s_waitcnt lgkmcnt(0)
	v_add_f64 v[20:21], v[20:21], v[22:23]
	v_add_f64 v[18:19], v[4:5], v[18:19]
	ds_write_b128 v64, v[18:21]
.LBB182_33:                             ;   in Loop: Header=BB182_9 Depth=1
	s_or_b64 exec, exec, s[38:39]
	v_mov_b64_e32 v[20:21], 0
	s_waitcnt lgkmcnt(2)
	v_mov_b64_e32 v[18:19], v[20:21]
	s_waitcnt lgkmcnt(0)
	s_barrier
	s_and_saveexec_b64 s[38:39], s[4:5]
	s_cbranch_execnz .LBB182_50
; %bb.34:                               ;   in Loop: Header=BB182_9 Depth=1
	s_or_b64 exec, exec, s[38:39]
	s_and_saveexec_b64 s[38:39], s[0:1]
	s_cbranch_execnz .LBB182_51
.LBB182_35:                             ;   in Loop: Header=BB182_9 Depth=1
	s_or_b64 exec, exec, s[38:39]
	s_and_saveexec_b64 s[38:39], s[12:13]
	s_cbranch_execz .LBB182_8
	s_branch .LBB182_52
.LBB182_36:                             ;   in Loop: Header=BB182_9 Depth=1
	global_load_dwordx4 v[4:7], v[38:39], off
	global_load_dwordx4 v[24:27], v[40:41], off
	s_mul_i32 s40, s49, s25
	s_ashr_i32 s41, s40, 31
	v_lshl_add_u64 v[50:51], s[40:41], 4, v[28:29]
	s_add_i32 s40, s40, s25
	s_ashr_i32 s41, s40, 31
	v_lshl_add_u64 v[52:53], s[40:41], 4, v[28:29]
	s_add_i32 s40, s40, s25
	global_load_dwordx4 v[8:11], v[50:51], off offset:16
	s_ashr_i32 s41, s40, 31
	global_load_dwordx4 v[12:15], v[52:53], off offset:16
	v_lshl_add_u64 v[46:47], s[40:41], 4, v[28:29]
	s_waitcnt lgkmcnt(0)
	global_load_dwordx4 v[16:19], v[46:47], off offset:16
	s_add_i32 s40, s40, s25
	s_ashr_i32 s41, s40, 31
	v_lshl_add_u64 v[48:49], s[40:41], 4, v[28:29]
	s_waitcnt vmcnt(4)
	scratch_store_dwordx4 v35, v[4:7], off
	scratch_load_dwordx4 v[4:7], off, off offset:16
	s_nop 0
	global_load_dwordx4 v[20:23], v[48:49], off offset:16
	global_load_dwordx4 v[68:71], v[42:43], off
	global_load_dwordx4 v[72:75], v[50:51], off offset:32
	s_waitcnt vmcnt(3)
	v_mul_f64 v[104:105], v[6:7], v[10:11]
	scratch_store_dwordx4 v65, v[24:27], off
	scratch_load_dwordx4 v[24:27], off, off offset:32
	s_nop 0
	global_load_dwordx4 v[76:79], v[52:53], off offset:32
	global_load_dwordx4 v[80:83], v[36:37], off
	global_load_dwordx4 v[84:87], v[46:47], off offset:32
	global_load_dwordx4 v[88:91], v[50:51], off
	global_load_dwordx4 v[92:95], v[52:53], off
	;; [unrolled: 1-line block ×3, first 2 shown]
	global_load_dwordx4 v[100:103], v[48:49], off offset:32
	v_mul_f64 v[10:11], v[4:5], v[10:11]
	v_fmac_f64_e32 v[104:105], v[4:5], v[8:9]
	v_fma_f64 v[106:107], v[6:7], v[8:9], -v[10:11]
	v_mul_f64 v[8:9], v[4:5], v[14:15]
	v_fma_f64 v[110:111], v[6:7], v[12:13], -v[8:9]
	v_mul_f64 v[8:9], v[4:5], v[18:19]
	v_mul_f64 v[108:109], v[6:7], v[14:15]
	;; [unrolled: 1-line block ×3, first 2 shown]
	v_fma_f64 v[114:115], v[6:7], v[16:17], -v[8:9]
	s_waitcnt vmcnt(11)
	v_mul_f64 v[116:117], v[6:7], v[22:23]
	v_mul_f64 v[8:9], v[4:5], v[22:23]
	v_fmac_f64_e32 v[108:109], v[4:5], v[12:13]
	v_fmac_f64_e32 v[112:113], v[4:5], v[16:17]
	;; [unrolled: 1-line block ×3, first 2 shown]
	v_fma_f64 v[118:119], v[6:7], v[20:21], -v[8:9]
	global_load_dwordx4 v[4:7], v[48:49], off
	global_load_dwordx4 v[8:11], v[50:51], off offset:48
	global_load_dwordx4 v[12:15], v[52:53], off offset:48
	s_waitcnt vmcnt(10)
	v_mul_f64 v[16:17], v[24:25], v[74:75]
	v_fma_f64 v[52:53], v[26:27], v[72:73], -v[16:17]
	s_waitcnt vmcnt(9)
	v_mul_f64 v[16:17], v[24:25], v[78:79]
	scratch_store_dwordx4 v66, v[68:71], off
	v_mul_f64 v[50:51], v[26:27], v[74:75]
	v_fmac_f64_e32 v[50:51], v[24:25], v[72:73]
	v_mul_f64 v[68:69], v[26:27], v[78:79]
	v_fma_f64 v[70:71], v[26:27], v[76:77], -v[16:17]
	s_waitcnt vmcnt(8)
	v_mul_f64 v[16:17], v[24:25], v[86:87]
	v_fmac_f64_e32 v[68:69], v[24:25], v[76:77]
	v_mul_f64 v[72:73], v[26:27], v[86:87]
	v_fma_f64 v[74:75], v[26:27], v[84:85], -v[16:17]
	s_waitcnt vmcnt(4)
	v_mul_f64 v[76:77], v[26:27], v[102:103]
	v_mul_f64 v[16:17], v[24:25], v[102:103]
	;; [unrolled: 1-line block ×3, first 2 shown]
	v_fmac_f64_e32 v[72:73], v[24:25], v[84:85]
	v_fmac_f64_e32 v[76:77], v[24:25], v[100:101]
	v_fma_f64 v[24:25], v[26:27], v[100:101], -v[16:17]
	scratch_load_dwordx4 v[16:19], off, off offset:48
	v_fma_f64 v[78:79], v[82:83], v[88:89], -v[20:21]
	v_mul_f64 v[84:85], v[82:83], v[94:95]
	v_mul_f64 v[20:21], v[80:81], v[94:95]
	v_fmac_f64_e32 v[84:85], v[80:81], v[92:93]
	v_fma_f64 v[86:87], v[82:83], v[92:93], -v[20:21]
	v_mul_f64 v[20:21], v[80:81], v[98:99]
	s_waitcnt vmcnt(4)
	v_mul_f64 v[92:93], v[82:83], v[6:7]
	v_mul_f64 v[6:7], v[80:81], v[6:7]
	;; [unrolled: 1-line block ×3, first 2 shown]
	v_fma_f64 v[90:91], v[82:83], v[96:97], -v[20:21]
	v_fmac_f64_e32 v[92:93], v[80:81], v[4:5]
	v_fma_f64 v[94:95], v[82:83], v[4:5], -v[6:7]
	global_load_dwordx4 v[4:7], v[46:47], off offset:48
	global_load_dwordx4 v[20:23], v[48:49], off offset:48
	v_fmac_f64_e32 v[26:27], v[80:81], v[88:89]
	v_mul_f64 v[88:89], v[82:83], v[98:99]
	v_fmac_f64_e32 v[88:89], v[80:81], v[96:97]
	scratch_store_dwordx4 off, v[80:83], off
	v_add_f64 v[26:27], v[26:27], 0
	v_add_f64 v[46:47], v[78:79], 0
	;; [unrolled: 1-line block ×8, first 2 shown]
	s_waitcnt vmcnt(3)
	v_mul_f64 v[88:89], v[18:19], v[10:11]
	v_mul_f64 v[10:11], v[16:17], v[10:11]
	v_fmac_f64_e32 v[88:89], v[16:17], v[8:9]
	v_fma_f64 v[10:11], v[18:19], v[8:9], -v[10:11]
	v_mul_f64 v[90:91], v[18:19], v[14:15]
	v_mul_f64 v[8:9], v[16:17], v[14:15]
	v_fmac_f64_e32 v[90:91], v[16:17], v[12:13]
	v_fma_f64 v[12:13], v[18:19], v[12:13], -v[8:9]
	v_add_f64 v[8:9], v[46:47], v[106:107]
	v_add_f64 v[46:47], v[84:85], v[116:117]
	;; [unrolled: 1-line block ×3, first 2 shown]
	s_waitcnt vmcnt(2)
	v_mul_f64 v[14:15], v[18:19], v[6:7]
	v_mul_f64 v[6:7], v[16:17], v[6:7]
	v_fmac_f64_e32 v[14:15], v[16:17], v[4:5]
	v_fma_f64 v[4:5], v[18:19], v[4:5], -v[6:7]
	s_waitcnt vmcnt(1)
	v_mul_f64 v[92:93], v[18:19], v[22:23]
	v_mul_f64 v[6:7], v[16:17], v[22:23]
	v_fmac_f64_e32 v[92:93], v[16:17], v[20:21]
	v_fma_f64 v[20:21], v[18:19], v[20:21], -v[6:7]
	v_add_f64 v[6:7], v[26:27], v[104:105]
	v_add_f64 v[16:17], v[48:49], v[108:109]
	;; [unrolled: 1-line block ×21, first 2 shown]
	s_andn2_saveexec_b64 s[38:39], s[38:39]
	s_cbranch_execz .LBB182_11
.LBB182_37:                             ;   in Loop: Header=BB182_9 Depth=1
	s_waitcnt lgkmcnt(0)
	v_mov_b64_e32 v[18:19], 0
	v_mov_b64_e32 v[20:21], v[18:19]
	;; [unrolled: 1-line block ×8, first 2 shown]
	s_and_saveexec_b64 s[40:41], s[8:9]
	s_cbranch_execz .LBB182_43
; %bb.38:                               ;   in Loop: Header=BB182_9 Depth=1
	v_mov_b64_e32 v[18:19], 0
	s_andn2_b64 vcc, exec, s[34:35]
	v_mov_b64_e32 v[20:21], v[18:19]
	v_mov_b64_e32 v[14:15], v[18:19]
	;; [unrolled: 1-line block ×7, first 2 shown]
	s_cbranch_vccnz .LBB182_43
; %bb.39:                               ;   in Loop: Header=BB182_9 Depth=1
	v_mov_b32_e32 v3, 0
	v_mov_b32_e32 v4, v34
	s_mov_b32 s30, s48
.LBB182_40:                             ;   Parent Loop BB182_9 Depth=1
                                        ; =>  This Inner Loop Header: Depth=2
	v_ashrrev_i32_e32 v5, 31, v4
	v_lshl_add_u64 v[6:7], v[4:5], 4, s[26:27]
	global_load_dwordx4 v[6:9], v[6:7], off
	s_add_i32 s30, s30, -1
	v_add_u32_e32 v4, s33, v4
	s_cmp_eq_u32 s30, 0
	s_waitcnt vmcnt(0)
	scratch_store_dwordx4 v3, v[6:9], off
	v_add_u32_e32 v3, 16, v3
	s_cbranch_scc0 .LBB182_40
; %bb.41:                               ;   in Loop: Header=BB182_9 Depth=1
	s_ashr_i32 s37, s36, 31
	v_mov_b64_e32 v[6:7], 0
	v_lshl_add_u64 v[4:5], s[36:37], 4, v[44:45]
	v_mov_b32_e32 v3, 0
	s_mov_b32 s42, s54
	s_mov_b32 s44, s53
	;; [unrolled: 1-line block ×4, first 2 shown]
	v_mov_b64_e32 v[8:9], v[6:7]
	v_mov_b64_e32 v[12:13], v[6:7]
	;; [unrolled: 1-line block ×7, first 2 shown]
.LBB182_42:                             ;   Parent Loop BB182_9 Depth=1
                                        ; =>  This Inner Loop Header: Depth=2
	scratch_load_dwordx4 v[22:25], v3, off
	global_load_dwordx4 v[46:49], v[4:5], off offset:-8
	s_ashr_i32 s47, s46, 31
	s_ashr_i32 s45, s44, 31
	;; [unrolled: 1-line block ×3, first 2 shown]
	v_lshl_add_u64 v[26:27], s[46:47], 4, v[28:29]
	v_lshl_add_u64 v[68:69], s[44:45], 4, v[28:29]
	;; [unrolled: 1-line block ×3, first 2 shown]
	global_load_dwordx4 v[50:53], v[26:27], off
	s_nop 0
	global_load_dwordx4 v[68:71], v[68:69], off
	s_nop 0
	global_load_dwordx4 v[72:75], v[72:73], off
	s_add_i32 s30, s30, -1
	s_add_i32 s46, s46, 1
	s_add_i32 s44, s44, 1
	;; [unrolled: 1-line block ×3, first 2 shown]
	v_add_u32_e32 v3, 16, v3
	v_lshl_add_u64 v[4:5], v[4:5], 0, 16
	s_cmp_lg_u32 s30, 0
	s_waitcnt vmcnt(3)
	v_mul_f64 v[26:27], v[24:25], v[48:49]
	v_mul_f64 v[48:49], v[22:23], v[48:49]
	v_fmac_f64_e32 v[26:27], v[22:23], v[46:47]
	v_fma_f64 v[46:47], v[24:25], v[46:47], -v[48:49]
	v_add_f64 v[8:9], v[8:9], v[26:27]
	v_add_f64 v[6:7], v[6:7], v[46:47]
	s_waitcnt vmcnt(2)
	v_mul_f64 v[26:27], v[24:25], v[52:53]
	v_mul_f64 v[46:47], v[22:23], v[52:53]
	s_waitcnt vmcnt(1)
	v_mul_f64 v[48:49], v[24:25], v[70:71]
	v_mul_f64 v[52:53], v[22:23], v[70:71]
	;; [unrolled: 3-line block ×3, first 2 shown]
	v_fmac_f64_e32 v[26:27], v[22:23], v[50:51]
	v_fma_f64 v[46:47], v[24:25], v[50:51], -v[46:47]
	v_fmac_f64_e32 v[48:49], v[22:23], v[68:69]
	v_fma_f64 v[50:51], v[24:25], v[68:69], -v[52:53]
	;; [unrolled: 2-line block ×3, first 2 shown]
	v_add_f64 v[10:11], v[10:11], v[26:27]
	v_add_f64 v[12:13], v[12:13], v[46:47]
	;; [unrolled: 1-line block ×6, first 2 shown]
	s_cbranch_scc1 .LBB182_42
.LBB182_43:                             ;   in Loop: Header=BB182_9 Depth=1
	s_or_b64 exec, exec, s[40:41]
	s_or_b64 exec, exec, s[38:39]
	s_and_saveexec_b64 s[38:39], s[0:1]
	s_cbranch_execnz .LBB182_12
	s_branch .LBB182_13
.LBB182_44:                             ;   in Loop: Header=BB182_9 Depth=1
	ds_read_b128 v[6:9], v63
	s_or_b64 exec, exec, s[38:39]
	s_and_saveexec_b64 s[38:39], s[0:1]
	s_cbranch_execz .LBB182_17
.LBB182_45:                             ;   in Loop: Header=BB182_9 Depth=1
	s_waitcnt lgkmcnt(0)
	ds_bpermute_b32 v4, v61, v6
	ds_bpermute_b32 v5, v61, v7
	;; [unrolled: 1-line block ×4, first 2 shown]
	s_waitcnt lgkmcnt(2)
	v_add_f64 v[4:5], v[6:7], v[4:5]
	ds_bpermute_b32 v6, v62, v4
	s_waitcnt lgkmcnt(1)
	v_add_f64 v[8:9], v[8:9], v[22:23]
	ds_bpermute_b32 v7, v62, v5
	ds_bpermute_b32 v22, v62, v8
	;; [unrolled: 1-line block ×3, first 2 shown]
	s_waitcnt lgkmcnt(2)
	v_add_f64 v[6:7], v[4:5], v[6:7]
	s_waitcnt lgkmcnt(0)
	v_add_f64 v[8:9], v[8:9], v[22:23]
	s_or_b64 exec, exec, s[38:39]
	s_and_saveexec_b64 s[38:39], s[0:1]
	s_cbranch_execnz .LBB182_18
	s_branch .LBB182_19
.LBB182_46:                             ;   in Loop: Header=BB182_9 Depth=1
	ds_read_b128 v[10:13], v63
	s_or_b64 exec, exec, s[38:39]
	s_and_saveexec_b64 s[38:39], s[0:1]
	s_cbranch_execz .LBB182_23
.LBB182_47:                             ;   in Loop: Header=BB182_9 Depth=1
	s_waitcnt lgkmcnt(0)
	ds_bpermute_b32 v4, v61, v10
	ds_bpermute_b32 v5, v61, v11
	;; [unrolled: 1-line block ×4, first 2 shown]
	s_waitcnt lgkmcnt(2)
	v_add_f64 v[4:5], v[10:11], v[4:5]
	ds_bpermute_b32 v10, v62, v4
	s_waitcnt lgkmcnt(1)
	v_add_f64 v[12:13], v[12:13], v[22:23]
	ds_bpermute_b32 v11, v62, v5
	ds_bpermute_b32 v22, v62, v12
	;; [unrolled: 1-line block ×3, first 2 shown]
	s_waitcnt lgkmcnt(2)
	v_add_f64 v[10:11], v[4:5], v[10:11]
	s_waitcnt lgkmcnt(0)
	v_add_f64 v[12:13], v[12:13], v[22:23]
	s_or_b64 exec, exec, s[38:39]
	s_and_saveexec_b64 s[38:39], s[0:1]
	s_cbranch_execnz .LBB182_24
	s_branch .LBB182_25
.LBB182_48:                             ;   in Loop: Header=BB182_9 Depth=1
	ds_read_b128 v[14:17], v63
	s_or_b64 exec, exec, s[38:39]
	s_and_saveexec_b64 s[38:39], s[0:1]
	s_cbranch_execz .LBB182_29
.LBB182_49:                             ;   in Loop: Header=BB182_9 Depth=1
	s_waitcnt lgkmcnt(0)
	ds_bpermute_b32 v4, v61, v14
	ds_bpermute_b32 v5, v61, v15
	;; [unrolled: 1-line block ×4, first 2 shown]
	s_waitcnt lgkmcnt(2)
	v_add_f64 v[4:5], v[14:15], v[4:5]
	ds_bpermute_b32 v14, v62, v4
	s_waitcnt lgkmcnt(1)
	v_add_f64 v[16:17], v[16:17], v[22:23]
	ds_bpermute_b32 v15, v62, v5
	ds_bpermute_b32 v22, v62, v16
	;; [unrolled: 1-line block ×3, first 2 shown]
	s_waitcnt lgkmcnt(2)
	v_add_f64 v[14:15], v[4:5], v[14:15]
	s_waitcnt lgkmcnt(0)
	v_add_f64 v[16:17], v[16:17], v[22:23]
	s_or_b64 exec, exec, s[38:39]
	s_and_saveexec_b64 s[38:39], s[0:1]
	s_cbranch_execnz .LBB182_30
	s_branch .LBB182_31
.LBB182_50:                             ;   in Loop: Header=BB182_9 Depth=1
	ds_read_b128 v[18:21], v63
	s_or_b64 exec, exec, s[38:39]
	s_and_saveexec_b64 s[38:39], s[0:1]
	s_cbranch_execz .LBB182_35
.LBB182_51:                             ;   in Loop: Header=BB182_9 Depth=1
	s_waitcnt lgkmcnt(0)
	ds_bpermute_b32 v4, v61, v18
	ds_bpermute_b32 v5, v61, v19
	;; [unrolled: 1-line block ×4, first 2 shown]
	s_waitcnt lgkmcnt(2)
	v_add_f64 v[4:5], v[18:19], v[4:5]
	ds_bpermute_b32 v18, v62, v4
	s_waitcnt lgkmcnt(1)
	v_add_f64 v[20:21], v[20:21], v[22:23]
	ds_bpermute_b32 v19, v62, v5
	ds_bpermute_b32 v22, v62, v20
	;; [unrolled: 1-line block ×3, first 2 shown]
	s_waitcnt lgkmcnt(2)
	v_add_f64 v[18:19], v[4:5], v[18:19]
	s_waitcnt lgkmcnt(0)
	v_add_f64 v[20:21], v[20:21], v[22:23]
	s_or_b64 exec, exec, s[38:39]
	s_and_saveexec_b64 s[38:39], s[12:13]
	s_cbranch_execz .LBB182_8
.LBB182_52:                             ;   in Loop: Header=BB182_9 Depth=1
	s_mul_i32 s30, s49, s24
	s_add_i32 s30, s30, s2
	s_lshl_b64 s[40:41], s[30:31], 4
	v_mul_f64 v[4:5], s[18:19], v[8:9]
	v_mul_f64 v[24:25], s[16:17], v[8:9]
	s_add_u32 s40, s50, s40
	v_fma_f64 v[22:23], s[16:17], v[6:7], -v[4:5]
	v_fmac_f64_e32 v[24:25], s[18:19], v[6:7]
	s_addc_u32 s41, s51, s41
	s_add_i32 s30, s30, s24
	global_store_dwordx4 v2, v[22:25], s[40:41]
	s_lshl_b64 s[40:41], s[30:31], 4
	v_mul_f64 v[4:5], s[18:19], v[12:13]
	v_mul_f64 v[6:7], s[16:17], v[12:13]
	s_add_u32 s40, s50, s40
	v_fma_f64 v[4:5], s[16:17], v[10:11], -v[4:5]
	v_fmac_f64_e32 v[6:7], s[18:19], v[10:11]
	s_addc_u32 s41, s51, s41
	s_add_i32 s30, s30, s24
	global_store_dwordx4 v2, v[4:7], s[40:41]
	s_lshl_b64 s[40:41], s[30:31], 4
	s_add_u32 s40, s50, s40
	v_mul_f64 v[4:5], s[18:19], v[16:17]
	v_mul_f64 v[6:7], s[16:17], v[16:17]
	v_fma_f64 v[4:5], s[16:17], v[14:15], -v[4:5]
	v_fmac_f64_e32 v[6:7], s[18:19], v[14:15]
	s_addc_u32 s41, s51, s41
	s_add_i32 s30, s30, s24
	global_store_dwordx4 v2, v[4:7], s[40:41]
	s_lshl_b64 s[40:41], s[30:31], 4
	s_add_u32 s40, s50, s40
	s_waitcnt lgkmcnt(0)
	v_mul_f64 v[4:5], s[18:19], v[20:21]
	v_mul_f64 v[6:7], s[16:17], v[20:21]
	v_fma_f64 v[4:5], s[16:17], v[18:19], -v[4:5]
	v_fmac_f64_e32 v[6:7], s[18:19], v[18:19]
	s_addc_u32 s41, s51, s41
	global_store_dwordx4 v2, v[4:7], s[40:41]
	s_branch .LBB182_8
.LBB182_53:
	s_mov_b32 s49, 0
.LBB182_54:
	s_cmp_ge_i32 s49, s15
	s_cbranch_scc1 .LBB182_76
; %bb.55:
	v_mbcnt_hi_u32_b32 v2, -1, v54
	v_and_b32_e32 v3, 63, v2
	v_cmp_gt_u32_e64 s[4:5], 32, v3
	s_mov_b32 s3, 0
	s_cmp_gt_i32 s48, 0
	v_cndmask_b32_e64 v4, 0, 1, s[4:5]
	v_lshlrev_b32_e32 v4, 5, v4
	v_cmp_gt_u32_e64 s[4:5], 48, v3
	s_waitcnt lgkmcnt(0)
	v_add_lshl_u32 v21, v4, v2, 2
	s_cselect_b64 s[12:13], -1, 0
	v_cndmask_b32_e64 v4, 0, 1, s[4:5]
	v_lshlrev_b32_e32 v4, 4, v4
	v_cmp_gt_u32_e64 s[4:5], 56, v3
	v_add_lshl_u32 v22, v4, v2, 2
	s_lshl_b64 s[2:3], s[2:3], 4
	v_cndmask_b32_e64 v4, 0, 1, s[4:5]
	v_lshlrev_b32_e32 v4, 3, v4
	v_cmp_gt_u32_e64 s[4:5], 60, v3
	v_add_lshl_u32 v23, v4, v2, 2
	v_cmp_ge_i32_e32 vcc, s14, v55
	v_cndmask_b32_e64 v4, 0, 1, s[4:5]
	v_lshlrev_b32_e32 v4, 2, v4
	v_cmp_gt_u32_e64 s[4:5], 62, v3
	v_add_lshl_u32 v24, v4, v2, 2
	v_cmp_ge_i32_e64 s[10:11], s14, v56
	v_cndmask_b32_e64 v4, 0, 1, s[4:5]
	v_lshlrev_b32_e32 v4, 1, v4
	v_cmp_ne_u32_e64 s[4:5], 63, v3
	v_cmp_gt_u32_e64 s[0:1], 64, v0
	v_add_lshl_u32 v25, v4, v2, 2
	v_addc_co_u32_e64 v2, s[4:5], 0, v2, s[4:5]
	v_cmp_gt_u32_e64 s[6:7], 4, v0
	v_cmp_eq_u32_e64 s[8:9], 0, v0
	s_add_u32 s14, s50, s2
	v_add_u32_e32 v0, s33, v30
	v_lshlrev_b32_e32 v20, 4, v1
	v_cmp_eq_u32_e64 s[4:5], 0, v1
	s_addc_u32 s30, s51, s3
	v_ashrrev_i32_e32 v1, 31, v0
	s_and_b64 s[2:3], s[12:13], s[10:11]
	v_lshl_add_u64 v[8:9], v[0:1], 4, s[26:27]
	v_add_u32_e32 v0, s33, v0
	s_add_u32 s10, s28, s22
	v_ashrrev_i32_e32 v1, 31, v0
	s_addc_u32 s11, s29, s23
	v_lshl_add_u64 v[10:11], v[0:1], 4, s[26:27]
	v_add_u32_e32 v0, s33, v0
	s_add_u32 s10, s20, s10
	v_ashrrev_i32_e32 v1, 31, v0
	s_addc_u32 s11, s21, s11
	v_lshlrev_b32_e32 v26, 2, v2
	v_and_b32_e32 v27, 48, v31
	v_ashrrev_i32_e32 v31, 31, v30
	v_mov_b32_e32 v2, 0
	v_lshl_add_u64 v[12:13], v[0:1], 4, s[26:27]
	v_lshl_add_u64 v[0:1], v[32:33], 4, s[10:11]
	;; [unrolled: 1-line block ×3, first 2 shown]
	v_add_u32_e32 v31, 16, v2
	v_add_u32_e32 v34, 32, v2
	;; [unrolled: 1-line block ×3, first 2 shown]
	v_lshl_add_u64 v[14:15], v[0:1], 0, 8
	s_mul_i32 s10, s49, s25
	v_mov_b32_e32 v0, 0
	s_branch .LBB182_57
.LBB182_56:                             ;   in Loop: Header=BB182_57 Depth=1
	s_or_b64 exec, exec, s[12:13]
	s_add_i32 s49, s49, 1
	s_add_i32 s10, s10, s25
	s_cmp_lt_i32 s49, s15
	s_cbranch_scc0 .LBB182_76
.LBB182_57:                             ; =>This Loop Header: Depth=1
                                        ;     Child Loop BB182_69 Depth 2
                                        ;     Child Loop BB182_71 Depth 2
                                        ; implicit-def: $vgpr4_vgpr5
                                        ; implicit-def: $vgpr16_vgpr17
	s_and_saveexec_b64 s[12:13], vcc
	s_xor_b64 s[12:13], exec, s[12:13]
	s_cbranch_execnz .LBB182_66
; %bb.58:                               ;   in Loop: Header=BB182_57 Depth=1
	s_andn2_saveexec_b64 s[12:13], s[12:13]
	s_cbranch_execnz .LBB182_67
.LBB182_59:                             ;   in Loop: Header=BB182_57 Depth=1
	s_or_b64 exec, exec, s[12:13]
	s_and_saveexec_b64 s[12:13], s[0:1]
	s_cbranch_execz .LBB182_61
.LBB182_60:                             ;   in Loop: Header=BB182_57 Depth=1
	v_mov_b32_e32 v1, v0
	s_waitcnt lgkmcnt(0)
	v_mov_b32_e32 v2, v0
	v_mov_b32_e32 v3, v0
	ds_write_b128 v20, v[0:3]
.LBB182_61:                             ;   in Loop: Header=BB182_57 Depth=1
	s_or_b64 exec, exec, s[12:13]
	s_waitcnt lgkmcnt(0)
	ds_bpermute_b32 v2, v21, v4
	ds_bpermute_b32 v3, v21, v5
	;; [unrolled: 1-line block ×4, first 2 shown]
	s_waitcnt lgkmcnt(0)
	s_barrier
	v_add_f64 v[2:3], v[4:5], v[2:3]
	v_add_f64 v[4:5], v[16:17], v[18:19]
	ds_bpermute_b32 v16, v22, v2
	ds_bpermute_b32 v17, v22, v3
	;; [unrolled: 1-line block ×4, first 2 shown]
	s_waitcnt lgkmcnt(2)
	v_add_f64 v[2:3], v[2:3], v[16:17]
	ds_bpermute_b32 v16, v23, v2
	s_waitcnt lgkmcnt(1)
	v_add_f64 v[4:5], v[4:5], v[18:19]
	ds_bpermute_b32 v17, v23, v3
	ds_bpermute_b32 v18, v23, v4
	ds_bpermute_b32 v19, v23, v5
	s_waitcnt lgkmcnt(2)
	v_add_f64 v[2:3], v[2:3], v[16:17]
	ds_bpermute_b32 v16, v24, v2
	s_waitcnt lgkmcnt(1)
	v_add_f64 v[4:5], v[4:5], v[18:19]
	ds_bpermute_b32 v17, v24, v3
	ds_bpermute_b32 v18, v24, v4
	ds_bpermute_b32 v19, v24, v5
	;; [unrolled: 8-line block ×3, first 2 shown]
	s_waitcnt lgkmcnt(2)
	v_add_f64 v[2:3], v[2:3], v[16:17]
	s_waitcnt lgkmcnt(0)
	v_add_f64 v[16:17], v[4:5], v[18:19]
	ds_bpermute_b32 v4, v26, v2
	ds_bpermute_b32 v5, v26, v3
	;; [unrolled: 1-line block ×4, first 2 shown]
	s_and_saveexec_b64 s[12:13], s[4:5]
	s_cbranch_execz .LBB182_63
; %bb.62:                               ;   in Loop: Header=BB182_57 Depth=1
	s_waitcnt lgkmcnt(0)
	v_add_f64 v[18:19], v[16:17], v[18:19]
	v_add_f64 v[16:17], v[2:3], v[4:5]
	ds_write_b128 v27, v[16:19]
.LBB182_63:                             ;   in Loop: Header=BB182_57 Depth=1
	s_or_b64 exec, exec, s[12:13]
	s_waitcnt lgkmcnt(2)
	v_mov_b64_e32 v[4:5], 0
	v_mov_b64_e32 v[2:3], v[4:5]
	s_waitcnt lgkmcnt(0)
	s_barrier
	s_and_saveexec_b64 s[12:13], s[6:7]
	s_cbranch_execnz .LBB182_73
; %bb.64:                               ;   in Loop: Header=BB182_57 Depth=1
	s_or_b64 exec, exec, s[12:13]
	s_and_saveexec_b64 s[12:13], s[0:1]
	s_cbranch_execnz .LBB182_74
.LBB182_65:                             ;   in Loop: Header=BB182_57 Depth=1
	s_or_b64 exec, exec, s[12:13]
	s_and_saveexec_b64 s[12:13], s[8:9]
	s_cbranch_execz .LBB182_56
	s_branch .LBB182_75
.LBB182_66:                             ;   in Loop: Header=BB182_57 Depth=1
	s_waitcnt lgkmcnt(0)
	global_load_dwordx4 v[2:5], v[8:9], off
	global_load_dwordx4 v[16:19], v[10:11], off
	;; [unrolled: 1-line block ×4, first 2 shown]
	s_mul_i32 s20, s49, s25
	s_ashr_i32 s21, s20, 31
	v_lshl_add_u64 v[32:33], s[20:21], 4, v[28:29]
	global_load_dwordx4 v[44:47], v[32:33], off
	global_load_dwordx4 v[48:51], v[32:33], off offset:16
	global_load_dwordx4 v[52:55], v[32:33], off offset:48
	;; [unrolled: 1-line block ×3, first 2 shown]
	s_waitcnt vmcnt(3)
	v_mul_f64 v[32:33], v[46:47], v[42:43]
	scratch_store_dwordx4 v31, v[2:5], off
	scratch_load_dwordx4 v[2:5], off, off offset:16
	v_mul_f64 v[46:47], v[46:47], v[40:41]
	scratch_store_dwordx4 v34, v[16:19], off
	scratch_load_dwordx4 v[16:19], off, off offset:32
	v_fmac_f64_e32 v[32:33], v[44:45], v[40:41]
	scratch_store_dwordx4 v35, v[36:39], off
	scratch_load_dwordx4 v[36:39], off, off offset:48
	v_add_f64 v[32:33], v[32:33], 0
	scratch_store_dwordx4 off, v[40:43], off
	s_nop 1
	v_fma_f64 v[40:41], v[44:45], v[42:43], -v[46:47]
	v_add_f64 v[40:41], v[40:41], 0
	s_waitcnt vmcnt(5)
	v_mul_f64 v[42:43], v[50:51], v[4:5]
	v_mul_f64 v[44:45], v[50:51], v[2:3]
	v_fmac_f64_e32 v[42:43], v[48:49], v[2:3]
	s_waitcnt vmcnt(3)
	v_mul_f64 v[46:47], v[58:59], v[18:19]
	v_mul_f64 v[50:51], v[58:59], v[16:17]
	v_fma_f64 v[2:3], v[48:49], v[4:5], -v[44:45]
	s_waitcnt vmcnt(1)
	v_mul_f64 v[58:59], v[54:55], v[38:39]
	v_mul_f64 v[54:55], v[54:55], v[36:37]
	v_fmac_f64_e32 v[46:47], v[56:57], v[16:17]
	v_fma_f64 v[4:5], v[56:57], v[18:19], -v[50:51]
	v_add_f64 v[18:19], v[32:33], v[42:43]
	v_add_f64 v[2:3], v[40:41], v[2:3]
	v_fmac_f64_e32 v[58:59], v[52:53], v[36:37]
	v_fma_f64 v[16:17], v[52:53], v[38:39], -v[54:55]
	v_add_f64 v[18:19], v[18:19], v[46:47]
	v_add_f64 v[2:3], v[2:3], v[4:5]
	;; [unrolled: 1-line block ×4, first 2 shown]
	s_andn2_saveexec_b64 s[12:13], s[12:13]
	s_cbranch_execz .LBB182_59
.LBB182_67:                             ;   in Loop: Header=BB182_57 Depth=1
	s_waitcnt lgkmcnt(0)
	v_mov_b64_e32 v[4:5], 0
	v_mov_b64_e32 v[16:17], v[4:5]
	s_and_saveexec_b64 s[20:21], s[2:3]
	s_cbranch_execz .LBB182_72
; %bb.68:                               ;   in Loop: Header=BB182_57 Depth=1
	v_mov_b32_e32 v1, 0
	v_mov_b32_e32 v2, v30
	s_mov_b32 s11, s48
.LBB182_69:                             ;   Parent Loop BB182_57 Depth=1
                                        ; =>  This Inner Loop Header: Depth=2
	v_ashrrev_i32_e32 v3, 31, v2
	v_lshl_add_u64 v[4:5], v[2:3], 4, s[26:27]
	global_load_dwordx4 v[16:19], v[4:5], off
	s_add_i32 s11, s11, -1
	v_add_u32_e32 v2, s33, v2
	s_cmp_eq_u32 s11, 0
	s_waitcnt vmcnt(0)
	scratch_store_dwordx4 v1, v[16:19], off
	v_add_u32_e32 v1, 16, v1
	s_cbranch_scc0 .LBB182_69
; %bb.70:                               ;   in Loop: Header=BB182_57 Depth=1
	s_ashr_i32 s11, s10, 31
	v_mov_b64_e32 v[4:5], 0
	v_lshl_add_u64 v[2:3], s[10:11], 4, v[14:15]
	v_mov_b32_e32 v1, 0
	s_mov_b32 s11, s48
	v_mov_b64_e32 v[16:17], v[4:5]
.LBB182_71:                             ;   Parent Loop BB182_57 Depth=1
                                        ; =>  This Inner Loop Header: Depth=2
	global_load_dwordx4 v[36:39], v[2:3], off offset:-8
	scratch_load_dwordx4 v[40:43], v1, off
	s_add_i32 s11, s11, -1
	v_add_u32_e32 v1, 16, v1
	v_lshl_add_u64 v[2:3], v[2:3], 0, 16
	s_cmp_lg_u32 s11, 0
	s_waitcnt vmcnt(0)
	v_mul_f64 v[18:19], v[38:39], v[42:43]
	v_mul_f64 v[32:33], v[38:39], v[40:41]
	v_fmac_f64_e32 v[18:19], v[36:37], v[40:41]
	v_fma_f64 v[32:33], v[36:37], v[42:43], -v[32:33]
	v_add_f64 v[4:5], v[4:5], v[18:19]
	v_add_f64 v[16:17], v[16:17], v[32:33]
	s_cbranch_scc1 .LBB182_71
.LBB182_72:                             ;   in Loop: Header=BB182_57 Depth=1
	s_or_b64 exec, exec, s[20:21]
	s_or_b64 exec, exec, s[12:13]
	s_and_saveexec_b64 s[12:13], s[0:1]
	s_cbranch_execnz .LBB182_60
	s_branch .LBB182_61
.LBB182_73:                             ;   in Loop: Header=BB182_57 Depth=1
	ds_read_b128 v[2:5], v20
	s_or_b64 exec, exec, s[12:13]
	s_and_saveexec_b64 s[12:13], s[0:1]
	s_cbranch_execz .LBB182_65
.LBB182_74:                             ;   in Loop: Header=BB182_57 Depth=1
	s_waitcnt lgkmcnt(0)
	ds_bpermute_b32 v16, v25, v2
	ds_bpermute_b32 v17, v25, v3
	;; [unrolled: 1-line block ×4, first 2 shown]
	s_waitcnt lgkmcnt(2)
	v_add_f64 v[2:3], v[2:3], v[16:17]
	ds_bpermute_b32 v16, v26, v2
	s_waitcnt lgkmcnt(1)
	v_add_f64 v[4:5], v[4:5], v[18:19]
	ds_bpermute_b32 v17, v26, v3
	ds_bpermute_b32 v18, v26, v4
	;; [unrolled: 1-line block ×3, first 2 shown]
	s_waitcnt lgkmcnt(2)
	v_add_f64 v[2:3], v[2:3], v[16:17]
	s_waitcnt lgkmcnt(0)
	v_add_f64 v[4:5], v[4:5], v[18:19]
	s_or_b64 exec, exec, s[12:13]
	s_and_saveexec_b64 s[12:13], s[8:9]
	s_cbranch_execz .LBB182_56
.LBB182_75:                             ;   in Loop: Header=BB182_57 Depth=1
	s_mul_hi_u32 s21, s49, s24
	s_mul_i32 s20, s49, s24
	s_lshl_b64 s[20:21], s[20:21], 4
	s_waitcnt lgkmcnt(0)
	v_mul_f64 v[16:17], s[18:19], v[4:5]
	v_mul_f64 v[18:19], s[16:17], v[4:5]
	s_add_u32 s20, s14, s20
	v_fma_f64 v[16:17], s[16:17], v[2:3], -v[16:17]
	v_fmac_f64_e32 v[18:19], s[18:19], v[2:3]
	s_addc_u32 s21, s30, s21
	global_store_dwordx4 v0, v[16:19], s[20:21]
	s_branch .LBB182_56
.LBB182_76:
	s_endpgm
	.section	.rodata,"a",@progbits
	.p2align	6, 0x0
	.amdhsa_kernel _ZL23rocblas_gemvt_sn_kernelILb1ELi256ELi4Ei19rocblas_complex_numIdES1_S1_EviiT4_lPKT3_lilS5_lilPT5_i
		.amdhsa_group_segment_fixed_size 1024
		.amdhsa_private_segment_fixed_size 80
		.amdhsa_kernarg_size 368
		.amdhsa_user_sgpr_count 2
		.amdhsa_user_sgpr_dispatch_ptr 0
		.amdhsa_user_sgpr_queue_ptr 0
		.amdhsa_user_sgpr_kernarg_segment_ptr 1
		.amdhsa_user_sgpr_dispatch_id 0
		.amdhsa_user_sgpr_kernarg_preload_length 0
		.amdhsa_user_sgpr_kernarg_preload_offset 0
		.amdhsa_user_sgpr_private_segment_size 0
		.amdhsa_uses_dynamic_stack 0
		.amdhsa_enable_private_segment 1
		.amdhsa_system_sgpr_workgroup_id_x 1
		.amdhsa_system_sgpr_workgroup_id_y 0
		.amdhsa_system_sgpr_workgroup_id_z 1
		.amdhsa_system_sgpr_workgroup_info 0
		.amdhsa_system_vgpr_workitem_id 0
		.amdhsa_next_free_vgpr 120
		.amdhsa_next_free_sgpr 56
		.amdhsa_accum_offset 120
		.amdhsa_reserve_vcc 1
		.amdhsa_float_round_mode_32 0
		.amdhsa_float_round_mode_16_64 0
		.amdhsa_float_denorm_mode_32 3
		.amdhsa_float_denorm_mode_16_64 3
		.amdhsa_dx10_clamp 1
		.amdhsa_ieee_mode 1
		.amdhsa_fp16_overflow 0
		.amdhsa_tg_split 0
		.amdhsa_exception_fp_ieee_invalid_op 0
		.amdhsa_exception_fp_denorm_src 0
		.amdhsa_exception_fp_ieee_div_zero 0
		.amdhsa_exception_fp_ieee_overflow 0
		.amdhsa_exception_fp_ieee_underflow 0
		.amdhsa_exception_fp_ieee_inexact 0
		.amdhsa_exception_int_div_zero 0
	.end_amdhsa_kernel
	.section	.text._ZL23rocblas_gemvt_sn_kernelILb1ELi256ELi4Ei19rocblas_complex_numIdES1_S1_EviiT4_lPKT3_lilS5_lilPT5_i,"axG",@progbits,_ZL23rocblas_gemvt_sn_kernelILb1ELi256ELi4Ei19rocblas_complex_numIdES1_S1_EviiT4_lPKT3_lilS5_lilPT5_i,comdat
.Lfunc_end182:
	.size	_ZL23rocblas_gemvt_sn_kernelILb1ELi256ELi4Ei19rocblas_complex_numIdES1_S1_EviiT4_lPKT3_lilS5_lilPT5_i, .Lfunc_end182-_ZL23rocblas_gemvt_sn_kernelILb1ELi256ELi4Ei19rocblas_complex_numIdES1_S1_EviiT4_lPKT3_lilS5_lilPT5_i
                                        ; -- End function
	.section	.AMDGPU.csdata,"",@progbits
; Kernel info:
; codeLenInByte = 6692
; NumSgprs: 62
; NumVgprs: 120
; NumAgprs: 0
; TotalNumVgprs: 120
; ScratchSize: 80
; MemoryBound: 0
; FloatMode: 240
; IeeeMode: 1
; LDSByteSize: 1024 bytes/workgroup (compile time only)
; SGPRBlocks: 7
; VGPRBlocks: 14
; NumSGPRsForWavesPerEU: 62
; NumVGPRsForWavesPerEU: 120
; AccumOffset: 120
; Occupancy: 4
; WaveLimiterHint : 1
; COMPUTE_PGM_RSRC2:SCRATCH_EN: 1
; COMPUTE_PGM_RSRC2:USER_SGPR: 2
; COMPUTE_PGM_RSRC2:TRAP_HANDLER: 0
; COMPUTE_PGM_RSRC2:TGID_X_EN: 1
; COMPUTE_PGM_RSRC2:TGID_Y_EN: 0
; COMPUTE_PGM_RSRC2:TGID_Z_EN: 1
; COMPUTE_PGM_RSRC2:TIDIG_COMP_CNT: 0
; COMPUTE_PGM_RSRC3_GFX90A:ACCUM_OFFSET: 29
; COMPUTE_PGM_RSRC3_GFX90A:TG_SPLIT: 0
	.section	.text._ZL23rocblas_gemvt_sn_kernelILb1ELi256ELi4El19rocblas_complex_numIdES1_S1_EviiT4_lPKT3_lilS5_lilPT5_i,"axG",@progbits,_ZL23rocblas_gemvt_sn_kernelILb1ELi256ELi4El19rocblas_complex_numIdES1_S1_EviiT4_lPKT3_lilS5_lilPT5_i,comdat
	.globl	_ZL23rocblas_gemvt_sn_kernelILb1ELi256ELi4El19rocblas_complex_numIdES1_S1_EviiT4_lPKT3_lilS5_lilPT5_i ; -- Begin function _ZL23rocblas_gemvt_sn_kernelILb1ELi256ELi4El19rocblas_complex_numIdES1_S1_EviiT4_lPKT3_lilS5_lilPT5_i
	.p2align	8
	.type	_ZL23rocblas_gemvt_sn_kernelILb1ELi256ELi4El19rocblas_complex_numIdES1_S1_EviiT4_lPKT3_lilS5_lilPT5_i,@function
_ZL23rocblas_gemvt_sn_kernelILb1ELi256ELi4El19rocblas_complex_numIdES1_S1_EviiT4_lPKT3_lilS5_lilPT5_i: ; @_ZL23rocblas_gemvt_sn_kernelILb1ELi256ELi4El19rocblas_complex_numIdES1_S1_EviiT4_lPKT3_lilS5_lilPT5_i
; %bb.0:
	s_load_dwordx2 s[24:25], s[0:1], 0x0
	s_load_dwordx4 s[16:19], s[0:1], 0x8
	s_load_dwordx4 s[8:11], s[0:1], 0x58
	s_load_dword s26, s[0:1], 0x70
	s_mov_b32 s27, 0
	s_waitcnt lgkmcnt(0)
	s_ashr_i32 s42, s25, 31
	s_mul_hi_u32 s4, s25, s3
	s_mul_i32 s5, s42, s3
	s_add_i32 s4, s4, s5
	s_mul_i32 s5, s25, s3
	s_mul_i32 s4, s4, s26
	s_mul_hi_u32 s6, s5, s26
	s_add_i32 s7, s6, s4
	s_mul_i32 s6, s5, s26
	v_cmp_neq_f64_e64 s[4:5], s[16:17], 0
	v_cmp_neq_f64_e64 s[12:13], s[18:19], 0
	s_or_b64 s[4:5], s[4:5], s[12:13]
	s_mov_b64 s[12:13], -1
	s_and_b64 vcc, exec, s[4:5]
	v_cmp_eq_u32_e64 s[4:5], 0, v0
	s_cbranch_vccnz .LBB183_5
; %bb.1:
	s_cmp_gt_i32 s25, 0
	s_cselect_b64 s[12:13], -1, 0
	s_and_b64 s[12:13], s[4:5], s[12:13]
	s_and_saveexec_b64 s[4:5], s[12:13]
	s_cbranch_execz .LBB183_4
; %bb.2:
	s_mov_b32 s12, s3
	s_mov_b32 s3, 0
	s_lshl_b64 s[14:15], s[6:7], 4
	s_lshl_b64 s[20:21], s[2:3], 4
	s_mov_b32 s3, s12
	s_add_u32 s12, s14, s20
	s_addc_u32 s13, s15, s21
	s_add_u32 s12, s12, s10
	s_addc_u32 s13, s13, s11
	s_add_u32 s12, s12, 8
	v_mov_b32_e32 v2, 0
	s_addc_u32 s13, s13, 0
	s_lshl_b64 s[14:15], s[26:27], 4
	v_mov_b32_e32 v3, v2
	v_mov_b32_e32 v4, v2
	;; [unrolled: 1-line block ×3, first 2 shown]
	s_mov_b32 s20, s25
.LBB183_3:                              ; =>This Inner Loop Header: Depth=1
	s_add_i32 s20, s20, -1
	global_store_dwordx4 v2, v[2:5], s[12:13] offset:-8
	s_add_u32 s12, s12, s14
	s_addc_u32 s13, s13, s15
	s_cmp_eq_u32 s20, 0
	s_cbranch_scc0 .LBB183_3
.LBB183_4:
	s_or_b64 exec, exec, s[4:5]
	s_mov_b64 s[12:13], 0
.LBB183_5:
	s_andn2_b64 vcc, exec, s[12:13]
	s_cbranch_vccnz .LBB183_76
; %bb.6:
	s_load_dword s28, s[0:1], 0x30
	s_load_dword s30, s[0:1], 0x50
	s_load_dwordx4 s[20:23], s[0:1], 0x20
	s_load_dwordx4 s[12:15], s[0:1], 0x38
	s_load_dwordx2 s[4:5], s[0:1], 0x48
	s_mul_i32 s0, s3, s9
	s_mul_hi_u32 s1, s3, s8
	s_add_i32 s1, s1, s0
	s_mul_i32 s0, s3, s8
	s_waitcnt lgkmcnt(0)
	s_ashr_i32 s29, s28, 31
	s_ashr_i32 s31, s30, 31
	s_lshl_b64 s[34:35], s[0:1], 4
	s_add_u32 s0, s14, s34
	s_addc_u32 s1, s15, s35
	s_lshl_b64 s[38:39], s[4:5], 4
	s_add_u32 s40, s0, s38
	s_addc_u32 s41, s1, s39
	;; [unrolled: 3-line block ×3, first 2 shown]
	s_mul_i32 s0, s3, s13
	s_mul_hi_u32 s1, s3, s12
	s_add_i32 s1, s1, s0
	s_mul_i32 s0, s3, s12
	s_lshl_b64 s[36:37], s[0:1], 4
	s_add_u32 s0, s20, s36
	s_addc_u32 s1, s21, s37
	s_lshl_b64 s[22:23], s[22:23], 4
	s_add_u32 s0, s0, s22
	s_addc_u32 s1, s1, s23
	s_lshl_b32 s3, s2, 10
	v_lshl_or_b32 v26, v0, 2, s3
	v_ashrrev_i32_e32 v27, 31, v26
	v_lshl_add_u64 v[24:25], v[26:27], 4, s[0:1]
	s_lshr_b32 s0, s42, 30
	s_add_i32 s0, s25, s0
	s_and_b32 s55, s0, -4
	s_ashr_i32 s0, s24, 31
	s_lshr_b32 s0, s0, 30
	s_add_i32 s0, s24, s0
	s_and_b32 s0, s0, -4
	s_sub_i32 s27, s24, s0
	s_cmp_lt_i32 s55, 1
	v_add_u32_e32 v53, 4, v26
	v_add_u32_e32 v54, s27, v26
	v_and_b32_e32 v50, 63, v0
	v_cmp_gt_u32_e64 s[0:1], 64, v0
	v_mbcnt_lo_u32_b32 v52, -1, 0
	v_cmp_gt_u32_e64 s[4:5], 4, v0
	v_lshrrev_b32_e32 v51, 2, v0
	v_or_b32_e32 v49, 1, v26
	v_or_b32_e32 v48, 2, v26
	;; [unrolled: 1-line block ×3, first 2 shown]
	s_cbranch_scc1 .LBB183_53
; %bb.7:
	v_mbcnt_hi_u32_b32 v2, -1, v52
	v_and_b32_e32 v3, 63, v2
	v_cmp_gt_u32_e32 vcc, 32, v3
	s_mov_b32 s3, 0
	s_cmp_gt_i32 s27, 0
	v_cndmask_b32_e64 v4, 0, 1, vcc
	v_lshlrev_b32_e32 v4, 5, v4
	v_cmp_gt_u32_e32 vcc, 48, v3
	v_add_lshl_u32 v55, v4, v2, 2
	s_cselect_b64 s[42:43], -1, 0
	v_cndmask_b32_e64 v4, 0, 1, vcc
	v_lshlrev_b32_e32 v4, 4, v4
	v_cmp_gt_u32_e32 vcc, 56, v3
	v_add_lshl_u32 v56, v4, v2, 2
	s_lshl_b64 s[44:45], s[2:3], 4
	v_cndmask_b32_e64 v4, 0, 1, vcc
	v_lshlrev_b32_e32 v4, 3, v4
	v_cmp_gt_u32_e32 vcc, 60, v3
	v_add_lshl_u32 v57, v4, v2, 2
	s_add_u32 s56, s33, s44
	v_cndmask_b32_e64 v4, 0, 1, vcc
	v_lshlrev_b32_e32 v4, 2, v4
	v_cmp_gt_u32_e32 vcc, 62, v3
	v_add_lshl_u32 v58, v4, v2, 2
	s_addc_u32 s57, s54, s45
	v_cndmask_b32_e64 v4, 0, 1, vcc
	v_lshlrev_b32_e32 v4, 1, v4
	v_add_lshl_u32 v59, v4, v2, 2
	v_cmp_ne_u32_e32 vcc, 63, v3
	v_mad_i64_i32 v[4:5], s[44:45], s30, v49, 0
	s_nop 0
	v_addc_co_u32_e32 v2, vcc, 0, v2, vcc
	v_lshl_add_u64 v[30:31], v[4:5], 4, s[40:41]
	v_mad_i64_i32 v[4:5], s[44:45], s30, v48, 0
	v_lshlrev_b32_e32 v60, 2, v2
	v_mad_i64_i32 v[2:3], s[44:45], s30, v26, 0
	v_lshl_add_u64 v[32:33], v[4:5], 4, s[40:41]
	v_mad_i64_i32 v[4:5], s[44:45], s30, v1, 0
	s_add_u32 s44, s14, s38
	s_addc_u32 s45, s15, s39
	s_add_u32 s44, s44, s34
	v_lshlrev_b64 v[2:3], 4, v[2:3]
	v_mov_b32_e32 v6, 0
	s_addc_u32 s45, s45, s35
	v_cmp_ge_i32_e64 s[6:7], s24, v53
	v_cmp_ge_i32_e64 s[8:9], s24, v54
	v_cmp_eq_u32_e64 s[10:11], 0, v50
	v_lshlrev_b32_e32 v61, 4, v50
	v_and_b32_e32 v62, 48, v51
	v_cmp_eq_u32_e64 s[12:13], 0, v0
	v_lshl_add_u64 v[28:29], s[40:41], 0, v[2:3]
	v_add_u32_e32 v63, 16, v6
	v_add_u32_e32 v64, 32, v6
	v_lshl_add_u64 v[34:35], v[4:5], 4, s[40:41]
	v_add_u32_e32 v65, 48, v6
	v_lshl_add_u64 v[36:37], s[44:45], 0, v[2:3]
	s_lshl_b64 s[44:45], s[30:31], 4
	s_lshl_b64 s[46:47], s[28:29], 6
	;; [unrolled: 1-line block ×3, first 2 shown]
	v_mov_b32_e32 v2, 0
	v_mov_b64_e32 v[38:39], v[24:25]
	s_branch .LBB183_9
.LBB183_8:                              ;   in Loop: Header=BB183_9 Depth=1
	s_or_b64 exec, exec, s[50:51]
	s_add_i32 s3, s3, 4
	s_cmp_ge_i32 s3, s55
	v_lshl_add_u64 v[38:39], v[38:39], 0, s[46:47]
	s_cbranch_scc1 .LBB183_54
.LBB183_9:                              ; =>This Loop Header: Depth=1
                                        ;     Child Loop BB183_40 Depth 2
                                        ;     Child Loop BB183_42 Depth 2
                                        ; implicit-def: $vgpr18_vgpr19
                                        ; implicit-def: $vgpr20_vgpr21
                                        ; implicit-def: $vgpr14_vgpr15
                                        ; implicit-def: $vgpr16_vgpr17
                                        ; implicit-def: $vgpr10_vgpr11
                                        ; implicit-def: $vgpr12_vgpr13
                                        ; implicit-def: $vgpr8_vgpr9
                                        ; implicit-def: $vgpr6_vgpr7
	s_and_saveexec_b64 s[50:51], s[6:7]
	s_xor_b64 s[50:51], exec, s[50:51]
	s_cbranch_execnz .LBB183_36
; %bb.10:                               ;   in Loop: Header=BB183_9 Depth=1
	s_andn2_saveexec_b64 s[50:51], s[50:51]
	s_cbranch_execnz .LBB183_37
.LBB183_11:                             ;   in Loop: Header=BB183_9 Depth=1
	s_or_b64 exec, exec, s[50:51]
	s_and_saveexec_b64 s[50:51], s[0:1]
	s_cbranch_execz .LBB183_13
.LBB183_12:                             ;   in Loop: Header=BB183_9 Depth=1
	v_mov_b32_e32 v3, v2
	v_mov_b32_e32 v4, v2
	;; [unrolled: 1-line block ×3, first 2 shown]
	ds_write_b128 v61, v[2:5]
.LBB183_13:                             ;   in Loop: Header=BB183_9 Depth=1
	s_or_b64 exec, exec, s[50:51]
	ds_bpermute_b32 v4, v55, v8
	ds_bpermute_b32 v5, v55, v9
	;; [unrolled: 1-line block ×4, first 2 shown]
	s_waitcnt lgkmcnt(0)
	s_barrier
	v_add_f64 v[4:5], v[8:9], v[4:5]
	ds_bpermute_b32 v8, v56, v4
	v_add_f64 v[6:7], v[6:7], v[22:23]
	ds_bpermute_b32 v9, v56, v5
	ds_bpermute_b32 v22, v56, v6
	;; [unrolled: 1-line block ×3, first 2 shown]
	s_waitcnt lgkmcnt(0)
	v_add_f64 v[4:5], v[4:5], v[8:9]
	ds_bpermute_b32 v8, v57, v4
	v_add_f64 v[6:7], v[6:7], v[22:23]
	ds_bpermute_b32 v9, v57, v5
	ds_bpermute_b32 v22, v57, v6
	;; [unrolled: 1-line block ×3, first 2 shown]
	s_waitcnt lgkmcnt(2)
	v_add_f64 v[4:5], v[4:5], v[8:9]
	ds_bpermute_b32 v8, v58, v4
	s_waitcnt lgkmcnt(1)
	v_add_f64 v[6:7], v[6:7], v[22:23]
	ds_bpermute_b32 v9, v58, v5
	ds_bpermute_b32 v22, v58, v6
	;; [unrolled: 1-line block ×3, first 2 shown]
	s_waitcnt lgkmcnt(2)
	v_add_f64 v[4:5], v[4:5], v[8:9]
	ds_bpermute_b32 v8, v59, v4
	s_waitcnt lgkmcnt(1)
	v_add_f64 v[6:7], v[6:7], v[22:23]
	ds_bpermute_b32 v9, v59, v5
	ds_bpermute_b32 v22, v59, v6
	;; [unrolled: 1-line block ×3, first 2 shown]
	s_waitcnt lgkmcnt(2)
	v_add_f64 v[4:5], v[4:5], v[8:9]
	s_waitcnt lgkmcnt(0)
	v_add_f64 v[8:9], v[6:7], v[22:23]
	ds_bpermute_b32 v6, v60, v4
	ds_bpermute_b32 v7, v60, v5
	;; [unrolled: 1-line block ×4, first 2 shown]
	s_and_saveexec_b64 s[50:51], s[10:11]
	s_cbranch_execz .LBB183_15
; %bb.14:                               ;   in Loop: Header=BB183_9 Depth=1
	s_waitcnt lgkmcnt(0)
	v_add_f64 v[8:9], v[8:9], v[22:23]
	v_add_f64 v[6:7], v[4:5], v[6:7]
	ds_write_b128 v62, v[6:9]
.LBB183_15:                             ;   in Loop: Header=BB183_9 Depth=1
	s_or_b64 exec, exec, s[50:51]
	v_mov_b64_e32 v[8:9], 0
	s_waitcnt lgkmcnt(2)
	v_mov_b64_e32 v[6:7], v[8:9]
	s_waitcnt lgkmcnt(0)
	s_barrier
	s_and_saveexec_b64 s[50:51], s[4:5]
	s_cbranch_execnz .LBB183_44
; %bb.16:                               ;   in Loop: Header=BB183_9 Depth=1
	s_or_b64 exec, exec, s[50:51]
	s_and_saveexec_b64 s[50:51], s[0:1]
	s_cbranch_execnz .LBB183_45
.LBB183_17:                             ;   in Loop: Header=BB183_9 Depth=1
	s_or_b64 exec, exec, s[50:51]
	s_and_saveexec_b64 s[50:51], s[0:1]
	s_cbranch_execz .LBB183_19
.LBB183_18:                             ;   in Loop: Header=BB183_9 Depth=1
	v_mov_b32_e32 v3, v2
	v_mov_b32_e32 v4, v2
	;; [unrolled: 1-line block ×3, first 2 shown]
	ds_write_b128 v61, v[2:5]
.LBB183_19:                             ;   in Loop: Header=BB183_9 Depth=1
	s_or_b64 exec, exec, s[50:51]
	ds_bpermute_b32 v4, v55, v10
	ds_bpermute_b32 v5, v55, v11
	;; [unrolled: 1-line block ×4, first 2 shown]
	s_waitcnt lgkmcnt(0)
	s_barrier
	v_add_f64 v[4:5], v[10:11], v[4:5]
	v_add_f64 v[10:11], v[12:13], v[22:23]
	ds_bpermute_b32 v12, v56, v4
	ds_bpermute_b32 v13, v56, v5
	;; [unrolled: 1-line block ×4, first 2 shown]
	s_waitcnt lgkmcnt(2)
	v_add_f64 v[4:5], v[4:5], v[12:13]
	ds_bpermute_b32 v12, v57, v4
	s_waitcnt lgkmcnt(1)
	v_add_f64 v[10:11], v[10:11], v[22:23]
	ds_bpermute_b32 v13, v57, v5
	ds_bpermute_b32 v22, v57, v10
	ds_bpermute_b32 v23, v57, v11
	s_waitcnt lgkmcnt(2)
	v_add_f64 v[4:5], v[4:5], v[12:13]
	ds_bpermute_b32 v12, v58, v4
	s_waitcnt lgkmcnt(1)
	v_add_f64 v[10:11], v[10:11], v[22:23]
	ds_bpermute_b32 v13, v58, v5
	ds_bpermute_b32 v22, v58, v10
	ds_bpermute_b32 v23, v58, v11
	;; [unrolled: 8-line block ×3, first 2 shown]
	s_waitcnt lgkmcnt(2)
	v_add_f64 v[4:5], v[4:5], v[12:13]
	s_waitcnt lgkmcnt(0)
	v_add_f64 v[12:13], v[10:11], v[22:23]
	ds_bpermute_b32 v10, v60, v4
	ds_bpermute_b32 v11, v60, v5
	;; [unrolled: 1-line block ×4, first 2 shown]
	s_and_saveexec_b64 s[50:51], s[10:11]
	s_cbranch_execz .LBB183_21
; %bb.20:                               ;   in Loop: Header=BB183_9 Depth=1
	s_waitcnt lgkmcnt(0)
	v_add_f64 v[12:13], v[12:13], v[22:23]
	v_add_f64 v[10:11], v[4:5], v[10:11]
	ds_write_b128 v62, v[10:13]
.LBB183_21:                             ;   in Loop: Header=BB183_9 Depth=1
	s_or_b64 exec, exec, s[50:51]
	v_mov_b64_e32 v[12:13], 0
	s_waitcnt lgkmcnt(2)
	v_mov_b64_e32 v[10:11], v[12:13]
	s_waitcnt lgkmcnt(0)
	s_barrier
	s_and_saveexec_b64 s[50:51], s[4:5]
	s_cbranch_execnz .LBB183_46
; %bb.22:                               ;   in Loop: Header=BB183_9 Depth=1
	s_or_b64 exec, exec, s[50:51]
	s_and_saveexec_b64 s[50:51], s[0:1]
	s_cbranch_execnz .LBB183_47
.LBB183_23:                             ;   in Loop: Header=BB183_9 Depth=1
	s_or_b64 exec, exec, s[50:51]
	s_and_saveexec_b64 s[50:51], s[0:1]
	s_cbranch_execz .LBB183_25
.LBB183_24:                             ;   in Loop: Header=BB183_9 Depth=1
	v_mov_b32_e32 v3, v2
	v_mov_b32_e32 v4, v2
	;; [unrolled: 1-line block ×3, first 2 shown]
	ds_write_b128 v61, v[2:5]
.LBB183_25:                             ;   in Loop: Header=BB183_9 Depth=1
	s_or_b64 exec, exec, s[50:51]
	ds_bpermute_b32 v4, v55, v14
	ds_bpermute_b32 v5, v55, v15
	;; [unrolled: 1-line block ×4, first 2 shown]
	s_waitcnt lgkmcnt(0)
	s_barrier
	v_add_f64 v[4:5], v[14:15], v[4:5]
	v_add_f64 v[14:15], v[16:17], v[22:23]
	ds_bpermute_b32 v16, v56, v4
	ds_bpermute_b32 v17, v56, v5
	;; [unrolled: 1-line block ×4, first 2 shown]
	s_waitcnt lgkmcnt(2)
	v_add_f64 v[4:5], v[4:5], v[16:17]
	ds_bpermute_b32 v16, v57, v4
	s_waitcnt lgkmcnt(1)
	v_add_f64 v[14:15], v[14:15], v[22:23]
	ds_bpermute_b32 v17, v57, v5
	ds_bpermute_b32 v22, v57, v14
	ds_bpermute_b32 v23, v57, v15
	s_waitcnt lgkmcnt(2)
	v_add_f64 v[4:5], v[4:5], v[16:17]
	ds_bpermute_b32 v16, v58, v4
	s_waitcnt lgkmcnt(1)
	v_add_f64 v[14:15], v[14:15], v[22:23]
	ds_bpermute_b32 v17, v58, v5
	ds_bpermute_b32 v22, v58, v14
	ds_bpermute_b32 v23, v58, v15
	;; [unrolled: 8-line block ×3, first 2 shown]
	s_waitcnt lgkmcnt(2)
	v_add_f64 v[4:5], v[4:5], v[16:17]
	s_waitcnt lgkmcnt(0)
	v_add_f64 v[16:17], v[14:15], v[22:23]
	ds_bpermute_b32 v14, v60, v4
	ds_bpermute_b32 v15, v60, v5
	;; [unrolled: 1-line block ×4, first 2 shown]
	s_and_saveexec_b64 s[50:51], s[10:11]
	s_cbranch_execz .LBB183_27
; %bb.26:                               ;   in Loop: Header=BB183_9 Depth=1
	s_waitcnt lgkmcnt(0)
	v_add_f64 v[16:17], v[16:17], v[22:23]
	v_add_f64 v[14:15], v[4:5], v[14:15]
	ds_write_b128 v62, v[14:17]
.LBB183_27:                             ;   in Loop: Header=BB183_9 Depth=1
	s_or_b64 exec, exec, s[50:51]
	v_mov_b64_e32 v[16:17], 0
	s_waitcnt lgkmcnt(2)
	v_mov_b64_e32 v[14:15], v[16:17]
	s_waitcnt lgkmcnt(0)
	s_barrier
	s_and_saveexec_b64 s[50:51], s[4:5]
	s_cbranch_execnz .LBB183_48
; %bb.28:                               ;   in Loop: Header=BB183_9 Depth=1
	s_or_b64 exec, exec, s[50:51]
	s_and_saveexec_b64 s[50:51], s[0:1]
	s_cbranch_execnz .LBB183_49
.LBB183_29:                             ;   in Loop: Header=BB183_9 Depth=1
	s_or_b64 exec, exec, s[50:51]
	s_and_saveexec_b64 s[50:51], s[0:1]
	s_cbranch_execz .LBB183_31
.LBB183_30:                             ;   in Loop: Header=BB183_9 Depth=1
	v_mov_b32_e32 v3, v2
	v_mov_b32_e32 v4, v2
	;; [unrolled: 1-line block ×3, first 2 shown]
	ds_write_b128 v61, v[2:5]
.LBB183_31:                             ;   in Loop: Header=BB183_9 Depth=1
	s_or_b64 exec, exec, s[50:51]
	ds_bpermute_b32 v4, v55, v18
	ds_bpermute_b32 v5, v55, v19
	ds_bpermute_b32 v22, v55, v20
	ds_bpermute_b32 v23, v55, v21
	s_waitcnt lgkmcnt(0)
	s_barrier
	v_add_f64 v[4:5], v[18:19], v[4:5]
	v_add_f64 v[18:19], v[20:21], v[22:23]
	ds_bpermute_b32 v20, v56, v4
	ds_bpermute_b32 v21, v56, v5
	;; [unrolled: 1-line block ×4, first 2 shown]
	s_waitcnt lgkmcnt(2)
	v_add_f64 v[4:5], v[4:5], v[20:21]
	ds_bpermute_b32 v20, v57, v4
	s_waitcnt lgkmcnt(1)
	v_add_f64 v[18:19], v[18:19], v[22:23]
	ds_bpermute_b32 v21, v57, v5
	ds_bpermute_b32 v22, v57, v18
	ds_bpermute_b32 v23, v57, v19
	s_waitcnt lgkmcnt(2)
	v_add_f64 v[4:5], v[4:5], v[20:21]
	ds_bpermute_b32 v20, v58, v4
	s_waitcnt lgkmcnt(1)
	v_add_f64 v[18:19], v[18:19], v[22:23]
	ds_bpermute_b32 v21, v58, v5
	ds_bpermute_b32 v22, v58, v18
	ds_bpermute_b32 v23, v58, v19
	;; [unrolled: 8-line block ×3, first 2 shown]
	s_waitcnt lgkmcnt(2)
	v_add_f64 v[4:5], v[4:5], v[20:21]
	s_waitcnt lgkmcnt(0)
	v_add_f64 v[20:21], v[18:19], v[22:23]
	ds_bpermute_b32 v18, v60, v4
	ds_bpermute_b32 v19, v60, v5
	ds_bpermute_b32 v22, v60, v20
	ds_bpermute_b32 v23, v60, v21
	s_and_saveexec_b64 s[50:51], s[10:11]
	s_cbranch_execz .LBB183_33
; %bb.32:                               ;   in Loop: Header=BB183_9 Depth=1
	s_waitcnt lgkmcnt(0)
	v_add_f64 v[20:21], v[20:21], v[22:23]
	v_add_f64 v[18:19], v[4:5], v[18:19]
	ds_write_b128 v62, v[18:21]
.LBB183_33:                             ;   in Loop: Header=BB183_9 Depth=1
	s_or_b64 exec, exec, s[50:51]
	v_mov_b64_e32 v[20:21], 0
	s_waitcnt lgkmcnt(2)
	v_mov_b64_e32 v[18:19], v[20:21]
	s_waitcnt lgkmcnt(0)
	s_barrier
	s_and_saveexec_b64 s[50:51], s[4:5]
	s_cbranch_execnz .LBB183_50
; %bb.34:                               ;   in Loop: Header=BB183_9 Depth=1
	s_or_b64 exec, exec, s[50:51]
	s_and_saveexec_b64 s[50:51], s[0:1]
	s_cbranch_execnz .LBB183_51
.LBB183_35:                             ;   in Loop: Header=BB183_9 Depth=1
	s_or_b64 exec, exec, s[50:51]
	s_and_saveexec_b64 s[50:51], s[12:13]
	s_cbranch_execz .LBB183_8
	s_branch .LBB183_52
.LBB183_36:                             ;   in Loop: Header=BB183_9 Depth=1
	global_load_dwordx4 v[4:7], v[30:31], off
	global_load_dwordx4 v[66:69], v[32:33], off
	s_mul_i32 s53, s3, s29
	s_mul_hi_u32 s58, s3, s28
	s_or_b32 s59, s3, 1
	s_mul_i32 s52, s3, s28
	s_or_b32 s60, s3, 2
	s_add_i32 s53, s58, s53
	s_mul_i32 s61, s59, s29
	s_mul_hi_u32 s63, s59, s28
	s_mul_i32 s58, s59, s28
	s_mul_i32 s64, s60, s29
	s_mul_hi_u32 s65, s60, s28
	v_lshl_add_u64 v[44:45], s[52:53], 4, v[24:25]
	s_add_i32 s59, s63, s61
	s_mul_i32 s60, s60, s28
	global_load_dwordx4 v[8:11], v[44:45], off offset:16
	v_lshl_add_u64 v[46:47], s[58:59], 4, v[24:25]
	s_add_i32 s61, s65, s64
	s_or_b32 s62, s3, 3
	global_load_dwordx4 v[12:15], v[46:47], off offset:16
	v_lshl_add_u64 v[40:41], s[60:61], 4, v[24:25]
	s_waitcnt lgkmcnt(0)
	global_load_dwordx4 v[16:19], v[40:41], off offset:16
	s_mul_i32 s53, s62, s29
	s_mul_hi_u32 s58, s62, s28
	s_mul_i32 s52, s62, s28
	s_add_i32 s53, s58, s53
	v_lshl_add_u64 v[42:43], s[52:53], 4, v[24:25]
	s_waitcnt vmcnt(4)
	scratch_store_dwordx4 v63, v[4:7], off
	scratch_load_dwordx4 v[4:7], off, off offset:16
	s_nop 0
	global_load_dwordx4 v[20:23], v[42:43], off offset:16
	global_load_dwordx4 v[70:73], v[34:35], off
	global_load_dwordx4 v[74:77], v[44:45], off offset:32
	s_waitcnt vmcnt(3)
	v_mul_f64 v[106:107], v[6:7], v[10:11]
	scratch_store_dwordx4 v64, v[66:69], off
	scratch_load_dwordx4 v[66:69], off, off offset:32
	s_nop 0
	global_load_dwordx4 v[78:81], v[46:47], off offset:32
	global_load_dwordx4 v[82:85], v[28:29], off
	global_load_dwordx4 v[86:89], v[40:41], off offset:32
	global_load_dwordx4 v[90:93], v[44:45], off
	global_load_dwordx4 v[94:97], v[46:47], off
	;; [unrolled: 1-line block ×3, first 2 shown]
	global_load_dwordx4 v[102:105], v[42:43], off offset:32
	v_mul_f64 v[10:11], v[4:5], v[10:11]
	v_fmac_f64_e32 v[106:107], v[4:5], v[8:9]
	v_fma_f64 v[108:109], v[6:7], v[8:9], -v[10:11]
	v_mul_f64 v[8:9], v[4:5], v[14:15]
	v_fma_f64 v[112:113], v[6:7], v[12:13], -v[8:9]
	v_mul_f64 v[8:9], v[4:5], v[18:19]
	v_mul_f64 v[110:111], v[6:7], v[14:15]
	;; [unrolled: 1-line block ×3, first 2 shown]
	v_fma_f64 v[116:117], v[6:7], v[16:17], -v[8:9]
	s_waitcnt vmcnt(11)
	v_mul_f64 v[118:119], v[6:7], v[22:23]
	v_mul_f64 v[8:9], v[4:5], v[22:23]
	v_fmac_f64_e32 v[110:111], v[4:5], v[12:13]
	v_fmac_f64_e32 v[114:115], v[4:5], v[16:17]
	;; [unrolled: 1-line block ×3, first 2 shown]
	v_fma_f64 v[120:121], v[6:7], v[20:21], -v[8:9]
	global_load_dwordx4 v[4:7], v[42:43], off
	global_load_dwordx4 v[8:11], v[44:45], off offset:48
	global_load_dwordx4 v[12:15], v[46:47], off offset:48
	s_waitcnt vmcnt(10)
	v_mul_f64 v[16:17], v[66:67], v[76:77]
	v_fma_f64 v[46:47], v[68:69], v[74:75], -v[16:17]
	s_waitcnt vmcnt(9)
	v_mul_f64 v[16:17], v[66:67], v[80:81]
	scratch_store_dwordx4 v65, v[70:73], off
	v_mul_f64 v[44:45], v[68:69], v[76:77]
	v_fmac_f64_e32 v[44:45], v[66:67], v[74:75]
	v_mul_f64 v[70:71], v[68:69], v[80:81]
	v_fma_f64 v[72:73], v[68:69], v[78:79], -v[16:17]
	s_waitcnt vmcnt(8)
	v_mul_f64 v[16:17], v[66:67], v[88:89]
	v_fmac_f64_e32 v[70:71], v[66:67], v[78:79]
	v_mul_f64 v[74:75], v[68:69], v[88:89]
	v_fma_f64 v[76:77], v[68:69], v[86:87], -v[16:17]
	s_waitcnt vmcnt(4)
	v_mul_f64 v[78:79], v[68:69], v[104:105]
	v_mul_f64 v[16:17], v[66:67], v[104:105]
	;; [unrolled: 1-line block ×3, first 2 shown]
	v_fmac_f64_e32 v[74:75], v[66:67], v[86:87]
	v_fmac_f64_e32 v[78:79], v[66:67], v[102:103]
	v_fma_f64 v[66:67], v[68:69], v[102:103], -v[16:17]
	scratch_load_dwordx4 v[16:19], off, off offset:48
	v_fma_f64 v[80:81], v[84:85], v[90:91], -v[20:21]
	v_mul_f64 v[86:87], v[84:85], v[96:97]
	v_mul_f64 v[20:21], v[82:83], v[96:97]
	v_fmac_f64_e32 v[86:87], v[82:83], v[94:95]
	v_fma_f64 v[88:89], v[84:85], v[94:95], -v[20:21]
	v_mul_f64 v[20:21], v[82:83], v[100:101]
	s_waitcnt vmcnt(4)
	v_mul_f64 v[94:95], v[84:85], v[6:7]
	v_mul_f64 v[6:7], v[82:83], v[6:7]
	;; [unrolled: 1-line block ×3, first 2 shown]
	v_fma_f64 v[92:93], v[84:85], v[98:99], -v[20:21]
	v_fmac_f64_e32 v[94:95], v[82:83], v[4:5]
	v_fma_f64 v[96:97], v[84:85], v[4:5], -v[6:7]
	global_load_dwordx4 v[4:7], v[40:41], off offset:48
	global_load_dwordx4 v[20:23], v[42:43], off offset:48
	v_fmac_f64_e32 v[68:69], v[82:83], v[90:91]
	v_mul_f64 v[90:91], v[84:85], v[100:101]
	v_fmac_f64_e32 v[90:91], v[82:83], v[98:99]
	scratch_store_dwordx4 off, v[82:85], off
	v_add_f64 v[40:41], v[68:69], 0
	v_add_f64 v[42:43], v[80:81], 0
	;; [unrolled: 1-line block ×8, first 2 shown]
	s_waitcnt vmcnt(3)
	v_mul_f64 v[90:91], v[18:19], v[10:11]
	v_mul_f64 v[10:11], v[16:17], v[10:11]
	v_fmac_f64_e32 v[90:91], v[16:17], v[8:9]
	v_fma_f64 v[10:11], v[18:19], v[8:9], -v[10:11]
	v_mul_f64 v[92:93], v[18:19], v[14:15]
	v_mul_f64 v[8:9], v[16:17], v[14:15]
	v_fmac_f64_e32 v[92:93], v[16:17], v[12:13]
	v_fma_f64 v[12:13], v[18:19], v[12:13], -v[8:9]
	v_add_f64 v[8:9], v[42:43], v[108:109]
	v_add_f64 v[42:43], v[86:87], v[118:119]
	;; [unrolled: 1-line block ×3, first 2 shown]
	s_waitcnt vmcnt(2)
	v_mul_f64 v[14:15], v[18:19], v[6:7]
	v_mul_f64 v[6:7], v[16:17], v[6:7]
	v_fmac_f64_e32 v[14:15], v[16:17], v[4:5]
	v_fma_f64 v[4:5], v[18:19], v[4:5], -v[6:7]
	s_waitcnt vmcnt(1)
	v_mul_f64 v[94:95], v[18:19], v[22:23]
	v_mul_f64 v[6:7], v[16:17], v[22:23]
	v_fmac_f64_e32 v[94:95], v[16:17], v[20:21]
	v_fma_f64 v[20:21], v[18:19], v[20:21], -v[6:7]
	v_add_f64 v[6:7], v[40:41], v[106:107]
	v_add_f64 v[16:17], v[68:69], v[110:111]
	;; [unrolled: 1-line block ×21, first 2 shown]
	s_andn2_saveexec_b64 s[50:51], s[50:51]
	s_cbranch_execz .LBB183_11
.LBB183_37:                             ;   in Loop: Header=BB183_9 Depth=1
	s_waitcnt lgkmcnt(0)
	v_mov_b64_e32 v[18:19], 0
	v_mov_b64_e32 v[20:21], v[18:19]
	;; [unrolled: 1-line block ×8, first 2 shown]
	s_and_saveexec_b64 s[52:53], s[8:9]
	s_cbranch_execz .LBB183_43
; %bb.38:                               ;   in Loop: Header=BB183_9 Depth=1
	v_mov_b64_e32 v[18:19], 0
	s_andn2_b64 vcc, exec, s[42:43]
	v_mov_b64_e32 v[20:21], v[18:19]
	v_mov_b64_e32 v[14:15], v[18:19]
	;; [unrolled: 1-line block ×7, first 2 shown]
	s_cbranch_vccnz .LBB183_43
; %bb.39:                               ;   in Loop: Header=BB183_9 Depth=1
	v_mov_b32_e32 v3, 0
	v_mov_b64_e32 v[4:5], v[36:37]
	s_mov_b32 s58, s27
.LBB183_40:                             ;   Parent Loop BB183_9 Depth=1
                                        ; =>  This Inner Loop Header: Depth=2
	global_load_dwordx4 v[6:9], v[4:5], off
	s_add_i32 s58, s58, -1
	v_lshl_add_u64 v[4:5], v[4:5], 0, s[44:45]
	s_cmp_eq_u32 s58, 0
	s_waitcnt vmcnt(0)
	scratch_store_dwordx4 v3, v[6:9], off
	v_add_u32_e32 v3, 16, v3
	s_cbranch_scc0 .LBB183_40
; %bb.41:                               ;   in Loop: Header=BB183_9 Depth=1
	v_mov_b64_e32 v[6:7], 0
	v_mov_b32_e32 v3, 0
	v_mov_b64_e32 v[4:5], v[38:39]
	s_mov_b32 s58, s27
	v_mov_b64_e32 v[8:9], v[6:7]
	v_mov_b64_e32 v[12:13], v[6:7]
	;; [unrolled: 1-line block ×7, first 2 shown]
.LBB183_42:                             ;   Parent Loop BB183_9 Depth=1
                                        ; =>  This Inner Loop Header: Depth=2
	scratch_load_dwordx4 v[40:43], v3, off
	global_load_dwordx4 v[44:47], v[4:5], off
	v_lshl_add_u64 v[22:23], v[4:5], 0, s[48:49]
	global_load_dwordx4 v[66:69], v[22:23], off
	v_lshl_add_u64 v[22:23], v[22:23], 0, s[48:49]
	;; [unrolled: 2-line block ×3, first 2 shown]
	global_load_dwordx4 v[74:77], v[22:23], off
	s_add_i32 s58, s58, -1
	v_add_u32_e32 v3, 16, v3
	s_cmp_lg_u32 s58, 0
	v_lshl_add_u64 v[4:5], v[4:5], 0, 16
	s_waitcnt vmcnt(3)
	v_mul_f64 v[22:23], v[42:43], v[46:47]
	v_mul_f64 v[46:47], v[40:41], v[46:47]
	v_fmac_f64_e32 v[22:23], v[40:41], v[44:45]
	v_fma_f64 v[44:45], v[42:43], v[44:45], -v[46:47]
	s_waitcnt vmcnt(2)
	v_mul_f64 v[46:47], v[42:43], v[68:69]
	v_mul_f64 v[68:69], v[40:41], v[68:69]
	v_add_f64 v[8:9], v[8:9], v[22:23]
	v_fmac_f64_e32 v[46:47], v[40:41], v[66:67]
	v_fma_f64 v[22:23], v[42:43], v[66:67], -v[68:69]
	s_waitcnt vmcnt(1)
	v_mul_f64 v[66:67], v[40:41], v[72:73]
	v_add_f64 v[6:7], v[6:7], v[44:45]
	v_mul_f64 v[44:45], v[42:43], v[72:73]
	v_add_f64 v[10:11], v[10:11], v[46:47]
	v_add_f64 v[12:13], v[12:13], v[22:23]
	v_fma_f64 v[22:23], v[42:43], v[70:71], -v[66:67]
	s_waitcnt vmcnt(0)
	v_mul_f64 v[46:47], v[42:43], v[76:77]
	v_mul_f64 v[66:67], v[40:41], v[76:77]
	v_fmac_f64_e32 v[44:45], v[40:41], v[70:71]
	v_add_f64 v[16:17], v[16:17], v[22:23]
	v_fmac_f64_e32 v[46:47], v[40:41], v[74:75]
	v_fma_f64 v[22:23], v[42:43], v[74:75], -v[66:67]
	v_add_f64 v[14:15], v[14:15], v[44:45]
	v_add_f64 v[18:19], v[18:19], v[46:47]
	;; [unrolled: 1-line block ×3, first 2 shown]
	s_cbranch_scc1 .LBB183_42
.LBB183_43:                             ;   in Loop: Header=BB183_9 Depth=1
	s_or_b64 exec, exec, s[52:53]
	s_or_b64 exec, exec, s[50:51]
	s_and_saveexec_b64 s[50:51], s[0:1]
	s_cbranch_execnz .LBB183_12
	s_branch .LBB183_13
.LBB183_44:                             ;   in Loop: Header=BB183_9 Depth=1
	ds_read_b128 v[6:9], v61
	s_or_b64 exec, exec, s[50:51]
	s_and_saveexec_b64 s[50:51], s[0:1]
	s_cbranch_execz .LBB183_17
.LBB183_45:                             ;   in Loop: Header=BB183_9 Depth=1
	s_waitcnt lgkmcnt(0)
	ds_bpermute_b32 v4, v59, v6
	ds_bpermute_b32 v5, v59, v7
	;; [unrolled: 1-line block ×4, first 2 shown]
	s_waitcnt lgkmcnt(2)
	v_add_f64 v[4:5], v[6:7], v[4:5]
	ds_bpermute_b32 v6, v60, v4
	s_waitcnt lgkmcnt(1)
	v_add_f64 v[8:9], v[8:9], v[22:23]
	ds_bpermute_b32 v7, v60, v5
	ds_bpermute_b32 v22, v60, v8
	;; [unrolled: 1-line block ×3, first 2 shown]
	s_waitcnt lgkmcnt(2)
	v_add_f64 v[6:7], v[4:5], v[6:7]
	s_waitcnt lgkmcnt(0)
	v_add_f64 v[8:9], v[8:9], v[22:23]
	s_or_b64 exec, exec, s[50:51]
	s_and_saveexec_b64 s[50:51], s[0:1]
	s_cbranch_execnz .LBB183_18
	s_branch .LBB183_19
.LBB183_46:                             ;   in Loop: Header=BB183_9 Depth=1
	ds_read_b128 v[10:13], v61
	s_or_b64 exec, exec, s[50:51]
	s_and_saveexec_b64 s[50:51], s[0:1]
	s_cbranch_execz .LBB183_23
.LBB183_47:                             ;   in Loop: Header=BB183_9 Depth=1
	s_waitcnt lgkmcnt(0)
	ds_bpermute_b32 v4, v59, v10
	ds_bpermute_b32 v5, v59, v11
	;; [unrolled: 1-line block ×4, first 2 shown]
	s_waitcnt lgkmcnt(2)
	v_add_f64 v[4:5], v[10:11], v[4:5]
	ds_bpermute_b32 v10, v60, v4
	s_waitcnt lgkmcnt(1)
	v_add_f64 v[12:13], v[12:13], v[22:23]
	ds_bpermute_b32 v11, v60, v5
	ds_bpermute_b32 v22, v60, v12
	;; [unrolled: 1-line block ×3, first 2 shown]
	s_waitcnt lgkmcnt(2)
	v_add_f64 v[10:11], v[4:5], v[10:11]
	s_waitcnt lgkmcnt(0)
	v_add_f64 v[12:13], v[12:13], v[22:23]
	s_or_b64 exec, exec, s[50:51]
	s_and_saveexec_b64 s[50:51], s[0:1]
	s_cbranch_execnz .LBB183_24
	s_branch .LBB183_25
.LBB183_48:                             ;   in Loop: Header=BB183_9 Depth=1
	ds_read_b128 v[14:17], v61
	s_or_b64 exec, exec, s[50:51]
	s_and_saveexec_b64 s[50:51], s[0:1]
	s_cbranch_execz .LBB183_29
.LBB183_49:                             ;   in Loop: Header=BB183_9 Depth=1
	s_waitcnt lgkmcnt(0)
	ds_bpermute_b32 v4, v59, v14
	ds_bpermute_b32 v5, v59, v15
	;; [unrolled: 1-line block ×4, first 2 shown]
	s_waitcnt lgkmcnt(2)
	v_add_f64 v[4:5], v[14:15], v[4:5]
	ds_bpermute_b32 v14, v60, v4
	s_waitcnt lgkmcnt(1)
	v_add_f64 v[16:17], v[16:17], v[22:23]
	ds_bpermute_b32 v15, v60, v5
	ds_bpermute_b32 v22, v60, v16
	;; [unrolled: 1-line block ×3, first 2 shown]
	s_waitcnt lgkmcnt(2)
	v_add_f64 v[14:15], v[4:5], v[14:15]
	s_waitcnt lgkmcnt(0)
	v_add_f64 v[16:17], v[16:17], v[22:23]
	s_or_b64 exec, exec, s[50:51]
	s_and_saveexec_b64 s[50:51], s[0:1]
	s_cbranch_execnz .LBB183_30
	s_branch .LBB183_31
.LBB183_50:                             ;   in Loop: Header=BB183_9 Depth=1
	ds_read_b128 v[18:21], v61
	s_or_b64 exec, exec, s[50:51]
	s_and_saveexec_b64 s[50:51], s[0:1]
	s_cbranch_execz .LBB183_35
.LBB183_51:                             ;   in Loop: Header=BB183_9 Depth=1
	s_waitcnt lgkmcnt(0)
	ds_bpermute_b32 v4, v59, v18
	ds_bpermute_b32 v5, v59, v19
	;; [unrolled: 1-line block ×4, first 2 shown]
	s_waitcnt lgkmcnt(2)
	v_add_f64 v[4:5], v[18:19], v[4:5]
	ds_bpermute_b32 v18, v60, v4
	s_waitcnt lgkmcnt(1)
	v_add_f64 v[20:21], v[20:21], v[22:23]
	ds_bpermute_b32 v19, v60, v5
	ds_bpermute_b32 v22, v60, v20
	;; [unrolled: 1-line block ×3, first 2 shown]
	s_waitcnt lgkmcnt(2)
	v_add_f64 v[18:19], v[4:5], v[18:19]
	s_waitcnt lgkmcnt(0)
	v_add_f64 v[20:21], v[20:21], v[22:23]
	s_or_b64 exec, exec, s[50:51]
	s_and_saveexec_b64 s[50:51], s[12:13]
	s_cbranch_execz .LBB183_8
.LBB183_52:                             ;   in Loop: Header=BB183_9 Depth=1
	s_mul_hi_u32 s53, s3, s26
	s_mul_i32 s52, s3, s26
	s_lshl_b64 s[52:53], s[52:53], 4
	v_mul_f64 v[4:5], s[18:19], v[8:9]
	v_mul_f64 v[42:43], s[16:17], v[8:9]
	s_add_u32 s52, s56, s52
	v_fma_f64 v[40:41], s[16:17], v[6:7], -v[4:5]
	v_fmac_f64_e32 v[42:43], s[18:19], v[6:7]
	s_addc_u32 s53, s57, s53
	global_store_dwordx4 v2, v[40:43], s[52:53]
	s_or_b32 s52, s3, 1
	s_mul_hi_u32 s53, s52, s26
	s_mul_i32 s52, s52, s26
	s_lshl_b64 s[52:53], s[52:53], 4
	v_mul_f64 v[4:5], s[18:19], v[12:13]
	v_mul_f64 v[6:7], s[16:17], v[12:13]
	s_add_u32 s52, s56, s52
	v_fma_f64 v[4:5], s[16:17], v[10:11], -v[4:5]
	v_fmac_f64_e32 v[6:7], s[18:19], v[10:11]
	s_addc_u32 s53, s57, s53
	global_store_dwordx4 v2, v[4:7], s[52:53]
	s_or_b32 s52, s3, 2
	;; [unrolled: 11-line block ×3, first 2 shown]
	s_mul_hi_u32 s53, s52, s26
	s_mul_i32 s52, s52, s26
	s_lshl_b64 s[52:53], s[52:53], 4
	s_waitcnt lgkmcnt(0)
	v_mul_f64 v[4:5], s[18:19], v[20:21]
	v_mul_f64 v[6:7], s[16:17], v[20:21]
	s_add_u32 s52, s56, s52
	v_fma_f64 v[4:5], s[16:17], v[18:19], -v[4:5]
	v_fmac_f64_e32 v[6:7], s[18:19], v[18:19]
	s_addc_u32 s53, s57, s53
	global_store_dwordx4 v2, v[4:7], s[52:53]
	s_branch .LBB183_8
.LBB183_53:
	s_mov_b32 s3, 0
.LBB183_54:
	s_cmp_ge_i32 s3, s25
	s_cbranch_scc1 .LBB183_76
; %bb.55:
	v_mbcnt_hi_u32_b32 v2, -1, v52
	v_and_b32_e32 v3, 63, v2
	v_cmp_gt_u32_e64 s[4:5], 32, v3
	s_mov_b32 s13, 0
	s_cmp_gt_i32 s27, 0
	v_cndmask_b32_e64 v4, 0, 1, s[4:5]
	v_lshlrev_b32_e32 v4, 5, v4
	v_cmp_gt_u32_e64 s[4:5], 48, v3
	v_add_lshl_u32 v23, v4, v2, 2
	s_mov_b32 s12, s2
	v_cndmask_b32_e64 v4, 0, 1, s[4:5]
	v_lshlrev_b32_e32 v4, 4, v4
	v_cmp_gt_u32_e64 s[4:5], 56, v3
	v_add_lshl_u32 v28, v4, v2, 2
	s_cselect_b64 s[42:43], -1, 0
	v_cndmask_b32_e64 v4, 0, 1, s[4:5]
	v_lshlrev_b32_e32 v4, 3, v4
	v_cmp_gt_u32_e64 s[4:5], 60, v3
	v_add_lshl_u32 v29, v4, v2, 2
	s_lshl_b64 s[12:13], s[12:13], 4
	v_cndmask_b32_e64 v4, 0, 1, s[4:5]
	v_lshlrev_b32_e32 v4, 2, v4
	v_cmp_gt_u32_e64 s[4:5], 62, v3
	v_add_lshl_u32 v30, v4, v2, 2
	s_add_u32 s2, s33, s12
	v_cndmask_b32_e64 v4, 0, 1, s[4:5]
	v_lshlrev_b32_e32 v4, 1, v4
	v_cmp_ne_u32_e64 s[4:5], 63, v3
	v_cmp_ge_i32_e32 vcc, s24, v53
	v_cmp_ge_i32_e64 s[10:11], s24, v54
	v_add_lshl_u32 v31, v4, v2, 2
	v_addc_co_u32_e64 v2, s[4:5], 0, v2, s[4:5]
	s_addc_u32 s24, s54, s13
	v_mad_i64_i32 v[4:5], s[12:13], s30, v49, 0
	v_cmp_gt_u32_e64 s[0:1], 64, v0
	v_lshlrev_b32_e32 v32, 2, v2
	v_cmp_gt_u32_e64 s[6:7], 4, v0
	v_cmp_eq_u32_e64 s[8:9], 0, v0
	v_mad_i64_i32 v[2:3], s[12:13], s30, v26, 0
	v_lshl_add_u64 v[8:9], v[4:5], 4, s[40:41]
	v_mad_i64_i32 v[4:5], s[12:13], s30, v48, 0
	v_mad_i64_i32 v[0:1], s[12:13], s30, v1, 0
	s_and_b64 s[10:11], s[42:43], s[10:11]
	s_add_u32 s12, s14, s38
	s_addc_u32 s13, s15, s39
	s_add_u32 s12, s12, s34
	s_mul_i32 s14, s29, s3
	s_mul_hi_u32 s15, s28, s3
	v_lshlrev_b64 v[2:3], 4, v[2:3]
	v_mov_b32_e32 v14, 0
	s_addc_u32 s13, s13, s35
	s_add_i32 s15, s15, s14
	s_mul_i32 s14, s28, s3
	v_add_u32_e32 v34, 16, v14
	v_add_u32_e32 v35, 32, v14
	;; [unrolled: 1-line block ×3, first 2 shown]
	v_lshl_add_u64 v[14:15], s[12:13], 0, v[2:3]
	s_lshl_b64 s[12:13], s[30:31], 4
	s_lshl_b64 s[14:15], s[14:15], 4
	s_add_u32 s14, s36, s14
	s_addc_u32 s15, s37, s15
	s_add_u32 s14, s14, s22
	s_addc_u32 s15, s15, s23
	;; [unrolled: 2-line block ×3, first 2 shown]
	v_lshl_add_u64 v[12:13], v[0:1], 4, s[40:41]
	v_lshl_add_u64 v[0:1], v[26:27], 4, s[14:15]
	v_lshlrev_b32_e32 v22, 4, v50
	v_cmp_eq_u32_e64 s[4:5], 0, v50
	v_and_b32_e32 v33, 48, v51
	v_lshl_add_u64 v[6:7], s[40:41], 0, v[2:3]
	v_lshl_add_u64 v[10:11], v[4:5], 4, s[40:41]
	;; [unrolled: 1-line block ×3, first 2 shown]
	s_lshl_b64 s[14:15], s[28:29], 4
	v_mov_b32_e32 v0, 0
	s_branch .LBB183_57
.LBB183_56:                             ;   in Loop: Header=BB183_57 Depth=1
	s_or_b64 exec, exec, s[20:21]
	s_add_i32 s3, s3, 1
	s_cmp_lt_i32 s3, s25
	v_lshl_add_u64 v[16:17], v[16:17], 0, s[14:15]
	s_cbranch_scc0 .LBB183_76
.LBB183_57:                             ; =>This Loop Header: Depth=1
                                        ;     Child Loop BB183_69 Depth 2
                                        ;     Child Loop BB183_71 Depth 2
                                        ; implicit-def: $vgpr4_vgpr5
                                        ; implicit-def: $vgpr18_vgpr19
	s_and_saveexec_b64 s[20:21], vcc
	s_xor_b64 s[20:21], exec, s[20:21]
	s_cbranch_execnz .LBB183_66
; %bb.58:                               ;   in Loop: Header=BB183_57 Depth=1
	s_andn2_saveexec_b64 s[20:21], s[20:21]
	s_cbranch_execnz .LBB183_67
.LBB183_59:                             ;   in Loop: Header=BB183_57 Depth=1
	s_or_b64 exec, exec, s[20:21]
	s_and_saveexec_b64 s[20:21], s[0:1]
	s_cbranch_execz .LBB183_61
.LBB183_60:                             ;   in Loop: Header=BB183_57 Depth=1
	v_mov_b32_e32 v1, v0
	s_waitcnt lgkmcnt(0)
	v_mov_b32_e32 v2, v0
	v_mov_b32_e32 v3, v0
	ds_write_b128 v22, v[0:3]
.LBB183_61:                             ;   in Loop: Header=BB183_57 Depth=1
	s_or_b64 exec, exec, s[20:21]
	s_waitcnt lgkmcnt(0)
	ds_bpermute_b32 v2, v23, v4
	ds_bpermute_b32 v3, v23, v5
	s_waitcnt lgkmcnt(2)
	ds_bpermute_b32 v20, v23, v18
	ds_bpermute_b32 v21, v23, v19
	s_waitcnt lgkmcnt(0)
	s_barrier
	v_add_f64 v[2:3], v[4:5], v[2:3]
	v_add_f64 v[4:5], v[18:19], v[20:21]
	ds_bpermute_b32 v18, v28, v2
	ds_bpermute_b32 v19, v28, v3
	;; [unrolled: 1-line block ×4, first 2 shown]
	s_waitcnt lgkmcnt(2)
	v_add_f64 v[2:3], v[2:3], v[18:19]
	ds_bpermute_b32 v18, v29, v2
	s_waitcnt lgkmcnt(1)
	v_add_f64 v[4:5], v[4:5], v[20:21]
	ds_bpermute_b32 v19, v29, v3
	ds_bpermute_b32 v20, v29, v4
	ds_bpermute_b32 v21, v29, v5
	s_waitcnt lgkmcnt(2)
	v_add_f64 v[2:3], v[2:3], v[18:19]
	ds_bpermute_b32 v18, v30, v2
	s_waitcnt lgkmcnt(1)
	v_add_f64 v[4:5], v[4:5], v[20:21]
	ds_bpermute_b32 v19, v30, v3
	ds_bpermute_b32 v20, v30, v4
	ds_bpermute_b32 v21, v30, v5
	;; [unrolled: 8-line block ×3, first 2 shown]
	s_waitcnt lgkmcnt(2)
	v_add_f64 v[2:3], v[2:3], v[18:19]
	s_waitcnt lgkmcnt(0)
	v_add_f64 v[18:19], v[4:5], v[20:21]
	ds_bpermute_b32 v4, v32, v2
	ds_bpermute_b32 v5, v32, v3
	;; [unrolled: 1-line block ×4, first 2 shown]
	s_and_saveexec_b64 s[20:21], s[4:5]
	s_cbranch_execz .LBB183_63
; %bb.62:                               ;   in Loop: Header=BB183_57 Depth=1
	s_waitcnt lgkmcnt(0)
	v_add_f64 v[20:21], v[18:19], v[20:21]
	v_add_f64 v[18:19], v[2:3], v[4:5]
	ds_write_b128 v33, v[18:21]
.LBB183_63:                             ;   in Loop: Header=BB183_57 Depth=1
	s_or_b64 exec, exec, s[20:21]
	s_waitcnt lgkmcnt(2)
	v_mov_b64_e32 v[4:5], 0
	v_mov_b64_e32 v[2:3], v[4:5]
	s_waitcnt lgkmcnt(0)
	s_barrier
	s_and_saveexec_b64 s[20:21], s[6:7]
	s_cbranch_execnz .LBB183_73
; %bb.64:                               ;   in Loop: Header=BB183_57 Depth=1
	s_or_b64 exec, exec, s[20:21]
	s_and_saveexec_b64 s[20:21], s[0:1]
	s_cbranch_execnz .LBB183_74
.LBB183_65:                             ;   in Loop: Header=BB183_57 Depth=1
	s_or_b64 exec, exec, s[20:21]
	s_and_saveexec_b64 s[20:21], s[8:9]
	s_cbranch_execz .LBB183_56
	s_branch .LBB183_75
.LBB183_66:                             ;   in Loop: Header=BB183_57 Depth=1
	s_waitcnt lgkmcnt(0)
	global_load_dwordx4 v[2:5], v[8:9], off
	s_waitcnt lgkmcnt(0)
	global_load_dwordx4 v[18:21], v[10:11], off
	global_load_dwordx4 v[38:41], v[12:13], off
	;; [unrolled: 1-line block ×3, first 2 shown]
	s_mul_i32 s23, s3, s29
	s_mul_hi_u32 s30, s3, s28
	s_mul_i32 s22, s3, s28
	s_add_i32 s23, s30, s23
	v_lshl_add_u64 v[26:27], s[22:23], 4, v[24:25]
	global_load_dwordx4 v[46:49], v[26:27], off
	global_load_dwordx4 v[50:53], v[26:27], off offset:16
	global_load_dwordx4 v[54:57], v[26:27], off offset:48
	;; [unrolled: 1-line block ×3, first 2 shown]
	s_waitcnt vmcnt(3)
	v_mul_f64 v[26:27], v[48:49], v[44:45]
	scratch_store_dwordx4 v34, v[2:5], off
	scratch_load_dwordx4 v[2:5], off, off offset:16
	v_mul_f64 v[48:49], v[48:49], v[42:43]
	scratch_store_dwordx4 v35, v[18:21], off
	scratch_load_dwordx4 v[18:21], off, off offset:32
	v_fmac_f64_e32 v[26:27], v[46:47], v[42:43]
	scratch_store_dwordx4 v36, v[38:41], off
	scratch_load_dwordx4 v[38:41], off, off offset:48
	v_add_f64 v[26:27], v[26:27], 0
	scratch_store_dwordx4 off, v[42:45], off
	s_nop 1
	v_fma_f64 v[42:43], v[46:47], v[44:45], -v[48:49]
	v_add_f64 v[42:43], v[42:43], 0
	s_waitcnt vmcnt(5)
	v_mul_f64 v[44:45], v[52:53], v[4:5]
	v_mul_f64 v[46:47], v[52:53], v[2:3]
	v_fmac_f64_e32 v[44:45], v[50:51], v[2:3]
	s_waitcnt vmcnt(3)
	v_mul_f64 v[48:49], v[60:61], v[20:21]
	v_mul_f64 v[52:53], v[60:61], v[18:19]
	v_fma_f64 v[2:3], v[50:51], v[4:5], -v[46:47]
	s_waitcnt vmcnt(1)
	v_mul_f64 v[60:61], v[56:57], v[40:41]
	v_mul_f64 v[56:57], v[56:57], v[38:39]
	v_fmac_f64_e32 v[48:49], v[58:59], v[18:19]
	v_fma_f64 v[4:5], v[58:59], v[20:21], -v[52:53]
	v_add_f64 v[20:21], v[26:27], v[44:45]
	v_add_f64 v[2:3], v[42:43], v[2:3]
	v_fmac_f64_e32 v[60:61], v[54:55], v[38:39]
	v_fma_f64 v[18:19], v[54:55], v[40:41], -v[56:57]
	v_add_f64 v[20:21], v[20:21], v[48:49]
	v_add_f64 v[2:3], v[2:3], v[4:5]
	;; [unrolled: 1-line block ×4, first 2 shown]
	s_andn2_saveexec_b64 s[20:21], s[20:21]
	s_cbranch_execz .LBB183_59
.LBB183_67:                             ;   in Loop: Header=BB183_57 Depth=1
	s_waitcnt lgkmcnt(0)
	v_mov_b64_e32 v[4:5], 0
	s_waitcnt lgkmcnt(0)
	v_mov_b64_e32 v[18:19], v[4:5]
	s_and_saveexec_b64 s[22:23], s[10:11]
	s_cbranch_execz .LBB183_72
; %bb.68:                               ;   in Loop: Header=BB183_57 Depth=1
	v_mov_b32_e32 v1, 0
	v_mov_b64_e32 v[2:3], v[14:15]
	s_mov_b32 s30, s27
.LBB183_69:                             ;   Parent Loop BB183_57 Depth=1
                                        ; =>  This Inner Loop Header: Depth=2
	global_load_dwordx4 v[18:21], v[2:3], off
	s_add_i32 s30, s30, -1
	v_lshl_add_u64 v[2:3], v[2:3], 0, s[12:13]
	s_cmp_eq_u32 s30, 0
	s_waitcnt vmcnt(0)
	scratch_store_dwordx4 v1, v[18:21], off
	v_add_u32_e32 v1, 16, v1
	s_cbranch_scc0 .LBB183_69
; %bb.70:                               ;   in Loop: Header=BB183_57 Depth=1
	v_mov_b64_e32 v[4:5], 0
	v_mov_b32_e32 v1, 0
	v_mov_b64_e32 v[2:3], v[16:17]
	s_mov_b32 s30, s27
	v_mov_b64_e32 v[18:19], v[4:5]
.LBB183_71:                             ;   Parent Loop BB183_57 Depth=1
                                        ; =>  This Inner Loop Header: Depth=2
	global_load_dwordx4 v[38:41], v[2:3], off offset:-8
	scratch_load_dwordx4 v[42:45], v1, off
	s_add_i32 s30, s30, -1
	v_add_u32_e32 v1, 16, v1
	v_lshl_add_u64 v[2:3], v[2:3], 0, 16
	s_cmp_lg_u32 s30, 0
	s_waitcnt vmcnt(0)
	v_mul_f64 v[20:21], v[40:41], v[44:45]
	v_mul_f64 v[26:27], v[40:41], v[42:43]
	v_fmac_f64_e32 v[20:21], v[38:39], v[42:43]
	v_fma_f64 v[26:27], v[38:39], v[44:45], -v[26:27]
	v_add_f64 v[4:5], v[4:5], v[20:21]
	v_add_f64 v[18:19], v[18:19], v[26:27]
	s_cbranch_scc1 .LBB183_71
.LBB183_72:                             ;   in Loop: Header=BB183_57 Depth=1
	s_or_b64 exec, exec, s[22:23]
	s_or_b64 exec, exec, s[20:21]
	s_and_saveexec_b64 s[20:21], s[0:1]
	s_cbranch_execnz .LBB183_60
	s_branch .LBB183_61
.LBB183_73:                             ;   in Loop: Header=BB183_57 Depth=1
	ds_read_b128 v[2:5], v22
	s_or_b64 exec, exec, s[20:21]
	s_and_saveexec_b64 s[20:21], s[0:1]
	s_cbranch_execz .LBB183_65
.LBB183_74:                             ;   in Loop: Header=BB183_57 Depth=1
	s_waitcnt lgkmcnt(0)
	ds_bpermute_b32 v18, v31, v2
	ds_bpermute_b32 v19, v31, v3
	;; [unrolled: 1-line block ×4, first 2 shown]
	s_waitcnt lgkmcnt(2)
	v_add_f64 v[2:3], v[2:3], v[18:19]
	ds_bpermute_b32 v18, v32, v2
	s_waitcnt lgkmcnt(1)
	v_add_f64 v[4:5], v[4:5], v[20:21]
	ds_bpermute_b32 v19, v32, v3
	ds_bpermute_b32 v20, v32, v4
	;; [unrolled: 1-line block ×3, first 2 shown]
	s_waitcnt lgkmcnt(2)
	v_add_f64 v[2:3], v[2:3], v[18:19]
	s_waitcnt lgkmcnt(0)
	v_add_f64 v[4:5], v[4:5], v[20:21]
	s_or_b64 exec, exec, s[20:21]
	s_and_saveexec_b64 s[20:21], s[8:9]
	s_cbranch_execz .LBB183_56
.LBB183_75:                             ;   in Loop: Header=BB183_57 Depth=1
	s_mul_hi_u32 s23, s3, s26
	s_mul_i32 s22, s3, s26
	s_lshl_b64 s[22:23], s[22:23], 4
	s_waitcnt lgkmcnt(0)
	v_mul_f64 v[18:19], s[18:19], v[4:5]
	v_mul_f64 v[20:21], s[16:17], v[4:5]
	s_add_u32 s22, s2, s22
	v_fma_f64 v[18:19], s[16:17], v[2:3], -v[18:19]
	v_fmac_f64_e32 v[20:21], s[18:19], v[2:3]
	s_addc_u32 s23, s24, s23
	global_store_dwordx4 v0, v[18:21], s[22:23]
	s_branch .LBB183_56
.LBB183_76:
	s_endpgm
	.section	.rodata,"a",@progbits
	.p2align	6, 0x0
	.amdhsa_kernel _ZL23rocblas_gemvt_sn_kernelILb1ELi256ELi4El19rocblas_complex_numIdES1_S1_EviiT4_lPKT3_lilS5_lilPT5_i
		.amdhsa_group_segment_fixed_size 1024
		.amdhsa_private_segment_fixed_size 80
		.amdhsa_kernarg_size 368
		.amdhsa_user_sgpr_count 2
		.amdhsa_user_sgpr_dispatch_ptr 0
		.amdhsa_user_sgpr_queue_ptr 0
		.amdhsa_user_sgpr_kernarg_segment_ptr 1
		.amdhsa_user_sgpr_dispatch_id 0
		.amdhsa_user_sgpr_kernarg_preload_length 0
		.amdhsa_user_sgpr_kernarg_preload_offset 0
		.amdhsa_user_sgpr_private_segment_size 0
		.amdhsa_uses_dynamic_stack 0
		.amdhsa_enable_private_segment 1
		.amdhsa_system_sgpr_workgroup_id_x 1
		.amdhsa_system_sgpr_workgroup_id_y 0
		.amdhsa_system_sgpr_workgroup_id_z 1
		.amdhsa_system_sgpr_workgroup_info 0
		.amdhsa_system_vgpr_workitem_id 0
		.amdhsa_next_free_vgpr 122
		.amdhsa_next_free_sgpr 66
		.amdhsa_accum_offset 124
		.amdhsa_reserve_vcc 1
		.amdhsa_float_round_mode_32 0
		.amdhsa_float_round_mode_16_64 0
		.amdhsa_float_denorm_mode_32 3
		.amdhsa_float_denorm_mode_16_64 3
		.amdhsa_dx10_clamp 1
		.amdhsa_ieee_mode 1
		.amdhsa_fp16_overflow 0
		.amdhsa_tg_split 0
		.amdhsa_exception_fp_ieee_invalid_op 0
		.amdhsa_exception_fp_denorm_src 0
		.amdhsa_exception_fp_ieee_div_zero 0
		.amdhsa_exception_fp_ieee_overflow 0
		.amdhsa_exception_fp_ieee_underflow 0
		.amdhsa_exception_fp_ieee_inexact 0
		.amdhsa_exception_int_div_zero 0
	.end_amdhsa_kernel
	.section	.text._ZL23rocblas_gemvt_sn_kernelILb1ELi256ELi4El19rocblas_complex_numIdES1_S1_EviiT4_lPKT3_lilS5_lilPT5_i,"axG",@progbits,_ZL23rocblas_gemvt_sn_kernelILb1ELi256ELi4El19rocblas_complex_numIdES1_S1_EviiT4_lPKT3_lilS5_lilPT5_i,comdat
.Lfunc_end183:
	.size	_ZL23rocblas_gemvt_sn_kernelILb1ELi256ELi4El19rocblas_complex_numIdES1_S1_EviiT4_lPKT3_lilS5_lilPT5_i, .Lfunc_end183-_ZL23rocblas_gemvt_sn_kernelILb1ELi256ELi4El19rocblas_complex_numIdES1_S1_EviiT4_lPKT3_lilS5_lilPT5_i
                                        ; -- End function
	.section	.AMDGPU.csdata,"",@progbits
; Kernel info:
; codeLenInByte = 6784
; NumSgprs: 72
; NumVgprs: 122
; NumAgprs: 0
; TotalNumVgprs: 122
; ScratchSize: 80
; MemoryBound: 0
; FloatMode: 240
; IeeeMode: 1
; LDSByteSize: 1024 bytes/workgroup (compile time only)
; SGPRBlocks: 8
; VGPRBlocks: 15
; NumSGPRsForWavesPerEU: 72
; NumVGPRsForWavesPerEU: 122
; AccumOffset: 124
; Occupancy: 4
; WaveLimiterHint : 1
; COMPUTE_PGM_RSRC2:SCRATCH_EN: 1
; COMPUTE_PGM_RSRC2:USER_SGPR: 2
; COMPUTE_PGM_RSRC2:TRAP_HANDLER: 0
; COMPUTE_PGM_RSRC2:TGID_X_EN: 1
; COMPUTE_PGM_RSRC2:TGID_Y_EN: 0
; COMPUTE_PGM_RSRC2:TGID_Z_EN: 1
; COMPUTE_PGM_RSRC2:TIDIG_COMP_CNT: 0
; COMPUTE_PGM_RSRC3_GFX90A:ACCUM_OFFSET: 30
; COMPUTE_PGM_RSRC3_GFX90A:TG_SPLIT: 0
	.section	.text._ZL20rocblas_gemvt_kernelILb1ELi256E19rocblas_complex_numIdEPKS1_S1_EviiT2_lPKT1_lilS7_lilS4_lPT3_lili,"axG",@progbits,_ZL20rocblas_gemvt_kernelILb1ELi256E19rocblas_complex_numIdEPKS1_S1_EviiT2_lPKT1_lilS7_lilS4_lPT3_lili,comdat
	.globl	_ZL20rocblas_gemvt_kernelILb1ELi256E19rocblas_complex_numIdEPKS1_S1_EviiT2_lPKT1_lilS7_lilS4_lPT3_lili ; -- Begin function _ZL20rocblas_gemvt_kernelILb1ELi256E19rocblas_complex_numIdEPKS1_S1_EviiT2_lPKT1_lilS7_lilS4_lPT3_lili
	.p2align	8
	.type	_ZL20rocblas_gemvt_kernelILb1ELi256E19rocblas_complex_numIdEPKS1_S1_EviiT2_lPKT1_lilS7_lilS4_lPT3_lili,@function
_ZL20rocblas_gemvt_kernelILb1ELi256E19rocblas_complex_numIdEPKS1_S1_EviiT2_lPKT1_lilS7_lilS4_lPT3_lili: ; @_ZL20rocblas_gemvt_kernelILb1ELi256E19rocblas_complex_numIdEPKS1_S1_EviiT2_lPKT1_lilS7_lilS4_lPT3_lili
; %bb.0:
	s_load_dwordx8 s[4:11], s[0:1], 0x8
	s_load_dwordx8 s[12:19], s[0:1], 0x50
	s_waitcnt lgkmcnt(0)
	s_mul_i32 s7, s3, s7
	s_mul_hi_u32 s20, s3, s6
	s_add_i32 s7, s20, s7
	s_mul_i32 s6, s3, s6
	s_lshl_b64 s[6:7], s[6:7], 4
	s_add_u32 s4, s4, s6
	s_addc_u32 s5, s5, s7
	s_load_dwordx4 s[24:27], s[4:5], 0x0
	s_mul_i32 s4, s3, s17
	s_mul_hi_u32 s5, s3, s16
	s_add_i32 s5, s5, s4
	s_mul_i32 s4, s3, s16
	s_lshl_b64 s[4:5], s[4:5], 4
	s_add_u32 s4, s14, s4
	s_addc_u32 s5, s15, s5
	s_load_dwordx4 s[20:23], s[4:5], 0x0
	s_waitcnt lgkmcnt(0)
	v_cmp_neq_f64_e64 s[4:5], s[24:25], 0
	v_cmp_neq_f64_e64 s[6:7], s[26:27], 0
	s_or_b64 s[4:5], s[4:5], s[6:7]
	s_mov_b64 s[6:7], -1
	s_and_b64 vcc, exec, s[4:5]
	s_cbranch_vccnz .LBB184_2
; %bb.1:
	v_cmp_neq_f64_e64 s[6:7], s[20:21], 1.0
	v_cmp_neq_f64_e64 s[14:15], s[22:23], 0
	s_or_b64 s[6:7], s[6:7], s[14:15]
.LBB184_2:
	s_andn2_b64 vcc, exec, s[6:7]
	s_cbranch_vccnz .LBB184_38
; %bb.3:
	s_load_dwordx2 s[6:7], s[0:1], 0x80
	s_load_dwordx2 s[14:15], s[0:1], 0x70
	s_load_dword s37, s[0:1], 0x78
	s_xor_b64 s[4:5], s[4:5], -1
	s_waitcnt lgkmcnt(0)
	s_mul_i32 s7, s3, s7
	s_mul_hi_u32 s16, s3, s6
	s_mul_i32 s6, s3, s6
	s_add_i32 s7, s16, s7
	s_lshl_b64 s[6:7], s[6:7], 4
	s_add_u32 s16, s18, s6
	s_addc_u32 s17, s19, s7
	s_lshl_b64 s[6:7], s[14:15], 4
	s_add_u32 s33, s16, s6
	s_addc_u32 s36, s17, s7
	s_andn2_b64 vcc, exec, s[4:5]
	v_cmp_eq_u32_e64 s[4:5], 0, v0
	s_cbranch_vccnz .LBB184_8
; %bb.4:
	s_mov_b64 s[16:17], 0
	s_mov_b64 s[14:15], 0
                                        ; implicit-def: $vgpr4_vgpr5
                                        ; implicit-def: $sgpr6_sgpr7
	s_and_saveexec_b64 s[18:19], s[4:5]
	s_cbranch_execz .LBB184_9
; %bb.5:
	v_cmp_neq_f64_e64 s[4:5], s[20:21], 0
	v_cmp_neq_f64_e64 s[14:15], s[22:23], 0
	v_mov_b64_e32 v[4:5], 0
	s_or_b64 s[4:5], s[4:5], s[14:15]
	s_mul_hi_i32 s7, s37, s2
	s_mul_i32 s6, s37, s2
	s_andn2_b64 vcc, exec, s[4:5]
	v_mov_b64_e32 v[2:3], v[4:5]
	s_cbranch_vccnz .LBB184_7
; %bb.6:
	s_lshl_b64 s[4:5], s[6:7], 4
	s_add_u32 s4, s33, s4
	s_addc_u32 s5, s36, s5
	s_load_dwordx4 s[28:31], s[4:5], 0x0
	s_waitcnt lgkmcnt(0)
	v_mov_b64_e32 v[2:3], s[30:31]
	v_mov_b64_e32 v[6:7], s[28:29]
	v_mul_f64 v[8:9], s[22:23], v[2:3]
	v_mul_f64 v[4:5], s[20:21], v[2:3]
	v_fma_f64 v[2:3], s[20:21], v[6:7], -v[8:9]
	v_fmac_f64_e32 v[4:5], s[22:23], v[6:7]
.LBB184_7:
	s_mov_b64 s[14:15], exec
	s_or_b64 exec, exec, s[18:19]
	s_and_b64 vcc, exec, s[16:17]
	s_cbranch_vccnz .LBB184_10
	s_branch .LBB184_36
.LBB184_8:
	s_mov_b64 s[14:15], 0
                                        ; implicit-def: $vgpr4_vgpr5
                                        ; implicit-def: $sgpr6_sgpr7
	s_cbranch_execnz .LBB184_10
	s_branch .LBB184_36
.LBB184_9:
	s_or_b64 exec, exec, s[18:19]
	s_and_b64 vcc, exec, s[16:17]
	s_cbranch_vccz .LBB184_36
.LBB184_10:
	s_load_dword s38, s[0:1], 0x0
	s_load_dword s28, s[0:1], 0x28
	s_load_dwordx4 s[4:7], s[0:1], 0x30
	s_load_dwordx2 s[16:17], s[0:1], 0x40
	s_mul_i32 s13, s3, s13
	s_load_dword s0, s[0:1], 0x48
	s_mul_hi_u32 s18, s3, s12
	s_waitcnt lgkmcnt(0)
	s_mul_i32 s1, s3, s5
	s_mul_hi_u32 s5, s3, s4
	s_add_i32 s19, s5, s1
	s_ashr_i32 s1, s38, 31
	s_lshr_b32 s1, s1, 24
	v_cmp_gt_i32_e32 vcc, s38, v0
	s_add_i32 s1, s38, s1
	s_add_i32 s13, s18, s13
	s_mul_i32 s18, s3, s4
	v_cndmask_b32_e32 v1, 0, v0, vcc
	s_and_b32 s4, s1, 0xffffff00
	v_mov_b64_e32 v[4:5], 0
	s_mul_i32 s12, s3, s12
	s_mov_b32 s3, 0
	v_mov_b32_e32 v7, 0
	s_mul_hi_i32 s29, s28, s2
	s_mul_i32 s28, s28, s2
	s_cmpk_lt_i32 s38, 0x100
	v_lshlrev_b32_e32 v6, 4, v1
	v_mov_b64_e32 v[2:3], v[4:5]
	s_cbranch_scc1 .LBB184_13
; %bb.11:
	s_ashr_i32 s1, s0, 31
	s_lshl_b64 s[30:31], s[28:29], 4
	s_lshl_b64 s[34:35], s[18:19], 4
	s_add_u32 s5, s30, s34
	s_addc_u32 s34, s31, s35
	s_lshl_b64 s[30:31], s[10:11], 4
	s_add_u32 s5, s5, s30
	s_addc_u32 s31, s34, s31
	s_add_u32 s30, s8, s5
	s_addc_u32 s31, s9, s31
	v_lshl_add_u64 v[2:3], s[30:31], 0, v[6:7]
	v_lshl_add_u64 v[8:9], v[2:3], 0, 8
	v_mad_i64_i32 v[2:3], s[34:35], s0, v0, 0
	s_lshl_b64 s[30:31], s[12:13], 4
	s_lshl_b64 s[34:35], s[16:17], 4
	s_add_u32 s5, s6, s34
	s_addc_u32 s34, s7, s35
	s_add_u32 s30, s5, s30
	s_addc_u32 s31, s34, s31
	v_lshl_add_u64 v[2:3], v[2:3], 4, s[30:31]
	v_mov_b64_e32 v[4:5], 0
	v_lshl_add_u64 v[10:11], v[2:3], 0, 8
	s_lshl_b64 s[30:31], s[0:1], 12
	s_mov_b64 s[34:35], 0x1000
	v_mov_b64_e32 v[2:3], v[4:5]
.LBB184_12:                             ; =>This Inner Loop Header: Depth=1
	global_load_dwordx4 v[12:15], v[8:9], off offset:-8
	global_load_dwordx4 v[16:19], v[10:11], off offset:-8
	s_addk_i32 s3, 0x100
	v_lshl_add_u64 v[8:9], v[8:9], 0, s[34:35]
	v_lshl_add_u64 v[10:11], v[10:11], 0, s[30:31]
	s_cmp_ge_i32 s3, s4
	s_waitcnt vmcnt(0)
	v_mul_f64 v[20:21], v[14:15], v[18:19]
	v_mul_f64 v[14:15], v[14:15], v[16:17]
	v_fmac_f64_e32 v[20:21], v[12:13], v[16:17]
	v_fma_f64 v[12:13], v[12:13], v[18:19], -v[14:15]
	v_add_f64 v[2:3], v[2:3], v[20:21]
	v_add_f64 v[4:5], v[4:5], v[12:13]
	s_cbranch_scc0 .LBB184_12
.LBB184_13:
	v_add_u32_e32 v1, s4, v0
	v_cmp_gt_i32_e32 vcc, s38, v1
	s_and_saveexec_b64 s[30:31], vcc
	s_cbranch_execz .LBB184_15
; %bb.14:
	s_lshl_b64 s[18:19], s[18:19], 4
	s_add_u32 s1, s8, s18
	s_addc_u32 s3, s9, s19
	s_lshl_b64 s[8:9], s[10:11], 4
	s_add_u32 s1, s1, s8
	s_addc_u32 s3, s3, s9
	s_lshl_b64 s[8:9], s[28:29], 4
	s_lshl_b64 s[10:11], s[12:13], 4
	s_add_u32 s5, s6, s10
	s_addc_u32 s10, s7, s11
	s_lshl_b64 s[6:7], s[16:17], 4
	s_add_u32 s6, s5, s6
	s_addc_u32 s7, s10, s7
	s_ashr_i32 s5, s4, 31
	s_lshl_b64 s[4:5], s[4:5], 4
	s_add_u32 s4, s4, s8
	s_addc_u32 s5, s5, s9
	s_add_u32 s4, s4, s1
	v_mad_i64_i32 v[8:9], s[0:1], s0, v1, 0
	v_lshl_add_u64 v[16:17], v[8:9], 4, s[6:7]
	s_addc_u32 s5, s5, s3
	global_load_dwordx4 v[8:11], v[16:17], off
	global_load_dwordx4 v[12:15], v6, s[4:5]
	s_waitcnt vmcnt(0)
	v_mul_f64 v[6:7], v[14:15], v[10:11]
	v_mul_f64 v[14:15], v[14:15], v[8:9]
	v_fmac_f64_e32 v[6:7], v[12:13], v[8:9]
	v_fma_f64 v[8:9], v[12:13], v[10:11], -v[14:15]
	v_add_f64 v[2:3], v[2:3], v[6:7]
	v_add_f64 v[4:5], v[4:5], v[8:9]
.LBB184_15:
	s_or_b64 exec, exec, s[30:31]
	s_movk_i32 s0, 0x80
	v_lshlrev_b32_e32 v1, 4, v0
	v_cmp_gt_u32_e32 vcc, s0, v0
	ds_write_b128 v1, v[2:5]
	s_waitcnt lgkmcnt(0)
	s_barrier
	s_and_saveexec_b64 s[0:1], vcc
	s_cbranch_execz .LBB184_17
; %bb.16:
	ds_read_b128 v[2:5], v1 offset:2048
	ds_read_b128 v[6:9], v1
	s_waitcnt lgkmcnt(0)
	v_add_f64 v[2:3], v[2:3], v[6:7]
	v_add_f64 v[4:5], v[4:5], v[8:9]
	ds_write_b128 v1, v[2:5]
.LBB184_17:
	s_or_b64 exec, exec, s[0:1]
	v_cmp_gt_u32_e32 vcc, 64, v0
	s_waitcnt lgkmcnt(0)
	s_barrier
	s_and_saveexec_b64 s[0:1], vcc
	s_cbranch_execz .LBB184_19
; %bb.18:
	ds_read_b128 v[2:5], v1 offset:1024
	ds_read_b128 v[6:9], v1
	s_waitcnt lgkmcnt(0)
	v_add_f64 v[2:3], v[2:3], v[6:7]
	v_add_f64 v[4:5], v[4:5], v[8:9]
	ds_write_b128 v1, v[2:5]
.LBB184_19:
	s_or_b64 exec, exec, s[0:1]
	v_cmp_gt_u32_e32 vcc, 32, v0
	;; [unrolled: 14-line block ×6, first 2 shown]
	s_waitcnt lgkmcnt(0)
	s_barrier
	s_and_saveexec_b64 s[0:1], vcc
	s_cbranch_execz .LBB184_29
; %bb.28:
	ds_read_b128 v[2:5], v1
	ds_read_b128 v[6:9], v1 offset:32
	s_waitcnt lgkmcnt(0)
	v_add_f64 v[2:3], v[6:7], v[2:3]
	v_add_f64 v[4:5], v[8:9], v[4:5]
	ds_write_b128 v1, v[2:5]
.LBB184_29:
	s_or_b64 exec, exec, s[0:1]
	v_cmp_eq_u32_e32 vcc, 0, v0
	s_waitcnt lgkmcnt(0)
	s_barrier
	s_and_saveexec_b64 s[0:1], vcc
	s_cbranch_execz .LBB184_31
; %bb.30:
	v_mov_b32_e32 v8, 0
	ds_read_b128 v[0:3], v8
	ds_read_b128 v[4:7], v8 offset:16
	s_waitcnt lgkmcnt(0)
	v_add_f64 v[0:1], v[4:5], v[0:1]
	v_add_f64 v[2:3], v[6:7], v[2:3]
	ds_write_b128 v8, v[0:3]
.LBB184_31:
	s_or_b64 exec, exec, s[0:1]
	s_waitcnt lgkmcnt(0)
	s_barrier
	s_waitcnt lgkmcnt(0)
                                        ; implicit-def: $vgpr4_vgpr5
                                        ; implicit-def: $sgpr6_sgpr7
	s_and_saveexec_b64 s[0:1], vcc
	s_cbranch_execz .LBB184_35
; %bb.32:
	v_mov_b32_e32 v0, 0
	ds_read_b128 v[0:3], v0
	v_cmp_neq_f64_e64 s[4:5], s[20:21], 0
	v_cmp_neq_f64_e64 s[8:9], s[22:23], 0
	s_or_b64 s[4:5], s[4:5], s[8:9]
	s_mul_hi_i32 s7, s37, s2
	s_waitcnt lgkmcnt(0)
	v_mul_f64 v[6:7], s[26:27], v[2:3]
	v_mul_f64 v[4:5], s[24:25], v[2:3]
	v_fma_f64 v[2:3], s[24:25], v[0:1], -v[6:7]
	v_fmac_f64_e32 v[4:5], s[26:27], v[0:1]
	s_andn2_b64 vcc, exec, s[4:5]
	s_mul_i32 s6, s37, s2
	s_cbranch_vccnz .LBB184_34
; %bb.33:
	s_lshl_b64 s[2:3], s[6:7], 4
	s_add_u32 s2, s33, s2
	s_addc_u32 s3, s36, s3
	s_load_dwordx4 s[8:11], s[2:3], 0x0
	s_waitcnt lgkmcnt(0)
	v_mov_b64_e32 v[0:1], s[10:11]
	v_mov_b64_e32 v[6:7], s[8:9]
	v_mul_f64 v[8:9], s[22:23], v[0:1]
	v_mul_f64 v[0:1], s[20:21], v[0:1]
	v_fma_f64 v[8:9], s[20:21], v[6:7], -v[8:9]
	v_fmac_f64_e32 v[0:1], s[22:23], v[6:7]
	v_add_f64 v[2:3], v[2:3], v[8:9]
	v_add_f64 v[4:5], v[4:5], v[0:1]
.LBB184_34:
	s_or_b64 s[14:15], s[14:15], exec
.LBB184_35:
	s_or_b64 exec, exec, s[0:1]
.LBB184_36:
	s_and_saveexec_b64 s[0:1], s[14:15]
	s_cbranch_execz .LBB184_38
; %bb.37:
	s_lshl_b64 s[0:1], s[6:7], 4
	s_add_u32 s0, s33, s0
	s_addc_u32 s1, s36, s1
	v_mov_b32_e32 v0, 0
	global_store_dwordx4 v0, v[2:5], s[0:1]
.LBB184_38:
	s_endpgm
	.section	.rodata,"a",@progbits
	.p2align	6, 0x0
	.amdhsa_kernel _ZL20rocblas_gemvt_kernelILb1ELi256E19rocblas_complex_numIdEPKS1_S1_EviiT2_lPKT1_lilS7_lilS4_lPT3_lili
		.amdhsa_group_segment_fixed_size 4096
		.amdhsa_private_segment_fixed_size 0
		.amdhsa_kernarg_size 140
		.amdhsa_user_sgpr_count 2
		.amdhsa_user_sgpr_dispatch_ptr 0
		.amdhsa_user_sgpr_queue_ptr 0
		.amdhsa_user_sgpr_kernarg_segment_ptr 1
		.amdhsa_user_sgpr_dispatch_id 0
		.amdhsa_user_sgpr_kernarg_preload_length 0
		.amdhsa_user_sgpr_kernarg_preload_offset 0
		.amdhsa_user_sgpr_private_segment_size 0
		.amdhsa_uses_dynamic_stack 0
		.amdhsa_enable_private_segment 0
		.amdhsa_system_sgpr_workgroup_id_x 1
		.amdhsa_system_sgpr_workgroup_id_y 0
		.amdhsa_system_sgpr_workgroup_id_z 1
		.amdhsa_system_sgpr_workgroup_info 0
		.amdhsa_system_vgpr_workitem_id 0
		.amdhsa_next_free_vgpr 22
		.amdhsa_next_free_sgpr 39
		.amdhsa_accum_offset 24
		.amdhsa_reserve_vcc 1
		.amdhsa_float_round_mode_32 0
		.amdhsa_float_round_mode_16_64 0
		.amdhsa_float_denorm_mode_32 3
		.amdhsa_float_denorm_mode_16_64 3
		.amdhsa_dx10_clamp 1
		.amdhsa_ieee_mode 1
		.amdhsa_fp16_overflow 0
		.amdhsa_tg_split 0
		.amdhsa_exception_fp_ieee_invalid_op 0
		.amdhsa_exception_fp_denorm_src 0
		.amdhsa_exception_fp_ieee_div_zero 0
		.amdhsa_exception_fp_ieee_overflow 0
		.amdhsa_exception_fp_ieee_underflow 0
		.amdhsa_exception_fp_ieee_inexact 0
		.amdhsa_exception_int_div_zero 0
	.end_amdhsa_kernel
	.section	.text._ZL20rocblas_gemvt_kernelILb1ELi256E19rocblas_complex_numIdEPKS1_S1_EviiT2_lPKT1_lilS7_lilS4_lPT3_lili,"axG",@progbits,_ZL20rocblas_gemvt_kernelILb1ELi256E19rocblas_complex_numIdEPKS1_S1_EviiT2_lPKT1_lilS7_lilS4_lPT3_lili,comdat
.Lfunc_end184:
	.size	_ZL20rocblas_gemvt_kernelILb1ELi256E19rocblas_complex_numIdEPKS1_S1_EviiT2_lPKT1_lilS7_lilS4_lPT3_lili, .Lfunc_end184-_ZL20rocblas_gemvt_kernelILb1ELi256E19rocblas_complex_numIdEPKS1_S1_EviiT2_lPKT1_lilS7_lilS4_lPT3_lili
                                        ; -- End function
	.section	.AMDGPU.csdata,"",@progbits
; Kernel info:
; codeLenInByte = 1724
; NumSgprs: 45
; NumVgprs: 22
; NumAgprs: 0
; TotalNumVgprs: 22
; ScratchSize: 0
; MemoryBound: 0
; FloatMode: 240
; IeeeMode: 1
; LDSByteSize: 4096 bytes/workgroup (compile time only)
; SGPRBlocks: 5
; VGPRBlocks: 2
; NumSGPRsForWavesPerEU: 45
; NumVGPRsForWavesPerEU: 22
; AccumOffset: 24
; Occupancy: 8
; WaveLimiterHint : 1
; COMPUTE_PGM_RSRC2:SCRATCH_EN: 0
; COMPUTE_PGM_RSRC2:USER_SGPR: 2
; COMPUTE_PGM_RSRC2:TRAP_HANDLER: 0
; COMPUTE_PGM_RSRC2:TGID_X_EN: 1
; COMPUTE_PGM_RSRC2:TGID_Y_EN: 0
; COMPUTE_PGM_RSRC2:TGID_Z_EN: 1
; COMPUTE_PGM_RSRC2:TIDIG_COMP_CNT: 0
; COMPUTE_PGM_RSRC3_GFX90A:ACCUM_OFFSET: 5
; COMPUTE_PGM_RSRC3_GFX90A:TG_SPLIT: 0
	.section	.text._ZL20rocblas_gemvt_kernelILb1ELi256E19rocblas_complex_numIdES1_S1_EviiT2_lPKT1_lilS5_lilS2_lPT3_lili,"axG",@progbits,_ZL20rocblas_gemvt_kernelILb1ELi256E19rocblas_complex_numIdES1_S1_EviiT2_lPKT1_lilS5_lilS2_lPT3_lili,comdat
	.globl	_ZL20rocblas_gemvt_kernelILb1ELi256E19rocblas_complex_numIdES1_S1_EviiT2_lPKT1_lilS5_lilS2_lPT3_lili ; -- Begin function _ZL20rocblas_gemvt_kernelILb1ELi256E19rocblas_complex_numIdES1_S1_EviiT2_lPKT1_lilS5_lilS2_lPT3_lili
	.p2align	8
	.type	_ZL20rocblas_gemvt_kernelILb1ELi256E19rocblas_complex_numIdES1_S1_EviiT2_lPKT1_lilS5_lilS2_lPT3_lili,@function
_ZL20rocblas_gemvt_kernelILb1ELi256E19rocblas_complex_numIdES1_S1_EviiT2_lPKT1_lilS5_lilS2_lPT3_lili: ; @_ZL20rocblas_gemvt_kernelILb1ELi256E19rocblas_complex_numIdES1_S1_EviiT2_lPKT1_lilS5_lilS2_lPT3_lili
; %bb.0:
	s_load_dwordx4 s[12:15], s[0:1], 0x8
	s_load_dwordx4 s[8:11], s[0:1], 0x58
	s_load_dwordx2 s[20:21], s[0:1], 0x68
	s_waitcnt lgkmcnt(0)
	v_cmp_neq_f64_e64 s[4:5], s[12:13], 0
	v_cmp_neq_f64_e64 s[6:7], s[14:15], 0
	s_or_b64 s[4:5], s[4:5], s[6:7]
	s_mov_b64 s[6:7], -1
	s_and_b64 vcc, exec, s[4:5]
	s_cbranch_vccnz .LBB185_2
; %bb.1:
	v_cmp_neq_f64_e64 s[6:7], s[10:11], 1.0
	v_cmp_neq_f64_e64 s[16:17], s[20:21], 0
	s_or_b64 s[6:7], s[6:7], s[16:17]
.LBB185_2:
	s_andn2_b64 vcc, exec, s[6:7]
	s_cbranch_vccnz .LBB185_38
; %bb.3:
	s_load_dwordx2 s[6:7], s[0:1], 0x90
	s_load_dwordx4 s[16:19], s[0:1], 0x78
	s_load_dword s37, s[0:1], 0x88
	s_xor_b64 s[4:5], s[4:5], -1
	s_waitcnt lgkmcnt(0)
	s_mul_i32 s7, s3, s7
	s_mul_hi_u32 s22, s3, s6
	s_mul_i32 s6, s3, s6
	s_add_i32 s7, s22, s7
	s_lshl_b64 s[6:7], s[6:7], 4
	s_add_u32 s16, s16, s6
	s_addc_u32 s17, s17, s7
	s_lshl_b64 s[6:7], s[18:19], 4
	s_add_u32 s33, s16, s6
	s_addc_u32 s36, s17, s7
	s_andn2_b64 vcc, exec, s[4:5]
	v_cmp_eq_u32_e64 s[4:5], 0, v0
	s_cbranch_vccnz .LBB185_8
; %bb.4:
	s_mov_b64 s[16:17], 0
	s_mov_b64 s[22:23], 0
                                        ; implicit-def: $vgpr4_vgpr5
                                        ; implicit-def: $sgpr6_sgpr7
	s_and_saveexec_b64 s[18:19], s[4:5]
	s_cbranch_execz .LBB185_9
; %bb.5:
	v_cmp_neq_f64_e64 s[4:5], s[10:11], 0
	v_cmp_neq_f64_e64 s[22:23], s[20:21], 0
	v_mov_b64_e32 v[4:5], 0
	s_or_b64 s[4:5], s[4:5], s[22:23]
	s_mul_hi_i32 s7, s37, s2
	s_mul_i32 s6, s37, s2
	s_andn2_b64 vcc, exec, s[4:5]
	v_mov_b64_e32 v[2:3], v[4:5]
	s_cbranch_vccnz .LBB185_7
; %bb.6:
	s_lshl_b64 s[4:5], s[6:7], 4
	s_add_u32 s4, s33, s4
	s_addc_u32 s5, s36, s5
	s_load_dwordx4 s[24:27], s[4:5], 0x0
	s_waitcnt lgkmcnt(0)
	v_mov_b64_e32 v[2:3], s[26:27]
	v_mov_b64_e32 v[6:7], s[24:25]
	v_mul_f64 v[8:9], s[20:21], v[2:3]
	v_mul_f64 v[4:5], s[10:11], v[2:3]
	v_fma_f64 v[2:3], s[10:11], v[6:7], -v[8:9]
	v_fmac_f64_e32 v[4:5], s[20:21], v[6:7]
.LBB185_7:
	s_mov_b64 s[22:23], exec
	s_or_b64 exec, exec, s[18:19]
	s_and_b64 vcc, exec, s[16:17]
	s_cbranch_vccnz .LBB185_10
	s_branch .LBB185_36
.LBB185_8:
	s_mov_b64 s[22:23], 0
                                        ; implicit-def: $vgpr4_vgpr5
                                        ; implicit-def: $sgpr6_sgpr7
	s_cbranch_execnz .LBB185_10
	s_branch .LBB185_36
.LBB185_9:
	s_or_b64 exec, exec, s[18:19]
	s_and_b64 vcc, exec, s[16:17]
	s_cbranch_vccz .LBB185_36
.LBB185_10:
	s_load_dword s38, s[0:1], 0x0
	s_load_dwordx4 s[16:19], s[0:1], 0x20
	s_load_dword s28, s[0:1], 0x30
	s_load_dwordx4 s[4:7], s[0:1], 0x38
	s_load_dwordx2 s[24:25], s[0:1], 0x48
	s_mul_i32 s9, s3, s9
	s_load_dword s0, s[0:1], 0x50
	s_mul_hi_u32 s26, s3, s8
	s_waitcnt lgkmcnt(0)
	s_mul_i32 s1, s3, s5
	s_mul_hi_u32 s5, s3, s4
	s_add_i32 s27, s5, s1
	s_ashr_i32 s1, s38, 31
	s_lshr_b32 s1, s1, 24
	v_cmp_gt_i32_e32 vcc, s38, v0
	s_add_i32 s1, s38, s1
	s_add_i32 s9, s26, s9
	s_mul_i32 s26, s3, s4
	v_cndmask_b32_e32 v1, 0, v0, vcc
	s_and_b32 s4, s1, 0xffffff00
	v_mov_b64_e32 v[4:5], 0
	s_mul_i32 s8, s3, s8
	s_mov_b32 s3, 0
	v_mov_b32_e32 v7, 0
	s_mul_hi_i32 s29, s28, s2
	s_mul_i32 s28, s28, s2
	s_cmpk_lt_i32 s38, 0x100
	v_lshlrev_b32_e32 v6, 4, v1
	v_mov_b64_e32 v[2:3], v[4:5]
	s_cbranch_scc1 .LBB185_13
; %bb.11:
	s_ashr_i32 s1, s0, 31
	s_lshl_b64 s[30:31], s[28:29], 4
	s_lshl_b64 s[34:35], s[26:27], 4
	s_add_u32 s5, s30, s34
	s_addc_u32 s34, s31, s35
	s_lshl_b64 s[30:31], s[18:19], 4
	s_add_u32 s5, s5, s30
	s_addc_u32 s31, s34, s31
	s_add_u32 s30, s16, s5
	s_addc_u32 s31, s17, s31
	v_lshl_add_u64 v[2:3], s[30:31], 0, v[6:7]
	v_lshl_add_u64 v[8:9], v[2:3], 0, 8
	v_mad_i64_i32 v[2:3], s[34:35], s0, v0, 0
	s_lshl_b64 s[30:31], s[8:9], 4
	s_lshl_b64 s[34:35], s[24:25], 4
	s_add_u32 s5, s6, s34
	s_addc_u32 s34, s7, s35
	s_add_u32 s30, s5, s30
	s_addc_u32 s31, s34, s31
	v_lshl_add_u64 v[2:3], v[2:3], 4, s[30:31]
	v_mov_b64_e32 v[4:5], 0
	v_lshl_add_u64 v[10:11], v[2:3], 0, 8
	s_lshl_b64 s[30:31], s[0:1], 12
	s_mov_b64 s[34:35], 0x1000
	v_mov_b64_e32 v[2:3], v[4:5]
.LBB185_12:                             ; =>This Inner Loop Header: Depth=1
	global_load_dwordx4 v[12:15], v[8:9], off offset:-8
	global_load_dwordx4 v[16:19], v[10:11], off offset:-8
	s_addk_i32 s3, 0x100
	v_lshl_add_u64 v[8:9], v[8:9], 0, s[34:35]
	v_lshl_add_u64 v[10:11], v[10:11], 0, s[30:31]
	s_cmp_ge_i32 s3, s4
	s_waitcnt vmcnt(0)
	v_mul_f64 v[20:21], v[14:15], v[18:19]
	v_mul_f64 v[14:15], v[14:15], v[16:17]
	v_fmac_f64_e32 v[20:21], v[12:13], v[16:17]
	v_fma_f64 v[12:13], v[12:13], v[18:19], -v[14:15]
	v_add_f64 v[2:3], v[2:3], v[20:21]
	v_add_f64 v[4:5], v[4:5], v[12:13]
	s_cbranch_scc0 .LBB185_12
.LBB185_13:
	v_add_u32_e32 v1, s4, v0
	v_cmp_gt_i32_e32 vcc, s38, v1
	s_and_saveexec_b64 s[30:31], vcc
	s_cbranch_execz .LBB185_15
; %bb.14:
	s_lshl_b64 s[26:27], s[26:27], 4
	s_add_u32 s1, s16, s26
	s_addc_u32 s3, s17, s27
	s_lshl_b64 s[16:17], s[18:19], 4
	s_add_u32 s1, s1, s16
	s_addc_u32 s3, s3, s17
	s_lshl_b64 s[16:17], s[28:29], 4
	s_lshl_b64 s[8:9], s[8:9], 4
	s_add_u32 s5, s6, s8
	s_addc_u32 s8, s7, s9
	s_lshl_b64 s[6:7], s[24:25], 4
	s_add_u32 s6, s5, s6
	s_addc_u32 s7, s8, s7
	s_ashr_i32 s5, s4, 31
	s_lshl_b64 s[4:5], s[4:5], 4
	s_add_u32 s4, s4, s16
	s_addc_u32 s5, s5, s17
	s_add_u32 s4, s4, s1
	v_mad_i64_i32 v[8:9], s[0:1], s0, v1, 0
	v_lshl_add_u64 v[16:17], v[8:9], 4, s[6:7]
	s_addc_u32 s5, s5, s3
	global_load_dwordx4 v[8:11], v[16:17], off
	global_load_dwordx4 v[12:15], v6, s[4:5]
	s_waitcnt vmcnt(0)
	v_mul_f64 v[6:7], v[14:15], v[10:11]
	v_mul_f64 v[14:15], v[14:15], v[8:9]
	v_fmac_f64_e32 v[6:7], v[12:13], v[8:9]
	v_fma_f64 v[8:9], v[12:13], v[10:11], -v[14:15]
	v_add_f64 v[2:3], v[2:3], v[6:7]
	v_add_f64 v[4:5], v[4:5], v[8:9]
.LBB185_15:
	s_or_b64 exec, exec, s[30:31]
	s_movk_i32 s0, 0x80
	v_lshlrev_b32_e32 v1, 4, v0
	v_cmp_gt_u32_e32 vcc, s0, v0
	ds_write_b128 v1, v[2:5]
	s_waitcnt lgkmcnt(0)
	s_barrier
	s_and_saveexec_b64 s[0:1], vcc
	s_cbranch_execz .LBB185_17
; %bb.16:
	ds_read_b128 v[2:5], v1 offset:2048
	ds_read_b128 v[6:9], v1
	s_waitcnt lgkmcnt(0)
	v_add_f64 v[2:3], v[2:3], v[6:7]
	v_add_f64 v[4:5], v[4:5], v[8:9]
	ds_write_b128 v1, v[2:5]
.LBB185_17:
	s_or_b64 exec, exec, s[0:1]
	v_cmp_gt_u32_e32 vcc, 64, v0
	s_waitcnt lgkmcnt(0)
	s_barrier
	s_and_saveexec_b64 s[0:1], vcc
	s_cbranch_execz .LBB185_19
; %bb.18:
	ds_read_b128 v[2:5], v1 offset:1024
	ds_read_b128 v[6:9], v1
	s_waitcnt lgkmcnt(0)
	v_add_f64 v[2:3], v[2:3], v[6:7]
	v_add_f64 v[4:5], v[4:5], v[8:9]
	ds_write_b128 v1, v[2:5]
.LBB185_19:
	s_or_b64 exec, exec, s[0:1]
	v_cmp_gt_u32_e32 vcc, 32, v0
	s_waitcnt lgkmcnt(0)
	s_barrier
	s_and_saveexec_b64 s[0:1], vcc
	s_cbranch_execz .LBB185_21
; %bb.20:
	ds_read_b128 v[2:5], v1 offset:512
	ds_read_b128 v[6:9], v1
	s_waitcnt lgkmcnt(0)
	v_add_f64 v[2:3], v[2:3], v[6:7]
	v_add_f64 v[4:5], v[4:5], v[8:9]
	ds_write_b128 v1, v[2:5]
.LBB185_21:
	s_or_b64 exec, exec, s[0:1]
	v_cmp_gt_u32_e32 vcc, 16, v0
	s_waitcnt lgkmcnt(0)
	s_barrier
	s_and_saveexec_b64 s[0:1], vcc
	s_cbranch_execz .LBB185_23
; %bb.22:
	ds_read_b128 v[2:5], v1 offset:256
	ds_read_b128 v[6:9], v1
	s_waitcnt lgkmcnt(0)
	v_add_f64 v[2:3], v[2:3], v[6:7]
	v_add_f64 v[4:5], v[4:5], v[8:9]
	ds_write_b128 v1, v[2:5]
.LBB185_23:
	s_or_b64 exec, exec, s[0:1]
	v_cmp_gt_u32_e32 vcc, 8, v0
	s_waitcnt lgkmcnt(0)
	s_barrier
	s_and_saveexec_b64 s[0:1], vcc
	s_cbranch_execz .LBB185_25
; %bb.24:
	ds_read_b128 v[2:5], v1 offset:128
	ds_read_b128 v[6:9], v1
	s_waitcnt lgkmcnt(0)
	v_add_f64 v[2:3], v[2:3], v[6:7]
	v_add_f64 v[4:5], v[4:5], v[8:9]
	ds_write_b128 v1, v[2:5]
.LBB185_25:
	s_or_b64 exec, exec, s[0:1]
	v_cmp_gt_u32_e32 vcc, 4, v0
	s_waitcnt lgkmcnt(0)
	s_barrier
	s_and_saveexec_b64 s[0:1], vcc
	s_cbranch_execz .LBB185_27
; %bb.26:
	ds_read_b128 v[2:5], v1 offset:64
	ds_read_b128 v[6:9], v1
	s_waitcnt lgkmcnt(0)
	v_add_f64 v[2:3], v[2:3], v[6:7]
	v_add_f64 v[4:5], v[4:5], v[8:9]
	ds_write_b128 v1, v[2:5]
.LBB185_27:
	s_or_b64 exec, exec, s[0:1]
	v_cmp_gt_u32_e32 vcc, 2, v0
	s_waitcnt lgkmcnt(0)
	s_barrier
	s_and_saveexec_b64 s[0:1], vcc
	s_cbranch_execz .LBB185_29
; %bb.28:
	ds_read_b128 v[2:5], v1
	ds_read_b128 v[6:9], v1 offset:32
	s_waitcnt lgkmcnt(0)
	v_add_f64 v[2:3], v[6:7], v[2:3]
	v_add_f64 v[4:5], v[8:9], v[4:5]
	ds_write_b128 v1, v[2:5]
.LBB185_29:
	s_or_b64 exec, exec, s[0:1]
	v_cmp_eq_u32_e32 vcc, 0, v0
	s_waitcnt lgkmcnt(0)
	s_barrier
	s_and_saveexec_b64 s[0:1], vcc
	s_cbranch_execz .LBB185_31
; %bb.30:
	v_mov_b32_e32 v8, 0
	ds_read_b128 v[0:3], v8
	ds_read_b128 v[4:7], v8 offset:16
	s_waitcnt lgkmcnt(0)
	v_add_f64 v[0:1], v[4:5], v[0:1]
	v_add_f64 v[2:3], v[6:7], v[2:3]
	ds_write_b128 v8, v[0:3]
.LBB185_31:
	s_or_b64 exec, exec, s[0:1]
	s_waitcnt lgkmcnt(0)
	s_barrier
	s_waitcnt lgkmcnt(0)
                                        ; implicit-def: $vgpr4_vgpr5
                                        ; implicit-def: $sgpr6_sgpr7
	s_and_saveexec_b64 s[0:1], vcc
	s_cbranch_execz .LBB185_35
; %bb.32:
	v_mov_b32_e32 v0, 0
	ds_read_b128 v[0:3], v0
	v_cmp_neq_f64_e64 s[4:5], s[10:11], 0
	v_cmp_neq_f64_e64 s[8:9], s[20:21], 0
	s_or_b64 s[4:5], s[4:5], s[8:9]
	s_mul_hi_i32 s7, s37, s2
	s_waitcnt lgkmcnt(0)
	v_mul_f64 v[6:7], s[14:15], v[2:3]
	v_mul_f64 v[4:5], s[12:13], v[2:3]
	v_fma_f64 v[2:3], s[12:13], v[0:1], -v[6:7]
	v_fmac_f64_e32 v[4:5], s[14:15], v[0:1]
	s_andn2_b64 vcc, exec, s[4:5]
	s_mul_i32 s6, s37, s2
	s_cbranch_vccnz .LBB185_34
; %bb.33:
	s_lshl_b64 s[2:3], s[6:7], 4
	s_add_u32 s2, s33, s2
	s_addc_u32 s3, s36, s3
	s_load_dwordx4 s[12:15], s[2:3], 0x0
	s_waitcnt lgkmcnt(0)
	v_mov_b64_e32 v[0:1], s[14:15]
	v_mov_b64_e32 v[6:7], s[12:13]
	v_mul_f64 v[8:9], s[20:21], v[0:1]
	v_mul_f64 v[0:1], s[10:11], v[0:1]
	v_fma_f64 v[8:9], s[10:11], v[6:7], -v[8:9]
	v_fmac_f64_e32 v[0:1], s[20:21], v[6:7]
	v_add_f64 v[2:3], v[2:3], v[8:9]
	v_add_f64 v[4:5], v[4:5], v[0:1]
.LBB185_34:
	s_or_b64 s[22:23], s[22:23], exec
.LBB185_35:
	s_or_b64 exec, exec, s[0:1]
.LBB185_36:
	s_and_saveexec_b64 s[0:1], s[22:23]
	s_cbranch_execz .LBB185_38
; %bb.37:
	s_lshl_b64 s[0:1], s[6:7], 4
	s_add_u32 s0, s33, s0
	s_addc_u32 s1, s36, s1
	v_mov_b32_e32 v0, 0
	global_store_dwordx4 v0, v[2:5], s[0:1]
.LBB185_38:
	s_endpgm
	.section	.rodata,"a",@progbits
	.p2align	6, 0x0
	.amdhsa_kernel _ZL20rocblas_gemvt_kernelILb1ELi256E19rocblas_complex_numIdES1_S1_EviiT2_lPKT1_lilS5_lilS2_lPT3_lili
		.amdhsa_group_segment_fixed_size 4096
		.amdhsa_private_segment_fixed_size 0
		.amdhsa_kernarg_size 156
		.amdhsa_user_sgpr_count 2
		.amdhsa_user_sgpr_dispatch_ptr 0
		.amdhsa_user_sgpr_queue_ptr 0
		.amdhsa_user_sgpr_kernarg_segment_ptr 1
		.amdhsa_user_sgpr_dispatch_id 0
		.amdhsa_user_sgpr_kernarg_preload_length 0
		.amdhsa_user_sgpr_kernarg_preload_offset 0
		.amdhsa_user_sgpr_private_segment_size 0
		.amdhsa_uses_dynamic_stack 0
		.amdhsa_enable_private_segment 0
		.amdhsa_system_sgpr_workgroup_id_x 1
		.amdhsa_system_sgpr_workgroup_id_y 0
		.amdhsa_system_sgpr_workgroup_id_z 1
		.amdhsa_system_sgpr_workgroup_info 0
		.amdhsa_system_vgpr_workitem_id 0
		.amdhsa_next_free_vgpr 22
		.amdhsa_next_free_sgpr 39
		.amdhsa_accum_offset 24
		.amdhsa_reserve_vcc 1
		.amdhsa_float_round_mode_32 0
		.amdhsa_float_round_mode_16_64 0
		.amdhsa_float_denorm_mode_32 3
		.amdhsa_float_denorm_mode_16_64 3
		.amdhsa_dx10_clamp 1
		.amdhsa_ieee_mode 1
		.amdhsa_fp16_overflow 0
		.amdhsa_tg_split 0
		.amdhsa_exception_fp_ieee_invalid_op 0
		.amdhsa_exception_fp_denorm_src 0
		.amdhsa_exception_fp_ieee_div_zero 0
		.amdhsa_exception_fp_ieee_overflow 0
		.amdhsa_exception_fp_ieee_underflow 0
		.amdhsa_exception_fp_ieee_inexact 0
		.amdhsa_exception_int_div_zero 0
	.end_amdhsa_kernel
	.section	.text._ZL20rocblas_gemvt_kernelILb1ELi256E19rocblas_complex_numIdES1_S1_EviiT2_lPKT1_lilS5_lilS2_lPT3_lili,"axG",@progbits,_ZL20rocblas_gemvt_kernelILb1ELi256E19rocblas_complex_numIdES1_S1_EviiT2_lPKT1_lilS5_lilS2_lPT3_lili,comdat
.Lfunc_end185:
	.size	_ZL20rocblas_gemvt_kernelILb1ELi256E19rocblas_complex_numIdES1_S1_EviiT2_lPKT1_lilS5_lilS2_lPT3_lili, .Lfunc_end185-_ZL20rocblas_gemvt_kernelILb1ELi256E19rocblas_complex_numIdES1_S1_EviiT2_lPKT1_lilS5_lilS2_lPT3_lili
                                        ; -- End function
	.section	.AMDGPU.csdata,"",@progbits
; Kernel info:
; codeLenInByte = 1664
; NumSgprs: 45
; NumVgprs: 22
; NumAgprs: 0
; TotalNumVgprs: 22
; ScratchSize: 0
; MemoryBound: 0
; FloatMode: 240
; IeeeMode: 1
; LDSByteSize: 4096 bytes/workgroup (compile time only)
; SGPRBlocks: 5
; VGPRBlocks: 2
; NumSGPRsForWavesPerEU: 45
; NumVGPRsForWavesPerEU: 22
; AccumOffset: 24
; Occupancy: 8
; WaveLimiterHint : 1
; COMPUTE_PGM_RSRC2:SCRATCH_EN: 0
; COMPUTE_PGM_RSRC2:USER_SGPR: 2
; COMPUTE_PGM_RSRC2:TRAP_HANDLER: 0
; COMPUTE_PGM_RSRC2:TGID_X_EN: 1
; COMPUTE_PGM_RSRC2:TGID_Y_EN: 0
; COMPUTE_PGM_RSRC2:TGID_Z_EN: 1
; COMPUTE_PGM_RSRC2:TIDIG_COMP_CNT: 0
; COMPUTE_PGM_RSRC3_GFX90A:ACCUM_OFFSET: 5
; COMPUTE_PGM_RSRC3_GFX90A:TG_SPLIT: 0
	.section	.text._ZL32rocblas_gemvt_warp_reduce_kernelILb1ELi1024Ei19rocblas_complex_numIdEPKS1_S1_EviiT3_lPKT2_lT1_lS7_lS8_lS4_lPT4_lS8_li,"axG",@progbits,_ZL32rocblas_gemvt_warp_reduce_kernelILb1ELi1024Ei19rocblas_complex_numIdEPKS1_S1_EviiT3_lPKT2_lT1_lS7_lS8_lS4_lPT4_lS8_li,comdat
	.globl	_ZL32rocblas_gemvt_warp_reduce_kernelILb1ELi1024Ei19rocblas_complex_numIdEPKS1_S1_EviiT3_lPKT2_lT1_lS7_lS8_lS4_lPT4_lS8_li ; -- Begin function _ZL32rocblas_gemvt_warp_reduce_kernelILb1ELi1024Ei19rocblas_complex_numIdEPKS1_S1_EviiT3_lPKT2_lT1_lS7_lS8_lS4_lPT4_lS8_li
	.p2align	8
	.type	_ZL32rocblas_gemvt_warp_reduce_kernelILb1ELi1024Ei19rocblas_complex_numIdEPKS1_S1_EviiT3_lPKT2_lT1_lS7_lS8_lS4_lPT4_lS8_li,@function
_ZL32rocblas_gemvt_warp_reduce_kernelILb1ELi1024Ei19rocblas_complex_numIdEPKS1_S1_EviiT3_lPKT2_lT1_lS7_lS8_lS4_lPT4_lS8_li: ; @_ZL32rocblas_gemvt_warp_reduce_kernelILb1ELi1024Ei19rocblas_complex_numIdEPKS1_S1_EviiT3_lPKT2_lT1_lS7_lS8_lS4_lPT4_lS8_li
; %bb.0:
	s_load_dwordx8 s[4:11], s[0:1], 0x8
	s_load_dwordx8 s[12:19], s[0:1], 0x50
	s_waitcnt lgkmcnt(0)
	s_mul_i32 s7, s3, s7
	s_mul_hi_u32 s20, s3, s6
	s_add_i32 s7, s20, s7
	s_mul_i32 s6, s3, s6
	s_lshl_b64 s[6:7], s[6:7], 4
	s_add_u32 s4, s4, s6
	s_addc_u32 s5, s5, s7
	s_load_dwordx4 s[24:27], s[4:5], 0x0
	s_mul_i32 s4, s3, s17
	s_mul_hi_u32 s5, s3, s16
	s_add_i32 s5, s5, s4
	s_mul_i32 s4, s3, s16
	s_lshl_b64 s[4:5], s[4:5], 4
	s_add_u32 s4, s14, s4
	s_addc_u32 s5, s15, s5
	s_load_dwordx4 s[20:23], s[4:5], 0x0
	s_waitcnt lgkmcnt(0)
	v_cmp_neq_f64_e64 s[4:5], s[24:25], 0
	v_cmp_neq_f64_e64 s[6:7], s[26:27], 0
	s_or_b64 s[4:5], s[4:5], s[6:7]
	s_mov_b64 s[6:7], -1
	s_and_b64 vcc, exec, s[4:5]
	s_cbranch_vccnz .LBB186_2
; %bb.1:
	v_cmp_neq_f64_e64 s[6:7], s[20:21], 1.0
	v_cmp_neq_f64_e64 s[14:15], s[22:23], 0
	s_or_b64 s[6:7], s[6:7], s[14:15]
.LBB186_2:
	s_andn2_b64 vcc, exec, s[6:7]
	s_cbranch_vccnz .LBB186_31
; %bb.3:
	s_load_dwordx2 s[6:7], s[0:1], 0x80
	s_load_dwordx2 s[14:15], s[0:1], 0x70
	s_load_dword s33, s[0:1], 0x78
	s_xor_b64 s[4:5], s[4:5], -1
	s_waitcnt lgkmcnt(0)
	s_mul_i32 s7, s3, s7
	s_mul_hi_u32 s16, s3, s6
	s_mul_i32 s6, s3, s6
	s_add_i32 s7, s16, s7
	s_lshl_b64 s[6:7], s[6:7], 4
	s_add_u32 s16, s18, s6
	s_addc_u32 s17, s19, s7
	s_lshl_b64 s[6:7], s[14:15], 4
	s_add_u32 s30, s16, s6
	s_addc_u32 s31, s17, s7
	s_andn2_b64 vcc, exec, s[4:5]
	v_cmp_eq_u32_e64 s[4:5], 0, v0
	s_cbranch_vccnz .LBB186_8
; %bb.4:
	s_mov_b64 s[16:17], 0
	s_mov_b64 s[6:7], 0
                                        ; implicit-def: $vgpr4_vgpr5
                                        ; implicit-def: $sgpr14_sgpr15
	s_and_saveexec_b64 s[18:19], s[4:5]
	s_cbranch_execz .LBB186_9
; %bb.5:
	v_cmp_neq_f64_e64 s[4:5], s[20:21], 0
	v_cmp_neq_f64_e64 s[6:7], s[22:23], 0
	v_mov_b64_e32 v[4:5], 0
	s_mul_i32 s14, s2, s33
	s_or_b64 s[4:5], s[4:5], s[6:7]
	s_ashr_i32 s15, s14, 31
	s_andn2_b64 vcc, exec, s[4:5]
	v_mov_b64_e32 v[2:3], v[4:5]
	s_cbranch_vccnz .LBB186_7
; %bb.6:
	s_lshl_b64 s[4:5], s[14:15], 4
	s_add_u32 s4, s30, s4
	s_addc_u32 s5, s31, s5
	s_load_dwordx4 s[4:7], s[4:5], 0x0
	s_waitcnt lgkmcnt(0)
	v_mov_b64_e32 v[2:3], s[6:7]
	v_mov_b64_e32 v[6:7], s[4:5]
	v_mul_f64 v[8:9], s[22:23], v[2:3]
	v_mul_f64 v[4:5], s[20:21], v[2:3]
	v_fma_f64 v[2:3], s[20:21], v[6:7], -v[8:9]
	v_fmac_f64_e32 v[4:5], s[22:23], v[6:7]
.LBB186_7:
	s_mov_b64 s[6:7], exec
	s_or_b64 exec, exec, s[18:19]
	s_and_b64 vcc, exec, s[16:17]
	s_cbranch_vccnz .LBB186_10
	s_branch .LBB186_29
.LBB186_8:
	s_mov_b64 s[6:7], 0
                                        ; implicit-def: $vgpr4_vgpr5
                                        ; implicit-def: $sgpr14_sgpr15
	s_cbranch_execnz .LBB186_10
	s_branch .LBB186_29
.LBB186_9:
	s_or_b64 exec, exec, s[18:19]
	s_and_b64 vcc, exec, s[16:17]
	s_cbranch_vccz .LBB186_29
.LBB186_10:
	s_load_dword s15, s[0:1], 0x0
	s_load_dword s14, s[0:1], 0x28
	s_load_dwordx4 s[16:19], s[0:1], 0x30
	s_load_dwordx2 s[4:5], s[0:1], 0x40
	s_mul_i32 s13, s3, s13
	s_mul_hi_u32 s28, s3, s12
	s_add_i32 s13, s28, s13
	s_mul_i32 s12, s3, s12
	s_lshl_b64 s[12:13], s[12:13], 4
	s_waitcnt lgkmcnt(0)
	s_add_u32 s12, s18, s12
	s_addc_u32 s13, s19, s13
	s_lshl_b64 s[4:5], s[4:5], 4
	s_add_u32 s4, s12, s4
	s_load_dword s34, s[0:1], 0x48
	s_mul_i32 s0, s3, s17
	s_mul_hi_u32 s1, s3, s16
	s_addc_u32 s5, s13, s5
	s_add_i32 s1, s1, s0
	s_mul_i32 s0, s3, s16
	s_ashr_i32 s3, s15, 31
	s_lshr_b32 s3, s3, 22
	v_cmp_gt_i32_e32 vcc, s15, v0
	s_add_i32 s3, s15, s3
	s_mul_i32 s12, s2, s14
	v_cndmask_b32_e32 v1, 0, v0, vcc
	s_and_b32 s14, s3, 0xfffffc00
	v_mov_b64_e32 v[2:3], 0
	v_mov_b32_e32 v7, 0
	s_ashr_i32 s13, s12, 31
	v_cmp_gt_i32_e32 vcc, s14, v0
	v_lshlrev_b32_e32 v6, 4, v1
	v_mov_b64_e32 v[4:5], v[2:3]
	s_and_saveexec_b64 s[16:17], vcc
	s_cbranch_execz .LBB186_14
; %bb.11:
	s_waitcnt lgkmcnt(0)
	s_lshl_b32 s3, s34, 10
	s_lshl_b64 s[18:19], s[0:1], 4
	s_lshl_b64 s[28:29], s[10:11], 4
	s_add_u32 s28, s18, s28
	s_addc_u32 s29, s19, s29
	s_lshl_b64 s[18:19], s[12:13], 4
	s_add_u32 s18, s28, s18
	s_addc_u32 s19, s29, s19
	s_add_u32 s18, s8, s18
	s_addc_u32 s19, s9, s19
	v_lshl_add_u64 v[2:3], s[18:19], 0, v[6:7]
	v_lshl_add_u64 v[10:11], v[2:3], 0, 8
	v_mov_b64_e32 v[2:3], 0
	v_mul_lo_u32 v8, v0, s34
	s_mov_b64 s[18:19], 0
	s_mov_b64 s[28:29], 0x4000
	v_mov_b32_e32 v1, v0
	v_mov_b64_e32 v[4:5], v[2:3]
.LBB186_12:                             ; =>This Inner Loop Header: Depth=1
	v_ashrrev_i32_e32 v9, 31, v8
	v_lshl_add_u64 v[16:17], v[8:9], 4, s[4:5]
	global_load_dwordx4 v[12:15], v[10:11], off offset:-8
	v_add_u32_e32 v1, 0x400, v1
	global_load_dwordx4 v[16:19], v[16:17], off
	v_cmp_le_i32_e32 vcc, s14, v1
	v_lshl_add_u64 v[10:11], v[10:11], 0, s[28:29]
	v_add_u32_e32 v8, s3, v8
	s_or_b64 s[18:19], vcc, s[18:19]
	s_waitcnt vmcnt(0)
	v_mul_f64 v[20:21], v[14:15], v[18:19]
	v_mul_f64 v[14:15], v[14:15], v[16:17]
	v_fmac_f64_e32 v[20:21], v[12:13], v[16:17]
	v_fma_f64 v[12:13], v[12:13], v[18:19], -v[14:15]
	v_add_f64 v[4:5], v[4:5], v[20:21]
	v_add_f64 v[2:3], v[2:3], v[12:13]
	s_andn2_b64 exec, exec, s[18:19]
	s_cbranch_execnz .LBB186_12
; %bb.13:
	s_or_b64 exec, exec, s[18:19]
.LBB186_14:
	s_or_b64 exec, exec, s[16:17]
	v_or_b32_e32 v1, s14, v0
	v_cmp_gt_i32_e32 vcc, s15, v1
	s_and_saveexec_b64 s[16:17], vcc
	s_cbranch_execz .LBB186_16
; %bb.15:
	s_lshl_b64 s[0:1], s[0:1], 4
	s_add_u32 s3, s8, s0
	s_addc_u32 s8, s9, s1
	s_lshl_b64 s[0:1], s[10:11], 4
	s_add_u32 s3, s3, s0
	s_addc_u32 s10, s8, s1
	s_ashr_i32 s15, s14, 31
	s_lshl_b64 s[0:1], s[12:13], 4
	s_lshl_b64 s[8:9], s[14:15], 4
	s_add_u32 s0, s8, s0
	s_waitcnt lgkmcnt(0)
	v_mul_lo_u32 v8, v1, s34
	s_addc_u32 s1, s9, s1
	v_ashrrev_i32_e32 v9, 31, v8
	s_add_u32 s0, s0, s3
	v_lshl_add_u64 v[16:17], v[8:9], 4, s[4:5]
	s_addc_u32 s1, s1, s10
	global_load_dwordx4 v[8:11], v[16:17], off
	global_load_dwordx4 v[12:15], v6, s[0:1]
	s_waitcnt vmcnt(0)
	v_mul_f64 v[6:7], v[14:15], v[10:11]
	v_mul_f64 v[14:15], v[14:15], v[8:9]
	v_fmac_f64_e32 v[6:7], v[12:13], v[8:9]
	v_fma_f64 v[8:9], v[12:13], v[10:11], -v[14:15]
	v_add_f64 v[4:5], v[4:5], v[6:7]
	v_add_f64 v[2:3], v[2:3], v[8:9]
.LBB186_16:
	s_or_b64 exec, exec, s[16:17]
	v_and_b32_e32 v13, 63, v0
	v_cmp_gt_u32_e32 vcc, 64, v0
	v_lshlrev_b32_e32 v1, 4, v13
	s_and_saveexec_b64 s[0:1], vcc
	s_cbranch_execz .LBB186_18
; %bb.17:
	v_mov_b32_e32 v6, 0
	v_mov_b32_e32 v7, v6
	;; [unrolled: 1-line block ×4, first 2 shown]
	ds_write_b128 v1, v[6:9]
.LBB186_18:
	s_or_b64 exec, exec, s[0:1]
	v_mbcnt_lo_u32_b32 v6, -1, 0
	v_mbcnt_hi_u32_b32 v14, -1, v6
	v_and_b32_e32 v15, 63, v14
	v_cmp_gt_u32_e64 s[0:1], 32, v15
	s_waitcnt lgkmcnt(0)
	s_barrier
	v_cndmask_b32_e64 v6, 0, 1, s[0:1]
	v_lshlrev_b32_e32 v6, 5, v6
	v_add_lshl_u32 v9, v6, v14, 2
	ds_bpermute_b32 v6, v9, v4
	ds_bpermute_b32 v7, v9, v5
	;; [unrolled: 1-line block ×4, first 2 shown]
	v_cmp_gt_u32_e64 s[0:1], 48, v15
	s_waitcnt lgkmcnt(0)
	v_add_f64 v[4:5], v[4:5], v[6:7]
	v_cndmask_b32_e64 v6, 0, 1, s[0:1]
	v_lshlrev_b32_e32 v6, 4, v6
	v_add_f64 v[2:3], v[2:3], v[8:9]
	v_add_lshl_u32 v9, v6, v14, 2
	ds_bpermute_b32 v6, v9, v4
	ds_bpermute_b32 v7, v9, v5
	;; [unrolled: 1-line block ×4, first 2 shown]
	v_cmp_gt_u32_e64 s[0:1], 56, v15
	s_waitcnt lgkmcnt(2)
	v_add_f64 v[4:5], v[4:5], v[6:7]
	v_cndmask_b32_e64 v6, 0, 1, s[0:1]
	v_lshlrev_b32_e32 v6, 3, v6
	v_add_lshl_u32 v10, v6, v14, 2
	ds_bpermute_b32 v6, v10, v4
	ds_bpermute_b32 v7, v10, v5
	s_waitcnt lgkmcnt(2)
	v_add_f64 v[2:3], v[2:3], v[8:9]
	ds_bpermute_b32 v8, v10, v2
	ds_bpermute_b32 v9, v10, v3
	v_cmp_gt_u32_e64 s[0:1], 60, v15
	s_waitcnt lgkmcnt(2)
	v_add_f64 v[4:5], v[4:5], v[6:7]
	s_waitcnt lgkmcnt(0)
	v_add_f64 v[2:3], v[2:3], v[8:9]
	v_cndmask_b32_e64 v6, 0, 1, s[0:1]
	v_lshlrev_b32_e32 v6, 2, v6
	v_add_lshl_u32 v11, v6, v14, 2
	ds_bpermute_b32 v6, v11, v4
	ds_bpermute_b32 v7, v11, v5
	;; [unrolled: 1-line block ×4, first 2 shown]
	v_cmp_gt_u32_e64 s[0:1], 62, v15
	s_waitcnt lgkmcnt(2)
	v_add_f64 v[4:5], v[4:5], v[6:7]
	s_waitcnt lgkmcnt(0)
	v_add_f64 v[6:7], v[2:3], v[8:9]
	v_cndmask_b32_e64 v2, 0, 1, s[0:1]
	v_lshlrev_b32_e32 v2, 1, v2
	v_add_lshl_u32 v12, v2, v14, 2
	ds_bpermute_b32 v2, v12, v4
	ds_bpermute_b32 v3, v12, v5
	;; [unrolled: 1-line block ×4, first 2 shown]
	v_cmp_ne_u32_e64 s[0:1], 63, v15
	s_waitcnt lgkmcnt(2)
	v_add_f64 v[2:3], v[4:5], v[2:3]
	v_addc_co_u32_e64 v4, s[0:1], 0, v14, s[0:1]
	s_waitcnt lgkmcnt(0)
	v_add_f64 v[6:7], v[6:7], v[8:9]
	v_lshlrev_b32_e32 v14, 2, v4
	ds_bpermute_b32 v4, v14, v2
	ds_bpermute_b32 v5, v14, v3
	;; [unrolled: 1-line block ×4, first 2 shown]
	v_cmp_eq_u32_e64 s[0:1], 0, v13
	s_and_saveexec_b64 s[4:5], s[0:1]
	s_cbranch_execz .LBB186_20
; %bb.19:
	v_lshrrev_b32_e32 v13, 2, v0
	v_and_b32_e32 v13, 0xf0, v13
	s_waitcnt lgkmcnt(0)
	v_add_f64 v[6:7], v[6:7], v[8:9]
	v_add_f64 v[4:5], v[2:3], v[4:5]
	ds_write_b128 v13, v[4:7]
.LBB186_20:
	s_or_b64 exec, exec, s[4:5]
	s_waitcnt lgkmcnt(0)
	v_mov_b64_e32 v[8:9], 0
	v_cmp_gt_u32_e64 s[0:1], 16, v0
	v_mov_b64_e32 v[6:7], v[8:9]
	s_barrier
	s_and_saveexec_b64 s[4:5], s[0:1]
	s_cbranch_execz .LBB186_22
; %bb.21:
	ds_read_b128 v[6:9], v1
	s_or_b64 exec, exec, s[4:5]
	s_and_saveexec_b64 s[0:1], vcc
	s_cbranch_execz .LBB186_24
	s_branch .LBB186_23
.LBB186_22:
	s_or_b64 exec, exec, s[4:5]
	s_and_saveexec_b64 s[0:1], vcc
	s_cbranch_execz .LBB186_24
.LBB186_23:
	s_waitcnt lgkmcnt(0)
	ds_bpermute_b32 v2, v10, v6
	ds_bpermute_b32 v3, v10, v7
	;; [unrolled: 1-line block ×4, first 2 shown]
	s_waitcnt lgkmcnt(2)
	v_add_f64 v[2:3], v[6:7], v[2:3]
	ds_bpermute_b32 v6, v11, v2
	s_waitcnt lgkmcnt(1)
	v_add_f64 v[4:5], v[8:9], v[4:5]
	ds_bpermute_b32 v7, v11, v3
	ds_bpermute_b32 v8, v11, v4
	ds_bpermute_b32 v9, v11, v5
	s_waitcnt lgkmcnt(2)
	v_add_f64 v[2:3], v[2:3], v[6:7]
	ds_bpermute_b32 v6, v12, v2
	s_waitcnt lgkmcnt(1)
	v_add_f64 v[4:5], v[4:5], v[8:9]
	ds_bpermute_b32 v7, v12, v3
	ds_bpermute_b32 v8, v12, v4
	ds_bpermute_b32 v9, v12, v5
	;; [unrolled: 8-line block ×3, first 2 shown]
	s_waitcnt lgkmcnt(2)
	v_add_f64 v[6:7], v[2:3], v[6:7]
	s_waitcnt lgkmcnt(0)
	v_add_f64 v[8:9], v[4:5], v[8:9]
.LBB186_24:
	s_or_b64 exec, exec, s[0:1]
	v_cmp_eq_u32_e32 vcc, 0, v0
                                        ; implicit-def: $vgpr4_vgpr5
                                        ; implicit-def: $sgpr14_sgpr15
	s_and_saveexec_b64 s[0:1], vcc
	s_cbranch_execz .LBB186_28
; %bb.25:
	v_cmp_neq_f64_e64 s[4:5], s[20:21], 0
	v_cmp_neq_f64_e64 s[8:9], s[22:23], 0
	s_waitcnt lgkmcnt(0)
	v_mul_f64 v[0:1], s[26:27], v[8:9]
	v_mul_f64 v[4:5], s[24:25], v[8:9]
	s_mul_i32 s14, s2, s33
	s_or_b64 s[2:3], s[4:5], s[8:9]
	v_fma_f64 v[2:3], s[24:25], v[6:7], -v[0:1]
	v_fmac_f64_e32 v[4:5], s[26:27], v[6:7]
	s_andn2_b64 vcc, exec, s[2:3]
	s_ashr_i32 s15, s14, 31
	s_cbranch_vccnz .LBB186_27
; %bb.26:
	s_lshl_b64 s[2:3], s[14:15], 4
	s_add_u32 s2, s30, s2
	s_addc_u32 s3, s31, s3
	s_load_dwordx4 s[8:11], s[2:3], 0x0
	s_waitcnt lgkmcnt(0)
	v_mov_b64_e32 v[0:1], s[10:11]
	v_mov_b64_e32 v[6:7], s[8:9]
	v_mul_f64 v[8:9], s[22:23], v[0:1]
	v_mul_f64 v[0:1], s[20:21], v[0:1]
	v_fma_f64 v[8:9], s[20:21], v[6:7], -v[8:9]
	v_fmac_f64_e32 v[0:1], s[22:23], v[6:7]
	v_add_f64 v[2:3], v[2:3], v[8:9]
	v_add_f64 v[4:5], v[4:5], v[0:1]
.LBB186_27:
	s_or_b64 s[6:7], s[6:7], exec
.LBB186_28:
	s_or_b64 exec, exec, s[0:1]
.LBB186_29:
	s_and_saveexec_b64 s[0:1], s[6:7]
	s_cbranch_execz .LBB186_31
; %bb.30:
	s_lshl_b64 s[0:1], s[14:15], 4
	s_add_u32 s0, s30, s0
	s_addc_u32 s1, s31, s1
	v_mov_b32_e32 v0, 0
	global_store_dwordx4 v0, v[2:5], s[0:1]
.LBB186_31:
	s_endpgm
	.section	.rodata,"a",@progbits
	.p2align	6, 0x0
	.amdhsa_kernel _ZL32rocblas_gemvt_warp_reduce_kernelILb1ELi1024Ei19rocblas_complex_numIdEPKS1_S1_EviiT3_lPKT2_lT1_lS7_lS8_lS4_lPT4_lS8_li
		.amdhsa_group_segment_fixed_size 1024
		.amdhsa_private_segment_fixed_size 0
		.amdhsa_kernarg_size 140
		.amdhsa_user_sgpr_count 2
		.amdhsa_user_sgpr_dispatch_ptr 0
		.amdhsa_user_sgpr_queue_ptr 0
		.amdhsa_user_sgpr_kernarg_segment_ptr 1
		.amdhsa_user_sgpr_dispatch_id 0
		.amdhsa_user_sgpr_kernarg_preload_length 0
		.amdhsa_user_sgpr_kernarg_preload_offset 0
		.amdhsa_user_sgpr_private_segment_size 0
		.amdhsa_uses_dynamic_stack 0
		.amdhsa_enable_private_segment 0
		.amdhsa_system_sgpr_workgroup_id_x 1
		.amdhsa_system_sgpr_workgroup_id_y 0
		.amdhsa_system_sgpr_workgroup_id_z 1
		.amdhsa_system_sgpr_workgroup_info 0
		.amdhsa_system_vgpr_workitem_id 0
		.amdhsa_next_free_vgpr 22
		.amdhsa_next_free_sgpr 35
		.amdhsa_accum_offset 24
		.amdhsa_reserve_vcc 1
		.amdhsa_float_round_mode_32 0
		.amdhsa_float_round_mode_16_64 0
		.amdhsa_float_denorm_mode_32 3
		.amdhsa_float_denorm_mode_16_64 3
		.amdhsa_dx10_clamp 1
		.amdhsa_ieee_mode 1
		.amdhsa_fp16_overflow 0
		.amdhsa_tg_split 0
		.amdhsa_exception_fp_ieee_invalid_op 0
		.amdhsa_exception_fp_denorm_src 0
		.amdhsa_exception_fp_ieee_div_zero 0
		.amdhsa_exception_fp_ieee_overflow 0
		.amdhsa_exception_fp_ieee_underflow 0
		.amdhsa_exception_fp_ieee_inexact 0
		.amdhsa_exception_int_div_zero 0
	.end_amdhsa_kernel
	.section	.text._ZL32rocblas_gemvt_warp_reduce_kernelILb1ELi1024Ei19rocblas_complex_numIdEPKS1_S1_EviiT3_lPKT2_lT1_lS7_lS8_lS4_lPT4_lS8_li,"axG",@progbits,_ZL32rocblas_gemvt_warp_reduce_kernelILb1ELi1024Ei19rocblas_complex_numIdEPKS1_S1_EviiT3_lPKT2_lT1_lS7_lS8_lS4_lPT4_lS8_li,comdat
.Lfunc_end186:
	.size	_ZL32rocblas_gemvt_warp_reduce_kernelILb1ELi1024Ei19rocblas_complex_numIdEPKS1_S1_EviiT3_lPKT2_lT1_lS7_lS8_lS4_lPT4_lS8_li, .Lfunc_end186-_ZL32rocblas_gemvt_warp_reduce_kernelILb1ELi1024Ei19rocblas_complex_numIdEPKS1_S1_EviiT3_lPKT2_lT1_lS7_lS8_lS4_lPT4_lS8_li
                                        ; -- End function
	.section	.AMDGPU.csdata,"",@progbits
; Kernel info:
; codeLenInByte = 2048
; NumSgprs: 41
; NumVgprs: 22
; NumAgprs: 0
; TotalNumVgprs: 22
; ScratchSize: 0
; MemoryBound: 0
; FloatMode: 240
; IeeeMode: 1
; LDSByteSize: 1024 bytes/workgroup (compile time only)
; SGPRBlocks: 5
; VGPRBlocks: 2
; NumSGPRsForWavesPerEU: 41
; NumVGPRsForWavesPerEU: 22
; AccumOffset: 24
; Occupancy: 8
; WaveLimiterHint : 1
; COMPUTE_PGM_RSRC2:SCRATCH_EN: 0
; COMPUTE_PGM_RSRC2:USER_SGPR: 2
; COMPUTE_PGM_RSRC2:TRAP_HANDLER: 0
; COMPUTE_PGM_RSRC2:TGID_X_EN: 1
; COMPUTE_PGM_RSRC2:TGID_Y_EN: 0
; COMPUTE_PGM_RSRC2:TGID_Z_EN: 1
; COMPUTE_PGM_RSRC2:TIDIG_COMP_CNT: 0
; COMPUTE_PGM_RSRC3_GFX90A:ACCUM_OFFSET: 5
; COMPUTE_PGM_RSRC3_GFX90A:TG_SPLIT: 0
	.section	.text._ZL32rocblas_gemvt_warp_reduce_kernelILb1ELi1024El19rocblas_complex_numIdEPKS1_S1_EviiT3_lPKT2_lT1_lS7_lS8_lS4_lPT4_lS8_li,"axG",@progbits,_ZL32rocblas_gemvt_warp_reduce_kernelILb1ELi1024El19rocblas_complex_numIdEPKS1_S1_EviiT3_lPKT2_lT1_lS7_lS8_lS4_lPT4_lS8_li,comdat
	.globl	_ZL32rocblas_gemvt_warp_reduce_kernelILb1ELi1024El19rocblas_complex_numIdEPKS1_S1_EviiT3_lPKT2_lT1_lS7_lS8_lS4_lPT4_lS8_li ; -- Begin function _ZL32rocblas_gemvt_warp_reduce_kernelILb1ELi1024El19rocblas_complex_numIdEPKS1_S1_EviiT3_lPKT2_lT1_lS7_lS8_lS4_lPT4_lS8_li
	.p2align	8
	.type	_ZL32rocblas_gemvt_warp_reduce_kernelILb1ELi1024El19rocblas_complex_numIdEPKS1_S1_EviiT3_lPKT2_lT1_lS7_lS8_lS4_lPT4_lS8_li,@function
_ZL32rocblas_gemvt_warp_reduce_kernelILb1ELi1024El19rocblas_complex_numIdEPKS1_S1_EviiT3_lPKT2_lT1_lS7_lS8_lS4_lPT4_lS8_li: ; @_ZL32rocblas_gemvt_warp_reduce_kernelILb1ELi1024El19rocblas_complex_numIdEPKS1_S1_EviiT3_lPKT2_lT1_lS7_lS8_lS4_lPT4_lS8_li
; %bb.0:
	s_load_dwordx16 s[36:51], s[0:1], 0x8
	s_load_dwordx16 s[8:23], s[0:1], 0x48
	s_waitcnt lgkmcnt(0)
	s_mul_i32 s4, s3, s39
	s_mul_hi_u32 s5, s3, s38
	s_add_i32 s5, s5, s4
	s_mul_i32 s4, s3, s38
	s_lshl_b64 s[4:5], s[4:5], 4
	s_add_u32 s4, s36, s4
	s_addc_u32 s5, s37, s5
	s_load_dwordx4 s[24:27], s[4:5], 0x0
	s_mul_i32 s4, s3, s15
	s_mul_hi_u32 s5, s3, s14
	s_add_i32 s5, s5, s4
	s_mul_i32 s4, s3, s14
	s_lshl_b64 s[4:5], s[4:5], 4
	s_add_u32 s4, s12, s4
	s_addc_u32 s5, s13, s5
	s_load_dwordx4 s[12:15], s[4:5], 0x0
	s_waitcnt lgkmcnt(0)
	v_cmp_neq_f64_e64 s[4:5], s[24:25], 0
	v_cmp_neq_f64_e64 s[6:7], s[26:27], 0
	s_or_b64 s[4:5], s[4:5], s[6:7]
	s_mov_b64 s[6:7], -1
	s_and_b64 vcc, exec, s[4:5]
	s_cbranch_vccnz .LBB187_2
; %bb.1:
	v_cmp_neq_f64_e64 s[6:7], s[12:13], 1.0
	v_cmp_neq_f64_e64 s[28:29], s[14:15], 0
	s_or_b64 s[6:7], s[6:7], s[28:29]
.LBB187_2:
	s_andn2_b64 vcc, exec, s[6:7]
	s_cbranch_vccnz .LBB187_31
; %bb.3:
	s_mul_i32 s6, s3, s23
	s_mul_hi_u32 s7, s3, s22
	s_add_i32 s7, s7, s6
	s_mul_i32 s6, s3, s22
	s_lshl_b64 s[6:7], s[6:7], 4
	s_xor_b64 s[4:5], s[4:5], -1
	s_add_u32 s16, s16, s6
	s_addc_u32 s17, s17, s7
	s_lshl_b64 s[6:7], s[18:19], 4
	s_add_u32 s33, s16, s6
	s_addc_u32 s34, s17, s7
	s_andn2_b64 vcc, exec, s[4:5]
	v_cmp_eq_u32_e64 s[4:5], 0, v0
	s_cbranch_vccnz .LBB187_8
; %bb.4:
	s_mov_b64 s[18:19], 0
	s_mov_b64 s[6:7], 0
                                        ; implicit-def: $vgpr4_vgpr5
                                        ; implicit-def: $sgpr16_sgpr17
	s_and_saveexec_b64 s[22:23], s[4:5]
	s_cbranch_execz .LBB187_9
; %bb.5:
	v_cmp_neq_f64_e64 s[4:5], s[12:13], 0
	v_cmp_neq_f64_e64 s[6:7], s[14:15], 0
	s_ashr_i32 s16, s2, 31
	s_mul_i32 s17, s2, s21
	s_mul_hi_u32 s28, s2, s20
	v_mov_b64_e32 v[4:5], 0
	s_add_i32 s17, s28, s17
	s_mul_i32 s16, s16, s20
	s_or_b64 s[4:5], s[4:5], s[6:7]
	s_add_i32 s17, s17, s16
	s_mul_i32 s16, s2, s20
	s_andn2_b64 vcc, exec, s[4:5]
	v_mov_b64_e32 v[2:3], v[4:5]
	s_cbranch_vccnz .LBB187_7
; %bb.6:
	s_lshl_b64 s[4:5], s[16:17], 4
	s_add_u32 s4, s33, s4
	s_addc_u32 s5, s34, s5
	s_load_dwordx4 s[4:7], s[4:5], 0x0
	s_waitcnt lgkmcnt(0)
	v_mov_b64_e32 v[2:3], s[6:7]
	v_mov_b64_e32 v[6:7], s[4:5]
	v_mul_f64 v[8:9], s[14:15], v[2:3]
	v_mul_f64 v[4:5], s[12:13], v[2:3]
	v_fma_f64 v[2:3], s[12:13], v[6:7], -v[8:9]
	v_fmac_f64_e32 v[4:5], s[14:15], v[6:7]
.LBB187_7:
	s_mov_b64 s[6:7], exec
	s_or_b64 exec, exec, s[22:23]
	s_and_b64 vcc, exec, s[18:19]
	s_cbranch_vccnz .LBB187_10
	s_branch .LBB187_29
.LBB187_8:
	s_mov_b64 s[6:7], 0
                                        ; implicit-def: $vgpr4_vgpr5
                                        ; implicit-def: $sgpr16_sgpr17
	s_cbranch_execnz .LBB187_10
	s_branch .LBB187_29
.LBB187_9:
	s_or_b64 exec, exec, s[22:23]
	s_and_b64 vcc, exec, s[18:19]
	s_cbranch_vccz .LBB187_29
.LBB187_10:
	s_mul_i32 s4, s3, s11
	s_load_dword s11, s[0:1], 0x0
	s_mul_hi_u32 s5, s3, s10
	s_mul_i32 s0, s3, s47
	s_mul_hi_u32 s1, s3, s46
	s_add_i32 s5, s5, s4
	s_mul_i32 s4, s3, s10
	s_add_i32 s1, s1, s0
	s_mul_i32 s0, s3, s46
	s_ashr_i32 s3, s2, 31
	s_mul_i32 s10, s2, s45
	s_mul_hi_u32 s16, s2, s44
	s_add_i32 s10, s16, s10
	s_mul_i32 s16, s3, s44
	s_add_i32 s17, s10, s16
	s_waitcnt lgkmcnt(0)
	s_ashr_i32 s10, s11, 31
	s_lshr_b32 s10, s10, 22
	v_cmp_gt_i32_e32 vcc, s11, v0
	s_add_i32 s10, s11, s10
	s_and_b32 s10, s10, 0xfffffc00
	v_cndmask_b32_e32 v1, 0, v0, vcc
	v_mov_b64_e32 v[2:3], 0
	v_mov_b32_e32 v7, 0
	s_mul_i32 s16, s2, s44
	v_cmp_gt_i32_e32 vcc, s10, v0
	v_lshlrev_b32_e32 v6, 4, v1
	v_mov_b64_e32 v[4:5], v[2:3]
	s_and_saveexec_b64 s[18:19], vcc
	s_cbranch_execz .LBB187_14
; %bb.11:
	v_mad_u64_u32 v[2:3], s[28:29], s8, v0, 0
	v_mov_b32_e32 v4, v3
	v_mad_u64_u32 v[4:5], s[28:29], s9, v0, v[4:5]
	s_lshl_b64 s[22:23], s[4:5], 4
	s_lshl_b64 s[28:29], s[50:51], 4
	s_add_u32 s28, s48, s28
	s_addc_u32 s29, s49, s29
	s_add_u32 s22, s28, s22
	v_mov_b32_e32 v3, v4
	s_addc_u32 s23, s29, s23
	v_lshl_add_u64 v[2:3], v[2:3], 4, s[22:23]
	s_lshl_b64 s[22:23], s[8:9], 14
	s_lshl_b64 s[28:29], s[16:17], 4
	;; [unrolled: 1-line block ×3, first 2 shown]
	s_add_u32 s30, s28, s30
	s_addc_u32 s31, s29, s31
	s_lshl_b64 s[28:29], s[42:43], 4
	s_add_u32 s28, s30, s28
	s_addc_u32 s29, s31, s29
	s_add_u32 s28, s40, s28
	s_addc_u32 s29, s41, s29
	v_lshl_add_u64 v[8:9], v[2:3], 0, 8
	v_lshl_add_u64 v[2:3], s[28:29], 0, v[6:7]
	;; [unrolled: 1-line block ×3, first 2 shown]
	v_mov_b64_e32 v[2:3], 0
	s_mov_b64 s[28:29], 0
	s_mov_b64 s[30:31], 0x4000
	v_mov_b32_e32 v1, v0
	v_mov_b64_e32 v[4:5], v[2:3]
.LBB187_12:                             ; =>This Inner Loop Header: Depth=1
	global_load_dwordx4 v[12:15], v[10:11], off offset:-8
	global_load_dwordx4 v[16:19], v[8:9], off offset:-8
	v_add_u32_e32 v1, 0x400, v1
	v_cmp_le_i32_e32 vcc, s10, v1
	v_lshl_add_u64 v[8:9], v[8:9], 0, s[22:23]
	v_lshl_add_u64 v[10:11], v[10:11], 0, s[30:31]
	s_or_b64 s[28:29], vcc, s[28:29]
	s_waitcnt vmcnt(0)
	v_mul_f64 v[20:21], v[14:15], v[18:19]
	v_mul_f64 v[14:15], v[14:15], v[16:17]
	v_fmac_f64_e32 v[20:21], v[12:13], v[16:17]
	v_fma_f64 v[12:13], v[12:13], v[18:19], -v[14:15]
	v_add_f64 v[4:5], v[4:5], v[20:21]
	v_add_f64 v[2:3], v[2:3], v[12:13]
	s_andn2_b64 exec, exec, s[28:29]
	s_cbranch_execnz .LBB187_12
; %bb.13:
	s_or_b64 exec, exec, s[28:29]
.LBB187_14:
	s_or_b64 exec, exec, s[18:19]
	v_or_b32_e32 v1, s10, v0
	v_cmp_gt_i32_e32 vcc, s11, v1
	s_and_saveexec_b64 s[18:19], vcc
	s_cbranch_execz .LBB187_16
; %bb.15:
	s_lshl_b64 s[0:1], s[0:1], 4
	s_add_u32 s11, s40, s0
	s_addc_u32 s22, s41, s1
	s_lshl_b64 s[0:1], s[42:43], 4
	s_add_u32 s23, s11, s0
	s_addc_u32 s22, s22, s1
	s_lshl_b64 s[0:1], s[16:17], 4
	s_lshl_b64 s[4:5], s[4:5], 4
	s_add_u32 s11, s48, s4
	s_addc_u32 s16, s49, s5
	s_lshl_b64 s[4:5], s[50:51], 4
	s_add_u32 s4, s11, s4
	s_addc_u32 s5, s16, s5
	s_ashr_i32 s11, s10, 31
	s_lshl_b64 s[10:11], s[10:11], 4
	v_ashrrev_i32_e32 v7, 31, v1
	s_add_u32 s0, s10, s0
	v_mul_lo_u32 v10, v1, s9
	v_mul_lo_u32 v7, v7, s8
	v_mad_u64_u32 v[8:9], s[8:9], v1, s8, 0
	s_addc_u32 s1, s11, s1
	v_add3_u32 v9, v9, v10, v7
	s_add_u32 s0, s0, s23
	v_lshl_add_u64 v[16:17], v[8:9], 4, s[4:5]
	s_addc_u32 s1, s1, s22
	global_load_dwordx4 v[8:11], v[16:17], off
	global_load_dwordx4 v[12:15], v6, s[0:1]
	s_waitcnt vmcnt(0)
	v_mul_f64 v[6:7], v[14:15], v[10:11]
	v_mul_f64 v[14:15], v[14:15], v[8:9]
	v_fmac_f64_e32 v[6:7], v[12:13], v[8:9]
	v_fma_f64 v[8:9], v[12:13], v[10:11], -v[14:15]
	v_add_f64 v[4:5], v[4:5], v[6:7]
	v_add_f64 v[2:3], v[2:3], v[8:9]
.LBB187_16:
	s_or_b64 exec, exec, s[18:19]
	v_and_b32_e32 v13, 63, v0
	v_cmp_gt_u32_e32 vcc, 64, v0
	v_lshlrev_b32_e32 v1, 4, v13
	s_and_saveexec_b64 s[0:1], vcc
	s_cbranch_execz .LBB187_18
; %bb.17:
	v_mov_b32_e32 v6, 0
	v_mov_b32_e32 v7, v6
	;; [unrolled: 1-line block ×4, first 2 shown]
	ds_write_b128 v1, v[6:9]
.LBB187_18:
	s_or_b64 exec, exec, s[0:1]
	v_mbcnt_lo_u32_b32 v6, -1, 0
	v_mbcnt_hi_u32_b32 v14, -1, v6
	v_and_b32_e32 v15, 63, v14
	v_cmp_gt_u32_e64 s[0:1], 32, v15
	s_waitcnt lgkmcnt(0)
	s_barrier
	v_cndmask_b32_e64 v6, 0, 1, s[0:1]
	v_lshlrev_b32_e32 v6, 5, v6
	v_add_lshl_u32 v9, v6, v14, 2
	ds_bpermute_b32 v6, v9, v4
	ds_bpermute_b32 v7, v9, v5
	;; [unrolled: 1-line block ×4, first 2 shown]
	v_cmp_gt_u32_e64 s[0:1], 48, v15
	s_waitcnt lgkmcnt(0)
	v_add_f64 v[4:5], v[4:5], v[6:7]
	v_cndmask_b32_e64 v6, 0, 1, s[0:1]
	v_lshlrev_b32_e32 v6, 4, v6
	v_add_f64 v[2:3], v[2:3], v[8:9]
	v_add_lshl_u32 v9, v6, v14, 2
	ds_bpermute_b32 v6, v9, v4
	ds_bpermute_b32 v7, v9, v5
	;; [unrolled: 1-line block ×4, first 2 shown]
	v_cmp_gt_u32_e64 s[0:1], 56, v15
	s_waitcnt lgkmcnt(2)
	v_add_f64 v[4:5], v[4:5], v[6:7]
	v_cndmask_b32_e64 v6, 0, 1, s[0:1]
	v_lshlrev_b32_e32 v6, 3, v6
	v_add_lshl_u32 v10, v6, v14, 2
	ds_bpermute_b32 v6, v10, v4
	ds_bpermute_b32 v7, v10, v5
	s_waitcnt lgkmcnt(2)
	v_add_f64 v[2:3], v[2:3], v[8:9]
	ds_bpermute_b32 v8, v10, v2
	ds_bpermute_b32 v9, v10, v3
	v_cmp_gt_u32_e64 s[0:1], 60, v15
	s_waitcnt lgkmcnt(2)
	v_add_f64 v[4:5], v[4:5], v[6:7]
	s_waitcnt lgkmcnt(0)
	v_add_f64 v[2:3], v[2:3], v[8:9]
	v_cndmask_b32_e64 v6, 0, 1, s[0:1]
	v_lshlrev_b32_e32 v6, 2, v6
	v_add_lshl_u32 v11, v6, v14, 2
	ds_bpermute_b32 v6, v11, v4
	ds_bpermute_b32 v7, v11, v5
	;; [unrolled: 1-line block ×4, first 2 shown]
	v_cmp_gt_u32_e64 s[0:1], 62, v15
	s_waitcnt lgkmcnt(2)
	v_add_f64 v[4:5], v[4:5], v[6:7]
	s_waitcnt lgkmcnt(0)
	v_add_f64 v[6:7], v[2:3], v[8:9]
	v_cndmask_b32_e64 v2, 0, 1, s[0:1]
	v_lshlrev_b32_e32 v2, 1, v2
	v_add_lshl_u32 v12, v2, v14, 2
	ds_bpermute_b32 v2, v12, v4
	ds_bpermute_b32 v3, v12, v5
	;; [unrolled: 1-line block ×4, first 2 shown]
	v_cmp_ne_u32_e64 s[0:1], 63, v15
	s_waitcnt lgkmcnt(2)
	v_add_f64 v[2:3], v[4:5], v[2:3]
	v_addc_co_u32_e64 v4, s[0:1], 0, v14, s[0:1]
	s_waitcnt lgkmcnt(0)
	v_add_f64 v[6:7], v[6:7], v[8:9]
	v_lshlrev_b32_e32 v14, 2, v4
	ds_bpermute_b32 v4, v14, v2
	ds_bpermute_b32 v5, v14, v3
	;; [unrolled: 1-line block ×4, first 2 shown]
	v_cmp_eq_u32_e64 s[0:1], 0, v13
	s_and_saveexec_b64 s[4:5], s[0:1]
	s_cbranch_execz .LBB187_20
; %bb.19:
	v_lshrrev_b32_e32 v13, 2, v0
	v_and_b32_e32 v13, 0xf0, v13
	s_waitcnt lgkmcnt(0)
	v_add_f64 v[6:7], v[6:7], v[8:9]
	v_add_f64 v[4:5], v[2:3], v[4:5]
	ds_write_b128 v13, v[4:7]
.LBB187_20:
	s_or_b64 exec, exec, s[4:5]
	s_waitcnt lgkmcnt(0)
	v_mov_b64_e32 v[8:9], 0
	v_cmp_gt_u32_e64 s[0:1], 16, v0
	v_mov_b64_e32 v[6:7], v[8:9]
	s_barrier
	s_and_saveexec_b64 s[4:5], s[0:1]
	s_cbranch_execz .LBB187_22
; %bb.21:
	ds_read_b128 v[6:9], v1
	s_or_b64 exec, exec, s[4:5]
	s_and_saveexec_b64 s[0:1], vcc
	s_cbranch_execz .LBB187_24
	s_branch .LBB187_23
.LBB187_22:
	s_or_b64 exec, exec, s[4:5]
	s_and_saveexec_b64 s[0:1], vcc
	s_cbranch_execz .LBB187_24
.LBB187_23:
	s_waitcnt lgkmcnt(0)
	ds_bpermute_b32 v2, v10, v6
	ds_bpermute_b32 v3, v10, v7
	;; [unrolled: 1-line block ×4, first 2 shown]
	s_waitcnt lgkmcnt(2)
	v_add_f64 v[2:3], v[6:7], v[2:3]
	ds_bpermute_b32 v6, v11, v2
	s_waitcnt lgkmcnt(1)
	v_add_f64 v[4:5], v[8:9], v[4:5]
	ds_bpermute_b32 v7, v11, v3
	ds_bpermute_b32 v8, v11, v4
	ds_bpermute_b32 v9, v11, v5
	s_waitcnt lgkmcnt(2)
	v_add_f64 v[2:3], v[2:3], v[6:7]
	ds_bpermute_b32 v6, v12, v2
	s_waitcnt lgkmcnt(1)
	v_add_f64 v[4:5], v[4:5], v[8:9]
	ds_bpermute_b32 v7, v12, v3
	ds_bpermute_b32 v8, v12, v4
	ds_bpermute_b32 v9, v12, v5
	;; [unrolled: 8-line block ×3, first 2 shown]
	s_waitcnt lgkmcnt(2)
	v_add_f64 v[6:7], v[2:3], v[6:7]
	s_waitcnt lgkmcnt(0)
	v_add_f64 v[8:9], v[4:5], v[8:9]
.LBB187_24:
	s_or_b64 exec, exec, s[0:1]
	v_cmp_eq_u32_e32 vcc, 0, v0
                                        ; implicit-def: $vgpr4_vgpr5
                                        ; implicit-def: $sgpr16_sgpr17
	s_and_saveexec_b64 s[0:1], vcc
	s_cbranch_execz .LBB187_28
; %bb.25:
	v_cmp_neq_f64_e64 s[4:5], s[12:13], 0
	v_cmp_neq_f64_e64 s[8:9], s[14:15], 0
	s_mul_i32 s10, s2, s21
	s_mul_hi_u32 s11, s2, s20
	s_waitcnt lgkmcnt(0)
	v_mul_f64 v[0:1], s[26:27], v[8:9]
	v_mul_f64 v[4:5], s[24:25], v[8:9]
	s_add_i32 s10, s11, s10
	s_mul_i32 s3, s3, s20
	s_or_b64 s[4:5], s[4:5], s[8:9]
	v_fma_f64 v[2:3], s[24:25], v[6:7], -v[0:1]
	v_fmac_f64_e32 v[4:5], s[26:27], v[6:7]
	s_add_i32 s17, s10, s3
	s_andn2_b64 vcc, exec, s[4:5]
	s_mul_i32 s16, s2, s20
	s_cbranch_vccnz .LBB187_27
; %bb.26:
	s_lshl_b64 s[2:3], s[16:17], 4
	s_add_u32 s2, s33, s2
	s_addc_u32 s3, s34, s3
	s_load_dwordx4 s[8:11], s[2:3], 0x0
	s_waitcnt lgkmcnt(0)
	v_mov_b64_e32 v[0:1], s[10:11]
	v_mov_b64_e32 v[6:7], s[8:9]
	v_mul_f64 v[8:9], s[14:15], v[0:1]
	v_mul_f64 v[0:1], s[12:13], v[0:1]
	v_fma_f64 v[8:9], s[12:13], v[6:7], -v[8:9]
	v_fmac_f64_e32 v[0:1], s[14:15], v[6:7]
	v_add_f64 v[2:3], v[2:3], v[8:9]
	v_add_f64 v[4:5], v[4:5], v[0:1]
.LBB187_27:
	s_or_b64 s[6:7], s[6:7], exec
.LBB187_28:
	s_or_b64 exec, exec, s[0:1]
.LBB187_29:
	s_and_saveexec_b64 s[0:1], s[6:7]
	s_cbranch_execz .LBB187_31
; %bb.30:
	s_lshl_b64 s[0:1], s[16:17], 4
	s_add_u32 s0, s33, s0
	s_addc_u32 s1, s34, s1
	v_mov_b32_e32 v0, 0
	global_store_dwordx4 v0, v[2:5], s[0:1]
.LBB187_31:
	s_endpgm
	.section	.rodata,"a",@progbits
	.p2align	6, 0x0
	.amdhsa_kernel _ZL32rocblas_gemvt_warp_reduce_kernelILb1ELi1024El19rocblas_complex_numIdEPKS1_S1_EviiT3_lPKT2_lT1_lS7_lS8_lS4_lPT4_lS8_li
		.amdhsa_group_segment_fixed_size 1024
		.amdhsa_private_segment_fixed_size 0
		.amdhsa_kernarg_size 140
		.amdhsa_user_sgpr_count 2
		.amdhsa_user_sgpr_dispatch_ptr 0
		.amdhsa_user_sgpr_queue_ptr 0
		.amdhsa_user_sgpr_kernarg_segment_ptr 1
		.amdhsa_user_sgpr_dispatch_id 0
		.amdhsa_user_sgpr_kernarg_preload_length 0
		.amdhsa_user_sgpr_kernarg_preload_offset 0
		.amdhsa_user_sgpr_private_segment_size 0
		.amdhsa_uses_dynamic_stack 0
		.amdhsa_enable_private_segment 0
		.amdhsa_system_sgpr_workgroup_id_x 1
		.amdhsa_system_sgpr_workgroup_id_y 0
		.amdhsa_system_sgpr_workgroup_id_z 1
		.amdhsa_system_sgpr_workgroup_info 0
		.amdhsa_system_vgpr_workitem_id 0
		.amdhsa_next_free_vgpr 22
		.amdhsa_next_free_sgpr 52
		.amdhsa_accum_offset 24
		.amdhsa_reserve_vcc 1
		.amdhsa_float_round_mode_32 0
		.amdhsa_float_round_mode_16_64 0
		.amdhsa_float_denorm_mode_32 3
		.amdhsa_float_denorm_mode_16_64 3
		.amdhsa_dx10_clamp 1
		.amdhsa_ieee_mode 1
		.amdhsa_fp16_overflow 0
		.amdhsa_tg_split 0
		.amdhsa_exception_fp_ieee_invalid_op 0
		.amdhsa_exception_fp_denorm_src 0
		.amdhsa_exception_fp_ieee_div_zero 0
		.amdhsa_exception_fp_ieee_overflow 0
		.amdhsa_exception_fp_ieee_underflow 0
		.amdhsa_exception_fp_ieee_inexact 0
		.amdhsa_exception_int_div_zero 0
	.end_amdhsa_kernel
	.section	.text._ZL32rocblas_gemvt_warp_reduce_kernelILb1ELi1024El19rocblas_complex_numIdEPKS1_S1_EviiT3_lPKT2_lT1_lS7_lS8_lS4_lPT4_lS8_li,"axG",@progbits,_ZL32rocblas_gemvt_warp_reduce_kernelILb1ELi1024El19rocblas_complex_numIdEPKS1_S1_EviiT3_lPKT2_lT1_lS7_lS8_lS4_lPT4_lS8_li,comdat
.Lfunc_end187:
	.size	_ZL32rocblas_gemvt_warp_reduce_kernelILb1ELi1024El19rocblas_complex_numIdEPKS1_S1_EviiT3_lPKT2_lT1_lS7_lS8_lS4_lPT4_lS8_li, .Lfunc_end187-_ZL32rocblas_gemvt_warp_reduce_kernelILb1ELi1024El19rocblas_complex_numIdEPKS1_S1_EviiT3_lPKT2_lT1_lS7_lS8_lS4_lPT4_lS8_li
                                        ; -- End function
	.section	.AMDGPU.csdata,"",@progbits
; Kernel info:
; codeLenInByte = 2108
; NumSgprs: 58
; NumVgprs: 22
; NumAgprs: 0
; TotalNumVgprs: 22
; ScratchSize: 0
; MemoryBound: 0
; FloatMode: 240
; IeeeMode: 1
; LDSByteSize: 1024 bytes/workgroup (compile time only)
; SGPRBlocks: 7
; VGPRBlocks: 2
; NumSGPRsForWavesPerEU: 58
; NumVGPRsForWavesPerEU: 22
; AccumOffset: 24
; Occupancy: 8
; WaveLimiterHint : 0
; COMPUTE_PGM_RSRC2:SCRATCH_EN: 0
; COMPUTE_PGM_RSRC2:USER_SGPR: 2
; COMPUTE_PGM_RSRC2:TRAP_HANDLER: 0
; COMPUTE_PGM_RSRC2:TGID_X_EN: 1
; COMPUTE_PGM_RSRC2:TGID_Y_EN: 0
; COMPUTE_PGM_RSRC2:TGID_Z_EN: 1
; COMPUTE_PGM_RSRC2:TIDIG_COMP_CNT: 0
; COMPUTE_PGM_RSRC3_GFX90A:ACCUM_OFFSET: 5
; COMPUTE_PGM_RSRC3_GFX90A:TG_SPLIT: 0
	.section	.text._ZL32rocblas_gemvt_warp_reduce_kernelILb1ELi1024Ei19rocblas_complex_numIdES1_S1_EviiT3_lPKT2_lT1_lS5_lS6_lS2_lPT4_lS6_li,"axG",@progbits,_ZL32rocblas_gemvt_warp_reduce_kernelILb1ELi1024Ei19rocblas_complex_numIdES1_S1_EviiT3_lPKT2_lT1_lS5_lS6_lS2_lPT4_lS6_li,comdat
	.globl	_ZL32rocblas_gemvt_warp_reduce_kernelILb1ELi1024Ei19rocblas_complex_numIdES1_S1_EviiT3_lPKT2_lT1_lS5_lS6_lS2_lPT4_lS6_li ; -- Begin function _ZL32rocblas_gemvt_warp_reduce_kernelILb1ELi1024Ei19rocblas_complex_numIdES1_S1_EviiT3_lPKT2_lT1_lS5_lS6_lS2_lPT4_lS6_li
	.p2align	8
	.type	_ZL32rocblas_gemvt_warp_reduce_kernelILb1ELi1024Ei19rocblas_complex_numIdES1_S1_EviiT3_lPKT2_lT1_lS5_lS6_lS2_lPT4_lS6_li,@function
_ZL32rocblas_gemvt_warp_reduce_kernelILb1ELi1024Ei19rocblas_complex_numIdES1_S1_EviiT3_lPKT2_lT1_lS5_lS6_lS2_lPT4_lS6_li: ; @_ZL32rocblas_gemvt_warp_reduce_kernelILb1ELi1024Ei19rocblas_complex_numIdES1_S1_EviiT3_lPKT2_lT1_lS5_lS6_lS2_lPT4_lS6_li
; %bb.0:
	s_load_dwordx4 s[12:15], s[0:1], 0x8
	s_load_dwordx4 s[8:11], s[0:1], 0x58
	s_load_dwordx2 s[16:17], s[0:1], 0x68
	s_waitcnt lgkmcnt(0)
	v_cmp_neq_f64_e64 s[4:5], s[12:13], 0
	v_cmp_neq_f64_e64 s[6:7], s[14:15], 0
	s_or_b64 s[4:5], s[4:5], s[6:7]
	s_mov_b64 s[6:7], -1
	s_and_b64 vcc, exec, s[4:5]
	s_cbranch_vccnz .LBB188_2
; %bb.1:
	v_cmp_neq_f64_e64 s[6:7], s[10:11], 1.0
	v_cmp_neq_f64_e64 s[18:19], s[16:17], 0
	s_or_b64 s[6:7], s[6:7], s[18:19]
.LBB188_2:
	s_andn2_b64 vcc, exec, s[6:7]
	s_cbranch_vccnz .LBB188_31
; %bb.3:
	s_load_dwordx2 s[6:7], s[0:1], 0x90
	s_load_dwordx4 s[20:23], s[0:1], 0x78
	s_load_dword s33, s[0:1], 0x88
	s_xor_b64 s[4:5], s[4:5], -1
	s_waitcnt lgkmcnt(0)
	s_mul_i32 s7, s3, s7
	s_mul_hi_u32 s18, s3, s6
	s_mul_i32 s6, s3, s6
	s_add_i32 s7, s18, s7
	s_lshl_b64 s[6:7], s[6:7], 4
	s_add_u32 s18, s20, s6
	s_addc_u32 s19, s21, s7
	s_lshl_b64 s[6:7], s[22:23], 4
	s_add_u32 s30, s18, s6
	s_addc_u32 s31, s19, s7
	s_andn2_b64 vcc, exec, s[4:5]
	v_cmp_eq_u32_e64 s[4:5], 0, v0
	s_cbranch_vccnz .LBB188_8
; %bb.4:
	s_mov_b64 s[20:21], 0
	s_mov_b64 s[18:19], 0
                                        ; implicit-def: $vgpr4_vgpr5
                                        ; implicit-def: $sgpr6_sgpr7
	s_and_saveexec_b64 s[22:23], s[4:5]
	s_cbranch_execz .LBB188_9
; %bb.5:
	v_cmp_neq_f64_e64 s[4:5], s[10:11], 0
	v_cmp_neq_f64_e64 s[18:19], s[16:17], 0
	v_mov_b64_e32 v[4:5], 0
	s_mul_i32 s6, s2, s33
	s_or_b64 s[4:5], s[4:5], s[18:19]
	s_ashr_i32 s7, s6, 31
	s_andn2_b64 vcc, exec, s[4:5]
	v_mov_b64_e32 v[2:3], v[4:5]
	s_cbranch_vccnz .LBB188_7
; %bb.6:
	s_lshl_b64 s[4:5], s[6:7], 4
	s_add_u32 s4, s30, s4
	s_addc_u32 s5, s31, s5
	s_load_dwordx4 s[24:27], s[4:5], 0x0
	s_waitcnt lgkmcnt(0)
	v_mov_b64_e32 v[2:3], s[26:27]
	v_mov_b64_e32 v[6:7], s[24:25]
	v_mul_f64 v[8:9], s[16:17], v[2:3]
	v_mul_f64 v[4:5], s[10:11], v[2:3]
	v_fma_f64 v[2:3], s[10:11], v[6:7], -v[8:9]
	v_fmac_f64_e32 v[4:5], s[16:17], v[6:7]
.LBB188_7:
	s_mov_b64 s[18:19], exec
	s_or_b64 exec, exec, s[22:23]
	s_and_b64 vcc, exec, s[20:21]
	s_cbranch_vccnz .LBB188_10
	s_branch .LBB188_29
.LBB188_8:
	s_mov_b64 s[18:19], 0
                                        ; implicit-def: $vgpr4_vgpr5
                                        ; implicit-def: $sgpr6_sgpr7
	s_cbranch_execnz .LBB188_10
	s_branch .LBB188_29
.LBB188_9:
	s_or_b64 exec, exec, s[22:23]
	s_and_b64 vcc, exec, s[20:21]
	s_cbranch_vccz .LBB188_29
.LBB188_10:
	s_load_dword s23, s[0:1], 0x0
	s_load_dwordx4 s[4:7], s[0:1], 0x20
	s_load_dword s22, s[0:1], 0x30
	s_load_dwordx4 s[24:27], s[0:1], 0x38
	s_load_dwordx2 s[20:21], s[0:1], 0x48
	s_mul_i32 s9, s3, s9
	s_mul_hi_u32 s28, s3, s8
	s_add_i32 s9, s28, s9
	s_mul_i32 s8, s3, s8
	s_lshl_b64 s[8:9], s[8:9], 4
	s_waitcnt lgkmcnt(0)
	s_add_u32 s26, s26, s8
	s_addc_u32 s27, s27, s9
	s_lshl_b64 s[8:9], s[20:21], 4
	s_add_u32 s8, s26, s8
	s_load_dword s34, s[0:1], 0x50
	s_mul_i32 s0, s3, s25
	s_mul_hi_u32 s1, s3, s24
	s_addc_u32 s9, s27, s9
	s_add_i32 s1, s1, s0
	s_mul_i32 s0, s3, s24
	s_ashr_i32 s3, s23, 31
	s_lshr_b32 s3, s3, 22
	v_cmp_gt_i32_e32 vcc, s23, v0
	s_add_i32 s3, s23, s3
	s_mul_i32 s20, s2, s22
	v_cndmask_b32_e32 v1, 0, v0, vcc
	s_and_b32 s22, s3, 0xfffffc00
	v_mov_b64_e32 v[2:3], 0
	v_mov_b32_e32 v7, 0
	s_ashr_i32 s21, s20, 31
	v_cmp_gt_i32_e32 vcc, s22, v0
	v_lshlrev_b32_e32 v6, 4, v1
	v_mov_b64_e32 v[4:5], v[2:3]
	s_and_saveexec_b64 s[24:25], vcc
	s_cbranch_execz .LBB188_14
; %bb.11:
	s_waitcnt lgkmcnt(0)
	s_lshl_b32 s3, s34, 10
	s_lshl_b64 s[26:27], s[0:1], 4
	s_lshl_b64 s[28:29], s[6:7], 4
	s_add_u32 s28, s26, s28
	s_addc_u32 s29, s27, s29
	s_lshl_b64 s[26:27], s[20:21], 4
	s_add_u32 s26, s28, s26
	s_addc_u32 s27, s29, s27
	s_add_u32 s26, s4, s26
	s_addc_u32 s27, s5, s27
	v_lshl_add_u64 v[2:3], s[26:27], 0, v[6:7]
	v_lshl_add_u64 v[10:11], v[2:3], 0, 8
	v_mov_b64_e32 v[2:3], 0
	v_mul_lo_u32 v8, v0, s34
	s_mov_b64 s[26:27], 0
	s_mov_b64 s[28:29], 0x4000
	v_mov_b32_e32 v1, v0
	v_mov_b64_e32 v[4:5], v[2:3]
.LBB188_12:                             ; =>This Inner Loop Header: Depth=1
	v_ashrrev_i32_e32 v9, 31, v8
	v_lshl_add_u64 v[16:17], v[8:9], 4, s[8:9]
	global_load_dwordx4 v[12:15], v[10:11], off offset:-8
	v_add_u32_e32 v1, 0x400, v1
	global_load_dwordx4 v[16:19], v[16:17], off
	v_cmp_le_i32_e32 vcc, s22, v1
	v_lshl_add_u64 v[10:11], v[10:11], 0, s[28:29]
	v_add_u32_e32 v8, s3, v8
	s_or_b64 s[26:27], vcc, s[26:27]
	s_waitcnt vmcnt(0)
	v_mul_f64 v[20:21], v[14:15], v[18:19]
	v_mul_f64 v[14:15], v[14:15], v[16:17]
	v_fmac_f64_e32 v[20:21], v[12:13], v[16:17]
	v_fma_f64 v[12:13], v[12:13], v[18:19], -v[14:15]
	v_add_f64 v[4:5], v[4:5], v[20:21]
	v_add_f64 v[2:3], v[2:3], v[12:13]
	s_andn2_b64 exec, exec, s[26:27]
	s_cbranch_execnz .LBB188_12
; %bb.13:
	s_or_b64 exec, exec, s[26:27]
.LBB188_14:
	s_or_b64 exec, exec, s[24:25]
	v_or_b32_e32 v1, s22, v0
	v_cmp_gt_i32_e32 vcc, s23, v1
	s_and_saveexec_b64 s[24:25], vcc
	s_cbranch_execz .LBB188_16
; %bb.15:
	s_lshl_b64 s[0:1], s[0:1], 4
	s_add_u32 s3, s4, s0
	s_addc_u32 s4, s5, s1
	s_lshl_b64 s[0:1], s[6:7], 4
	s_add_u32 s3, s3, s0
	s_addc_u32 s6, s4, s1
	s_ashr_i32 s23, s22, 31
	s_lshl_b64 s[0:1], s[20:21], 4
	s_lshl_b64 s[4:5], s[22:23], 4
	s_add_u32 s0, s4, s0
	s_waitcnt lgkmcnt(0)
	v_mul_lo_u32 v8, v1, s34
	s_addc_u32 s1, s5, s1
	v_ashrrev_i32_e32 v9, 31, v8
	s_add_u32 s0, s0, s3
	v_lshl_add_u64 v[16:17], v[8:9], 4, s[8:9]
	s_addc_u32 s1, s1, s6
	global_load_dwordx4 v[8:11], v[16:17], off
	global_load_dwordx4 v[12:15], v6, s[0:1]
	s_waitcnt vmcnt(0)
	v_mul_f64 v[6:7], v[14:15], v[10:11]
	v_mul_f64 v[14:15], v[14:15], v[8:9]
	v_fmac_f64_e32 v[6:7], v[12:13], v[8:9]
	v_fma_f64 v[8:9], v[12:13], v[10:11], -v[14:15]
	v_add_f64 v[4:5], v[4:5], v[6:7]
	v_add_f64 v[2:3], v[2:3], v[8:9]
.LBB188_16:
	s_or_b64 exec, exec, s[24:25]
	v_and_b32_e32 v13, 63, v0
	v_cmp_gt_u32_e32 vcc, 64, v0
	v_lshlrev_b32_e32 v1, 4, v13
	s_and_saveexec_b64 s[0:1], vcc
	s_cbranch_execz .LBB188_18
; %bb.17:
	v_mov_b32_e32 v6, 0
	v_mov_b32_e32 v7, v6
	;; [unrolled: 1-line block ×4, first 2 shown]
	ds_write_b128 v1, v[6:9]
.LBB188_18:
	s_or_b64 exec, exec, s[0:1]
	v_mbcnt_lo_u32_b32 v6, -1, 0
	v_mbcnt_hi_u32_b32 v14, -1, v6
	v_and_b32_e32 v15, 63, v14
	v_cmp_gt_u32_e64 s[0:1], 32, v15
	s_waitcnt lgkmcnt(0)
	s_barrier
	v_cndmask_b32_e64 v6, 0, 1, s[0:1]
	v_lshlrev_b32_e32 v6, 5, v6
	v_add_lshl_u32 v9, v6, v14, 2
	ds_bpermute_b32 v6, v9, v4
	ds_bpermute_b32 v7, v9, v5
	;; [unrolled: 1-line block ×4, first 2 shown]
	v_cmp_gt_u32_e64 s[0:1], 48, v15
	s_waitcnt lgkmcnt(0)
	v_add_f64 v[4:5], v[4:5], v[6:7]
	v_cndmask_b32_e64 v6, 0, 1, s[0:1]
	v_lshlrev_b32_e32 v6, 4, v6
	v_add_f64 v[2:3], v[2:3], v[8:9]
	v_add_lshl_u32 v9, v6, v14, 2
	ds_bpermute_b32 v6, v9, v4
	ds_bpermute_b32 v7, v9, v5
	;; [unrolled: 1-line block ×4, first 2 shown]
	v_cmp_gt_u32_e64 s[0:1], 56, v15
	s_waitcnt lgkmcnt(2)
	v_add_f64 v[4:5], v[4:5], v[6:7]
	v_cndmask_b32_e64 v6, 0, 1, s[0:1]
	v_lshlrev_b32_e32 v6, 3, v6
	v_add_lshl_u32 v10, v6, v14, 2
	ds_bpermute_b32 v6, v10, v4
	ds_bpermute_b32 v7, v10, v5
	s_waitcnt lgkmcnt(2)
	v_add_f64 v[2:3], v[2:3], v[8:9]
	ds_bpermute_b32 v8, v10, v2
	ds_bpermute_b32 v9, v10, v3
	v_cmp_gt_u32_e64 s[0:1], 60, v15
	s_waitcnt lgkmcnt(2)
	v_add_f64 v[4:5], v[4:5], v[6:7]
	s_waitcnt lgkmcnt(0)
	v_add_f64 v[2:3], v[2:3], v[8:9]
	v_cndmask_b32_e64 v6, 0, 1, s[0:1]
	v_lshlrev_b32_e32 v6, 2, v6
	v_add_lshl_u32 v11, v6, v14, 2
	ds_bpermute_b32 v6, v11, v4
	ds_bpermute_b32 v7, v11, v5
	;; [unrolled: 1-line block ×4, first 2 shown]
	v_cmp_gt_u32_e64 s[0:1], 62, v15
	s_waitcnt lgkmcnt(2)
	v_add_f64 v[4:5], v[4:5], v[6:7]
	s_waitcnt lgkmcnt(0)
	v_add_f64 v[6:7], v[2:3], v[8:9]
	v_cndmask_b32_e64 v2, 0, 1, s[0:1]
	v_lshlrev_b32_e32 v2, 1, v2
	v_add_lshl_u32 v12, v2, v14, 2
	ds_bpermute_b32 v2, v12, v4
	ds_bpermute_b32 v3, v12, v5
	ds_bpermute_b32 v8, v12, v6
	ds_bpermute_b32 v9, v12, v7
	v_cmp_ne_u32_e64 s[0:1], 63, v15
	s_waitcnt lgkmcnt(2)
	v_add_f64 v[2:3], v[4:5], v[2:3]
	v_addc_co_u32_e64 v4, s[0:1], 0, v14, s[0:1]
	s_waitcnt lgkmcnt(0)
	v_add_f64 v[6:7], v[6:7], v[8:9]
	v_lshlrev_b32_e32 v14, 2, v4
	ds_bpermute_b32 v4, v14, v2
	ds_bpermute_b32 v5, v14, v3
	ds_bpermute_b32 v8, v14, v6
	ds_bpermute_b32 v9, v14, v7
	v_cmp_eq_u32_e64 s[0:1], 0, v13
	s_and_saveexec_b64 s[4:5], s[0:1]
	s_cbranch_execz .LBB188_20
; %bb.19:
	v_lshrrev_b32_e32 v13, 2, v0
	v_and_b32_e32 v13, 0xf0, v13
	s_waitcnt lgkmcnt(0)
	v_add_f64 v[6:7], v[6:7], v[8:9]
	v_add_f64 v[4:5], v[2:3], v[4:5]
	ds_write_b128 v13, v[4:7]
.LBB188_20:
	s_or_b64 exec, exec, s[4:5]
	s_waitcnt lgkmcnt(0)
	v_mov_b64_e32 v[8:9], 0
	v_cmp_gt_u32_e64 s[0:1], 16, v0
	v_mov_b64_e32 v[6:7], v[8:9]
	s_barrier
	s_and_saveexec_b64 s[4:5], s[0:1]
	s_cbranch_execz .LBB188_22
; %bb.21:
	ds_read_b128 v[6:9], v1
	s_or_b64 exec, exec, s[4:5]
	s_and_saveexec_b64 s[0:1], vcc
	s_cbranch_execz .LBB188_24
	s_branch .LBB188_23
.LBB188_22:
	s_or_b64 exec, exec, s[4:5]
	s_and_saveexec_b64 s[0:1], vcc
	s_cbranch_execz .LBB188_24
.LBB188_23:
	s_waitcnt lgkmcnt(0)
	ds_bpermute_b32 v2, v10, v6
	ds_bpermute_b32 v3, v10, v7
	;; [unrolled: 1-line block ×4, first 2 shown]
	s_waitcnt lgkmcnt(2)
	v_add_f64 v[2:3], v[6:7], v[2:3]
	ds_bpermute_b32 v6, v11, v2
	s_waitcnt lgkmcnt(1)
	v_add_f64 v[4:5], v[8:9], v[4:5]
	ds_bpermute_b32 v7, v11, v3
	ds_bpermute_b32 v8, v11, v4
	ds_bpermute_b32 v9, v11, v5
	s_waitcnt lgkmcnt(2)
	v_add_f64 v[2:3], v[2:3], v[6:7]
	ds_bpermute_b32 v6, v12, v2
	s_waitcnt lgkmcnt(1)
	v_add_f64 v[4:5], v[4:5], v[8:9]
	ds_bpermute_b32 v7, v12, v3
	ds_bpermute_b32 v8, v12, v4
	ds_bpermute_b32 v9, v12, v5
	;; [unrolled: 8-line block ×3, first 2 shown]
	s_waitcnt lgkmcnt(2)
	v_add_f64 v[6:7], v[2:3], v[6:7]
	s_waitcnt lgkmcnt(0)
	v_add_f64 v[8:9], v[4:5], v[8:9]
.LBB188_24:
	s_or_b64 exec, exec, s[0:1]
	v_cmp_eq_u32_e32 vcc, 0, v0
                                        ; implicit-def: $vgpr4_vgpr5
                                        ; implicit-def: $sgpr6_sgpr7
	s_and_saveexec_b64 s[0:1], vcc
	s_cbranch_execz .LBB188_28
; %bb.25:
	v_cmp_neq_f64_e64 s[4:5], s[10:11], 0
	v_cmp_neq_f64_e64 s[8:9], s[16:17], 0
	s_waitcnt lgkmcnt(0)
	v_mul_f64 v[0:1], s[14:15], v[8:9]
	v_mul_f64 v[4:5], s[12:13], v[8:9]
	s_mul_i32 s6, s2, s33
	s_or_b64 s[2:3], s[4:5], s[8:9]
	v_fma_f64 v[2:3], s[12:13], v[6:7], -v[0:1]
	v_fmac_f64_e32 v[4:5], s[14:15], v[6:7]
	s_andn2_b64 vcc, exec, s[2:3]
	s_ashr_i32 s7, s6, 31
	s_cbranch_vccnz .LBB188_27
; %bb.26:
	s_lshl_b64 s[2:3], s[6:7], 4
	s_add_u32 s2, s30, s2
	s_addc_u32 s3, s31, s3
	s_load_dwordx4 s[12:15], s[2:3], 0x0
	s_waitcnt lgkmcnt(0)
	v_mov_b64_e32 v[0:1], s[14:15]
	v_mov_b64_e32 v[6:7], s[12:13]
	v_mul_f64 v[8:9], s[16:17], v[0:1]
	v_mul_f64 v[0:1], s[10:11], v[0:1]
	v_fma_f64 v[8:9], s[10:11], v[6:7], -v[8:9]
	v_fmac_f64_e32 v[0:1], s[16:17], v[6:7]
	v_add_f64 v[2:3], v[2:3], v[8:9]
	v_add_f64 v[4:5], v[4:5], v[0:1]
.LBB188_27:
	s_or_b64 s[18:19], s[18:19], exec
.LBB188_28:
	s_or_b64 exec, exec, s[0:1]
.LBB188_29:
	s_and_saveexec_b64 s[0:1], s[18:19]
	s_cbranch_execz .LBB188_31
; %bb.30:
	s_lshl_b64 s[0:1], s[6:7], 4
	s_add_u32 s0, s30, s0
	s_addc_u32 s1, s31, s1
	v_mov_b32_e32 v0, 0
	global_store_dwordx4 v0, v[2:5], s[0:1]
.LBB188_31:
	s_endpgm
	.section	.rodata,"a",@progbits
	.p2align	6, 0x0
	.amdhsa_kernel _ZL32rocblas_gemvt_warp_reduce_kernelILb1ELi1024Ei19rocblas_complex_numIdES1_S1_EviiT3_lPKT2_lT1_lS5_lS6_lS2_lPT4_lS6_li
		.amdhsa_group_segment_fixed_size 1024
		.amdhsa_private_segment_fixed_size 0
		.amdhsa_kernarg_size 156
		.amdhsa_user_sgpr_count 2
		.amdhsa_user_sgpr_dispatch_ptr 0
		.amdhsa_user_sgpr_queue_ptr 0
		.amdhsa_user_sgpr_kernarg_segment_ptr 1
		.amdhsa_user_sgpr_dispatch_id 0
		.amdhsa_user_sgpr_kernarg_preload_length 0
		.amdhsa_user_sgpr_kernarg_preload_offset 0
		.amdhsa_user_sgpr_private_segment_size 0
		.amdhsa_uses_dynamic_stack 0
		.amdhsa_enable_private_segment 0
		.amdhsa_system_sgpr_workgroup_id_x 1
		.amdhsa_system_sgpr_workgroup_id_y 0
		.amdhsa_system_sgpr_workgroup_id_z 1
		.amdhsa_system_sgpr_workgroup_info 0
		.amdhsa_system_vgpr_workitem_id 0
		.amdhsa_next_free_vgpr 22
		.amdhsa_next_free_sgpr 35
		.amdhsa_accum_offset 24
		.amdhsa_reserve_vcc 1
		.amdhsa_float_round_mode_32 0
		.amdhsa_float_round_mode_16_64 0
		.amdhsa_float_denorm_mode_32 3
		.amdhsa_float_denorm_mode_16_64 3
		.amdhsa_dx10_clamp 1
		.amdhsa_ieee_mode 1
		.amdhsa_fp16_overflow 0
		.amdhsa_tg_split 0
		.amdhsa_exception_fp_ieee_invalid_op 0
		.amdhsa_exception_fp_denorm_src 0
		.amdhsa_exception_fp_ieee_div_zero 0
		.amdhsa_exception_fp_ieee_overflow 0
		.amdhsa_exception_fp_ieee_underflow 0
		.amdhsa_exception_fp_ieee_inexact 0
		.amdhsa_exception_int_div_zero 0
	.end_amdhsa_kernel
	.section	.text._ZL32rocblas_gemvt_warp_reduce_kernelILb1ELi1024Ei19rocblas_complex_numIdES1_S1_EviiT3_lPKT2_lT1_lS5_lS6_lS2_lPT4_lS6_li,"axG",@progbits,_ZL32rocblas_gemvt_warp_reduce_kernelILb1ELi1024Ei19rocblas_complex_numIdES1_S1_EviiT3_lPKT2_lT1_lS5_lS6_lS2_lPT4_lS6_li,comdat
.Lfunc_end188:
	.size	_ZL32rocblas_gemvt_warp_reduce_kernelILb1ELi1024Ei19rocblas_complex_numIdES1_S1_EviiT3_lPKT2_lT1_lS5_lS6_lS2_lPT4_lS6_li, .Lfunc_end188-_ZL32rocblas_gemvt_warp_reduce_kernelILb1ELi1024Ei19rocblas_complex_numIdES1_S1_EviiT3_lPKT2_lT1_lS5_lS6_lS2_lPT4_lS6_li
                                        ; -- End function
	.section	.AMDGPU.csdata,"",@progbits
; Kernel info:
; codeLenInByte = 1988
; NumSgprs: 41
; NumVgprs: 22
; NumAgprs: 0
; TotalNumVgprs: 22
; ScratchSize: 0
; MemoryBound: 0
; FloatMode: 240
; IeeeMode: 1
; LDSByteSize: 1024 bytes/workgroup (compile time only)
; SGPRBlocks: 5
; VGPRBlocks: 2
; NumSGPRsForWavesPerEU: 41
; NumVGPRsForWavesPerEU: 22
; AccumOffset: 24
; Occupancy: 8
; WaveLimiterHint : 1
; COMPUTE_PGM_RSRC2:SCRATCH_EN: 0
; COMPUTE_PGM_RSRC2:USER_SGPR: 2
; COMPUTE_PGM_RSRC2:TRAP_HANDLER: 0
; COMPUTE_PGM_RSRC2:TGID_X_EN: 1
; COMPUTE_PGM_RSRC2:TGID_Y_EN: 0
; COMPUTE_PGM_RSRC2:TGID_Z_EN: 1
; COMPUTE_PGM_RSRC2:TIDIG_COMP_CNT: 0
; COMPUTE_PGM_RSRC3_GFX90A:ACCUM_OFFSET: 5
; COMPUTE_PGM_RSRC3_GFX90A:TG_SPLIT: 0
	.section	.text._ZL32rocblas_gemvt_warp_reduce_kernelILb1ELi1024El19rocblas_complex_numIdES1_S1_EviiT3_lPKT2_lT1_lS5_lS6_lS2_lPT4_lS6_li,"axG",@progbits,_ZL32rocblas_gemvt_warp_reduce_kernelILb1ELi1024El19rocblas_complex_numIdES1_S1_EviiT3_lPKT2_lT1_lS5_lS6_lS2_lPT4_lS6_li,comdat
	.globl	_ZL32rocblas_gemvt_warp_reduce_kernelILb1ELi1024El19rocblas_complex_numIdES1_S1_EviiT3_lPKT2_lT1_lS5_lS6_lS2_lPT4_lS6_li ; -- Begin function _ZL32rocblas_gemvt_warp_reduce_kernelILb1ELi1024El19rocblas_complex_numIdES1_S1_EviiT3_lPKT2_lT1_lS5_lS6_lS2_lPT4_lS6_li
	.p2align	8
	.type	_ZL32rocblas_gemvt_warp_reduce_kernelILb1ELi1024El19rocblas_complex_numIdES1_S1_EviiT3_lPKT2_lT1_lS5_lS6_lS2_lPT4_lS6_li,@function
_ZL32rocblas_gemvt_warp_reduce_kernelILb1ELi1024El19rocblas_complex_numIdES1_S1_EviiT3_lPKT2_lT1_lS5_lS6_lS2_lPT4_lS6_li: ; @_ZL32rocblas_gemvt_warp_reduce_kernelILb1ELi1024El19rocblas_complex_numIdES1_S1_EviiT3_lPKT2_lT1_lS5_lS6_lS2_lPT4_lS6_li
; %bb.0:
	s_load_dwordx4 s[28:31], s[0:1], 0x8
	s_load_dwordx4 s[24:27], s[0:1], 0x60
	s_waitcnt lgkmcnt(0)
	v_cmp_neq_f64_e64 s[4:5], s[28:29], 0
	v_cmp_neq_f64_e64 s[6:7], s[30:31], 0
	s_or_b64 s[4:5], s[4:5], s[6:7]
	s_mov_b64 s[6:7], -1
	s_and_b64 vcc, exec, s[4:5]
	s_cbranch_vccnz .LBB189_2
; %bb.1:
	v_cmp_neq_f64_e64 s[6:7], s[24:25], 1.0
	v_cmp_neq_f64_e64 s[8:9], s[26:27], 0
	s_or_b64 s[6:7], s[6:7], s[8:9]
.LBB189_2:
	s_andn2_b64 vcc, exec, s[6:7]
	s_cbranch_vccnz .LBB189_31
; %bb.3:
	s_load_dwordx8 s[16:23], s[0:1], 0x78
	s_xor_b64 s[4:5], s[4:5], -1
	s_waitcnt lgkmcnt(0)
	s_mul_i32 s7, s3, s23
	s_mul_hi_u32 s8, s3, s22
	s_mul_i32 s6, s3, s22
	s_add_i32 s7, s8, s7
	s_lshl_b64 s[6:7], s[6:7], 4
	s_add_u32 s8, s16, s6
	s_addc_u32 s9, s17, s7
	s_lshl_b64 s[6:7], s[18:19], 4
	s_add_u32 s33, s8, s6
	s_addc_u32 s42, s9, s7
	s_andn2_b64 vcc, exec, s[4:5]
	v_cmp_eq_u32_e64 s[4:5], 0, v0
	s_cbranch_vccnz .LBB189_8
; %bb.4:
	s_mov_b64 s[8:9], 0
	s_mov_b64 s[22:23], 0
                                        ; implicit-def: $vgpr4_vgpr5
                                        ; implicit-def: $sgpr6_sgpr7
	s_and_saveexec_b64 s[10:11], s[4:5]
	s_cbranch_execz .LBB189_9
; %bb.5:
	v_cmp_neq_f64_e64 s[4:5], s[24:25], 0
	v_cmp_neq_f64_e64 s[12:13], s[26:27], 0
	s_ashr_i32 s6, s2, 31
	s_mul_i32 s7, s2, s21
	s_mul_hi_u32 s14, s2, s20
	v_mov_b64_e32 v[4:5], 0
	s_add_i32 s7, s14, s7
	s_mul_i32 s6, s6, s20
	s_or_b64 s[4:5], s[4:5], s[12:13]
	s_add_i32 s7, s7, s6
	s_mul_i32 s6, s2, s20
	s_andn2_b64 vcc, exec, s[4:5]
	v_mov_b64_e32 v[2:3], v[4:5]
	s_cbranch_vccnz .LBB189_7
; %bb.6:
	s_lshl_b64 s[4:5], s[6:7], 4
	s_add_u32 s4, s33, s4
	s_addc_u32 s5, s42, s5
	s_load_dwordx4 s[12:15], s[4:5], 0x0
	s_waitcnt lgkmcnt(0)
	v_mov_b64_e32 v[2:3], s[14:15]
	v_mov_b64_e32 v[6:7], s[12:13]
	v_mul_f64 v[8:9], s[26:27], v[2:3]
	v_mul_f64 v[4:5], s[24:25], v[2:3]
	v_fma_f64 v[2:3], s[24:25], v[6:7], -v[8:9]
	v_fmac_f64_e32 v[4:5], s[26:27], v[6:7]
.LBB189_7:
	s_mov_b64 s[22:23], exec
	s_or_b64 exec, exec, s[10:11]
	s_and_b64 vcc, exec, s[8:9]
	s_cbranch_vccnz .LBB189_10
	s_branch .LBB189_29
.LBB189_8:
	s_mov_b64 s[22:23], 0
                                        ; implicit-def: $vgpr4_vgpr5
                                        ; implicit-def: $sgpr6_sgpr7
	s_cbranch_execnz .LBB189_10
	s_branch .LBB189_29
.LBB189_9:
	s_or_b64 exec, exec, s[10:11]
	s_and_b64 vcc, exec, s[8:9]
	s_cbranch_vccz .LBB189_29
.LBB189_10:
	s_load_dwordx16 s[4:19], s[0:1], 0x20
	s_load_dword s43, s[0:1], 0x0
	v_mov_b64_e32 v[2:3], 0
	v_mov_b32_e32 v7, 0
	v_mov_b64_e32 v[4:5], v[2:3]
	s_waitcnt lgkmcnt(0)
	s_mul_i32 s1, s3, s19
	s_mul_hi_u32 s19, s3, s18
	s_mul_i32 s0, s3, s18
	s_mul_i32 s11, s3, s11
	s_mul_hi_u32 s18, s3, s10
	s_add_i32 s11, s18, s11
	s_mul_i32 s10, s3, s10
	s_ashr_i32 s3, s2, 31
	s_mul_i32 s9, s2, s9
	s_mul_hi_u32 s18, s2, s8
	s_add_i32 s9, s18, s9
	s_mul_i32 s18, s3, s8
	s_add_i32 s1, s19, s1
	s_add_i32 s19, s9, s18
	s_mul_i32 s18, s2, s8
	s_ashr_i32 s8, s43, 31
	s_lshr_b32 s8, s8, 22
	v_cmp_gt_i32_e32 vcc, s43, v0
	s_add_i32 s8, s43, s8
	s_and_b32 s8, s8, 0xfffffc00
	v_cndmask_b32_e32 v1, 0, v0, vcc
	v_cmp_gt_i32_e32 vcc, s8, v0
	v_lshlrev_b32_e32 v6, 4, v1
	s_and_saveexec_b64 s[34:35], vcc
	s_cbranch_execz .LBB189_14
; %bb.11:
	v_mad_u64_u32 v[2:3], s[38:39], s16, v0, 0
	v_mov_b32_e32 v4, v3
	v_mad_u64_u32 v[4:5], s[38:39], s17, v0, v[4:5]
	s_lshl_b64 s[36:37], s[0:1], 4
	s_lshl_b64 s[38:39], s[14:15], 4
	s_add_u32 s9, s12, s38
	s_addc_u32 s38, s13, s39
	s_add_u32 s36, s9, s36
	v_mov_b32_e32 v3, v4
	s_addc_u32 s37, s38, s37
	v_lshl_add_u64 v[2:3], v[2:3], 4, s[36:37]
	s_lshl_b64 s[36:37], s[16:17], 14
	s_lshl_b64 s[38:39], s[18:19], 4
	;; [unrolled: 1-line block ×3, first 2 shown]
	s_add_u32 s9, s38, s40
	s_addc_u32 s40, s39, s41
	s_lshl_b64 s[38:39], s[6:7], 4
	s_add_u32 s9, s9, s38
	s_addc_u32 s39, s40, s39
	s_add_u32 s38, s4, s9
	s_addc_u32 s39, s5, s39
	v_lshl_add_u64 v[8:9], v[2:3], 0, 8
	v_lshl_add_u64 v[2:3], s[38:39], 0, v[6:7]
	;; [unrolled: 1-line block ×3, first 2 shown]
	v_mov_b64_e32 v[2:3], 0
	s_mov_b64 s[38:39], 0
	s_mov_b64 s[40:41], 0x4000
	v_mov_b32_e32 v1, v0
	v_mov_b64_e32 v[4:5], v[2:3]
.LBB189_12:                             ; =>This Inner Loop Header: Depth=1
	global_load_dwordx4 v[12:15], v[10:11], off offset:-8
	global_load_dwordx4 v[16:19], v[8:9], off offset:-8
	v_add_u32_e32 v1, 0x400, v1
	v_cmp_le_i32_e32 vcc, s8, v1
	v_lshl_add_u64 v[8:9], v[8:9], 0, s[36:37]
	v_lshl_add_u64 v[10:11], v[10:11], 0, s[40:41]
	s_or_b64 s[38:39], vcc, s[38:39]
	s_waitcnt vmcnt(0)
	v_mul_f64 v[20:21], v[14:15], v[18:19]
	v_mul_f64 v[14:15], v[14:15], v[16:17]
	v_fmac_f64_e32 v[20:21], v[12:13], v[16:17]
	v_fma_f64 v[12:13], v[12:13], v[18:19], -v[14:15]
	v_add_f64 v[4:5], v[4:5], v[20:21]
	v_add_f64 v[2:3], v[2:3], v[12:13]
	s_andn2_b64 exec, exec, s[38:39]
	s_cbranch_execnz .LBB189_12
; %bb.13:
	s_or_b64 exec, exec, s[38:39]
.LBB189_14:
	s_or_b64 exec, exec, s[34:35]
	v_or_b32_e32 v1, s8, v0
	v_cmp_gt_i32_e32 vcc, s43, v1
	s_and_saveexec_b64 s[34:35], vcc
	s_cbranch_execz .LBB189_16
; %bb.15:
	s_lshl_b64 s[10:11], s[10:11], 4
	s_add_u32 s9, s4, s10
	s_addc_u32 s10, s5, s11
	s_lshl_b64 s[4:5], s[6:7], 4
	s_add_u32 s11, s9, s4
	s_addc_u32 s10, s10, s5
	s_lshl_b64 s[4:5], s[18:19], 4
	s_lshl_b64 s[0:1], s[0:1], 4
	s_add_u32 s6, s12, s0
	s_addc_u32 s7, s13, s1
	s_lshl_b64 s[0:1], s[14:15], 4
	s_add_u32 s0, s6, s0
	s_addc_u32 s1, s7, s1
	s_ashr_i32 s9, s8, 31
	s_lshl_b64 s[6:7], s[8:9], 4
	s_add_u32 s4, s6, s4
	v_ashrrev_i32_e32 v7, 31, v1
	s_addc_u32 s5, s7, s5
	v_mul_lo_u32 v10, v1, s17
	v_mul_lo_u32 v7, v7, s16
	v_mad_u64_u32 v[8:9], s[6:7], v1, s16, 0
	v_add3_u32 v9, v9, v10, v7
	s_add_u32 s4, s4, s11
	v_lshl_add_u64 v[16:17], v[8:9], 4, s[0:1]
	s_addc_u32 s5, s5, s10
	global_load_dwordx4 v[8:11], v[16:17], off
	global_load_dwordx4 v[12:15], v6, s[4:5]
	s_waitcnt vmcnt(0)
	v_mul_f64 v[6:7], v[14:15], v[10:11]
	v_mul_f64 v[14:15], v[14:15], v[8:9]
	v_fmac_f64_e32 v[6:7], v[12:13], v[8:9]
	v_fma_f64 v[8:9], v[12:13], v[10:11], -v[14:15]
	v_add_f64 v[4:5], v[4:5], v[6:7]
	v_add_f64 v[2:3], v[2:3], v[8:9]
.LBB189_16:
	s_or_b64 exec, exec, s[34:35]
	v_and_b32_e32 v13, 63, v0
	v_cmp_gt_u32_e32 vcc, 64, v0
	v_lshlrev_b32_e32 v1, 4, v13
	s_and_saveexec_b64 s[0:1], vcc
	s_cbranch_execz .LBB189_18
; %bb.17:
	v_mov_b32_e32 v6, 0
	v_mov_b32_e32 v7, v6
	;; [unrolled: 1-line block ×4, first 2 shown]
	ds_write_b128 v1, v[6:9]
.LBB189_18:
	s_or_b64 exec, exec, s[0:1]
	v_mbcnt_lo_u32_b32 v6, -1, 0
	v_mbcnt_hi_u32_b32 v14, -1, v6
	v_and_b32_e32 v15, 63, v14
	v_cmp_gt_u32_e64 s[0:1], 32, v15
	s_waitcnt lgkmcnt(0)
	s_barrier
	v_cndmask_b32_e64 v6, 0, 1, s[0:1]
	v_lshlrev_b32_e32 v6, 5, v6
	v_add_lshl_u32 v9, v6, v14, 2
	ds_bpermute_b32 v6, v9, v4
	ds_bpermute_b32 v7, v9, v5
	;; [unrolled: 1-line block ×4, first 2 shown]
	v_cmp_gt_u32_e64 s[0:1], 48, v15
	s_waitcnt lgkmcnt(0)
	v_add_f64 v[4:5], v[4:5], v[6:7]
	v_cndmask_b32_e64 v6, 0, 1, s[0:1]
	v_lshlrev_b32_e32 v6, 4, v6
	v_add_f64 v[2:3], v[2:3], v[8:9]
	v_add_lshl_u32 v9, v6, v14, 2
	ds_bpermute_b32 v6, v9, v4
	ds_bpermute_b32 v7, v9, v5
	;; [unrolled: 1-line block ×4, first 2 shown]
	v_cmp_gt_u32_e64 s[0:1], 56, v15
	s_waitcnt lgkmcnt(2)
	v_add_f64 v[4:5], v[4:5], v[6:7]
	v_cndmask_b32_e64 v6, 0, 1, s[0:1]
	v_lshlrev_b32_e32 v6, 3, v6
	v_add_lshl_u32 v10, v6, v14, 2
	ds_bpermute_b32 v6, v10, v4
	ds_bpermute_b32 v7, v10, v5
	s_waitcnt lgkmcnt(2)
	v_add_f64 v[2:3], v[2:3], v[8:9]
	ds_bpermute_b32 v8, v10, v2
	ds_bpermute_b32 v9, v10, v3
	v_cmp_gt_u32_e64 s[0:1], 60, v15
	s_waitcnt lgkmcnt(2)
	v_add_f64 v[4:5], v[4:5], v[6:7]
	s_waitcnt lgkmcnt(0)
	v_add_f64 v[2:3], v[2:3], v[8:9]
	v_cndmask_b32_e64 v6, 0, 1, s[0:1]
	v_lshlrev_b32_e32 v6, 2, v6
	v_add_lshl_u32 v11, v6, v14, 2
	ds_bpermute_b32 v6, v11, v4
	ds_bpermute_b32 v7, v11, v5
	;; [unrolled: 1-line block ×4, first 2 shown]
	v_cmp_gt_u32_e64 s[0:1], 62, v15
	s_waitcnt lgkmcnt(2)
	v_add_f64 v[4:5], v[4:5], v[6:7]
	s_waitcnt lgkmcnt(0)
	v_add_f64 v[6:7], v[2:3], v[8:9]
	v_cndmask_b32_e64 v2, 0, 1, s[0:1]
	v_lshlrev_b32_e32 v2, 1, v2
	v_add_lshl_u32 v12, v2, v14, 2
	ds_bpermute_b32 v2, v12, v4
	ds_bpermute_b32 v3, v12, v5
	;; [unrolled: 1-line block ×4, first 2 shown]
	v_cmp_ne_u32_e64 s[0:1], 63, v15
	s_waitcnt lgkmcnt(2)
	v_add_f64 v[2:3], v[4:5], v[2:3]
	v_addc_co_u32_e64 v4, s[0:1], 0, v14, s[0:1]
	s_waitcnt lgkmcnt(0)
	v_add_f64 v[6:7], v[6:7], v[8:9]
	v_lshlrev_b32_e32 v14, 2, v4
	ds_bpermute_b32 v4, v14, v2
	ds_bpermute_b32 v5, v14, v3
	;; [unrolled: 1-line block ×4, first 2 shown]
	v_cmp_eq_u32_e64 s[0:1], 0, v13
	s_and_saveexec_b64 s[4:5], s[0:1]
	s_cbranch_execz .LBB189_20
; %bb.19:
	v_lshrrev_b32_e32 v13, 2, v0
	v_and_b32_e32 v13, 0xf0, v13
	s_waitcnt lgkmcnt(0)
	v_add_f64 v[6:7], v[6:7], v[8:9]
	v_add_f64 v[4:5], v[2:3], v[4:5]
	ds_write_b128 v13, v[4:7]
.LBB189_20:
	s_or_b64 exec, exec, s[4:5]
	s_waitcnt lgkmcnt(0)
	v_mov_b64_e32 v[8:9], 0
	v_cmp_gt_u32_e64 s[0:1], 16, v0
	v_mov_b64_e32 v[6:7], v[8:9]
	s_barrier
	s_and_saveexec_b64 s[4:5], s[0:1]
	s_cbranch_execz .LBB189_22
; %bb.21:
	ds_read_b128 v[6:9], v1
	s_or_b64 exec, exec, s[4:5]
	s_and_saveexec_b64 s[0:1], vcc
	s_cbranch_execz .LBB189_24
	s_branch .LBB189_23
.LBB189_22:
	s_or_b64 exec, exec, s[4:5]
	s_and_saveexec_b64 s[0:1], vcc
	s_cbranch_execz .LBB189_24
.LBB189_23:
	s_waitcnt lgkmcnt(0)
	ds_bpermute_b32 v2, v10, v6
	ds_bpermute_b32 v3, v10, v7
	;; [unrolled: 1-line block ×4, first 2 shown]
	s_waitcnt lgkmcnt(2)
	v_add_f64 v[2:3], v[6:7], v[2:3]
	ds_bpermute_b32 v6, v11, v2
	s_waitcnt lgkmcnt(1)
	v_add_f64 v[4:5], v[8:9], v[4:5]
	ds_bpermute_b32 v7, v11, v3
	ds_bpermute_b32 v8, v11, v4
	ds_bpermute_b32 v9, v11, v5
	s_waitcnt lgkmcnt(2)
	v_add_f64 v[2:3], v[2:3], v[6:7]
	ds_bpermute_b32 v6, v12, v2
	s_waitcnt lgkmcnt(1)
	v_add_f64 v[4:5], v[4:5], v[8:9]
	ds_bpermute_b32 v7, v12, v3
	ds_bpermute_b32 v8, v12, v4
	ds_bpermute_b32 v9, v12, v5
	;; [unrolled: 8-line block ×3, first 2 shown]
	s_waitcnt lgkmcnt(2)
	v_add_f64 v[6:7], v[2:3], v[6:7]
	s_waitcnt lgkmcnt(0)
	v_add_f64 v[8:9], v[4:5], v[8:9]
.LBB189_24:
	s_or_b64 exec, exec, s[0:1]
	v_cmp_eq_u32_e32 vcc, 0, v0
                                        ; implicit-def: $vgpr4_vgpr5
                                        ; implicit-def: $sgpr6_sgpr7
	s_and_saveexec_b64 s[0:1], vcc
	s_cbranch_execz .LBB189_28
; %bb.25:
	v_cmp_neq_f64_e64 s[4:5], s[24:25], 0
	v_cmp_neq_f64_e64 s[8:9], s[26:27], 0
	s_mul_i32 s6, s2, s21
	s_mul_hi_u32 s7, s2, s20
	s_waitcnt lgkmcnt(0)
	v_mul_f64 v[0:1], s[30:31], v[8:9]
	v_mul_f64 v[4:5], s[28:29], v[8:9]
	s_add_i32 s6, s7, s6
	s_mul_i32 s3, s3, s20
	s_or_b64 s[4:5], s[4:5], s[8:9]
	v_fma_f64 v[2:3], s[28:29], v[6:7], -v[0:1]
	v_fmac_f64_e32 v[4:5], s[30:31], v[6:7]
	s_add_i32 s7, s6, s3
	s_andn2_b64 vcc, exec, s[4:5]
	s_mul_i32 s6, s2, s20
	s_cbranch_vccnz .LBB189_27
; %bb.26:
	s_lshl_b64 s[2:3], s[6:7], 4
	s_add_u32 s2, s33, s2
	s_addc_u32 s3, s42, s3
	s_load_dwordx4 s[8:11], s[2:3], 0x0
	s_waitcnt lgkmcnt(0)
	v_mov_b64_e32 v[0:1], s[10:11]
	v_mov_b64_e32 v[6:7], s[8:9]
	v_mul_f64 v[8:9], s[26:27], v[0:1]
	v_mul_f64 v[0:1], s[24:25], v[0:1]
	v_fma_f64 v[8:9], s[24:25], v[6:7], -v[8:9]
	v_fmac_f64_e32 v[0:1], s[26:27], v[6:7]
	v_add_f64 v[2:3], v[2:3], v[8:9]
	v_add_f64 v[4:5], v[4:5], v[0:1]
.LBB189_27:
	s_or_b64 s[22:23], s[22:23], exec
.LBB189_28:
	s_or_b64 exec, exec, s[0:1]
.LBB189_29:
	s_and_saveexec_b64 s[0:1], s[22:23]
	s_cbranch_execz .LBB189_31
; %bb.30:
	s_lshl_b64 s[0:1], s[6:7], 4
	s_add_u32 s0, s33, s0
	s_addc_u32 s1, s42, s1
	v_mov_b32_e32 v0, 0
	global_store_dwordx4 v0, v[2:5], s[0:1]
.LBB189_31:
	s_endpgm
	.section	.rodata,"a",@progbits
	.p2align	6, 0x0
	.amdhsa_kernel _ZL32rocblas_gemvt_warp_reduce_kernelILb1ELi1024El19rocblas_complex_numIdES1_S1_EviiT3_lPKT2_lT1_lS5_lS6_lS2_lPT4_lS6_li
		.amdhsa_group_segment_fixed_size 1024
		.amdhsa_private_segment_fixed_size 0
		.amdhsa_kernarg_size 156
		.amdhsa_user_sgpr_count 2
		.amdhsa_user_sgpr_dispatch_ptr 0
		.amdhsa_user_sgpr_queue_ptr 0
		.amdhsa_user_sgpr_kernarg_segment_ptr 1
		.amdhsa_user_sgpr_dispatch_id 0
		.amdhsa_user_sgpr_kernarg_preload_length 0
		.amdhsa_user_sgpr_kernarg_preload_offset 0
		.amdhsa_user_sgpr_private_segment_size 0
		.amdhsa_uses_dynamic_stack 0
		.amdhsa_enable_private_segment 0
		.amdhsa_system_sgpr_workgroup_id_x 1
		.amdhsa_system_sgpr_workgroup_id_y 0
		.amdhsa_system_sgpr_workgroup_id_z 1
		.amdhsa_system_sgpr_workgroup_info 0
		.amdhsa_system_vgpr_workitem_id 0
		.amdhsa_next_free_vgpr 22
		.amdhsa_next_free_sgpr 44
		.amdhsa_accum_offset 24
		.amdhsa_reserve_vcc 1
		.amdhsa_float_round_mode_32 0
		.amdhsa_float_round_mode_16_64 0
		.amdhsa_float_denorm_mode_32 3
		.amdhsa_float_denorm_mode_16_64 3
		.amdhsa_dx10_clamp 1
		.amdhsa_ieee_mode 1
		.amdhsa_fp16_overflow 0
		.amdhsa_tg_split 0
		.amdhsa_exception_fp_ieee_invalid_op 0
		.amdhsa_exception_fp_denorm_src 0
		.amdhsa_exception_fp_ieee_div_zero 0
		.amdhsa_exception_fp_ieee_overflow 0
		.amdhsa_exception_fp_ieee_underflow 0
		.amdhsa_exception_fp_ieee_inexact 0
		.amdhsa_exception_int_div_zero 0
	.end_amdhsa_kernel
	.section	.text._ZL32rocblas_gemvt_warp_reduce_kernelILb1ELi1024El19rocblas_complex_numIdES1_S1_EviiT3_lPKT2_lT1_lS5_lS6_lS2_lPT4_lS6_li,"axG",@progbits,_ZL32rocblas_gemvt_warp_reduce_kernelILb1ELi1024El19rocblas_complex_numIdES1_S1_EviiT3_lPKT2_lT1_lS5_lS6_lS2_lPT4_lS6_li,comdat
.Lfunc_end189:
	.size	_ZL32rocblas_gemvt_warp_reduce_kernelILb1ELi1024El19rocblas_complex_numIdES1_S1_EviiT3_lPKT2_lT1_lS5_lS6_lS2_lPT4_lS6_li, .Lfunc_end189-_ZL32rocblas_gemvt_warp_reduce_kernelILb1ELi1024El19rocblas_complex_numIdES1_S1_EviiT3_lPKT2_lT1_lS5_lS6_lS2_lPT4_lS6_li
                                        ; -- End function
	.section	.AMDGPU.csdata,"",@progbits
; Kernel info:
; codeLenInByte = 2052
; NumSgprs: 50
; NumVgprs: 22
; NumAgprs: 0
; TotalNumVgprs: 22
; ScratchSize: 0
; MemoryBound: 0
; FloatMode: 240
; IeeeMode: 1
; LDSByteSize: 1024 bytes/workgroup (compile time only)
; SGPRBlocks: 6
; VGPRBlocks: 2
; NumSGPRsForWavesPerEU: 50
; NumVGPRsForWavesPerEU: 22
; AccumOffset: 24
; Occupancy: 8
; WaveLimiterHint : 1
; COMPUTE_PGM_RSRC2:SCRATCH_EN: 0
; COMPUTE_PGM_RSRC2:USER_SGPR: 2
; COMPUTE_PGM_RSRC2:TRAP_HANDLER: 0
; COMPUTE_PGM_RSRC2:TGID_X_EN: 1
; COMPUTE_PGM_RSRC2:TGID_Y_EN: 0
; COMPUTE_PGM_RSRC2:TGID_Z_EN: 1
; COMPUTE_PGM_RSRC2:TIDIG_COMP_CNT: 0
; COMPUTE_PGM_RSRC3_GFX90A:ACCUM_OFFSET: 5
; COMPUTE_PGM_RSRC3_GFX90A:TG_SPLIT: 0
	.section	.text._ZL34rocblas_gemvn_sm_mn_batched_kernelILi32ELi24EPKfS1_KPfEviiT2_lPKT1_lilS7_lilS4_lPT3_lili,"axG",@progbits,_ZL34rocblas_gemvn_sm_mn_batched_kernelILi32ELi24EPKfS1_KPfEviiT2_lPKT1_lilS7_lilS4_lPT3_lili,comdat
	.globl	_ZL34rocblas_gemvn_sm_mn_batched_kernelILi32ELi24EPKfS1_KPfEviiT2_lPKT1_lilS7_lilS4_lPT3_lili ; -- Begin function _ZL34rocblas_gemvn_sm_mn_batched_kernelILi32ELi24EPKfS1_KPfEviiT2_lPKT1_lilS7_lilS4_lPT3_lili
	.p2align	8
	.type	_ZL34rocblas_gemvn_sm_mn_batched_kernelILi32ELi24EPKfS1_KPfEviiT2_lPKT1_lilS7_lilS4_lPT3_lili,@function
_ZL34rocblas_gemvn_sm_mn_batched_kernelILi32ELi24EPKfS1_KPfEviiT2_lPKT1_lilS7_lilS4_lPT3_lili: ; @_ZL34rocblas_gemvn_sm_mn_batched_kernelILi32ELi24EPKfS1_KPfEviiT2_lPKT1_lilS7_lilS4_lPT3_lili
; %bb.0:
	s_load_dword s3, s[0:1], 0x9c
	s_load_dword s4, s[0:1], 0x88
	v_bfe_u32 v1, v0, 10, 10
	s_waitcnt lgkmcnt(0)
	s_lshr_b32 s3, s3, 16
	s_mul_i32 s2, s2, s3
	v_add_u32_e32 v2, s2, v1
	v_cmp_gt_i32_e32 vcc, s4, v2
	s_and_saveexec_b64 s[2:3], vcc
	s_cbranch_execz .LBB190_121
; %bb.1:
	s_load_dwordx8 s[12:19], s[0:1], 0x8
	s_load_dwordx8 s[4:11], s[0:1], 0x58
	s_waitcnt lgkmcnt(0)
	v_mad_u64_u32 v[8:9], s[2:3], v2, s14, 0
	v_mov_b32_e32 v10, v9
	v_mad_u64_u32 v[10:11], s[2:3], v2, s15, v[10:11]
	v_mov_b32_e32 v4, s12
	v_mov_b32_e32 v5, s13
	;; [unrolled: 1-line block ×3, first 2 shown]
	v_lshl_add_u64 v[4:5], v[8:9], 2, v[4:5]
	global_load_dword v11, v[4:5], off
	v_mad_u64_u32 v[4:5], s[2:3], v2, s6, 0
	v_mov_b32_e32 v8, v5
	v_mad_u64_u32 v[8:9], s[2:3], v2, s7, v[8:9]
	v_mov_b32_e32 v6, s4
	v_mov_b32_e32 v7, s5
	v_mov_b32_e32 v5, v8
	v_lshl_add_u64 v[4:5], v[4:5], 2, v[6:7]
	global_load_dword v10, v[4:5], off
	s_waitcnt vmcnt(1)
	v_cmp_neq_f32_e32 vcc, 0, v11
	s_waitcnt vmcnt(0)
	v_cmp_neq_f32_e64 s[2:3], 1.0, v10
	s_or_b64 s[2:3], vcc, s[2:3]
	s_and_b64 exec, exec, s[2:3]
	s_cbranch_execz .LBB190_121
; %bb.2:
	v_mov_b64_e32 v[6:7], 0
	v_mov_b32_e32 v3, 0
	v_cmp_eq_f32_e32 vcc, 0, v11
	v_cmp_neq_f32_e64 s[2:3], 0, v11
	v_mov_b64_e32 v[4:5], v[6:7]
	s_and_saveexec_b64 s[4:5], s[2:3]
	s_cbranch_execz .LBB190_4
; %bb.3:
	v_mov_b32_e32 v4, s16
	v_mov_b32_e32 v5, s17
	v_lshl_add_u64 v[4:5], v[2:3], 3, v[4:5]
	global_load_dwordx2 v[4:5], v[4:5], off
	s_waitcnt vmcnt(0)
	v_lshl_add_u64 v[4:5], s[18:19], 2, v[4:5]
.LBB190_4:
	s_or_b64 exec, exec, s[4:5]
	s_and_saveexec_b64 s[4:5], s[2:3]
	s_cbranch_execz .LBB190_6
; %bb.5:
	s_load_dwordx4 s[12:15], s[0:1], 0x38
	s_waitcnt lgkmcnt(0)
	v_mov_b32_e32 v6, s12
	v_mov_b32_e32 v7, s13
	v_lshl_add_u64 v[6:7], v[2:3], 3, v[6:7]
	global_load_dwordx2 v[6:7], v[6:7], off
	s_waitcnt vmcnt(0)
	v_lshl_add_u64 v[6:7], s[14:15], 2, v[6:7]
.LBB190_6:
	s_or_b64 exec, exec, s[4:5]
	v_mov_b32_e32 v8, s8
	v_mov_b32_e32 v9, s9
	v_lshl_add_u64 v[2:3], v[2:3], 3, v[8:9]
	global_load_dwordx2 v[2:3], v[2:3], off
	s_load_dwordx2 s[4:5], s[0:1], 0x0
	s_load_dword s33, s[0:1], 0x78
	v_and_b32_e32 v8, 0x3ff, v0
	s_waitcnt vmcnt(0)
	v_lshl_add_u64 v[2:3], s[10:11], 2, v[2:3]
	s_and_saveexec_b64 s[2:3], vcc
	s_xor_b64 s[6:7], exec, s[2:3]
	s_cbranch_execz .LBB190_16
; %bb.7:
	v_cmp_eq_f32_e64 s[2:3], 0, v10
	s_waitcnt lgkmcnt(0)
	v_cmp_gt_i32_e32 vcc, s4, v8
	s_and_saveexec_b64 s[8:9], s[2:3]
	s_xor_b64 s[2:3], exec, s[8:9]
	s_cbranch_execz .LBB190_11
; %bb.8:
	s_and_saveexec_b64 s[8:9], vcc
	s_cbranch_execz .LBB190_10
; %bb.9:
	v_mad_i64_i32 v[0:1], s[10:11], s33, v8, 0
	v_lshl_add_u64 v[0:1], v[0:1], 2, v[2:3]
	v_mov_b32_e32 v2, 0
	global_store_dword v[0:1], v2, off
.LBB190_10:
	s_or_b64 exec, exec, s[8:9]
                                        ; implicit-def: $vgpr8
                                        ; implicit-def: $vgpr2_vgpr3
                                        ; implicit-def: $vgpr10
.LBB190_11:
	s_andn2_saveexec_b64 s[2:3], s[2:3]
	s_cbranch_execz .LBB190_15
; %bb.12:
	s_and_saveexec_b64 s[8:9], vcc
	s_cbranch_execz .LBB190_14
; %bb.13:
	v_mad_i64_i32 v[0:1], s[10:11], s33, v8, 0
	v_lshl_add_u64 v[0:1], v[0:1], 2, v[2:3]
	global_load_dword v2, v[0:1], off
	s_waitcnt vmcnt(0)
	v_mul_f32_e32 v2, v10, v2
	global_store_dword v[0:1], v2, off
.LBB190_14:
	s_or_b64 exec, exec, s[8:9]
.LBB190_15:
	s_or_b64 exec, exec, s[2:3]
                                        ; implicit-def: $vgpr8
                                        ; implicit-def: $vgpr2_vgpr3
                                        ; implicit-def: $vgpr1
                                        ; implicit-def: $vgpr6_vgpr7
                                        ; implicit-def: $vgpr11
                                        ; implicit-def: $vgpr4_vgpr5
                                        ; implicit-def: $vgpr10
.LBB190_16:
	s_andn2_saveexec_b64 s[2:3], s[6:7]
	s_cbranch_execz .LBB190_121
; %bb.17:
	v_lshlrev_b32_e32 v9, 7, v1
	s_waitcnt lgkmcnt(0)
	v_cmp_gt_i32_e32 vcc, s5, v8
	s_and_saveexec_b64 s[2:3], vcc
	s_cbranch_execz .LBB190_19
; %bb.18:
	s_load_dword s6, s[0:1], 0x48
	s_waitcnt lgkmcnt(0)
	v_mad_i64_i32 v[0:1], s[6:7], s6, v8, 0
	v_lshl_add_u64 v[0:1], v[0:1], 2, v[6:7]
	flat_load_dword v0, v[0:1]
	v_lshl_add_u32 v1, v8, 2, v9
	s_waitcnt vmcnt(0) lgkmcnt(0)
	v_mul_f32_e32 v0, v11, v0
	ds_write_b32 v1, v0
.LBB190_19:
	s_or_b64 exec, exec, s[2:3]
	v_cmp_gt_i32_e32 vcc, s4, v8
	s_waitcnt lgkmcnt(0)
	s_barrier
	s_and_saveexec_b64 s[2:3], vcc
	s_cbranch_execz .LBB190_121
; %bb.20:
	v_cmp_neq_f32_e32 vcc, 0, v10
	v_mov_b32_e32 v1, 0
	v_mov_b32_e32 v6, 0
	s_and_saveexec_b64 s[2:3], vcc
	s_cbranch_execz .LBB190_22
; %bb.21:
	v_mad_i64_i32 v[6:7], s[6:7], s33, v8, 0
	v_lshl_add_u64 v[6:7], v[6:7], 2, v[2:3]
	global_load_dword v0, v[6:7], off
	s_waitcnt vmcnt(0)
	v_mul_f32_e32 v6, v10, v0
.LBB190_22:
	s_or_b64 exec, exec, s[2:3]
	v_lshlrev_b32_e32 v0, 2, v8
	s_cmp_gt_i32 s5, 0
	s_cselect_b64 s[2:3], -1, 0
	s_cmp_lt_i32 s5, 1
	v_lshl_add_u64 v[4:5], v[4:5], 0, v[0:1]
	s_cbranch_scc1 .LBB190_24
; %bb.23:
	flat_load_dword v1, v[4:5]
.LBB190_24:
	s_load_dword s62, s[0:1], 0x28
	v_mov_b32_e32 v0, 0
	v_mov_b32_e32 v21, 0
	s_waitcnt lgkmcnt(0)
	s_ashr_i32 s63, s62, 31
	s_cmp_gt_i32 s5, 1
	s_cselect_b64 s[0:1], -1, 0
	s_cmp_lt_i32 s5, 2
	s_cbranch_scc1 .LBB190_26
; %bb.25:
	v_lshl_add_u64 v[10:11], s[62:63], 2, v[4:5]
	flat_load_dword v21, v[10:11]
.LBB190_26:
	s_cmp_gt_i32 s5, 2
	s_cselect_b64 s[6:7], -1, 0
	s_cmp_lt_i32 s5, 3
	s_cbranch_scc1 .LBB190_28
; %bb.27:
	v_lshl_add_u64 v[10:11], s[62:63], 3, v[4:5]
	flat_load_dword v0, v[10:11]
.LBB190_28:
	s_cmp_gt_i32 s5, 3
	s_cselect_b64 s[8:9], -1, 0
	s_cmp_lt_i32 s5, 4
	v_mov_b32_e32 v7, 0
	v_mov_b32_e32 v22, 0
	s_cbranch_scc1 .LBB190_30
; %bb.29:
	v_mad_i64_i32 v[10:11], s[10:11], s62, 12, v[4:5]
	flat_load_dword v22, v[10:11]
.LBB190_30:
	s_cmp_gt_i32 s5, 4
	s_cselect_b64 s[10:11], -1, 0
	s_cmp_lt_i32 s5, 5
	s_cbranch_scc1 .LBB190_32
; %bb.31:
	v_lshl_add_u64 v[10:11], s[62:63], 4, v[4:5]
	flat_load_dword v7, v[10:11]
.LBB190_32:
	s_cmp_gt_i32 s5, 5
	s_cselect_b64 s[12:13], -1, 0
	s_cmp_lt_i32 s5, 6
	v_mov_b32_e32 v10, 0
	v_mov_b32_e32 v23, 0
	s_cbranch_scc1 .LBB190_34
; %bb.33:
	v_mad_i64_i32 v[12:13], s[14:15], s62, 20, v[4:5]
	flat_load_dword v23, v[12:13]
.LBB190_34:
	s_cmp_gt_i32 s5, 6
	s_cselect_b64 s[14:15], -1, 0
	s_cmp_lt_i32 s5, 7
	s_cbranch_scc1 .LBB190_36
; %bb.35:
	v_mad_i64_i32 v[10:11], s[16:17], s62, 24, v[4:5]
	flat_load_dword v10, v[10:11]
.LBB190_36:
	s_cmp_gt_i32 s5, 7
	s_cselect_b64 s[16:17], -1, 0
	s_cmp_lt_i32 s5, 8
	v_mov_b32_e32 v11, 0
	v_mov_b32_e32 v24, 0
	s_cbranch_scc1 .LBB190_38
; %bb.37:
	v_mad_i64_i32 v[12:13], s[18:19], s62, 28, v[4:5]
	flat_load_dword v24, v[12:13]
.LBB190_38:
	s_cmp_gt_i32 s5, 8
	s_cselect_b64 s[18:19], -1, 0
	s_cmp_lt_i32 s5, 9
	s_cbranch_scc1 .LBB190_40
; %bb.39:
	s_lshl_b64 s[20:21], s[62:63], 5
	v_lshl_add_u64 v[12:13], v[4:5], 0, s[20:21]
	flat_load_dword v11, v[12:13]
.LBB190_40:
	s_cmp_gt_i32 s5, 9
	s_cselect_b64 s[20:21], -1, 0
	s_cmp_lt_i32 s5, 10
	v_mov_b32_e32 v12, 0
	v_mov_b32_e32 v26, 0
	s_cbranch_scc1 .LBB190_42
; %bb.41:
	v_mad_i64_i32 v[14:15], s[22:23], s62, 36, v[4:5]
	flat_load_dword v26, v[14:15]
.LBB190_42:
	s_cmp_gt_i32 s5, 10
	s_cselect_b64 s[22:23], -1, 0
	s_cmp_lt_i32 s5, 11
	s_cbranch_scc1 .LBB190_44
; %bb.43:
	v_mad_i64_i32 v[12:13], s[24:25], s62, 40, v[4:5]
	flat_load_dword v12, v[12:13]
.LBB190_44:
	s_cmp_gt_i32 s5, 11
	s_cselect_b64 s[24:25], -1, 0
	s_cmp_lt_i32 s5, 12
	v_mov_b32_e32 v13, 0
	v_mov_b32_e32 v27, 0
	s_cbranch_scc1 .LBB190_46
; %bb.45:
	v_mad_i64_i32 v[14:15], s[26:27], s62, 44, v[4:5]
	flat_load_dword v27, v[14:15]
.LBB190_46:
	s_cmp_gt_i32 s5, 12
	s_cselect_b64 s[26:27], -1, 0
	s_cmp_lt_i32 s5, 13
	s_cbranch_scc1 .LBB190_48
; %bb.47:
	v_mad_i64_i32 v[14:15], s[28:29], s62, 48, v[4:5]
	flat_load_dword v13, v[14:15]
.LBB190_48:
	;; [unrolled: 18-line block ×3, first 2 shown]
	s_cmp_gt_i32 s5, 15
	s_cselect_b64 s[34:35], -1, 0
	s_cmp_lt_i32 s5, 16
	v_mov_b32_e32 v15, 0
	v_mov_b32_e32 v29, 0
	s_cbranch_scc1 .LBB190_54
; %bb.53:
	v_mad_i64_i32 v[16:17], s[36:37], s62, 60, v[4:5]
	flat_load_dword v29, v[16:17]
.LBB190_54:
	s_cmp_gt_i32 s5, 16
	s_cselect_b64 s[36:37], -1, 0
	s_cmp_lt_i32 s5, 17
	s_cbranch_scc1 .LBB190_56
; %bb.55:
	s_lshl_b64 s[38:39], s[62:63], 6
	v_lshl_add_u64 v[16:17], v[4:5], 0, s[38:39]
	flat_load_dword v15, v[16:17]
.LBB190_56:
	s_cmp_gt_i32 s5, 17
	s_cselect_b64 s[38:39], -1, 0
	s_cmp_lt_i32 s5, 18
	v_mov_b32_e32 v16, 0
	v_mov_b32_e32 v31, 0
	s_cbranch_scc1 .LBB190_58
; %bb.57:
	v_mov_b32_e32 v17, 0x44
	v_mad_i64_i32 v[18:19], s[40:41], s62, v17, v[4:5]
	flat_load_dword v31, v[18:19]
.LBB190_58:
	s_cmp_gt_i32 s5, 18
	s_cselect_b64 s[40:41], -1, 0
	s_cmp_lt_i32 s5, 19
	s_cbranch_scc1 .LBB190_60
; %bb.59:
	v_mov_b32_e32 v16, 0x48
	v_mad_i64_i32 v[16:17], s[42:43], s62, v16, v[4:5]
	flat_load_dword v16, v[16:17]
.LBB190_60:
	s_cmp_gt_i32 s5, 19
	s_cselect_b64 s[42:43], -1, 0
	s_cmp_lt_i32 s5, 20
	v_mov_b32_e32 v17, 0
	v_mov_b32_e32 v32, 0
	s_cbranch_scc1 .LBB190_62
; %bb.61:
	v_mov_b32_e32 v18, 0x4c
	v_mad_i64_i32 v[18:19], s[44:45], s62, v18, v[4:5]
	flat_load_dword v32, v[18:19]
.LBB190_62:
	s_cmp_gt_i32 s5, 20
	s_cselect_b64 s[44:45], -1, 0
	s_cmp_lt_i32 s5, 21
	s_cbranch_scc1 .LBB190_64
; %bb.63:
	v_mov_b32_e32 v17, 0x50
	v_mad_i64_i32 v[18:19], s[46:47], s62, v17, v[4:5]
	flat_load_dword v17, v[18:19]
.LBB190_64:
	;; [unrolled: 20-line block ×7, first 2 shown]
	s_cmp_gt_i32 s5, 31
	s_cselect_b64 s[68:69], -1, 0
	s_cmp_lt_i32 s5, 32
	v_mov_b32_e32 v36, 0
	v_mov_b32_e32 v39, 0
	s_cbranch_scc1 .LBB190_86
; %bb.85:
	v_mov_b32_e32 v39, 0x7c
	v_mad_i64_i32 v[4:5], s[4:5], s62, v39, v[4:5]
	flat_load_dword v39, v[4:5]
.LBB190_86:
	s_andn2_b64 vcc, exec, s[2:3]
	s_cbranch_vccnz .LBB190_88
; %bb.87:
	ds_read_b32 v4, v9
	s_waitcnt vmcnt(0) lgkmcnt(0)
	v_mul_f32_e32 v36, v1, v4
.LBB190_88:
	s_andn2_b64 vcc, exec, s[0:1]
	s_waitcnt vmcnt(0)
	v_mov_b32_e32 v1, 0
	v_mov_b32_e32 v4, 0
	s_cbranch_vccz .LBB190_122
; %bb.89:
	s_andn2_b64 vcc, exec, s[6:7]
	s_cbranch_vccz .LBB190_123
.LBB190_90:
	s_andn2_b64 vcc, exec, s[8:9]
	s_waitcnt lgkmcnt(0)
	v_mov_b32_e32 v0, 0
	v_mov_b32_e32 v5, 0
	s_cbranch_vccz .LBB190_124
.LBB190_91:
	s_andn2_b64 vcc, exec, s[10:11]
	s_cbranch_vccz .LBB190_125
.LBB190_92:
	s_andn2_b64 vcc, exec, s[12:13]
	v_mov_b32_e32 v7, 0
	v_mov_b32_e32 v21, 0
	s_cbranch_vccz .LBB190_126
.LBB190_93:
	s_andn2_b64 vcc, exec, s[14:15]
	s_cbranch_vccz .LBB190_127
.LBB190_94:
	s_andn2_b64 vcc, exec, s[16:17]
	v_mov_b32_e32 v10, 0
	v_mov_b32_e32 v22, 0
	s_cbranch_vccz .LBB190_128
.LBB190_95:
	s_andn2_b64 vcc, exec, s[18:19]
	s_cbranch_vccz .LBB190_129
.LBB190_96:
	s_andn2_b64 vcc, exec, s[20:21]
	v_mov_b32_e32 v11, 0
	v_mov_b32_e32 v23, 0
	s_cbranch_vccz .LBB190_130
.LBB190_97:
	s_andn2_b64 vcc, exec, s[22:23]
	s_cbranch_vccz .LBB190_131
.LBB190_98:
	s_andn2_b64 vcc, exec, s[24:25]
	v_mov_b32_e32 v12, 0
	v_mov_b32_e32 v24, 0
	s_cbranch_vccz .LBB190_132
.LBB190_99:
	s_andn2_b64 vcc, exec, s[26:27]
	s_cbranch_vccz .LBB190_133
.LBB190_100:
	s_andn2_b64 vcc, exec, s[28:29]
	v_mov_b32_e32 v13, 0
	v_mov_b32_e32 v26, 0
	s_cbranch_vccz .LBB190_134
.LBB190_101:
	s_andn2_b64 vcc, exec, s[30:31]
	s_cbranch_vccz .LBB190_135
.LBB190_102:
	s_andn2_b64 vcc, exec, s[34:35]
	v_mov_b32_e32 v14, 0
	v_mov_b32_e32 v27, 0
	s_cbranch_vccz .LBB190_136
.LBB190_103:
	s_andn2_b64 vcc, exec, s[36:37]
	s_cbranch_vccz .LBB190_137
.LBB190_104:
	s_andn2_b64 vcc, exec, s[38:39]
	v_mov_b32_e32 v15, 0
	v_mov_b32_e32 v28, 0
	s_cbranch_vccz .LBB190_138
.LBB190_105:
	s_andn2_b64 vcc, exec, s[40:41]
	s_cbranch_vccz .LBB190_139
.LBB190_106:
	s_andn2_b64 vcc, exec, s[42:43]
	v_mov_b32_e32 v16, 0
	v_mov_b32_e32 v29, 0
	s_cbranch_vccz .LBB190_140
.LBB190_107:
	s_andn2_b64 vcc, exec, s[44:45]
	s_cbranch_vccz .LBB190_141
.LBB190_108:
	s_andn2_b64 vcc, exec, s[46:47]
	v_mov_b32_e32 v17, 0
	v_mov_b32_e32 v31, 0
	s_cbranch_vccz .LBB190_142
.LBB190_109:
	s_andn2_b64 vcc, exec, s[48:49]
	s_cbranch_vccz .LBB190_143
.LBB190_110:
	s_andn2_b64 vcc, exec, s[50:51]
	v_mov_b32_e32 v18, 0
	v_mov_b32_e32 v32, 0
	s_cbranch_vccz .LBB190_144
.LBB190_111:
	s_andn2_b64 vcc, exec, s[52:53]
	s_cbranch_vccz .LBB190_145
.LBB190_112:
	s_andn2_b64 vcc, exec, s[54:55]
	v_mov_b32_e32 v19, 0
	v_mov_b32_e32 v33, 0
	s_cbranch_vccz .LBB190_146
.LBB190_113:
	s_andn2_b64 vcc, exec, s[56:57]
	s_cbranch_vccz .LBB190_147
.LBB190_114:
	s_andn2_b64 vcc, exec, s[58:59]
	v_mov_b32_e32 v20, 0
	v_mov_b32_e32 v34, 0
	s_cbranch_vccz .LBB190_148
.LBB190_115:
	s_andn2_b64 vcc, exec, s[60:61]
	s_cbranch_vccz .LBB190_149
.LBB190_116:
	s_andn2_b64 vcc, exec, s[64:65]
	v_mov_b32_e32 v25, 0
	v_mov_b32_e32 v35, 0
	s_cbranch_vccz .LBB190_150
.LBB190_117:
	s_andn2_b64 vcc, exec, s[66:67]
	s_cbranch_vccz .LBB190_151
.LBB190_118:
	s_andn2_b64 vcc, exec, s[68:69]
	v_mov_b32_e32 v30, 0
	s_cbranch_vccnz .LBB190_120
.LBB190_119:
	ds_read_b32 v9, v9 offset:124
	s_waitcnt lgkmcnt(0)
	v_mul_f32_e32 v30, v39, v9
.LBB190_120:
	v_add_f32_e32 v6, v6, v36
	v_add_f32_e32 v4, v6, v4
	;; [unrolled: 1-line block ×32, first 2 shown]
	v_mad_i64_i32 v[0:1], s[0:1], s33, v8, 0
	v_lshl_add_u64 v[0:1], v[0:1], 2, v[2:3]
	global_store_dword v[0:1], v4, off
.LBB190_121:
	s_endpgm
.LBB190_122:
	ds_read_b32 v4, v9 offset:4
	s_waitcnt lgkmcnt(0)
	v_mul_f32_e32 v4, v21, v4
	s_andn2_b64 vcc, exec, s[6:7]
	s_cbranch_vccnz .LBB190_90
.LBB190_123:
	ds_read_b32 v1, v9 offset:8
	s_waitcnt lgkmcnt(0)
	v_mul_f32_e32 v1, v0, v1
	s_andn2_b64 vcc, exec, s[8:9]
	v_mov_b32_e32 v0, 0
	v_mov_b32_e32 v5, 0
	s_cbranch_vccnz .LBB190_91
.LBB190_124:
	ds_read_b32 v5, v9 offset:12
	s_waitcnt lgkmcnt(0)
	v_mul_f32_e32 v5, v22, v5
	s_andn2_b64 vcc, exec, s[10:11]
	s_cbranch_vccnz .LBB190_92
.LBB190_125:
	ds_read_b32 v0, v9 offset:16
	s_waitcnt lgkmcnt(0)
	v_mul_f32_e32 v0, v7, v0
	s_andn2_b64 vcc, exec, s[12:13]
	v_mov_b32_e32 v7, 0
	v_mov_b32_e32 v21, 0
	s_cbranch_vccnz .LBB190_93
.LBB190_126:
	ds_read_b32 v21, v9 offset:20
	s_waitcnt lgkmcnt(0)
	v_mul_f32_e32 v21, v23, v21
	s_andn2_b64 vcc, exec, s[14:15]
	s_cbranch_vccnz .LBB190_94
.LBB190_127:
	ds_read_b32 v7, v9 offset:24
	s_waitcnt lgkmcnt(0)
	v_mul_f32_e32 v7, v10, v7
	s_andn2_b64 vcc, exec, s[16:17]
	v_mov_b32_e32 v10, 0
	v_mov_b32_e32 v22, 0
	s_cbranch_vccnz .LBB190_95
.LBB190_128:
	ds_read_b32 v22, v9 offset:28
	s_waitcnt lgkmcnt(0)
	v_mul_f32_e32 v22, v24, v22
	s_andn2_b64 vcc, exec, s[18:19]
	s_cbranch_vccnz .LBB190_96
.LBB190_129:
	ds_read_b32 v10, v9 offset:32
	s_waitcnt lgkmcnt(0)
	v_mul_f32_e32 v10, v11, v10
	s_andn2_b64 vcc, exec, s[20:21]
	v_mov_b32_e32 v11, 0
	v_mov_b32_e32 v23, 0
	s_cbranch_vccnz .LBB190_97
.LBB190_130:
	ds_read_b32 v23, v9 offset:36
	s_waitcnt lgkmcnt(0)
	v_mul_f32_e32 v23, v26, v23
	s_andn2_b64 vcc, exec, s[22:23]
	s_cbranch_vccnz .LBB190_98
.LBB190_131:
	ds_read_b32 v11, v9 offset:40
	s_waitcnt lgkmcnt(0)
	v_mul_f32_e32 v11, v12, v11
	s_andn2_b64 vcc, exec, s[24:25]
	v_mov_b32_e32 v12, 0
	v_mov_b32_e32 v24, 0
	s_cbranch_vccnz .LBB190_99
.LBB190_132:
	ds_read_b32 v24, v9 offset:44
	s_waitcnt lgkmcnt(0)
	v_mul_f32_e32 v24, v27, v24
	s_andn2_b64 vcc, exec, s[26:27]
	s_cbranch_vccnz .LBB190_100
.LBB190_133:
	ds_read_b32 v12, v9 offset:48
	s_waitcnt lgkmcnt(0)
	v_mul_f32_e32 v12, v13, v12
	s_andn2_b64 vcc, exec, s[28:29]
	v_mov_b32_e32 v13, 0
	v_mov_b32_e32 v26, 0
	s_cbranch_vccnz .LBB190_101
.LBB190_134:
	ds_read_b32 v26, v9 offset:52
	s_waitcnt lgkmcnt(0)
	v_mul_f32_e32 v26, v28, v26
	s_andn2_b64 vcc, exec, s[30:31]
	s_cbranch_vccnz .LBB190_102
.LBB190_135:
	ds_read_b32 v13, v9 offset:56
	s_waitcnt lgkmcnt(0)
	v_mul_f32_e32 v13, v14, v13
	s_andn2_b64 vcc, exec, s[34:35]
	v_mov_b32_e32 v14, 0
	v_mov_b32_e32 v27, 0
	s_cbranch_vccnz .LBB190_103
.LBB190_136:
	ds_read_b32 v27, v9 offset:60
	s_waitcnt lgkmcnt(0)
	v_mul_f32_e32 v27, v29, v27
	s_andn2_b64 vcc, exec, s[36:37]
	s_cbranch_vccnz .LBB190_104
.LBB190_137:
	ds_read_b32 v14, v9 offset:64
	s_waitcnt lgkmcnt(0)
	v_mul_f32_e32 v14, v15, v14
	s_andn2_b64 vcc, exec, s[38:39]
	v_mov_b32_e32 v15, 0
	v_mov_b32_e32 v28, 0
	s_cbranch_vccnz .LBB190_105
.LBB190_138:
	ds_read_b32 v28, v9 offset:68
	s_waitcnt lgkmcnt(0)
	v_mul_f32_e32 v28, v31, v28
	s_andn2_b64 vcc, exec, s[40:41]
	s_cbranch_vccnz .LBB190_106
.LBB190_139:
	ds_read_b32 v15, v9 offset:72
	s_waitcnt lgkmcnt(0)
	v_mul_f32_e32 v15, v16, v15
	s_andn2_b64 vcc, exec, s[42:43]
	v_mov_b32_e32 v16, 0
	v_mov_b32_e32 v29, 0
	s_cbranch_vccnz .LBB190_107
.LBB190_140:
	ds_read_b32 v29, v9 offset:76
	s_waitcnt lgkmcnt(0)
	v_mul_f32_e32 v29, v32, v29
	s_andn2_b64 vcc, exec, s[44:45]
	s_cbranch_vccnz .LBB190_108
.LBB190_141:
	ds_read_b32 v16, v9 offset:80
	s_waitcnt lgkmcnt(0)
	v_mul_f32_e32 v16, v17, v16
	s_andn2_b64 vcc, exec, s[46:47]
	v_mov_b32_e32 v17, 0
	v_mov_b32_e32 v31, 0
	s_cbranch_vccnz .LBB190_109
.LBB190_142:
	ds_read_b32 v31, v9 offset:84
	s_waitcnt lgkmcnt(0)
	v_mul_f32_e32 v31, v33, v31
	s_andn2_b64 vcc, exec, s[48:49]
	s_cbranch_vccnz .LBB190_110
.LBB190_143:
	ds_read_b32 v17, v9 offset:88
	s_waitcnt lgkmcnt(0)
	v_mul_f32_e32 v17, v18, v17
	s_andn2_b64 vcc, exec, s[50:51]
	v_mov_b32_e32 v18, 0
	v_mov_b32_e32 v32, 0
	s_cbranch_vccnz .LBB190_111
.LBB190_144:
	ds_read_b32 v32, v9 offset:92
	s_waitcnt lgkmcnt(0)
	v_mul_f32_e32 v32, v34, v32
	s_andn2_b64 vcc, exec, s[52:53]
	s_cbranch_vccnz .LBB190_112
.LBB190_145:
	ds_read_b32 v18, v9 offset:96
	s_waitcnt lgkmcnt(0)
	v_mul_f32_e32 v18, v19, v18
	s_andn2_b64 vcc, exec, s[54:55]
	v_mov_b32_e32 v19, 0
	v_mov_b32_e32 v33, 0
	s_cbranch_vccnz .LBB190_113
.LBB190_146:
	ds_read_b32 v33, v9 offset:100
	s_waitcnt lgkmcnt(0)
	v_mul_f32_e32 v33, v35, v33
	s_andn2_b64 vcc, exec, s[56:57]
	s_cbranch_vccnz .LBB190_114
.LBB190_147:
	ds_read_b32 v19, v9 offset:104
	s_waitcnt lgkmcnt(0)
	v_mul_f32_e32 v19, v20, v19
	s_andn2_b64 vcc, exec, s[58:59]
	v_mov_b32_e32 v20, 0
	v_mov_b32_e32 v34, 0
	s_cbranch_vccnz .LBB190_115
.LBB190_148:
	ds_read_b32 v34, v9 offset:108
	s_waitcnt lgkmcnt(0)
	v_mul_f32_e32 v34, v37, v34
	s_andn2_b64 vcc, exec, s[60:61]
	s_cbranch_vccnz .LBB190_116
.LBB190_149:
	ds_read_b32 v20, v9 offset:112
	s_waitcnt lgkmcnt(0)
	v_mul_f32_e32 v20, v25, v20
	s_andn2_b64 vcc, exec, s[64:65]
	v_mov_b32_e32 v25, 0
	v_mov_b32_e32 v35, 0
	s_cbranch_vccnz .LBB190_117
.LBB190_150:
	ds_read_b32 v35, v9 offset:116
	s_waitcnt lgkmcnt(0)
	v_mul_f32_e32 v35, v38, v35
	s_andn2_b64 vcc, exec, s[66:67]
	s_cbranch_vccnz .LBB190_118
.LBB190_151:
	ds_read_b32 v25, v9 offset:120
	s_waitcnt lgkmcnt(0)
	v_mul_f32_e32 v25, v30, v25
	s_andn2_b64 vcc, exec, s[68:69]
	v_mov_b32_e32 v30, 0
	s_cbranch_vccz .LBB190_119
	s_branch .LBB190_120
	.section	.rodata,"a",@progbits
	.p2align	6, 0x0
	.amdhsa_kernel _ZL34rocblas_gemvn_sm_mn_batched_kernelILi32ELi24EPKfS1_KPfEviiT2_lPKT1_lilS7_lilS4_lPT3_lili
		.amdhsa_group_segment_fixed_size 3072
		.amdhsa_private_segment_fixed_size 0
		.amdhsa_kernarg_size 400
		.amdhsa_user_sgpr_count 2
		.amdhsa_user_sgpr_dispatch_ptr 0
		.amdhsa_user_sgpr_queue_ptr 0
		.amdhsa_user_sgpr_kernarg_segment_ptr 1
		.amdhsa_user_sgpr_dispatch_id 0
		.amdhsa_user_sgpr_kernarg_preload_length 0
		.amdhsa_user_sgpr_kernarg_preload_offset 0
		.amdhsa_user_sgpr_private_segment_size 0
		.amdhsa_uses_dynamic_stack 0
		.amdhsa_enable_private_segment 0
		.amdhsa_system_sgpr_workgroup_id_x 1
		.amdhsa_system_sgpr_workgroup_id_y 0
		.amdhsa_system_sgpr_workgroup_id_z 0
		.amdhsa_system_sgpr_workgroup_info 0
		.amdhsa_system_vgpr_workitem_id 1
		.amdhsa_next_free_vgpr 42
		.amdhsa_next_free_sgpr 70
		.amdhsa_accum_offset 44
		.amdhsa_reserve_vcc 1
		.amdhsa_float_round_mode_32 0
		.amdhsa_float_round_mode_16_64 0
		.amdhsa_float_denorm_mode_32 3
		.amdhsa_float_denorm_mode_16_64 3
		.amdhsa_dx10_clamp 1
		.amdhsa_ieee_mode 1
		.amdhsa_fp16_overflow 0
		.amdhsa_tg_split 0
		.amdhsa_exception_fp_ieee_invalid_op 0
		.amdhsa_exception_fp_denorm_src 0
		.amdhsa_exception_fp_ieee_div_zero 0
		.amdhsa_exception_fp_ieee_overflow 0
		.amdhsa_exception_fp_ieee_underflow 0
		.amdhsa_exception_fp_ieee_inexact 0
		.amdhsa_exception_int_div_zero 0
	.end_amdhsa_kernel
	.section	.text._ZL34rocblas_gemvn_sm_mn_batched_kernelILi32ELi24EPKfS1_KPfEviiT2_lPKT1_lilS7_lilS4_lPT3_lili,"axG",@progbits,_ZL34rocblas_gemvn_sm_mn_batched_kernelILi32ELi24EPKfS1_KPfEviiT2_lPKT1_lilS7_lilS4_lPT3_lili,comdat
.Lfunc_end190:
	.size	_ZL34rocblas_gemvn_sm_mn_batched_kernelILi32ELi24EPKfS1_KPfEviiT2_lPKT1_lilS7_lilS4_lPT3_lili, .Lfunc_end190-_ZL34rocblas_gemvn_sm_mn_batched_kernelILi32ELi24EPKfS1_KPfEviiT2_lPKT1_lilS7_lilS4_lPT3_lili
                                        ; -- End function
	.section	.AMDGPU.csdata,"",@progbits
; Kernel info:
; codeLenInByte = 3420
; NumSgprs: 76
; NumVgprs: 42
; NumAgprs: 0
; TotalNumVgprs: 42
; ScratchSize: 0
; MemoryBound: 0
; FloatMode: 240
; IeeeMode: 1
; LDSByteSize: 3072 bytes/workgroup (compile time only)
; SGPRBlocks: 9
; VGPRBlocks: 5
; NumSGPRsForWavesPerEU: 76
; NumVGPRsForWavesPerEU: 42
; AccumOffset: 44
; Occupancy: 6
; WaveLimiterHint : 1
; COMPUTE_PGM_RSRC2:SCRATCH_EN: 0
; COMPUTE_PGM_RSRC2:USER_SGPR: 2
; COMPUTE_PGM_RSRC2:TRAP_HANDLER: 0
; COMPUTE_PGM_RSRC2:TGID_X_EN: 1
; COMPUTE_PGM_RSRC2:TGID_Y_EN: 0
; COMPUTE_PGM_RSRC2:TGID_Z_EN: 0
; COMPUTE_PGM_RSRC2:TIDIG_COMP_CNT: 1
; COMPUTE_PGM_RSRC3_GFX90A:ACCUM_OFFSET: 10
; COMPUTE_PGM_RSRC3_GFX90A:TG_SPLIT: 0
	.section	.text._ZL34rocblas_gemvn_sm_mn_batched_kernelILi32ELi24EPKffKPfEviiT2_lPKT1_lilS7_lilS4_lPT3_lili,"axG",@progbits,_ZL34rocblas_gemvn_sm_mn_batched_kernelILi32ELi24EPKffKPfEviiT2_lPKT1_lilS7_lilS4_lPT3_lili,comdat
	.globl	_ZL34rocblas_gemvn_sm_mn_batched_kernelILi32ELi24EPKffKPfEviiT2_lPKT1_lilS7_lilS4_lPT3_lili ; -- Begin function _ZL34rocblas_gemvn_sm_mn_batched_kernelILi32ELi24EPKffKPfEviiT2_lPKT1_lilS7_lilS4_lPT3_lili
	.p2align	8
	.type	_ZL34rocblas_gemvn_sm_mn_batched_kernelILi32ELi24EPKffKPfEviiT2_lPKT1_lilS7_lilS4_lPT3_lili,@function
_ZL34rocblas_gemvn_sm_mn_batched_kernelILi32ELi24EPKffKPfEviiT2_lPKT1_lilS7_lilS4_lPT3_lili: ; @_ZL34rocblas_gemvn_sm_mn_batched_kernelILi32ELi24EPKffKPfEviiT2_lPKT1_lilS7_lilS4_lPT3_lili
; %bb.0:
	s_load_dword s3, s[0:1], 0x9c
	s_load_dword s4, s[0:1], 0x88
	v_bfe_u32 v9, v0, 10, 10
	s_waitcnt lgkmcnt(0)
	s_lshr_b32 s3, s3, 16
	s_mul_i32 s2, s2, s3
	v_add_u32_e32 v2, s2, v9
	v_cmp_gt_i32_e32 vcc, s4, v2
	s_and_saveexec_b64 s[2:3], vcc
	s_cbranch_execz .LBB191_124
; %bb.1:
	s_load_dwordx4 s[4:7], s[0:1], 0x0
	s_waitcnt lgkmcnt(0)
	s_load_dword s7, s[0:1], 0x58
	v_cmp_eq_f32_e64 s[2:3], s6, 0
	s_waitcnt lgkmcnt(0)
	v_cmp_eq_f32_e64 s[8:9], s7, 1.0
	s_and_b64 s[8:9], s[2:3], s[8:9]
	s_and_b64 vcc, exec, s[8:9]
	s_cbranch_vccnz .LBB191_124
; %bb.2:
	v_cmp_neq_f32_e64 s[8:9], s6, 0
	s_and_b64 vcc, exec, s[8:9]
	s_cbranch_vccnz .LBB191_4
; %bb.3:
	v_mov_b32_e32 v3, 0
	s_mov_b64 s[12:13], 0
	v_mov_b64_e32 v[4:5], s[12:13]
	s_cbranch_execz .LBB191_5
	s_branch .LBB191_6
.LBB191_4:
                                        ; implicit-def: $sgpr12_sgpr13
	v_mov_b64_e32 v[4:5], s[12:13]
.LBB191_5:
	s_load_dwordx4 s[12:15], s[0:1], 0x18
	v_mov_b32_e32 v3, 0
	s_waitcnt lgkmcnt(0)
	v_mov_b32_e32 v4, s12
	v_mov_b32_e32 v5, s13
	v_lshl_add_u64 v[4:5], v[2:3], 3, v[4:5]
	global_load_dwordx2 v[4:5], v[4:5], off
	s_waitcnt vmcnt(0)
	v_lshl_add_u64 v[4:5], s[14:15], 2, v[4:5]
.LBB191_6:
	s_andn2_b64 vcc, exec, s[8:9]
	s_cbranch_vccnz .LBB191_8
; %bb.7:
	s_load_dwordx4 s[8:11], s[0:1], 0x38
	s_waitcnt lgkmcnt(0)
	v_mov_b32_e32 v6, s8
	v_mov_b32_e32 v7, s9
	v_lshl_add_u64 v[6:7], v[2:3], 3, v[6:7]
	global_load_dwordx2 v[6:7], v[6:7], off
	s_waitcnt vmcnt(0)
	v_lshl_add_u64 v[6:7], s[10:11], 2, v[6:7]
	s_branch .LBB191_9
.LBB191_8:
	v_mov_b64_e32 v[6:7], 0
.LBB191_9:
	s_load_dwordx4 s[8:11], s[0:1], 0x68
	s_load_dword s33, s[0:1], 0x78
	v_and_b32_e32 v8, 0x3ff, v0
	s_andn2_b64 vcc, exec, s[2:3]
	v_cmp_gt_i32_e64 s[2:3], s4, v8
	s_waitcnt lgkmcnt(0)
	v_mov_b32_e32 v10, s8
	v_mov_b32_e32 v11, s9
	v_lshl_add_u64 v[2:3], v[2:3], 3, v[10:11]
	global_load_dwordx2 v[2:3], v[2:3], off
	s_mov_b64 s[8:9], -1
	s_waitcnt vmcnt(0)
	v_lshl_add_u64 v[0:1], s[10:11], 2, v[2:3]
	s_cbranch_vccnz .LBB191_19
; %bb.10:
	v_cmp_eq_f32_e64 s[8:9], s7, 0
	s_and_b64 vcc, exec, s[8:9]
	s_cbranch_vccz .LBB191_14
; %bb.11:
	s_and_saveexec_b64 s[8:9], s[2:3]
	s_cbranch_execz .LBB191_13
; %bb.12:
	v_mad_i64_i32 v[2:3], s[10:11], s33, v8, 0
	v_lshl_add_u64 v[2:3], v[2:3], 2, v[0:1]
	v_mov_b32_e32 v10, 0
	global_store_dword v[2:3], v10, off
.LBB191_13:
	s_or_b64 exec, exec, s[8:9]
	s_cbranch_execz .LBB191_15
	s_branch .LBB191_18
.LBB191_14:
.LBB191_15:
	s_and_saveexec_b64 s[8:9], s[2:3]
	s_cbranch_execz .LBB191_17
; %bb.16:
	v_mad_i64_i32 v[2:3], s[2:3], s33, v8, 0
	v_lshl_add_u64 v[2:3], v[2:3], 2, v[0:1]
	global_load_dword v10, v[2:3], off
	s_waitcnt vmcnt(0)
	v_mul_f32_e32 v10, s7, v10
	global_store_dword v[2:3], v10, off
.LBB191_17:
	s_or_b64 exec, exec, s[8:9]
.LBB191_18:
	s_mov_b64 s[8:9], 0
.LBB191_19:
	s_andn2_b64 vcc, exec, s[8:9]
	s_cbranch_vccnz .LBB191_124
; %bb.20:
	v_lshlrev_b32_e32 v9, 7, v9
	v_cmp_gt_i32_e32 vcc, s5, v8
	s_and_saveexec_b64 s[2:3], vcc
	s_cbranch_execz .LBB191_22
; %bb.21:
	s_load_dword s8, s[0:1], 0x48
	s_waitcnt lgkmcnt(0)
	v_mad_i64_i32 v[2:3], s[8:9], s8, v8, 0
	v_lshl_add_u64 v[2:3], v[2:3], 2, v[6:7]
	flat_load_dword v2, v[2:3]
	v_lshl_add_u32 v3, v8, 2, v9
	s_waitcnt vmcnt(0) lgkmcnt(0)
	v_mul_f32_e32 v2, s6, v2
	ds_write_b32 v3, v2
.LBB191_22:
	s_or_b64 exec, exec, s[2:3]
	v_cmp_gt_i32_e32 vcc, s4, v8
	s_waitcnt lgkmcnt(0)
	s_barrier
	s_and_b64 exec, exec, vcc
	s_cbranch_execz .LBB191_124
; %bb.23:
	v_cmp_eq_f32_e64 s[2:3], s7, 0
	v_mov_b32_e32 v6, 0
	v_mov_b32_e32 v3, 0
	s_and_b64 vcc, exec, s[2:3]
	s_cbranch_vccnz .LBB191_25
; %bb.24:
	v_mad_i64_i32 v[6:7], s[2:3], s33, v8, 0
	v_lshl_add_u64 v[6:7], v[6:7], 2, v[0:1]
	global_load_dword v2, v[6:7], off
	s_waitcnt vmcnt(0)
	v_mul_f32_e32 v6, s7, v2
.LBB191_25:
	v_lshlrev_b32_e32 v2, 2, v8
	s_cmp_gt_i32 s5, 0
	s_cselect_b64 s[2:3], -1, 0
	s_cmp_lt_i32 s5, 1
	v_lshl_add_u64 v[4:5], v[4:5], 0, v[2:3]
	s_cbranch_scc1 .LBB191_27
; %bb.26:
	flat_load_dword v3, v[4:5]
.LBB191_27:
	s_load_dword s62, s[0:1], 0x28
	v_mov_b32_e32 v2, 0
	v_mov_b32_e32 v21, 0
	s_waitcnt lgkmcnt(0)
	s_ashr_i32 s63, s62, 31
	s_cmp_gt_i32 s5, 1
	s_cselect_b64 s[0:1], -1, 0
	s_cmp_lt_i32 s5, 2
	s_cbranch_scc1 .LBB191_29
; %bb.28:
	v_lshl_add_u64 v[10:11], s[62:63], 2, v[4:5]
	flat_load_dword v21, v[10:11]
.LBB191_29:
	s_cmp_gt_i32 s5, 2
	s_cselect_b64 s[6:7], -1, 0
	s_cmp_lt_i32 s5, 3
	s_cbranch_scc1 .LBB191_31
; %bb.30:
	v_lshl_add_u64 v[10:11], s[62:63], 3, v[4:5]
	flat_load_dword v2, v[10:11]
.LBB191_31:
	s_cmp_gt_i32 s5, 3
	s_cselect_b64 s[8:9], -1, 0
	s_cmp_lt_i32 s5, 4
	v_mov_b32_e32 v7, 0
	v_mov_b32_e32 v22, 0
	s_cbranch_scc1 .LBB191_33
; %bb.32:
	v_mad_i64_i32 v[10:11], s[10:11], s62, 12, v[4:5]
	flat_load_dword v22, v[10:11]
.LBB191_33:
	s_cmp_gt_i32 s5, 4
	s_cselect_b64 s[10:11], -1, 0
	s_cmp_lt_i32 s5, 5
	s_cbranch_scc1 .LBB191_35
; %bb.34:
	v_lshl_add_u64 v[10:11], s[62:63], 4, v[4:5]
	flat_load_dword v7, v[10:11]
.LBB191_35:
	s_cmp_gt_i32 s5, 5
	s_cselect_b64 s[12:13], -1, 0
	s_cmp_lt_i32 s5, 6
	v_mov_b32_e32 v10, 0
	v_mov_b32_e32 v23, 0
	s_cbranch_scc1 .LBB191_37
; %bb.36:
	v_mad_i64_i32 v[12:13], s[14:15], s62, 20, v[4:5]
	flat_load_dword v23, v[12:13]
.LBB191_37:
	s_cmp_gt_i32 s5, 6
	s_cselect_b64 s[14:15], -1, 0
	s_cmp_lt_i32 s5, 7
	s_cbranch_scc1 .LBB191_39
; %bb.38:
	v_mad_i64_i32 v[10:11], s[16:17], s62, 24, v[4:5]
	flat_load_dword v10, v[10:11]
.LBB191_39:
	s_cmp_gt_i32 s5, 7
	s_cselect_b64 s[16:17], -1, 0
	s_cmp_lt_i32 s5, 8
	v_mov_b32_e32 v11, 0
	v_mov_b32_e32 v24, 0
	s_cbranch_scc1 .LBB191_41
; %bb.40:
	v_mad_i64_i32 v[12:13], s[18:19], s62, 28, v[4:5]
	flat_load_dword v24, v[12:13]
.LBB191_41:
	s_cmp_gt_i32 s5, 8
	s_cselect_b64 s[18:19], -1, 0
	s_cmp_lt_i32 s5, 9
	s_cbranch_scc1 .LBB191_43
; %bb.42:
	s_lshl_b64 s[20:21], s[62:63], 5
	v_lshl_add_u64 v[12:13], v[4:5], 0, s[20:21]
	flat_load_dword v11, v[12:13]
.LBB191_43:
	s_cmp_gt_i32 s5, 9
	s_cselect_b64 s[20:21], -1, 0
	s_cmp_lt_i32 s5, 10
	v_mov_b32_e32 v12, 0
	v_mov_b32_e32 v26, 0
	s_cbranch_scc1 .LBB191_45
; %bb.44:
	v_mad_i64_i32 v[14:15], s[22:23], s62, 36, v[4:5]
	flat_load_dword v26, v[14:15]
.LBB191_45:
	s_cmp_gt_i32 s5, 10
	s_cselect_b64 s[22:23], -1, 0
	s_cmp_lt_i32 s5, 11
	s_cbranch_scc1 .LBB191_47
; %bb.46:
	v_mad_i64_i32 v[12:13], s[24:25], s62, 40, v[4:5]
	flat_load_dword v12, v[12:13]
.LBB191_47:
	s_cmp_gt_i32 s5, 11
	s_cselect_b64 s[24:25], -1, 0
	s_cmp_lt_i32 s5, 12
	v_mov_b32_e32 v13, 0
	v_mov_b32_e32 v27, 0
	s_cbranch_scc1 .LBB191_49
; %bb.48:
	v_mad_i64_i32 v[14:15], s[26:27], s62, 44, v[4:5]
	flat_load_dword v27, v[14:15]
.LBB191_49:
	s_cmp_gt_i32 s5, 12
	s_cselect_b64 s[26:27], -1, 0
	s_cmp_lt_i32 s5, 13
	s_cbranch_scc1 .LBB191_51
; %bb.50:
	v_mad_i64_i32 v[14:15], s[28:29], s62, 48, v[4:5]
	flat_load_dword v13, v[14:15]
.LBB191_51:
	;; [unrolled: 18-line block ×3, first 2 shown]
	s_cmp_gt_i32 s5, 15
	s_cselect_b64 s[34:35], -1, 0
	s_cmp_lt_i32 s5, 16
	v_mov_b32_e32 v15, 0
	v_mov_b32_e32 v29, 0
	s_cbranch_scc1 .LBB191_57
; %bb.56:
	v_mad_i64_i32 v[16:17], s[36:37], s62, 60, v[4:5]
	flat_load_dword v29, v[16:17]
.LBB191_57:
	s_cmp_gt_i32 s5, 16
	s_cselect_b64 s[36:37], -1, 0
	s_cmp_lt_i32 s5, 17
	s_cbranch_scc1 .LBB191_59
; %bb.58:
	s_lshl_b64 s[38:39], s[62:63], 6
	v_lshl_add_u64 v[16:17], v[4:5], 0, s[38:39]
	flat_load_dword v15, v[16:17]
.LBB191_59:
	s_cmp_gt_i32 s5, 17
	s_cselect_b64 s[38:39], -1, 0
	s_cmp_lt_i32 s5, 18
	v_mov_b32_e32 v16, 0
	v_mov_b32_e32 v31, 0
	s_cbranch_scc1 .LBB191_61
; %bb.60:
	v_mov_b32_e32 v17, 0x44
	v_mad_i64_i32 v[18:19], s[40:41], s62, v17, v[4:5]
	flat_load_dword v31, v[18:19]
.LBB191_61:
	s_cmp_gt_i32 s5, 18
	s_cselect_b64 s[40:41], -1, 0
	s_cmp_lt_i32 s5, 19
	s_cbranch_scc1 .LBB191_63
; %bb.62:
	v_mov_b32_e32 v16, 0x48
	v_mad_i64_i32 v[16:17], s[42:43], s62, v16, v[4:5]
	flat_load_dword v16, v[16:17]
.LBB191_63:
	s_cmp_gt_i32 s5, 19
	s_cselect_b64 s[42:43], -1, 0
	s_cmp_lt_i32 s5, 20
	v_mov_b32_e32 v17, 0
	v_mov_b32_e32 v32, 0
	s_cbranch_scc1 .LBB191_65
; %bb.64:
	v_mov_b32_e32 v18, 0x4c
	v_mad_i64_i32 v[18:19], s[44:45], s62, v18, v[4:5]
	flat_load_dword v32, v[18:19]
.LBB191_65:
	s_cmp_gt_i32 s5, 20
	s_cselect_b64 s[44:45], -1, 0
	s_cmp_lt_i32 s5, 21
	s_cbranch_scc1 .LBB191_67
; %bb.66:
	v_mov_b32_e32 v17, 0x50
	v_mad_i64_i32 v[18:19], s[46:47], s62, v17, v[4:5]
	flat_load_dword v17, v[18:19]
.LBB191_67:
	;; [unrolled: 20-line block ×7, first 2 shown]
	s_cmp_gt_i32 s5, 31
	s_cselect_b64 s[68:69], -1, 0
	s_cmp_lt_i32 s5, 32
	v_mov_b32_e32 v36, 0
	v_mov_b32_e32 v39, 0
	s_cbranch_scc1 .LBB191_89
; %bb.88:
	v_mov_b32_e32 v39, 0x7c
	v_mad_i64_i32 v[4:5], s[4:5], s62, v39, v[4:5]
	flat_load_dword v39, v[4:5]
.LBB191_89:
	s_andn2_b64 vcc, exec, s[2:3]
	s_cbranch_vccnz .LBB191_91
; %bb.90:
	ds_read_b32 v4, v9
	s_waitcnt vmcnt(0) lgkmcnt(0)
	v_mul_f32_e32 v36, v3, v4
.LBB191_91:
	s_andn2_b64 vcc, exec, s[0:1]
	s_waitcnt vmcnt(0)
	v_mov_b32_e32 v3, 0
	v_mov_b32_e32 v4, 0
	s_cbranch_vccz .LBB191_125
; %bb.92:
	s_andn2_b64 vcc, exec, s[6:7]
	s_cbranch_vccz .LBB191_126
.LBB191_93:
	s_andn2_b64 vcc, exec, s[8:9]
	s_waitcnt lgkmcnt(0)
	v_mov_b32_e32 v2, 0
	v_mov_b32_e32 v5, 0
	s_cbranch_vccz .LBB191_127
.LBB191_94:
	s_andn2_b64 vcc, exec, s[10:11]
	s_cbranch_vccz .LBB191_128
.LBB191_95:
	s_andn2_b64 vcc, exec, s[12:13]
	v_mov_b32_e32 v7, 0
	v_mov_b32_e32 v21, 0
	s_cbranch_vccz .LBB191_129
.LBB191_96:
	s_andn2_b64 vcc, exec, s[14:15]
	s_cbranch_vccz .LBB191_130
.LBB191_97:
	s_andn2_b64 vcc, exec, s[16:17]
	v_mov_b32_e32 v10, 0
	v_mov_b32_e32 v22, 0
	s_cbranch_vccz .LBB191_131
.LBB191_98:
	s_andn2_b64 vcc, exec, s[18:19]
	s_cbranch_vccz .LBB191_132
.LBB191_99:
	s_andn2_b64 vcc, exec, s[20:21]
	v_mov_b32_e32 v11, 0
	v_mov_b32_e32 v23, 0
	s_cbranch_vccz .LBB191_133
.LBB191_100:
	s_andn2_b64 vcc, exec, s[22:23]
	s_cbranch_vccz .LBB191_134
.LBB191_101:
	s_andn2_b64 vcc, exec, s[24:25]
	v_mov_b32_e32 v12, 0
	v_mov_b32_e32 v24, 0
	s_cbranch_vccz .LBB191_135
.LBB191_102:
	s_andn2_b64 vcc, exec, s[26:27]
	s_cbranch_vccz .LBB191_136
.LBB191_103:
	s_andn2_b64 vcc, exec, s[28:29]
	v_mov_b32_e32 v13, 0
	v_mov_b32_e32 v26, 0
	s_cbranch_vccz .LBB191_137
.LBB191_104:
	s_andn2_b64 vcc, exec, s[30:31]
	s_cbranch_vccz .LBB191_138
.LBB191_105:
	s_andn2_b64 vcc, exec, s[34:35]
	v_mov_b32_e32 v14, 0
	v_mov_b32_e32 v27, 0
	s_cbranch_vccz .LBB191_139
.LBB191_106:
	s_andn2_b64 vcc, exec, s[36:37]
	s_cbranch_vccz .LBB191_140
.LBB191_107:
	s_andn2_b64 vcc, exec, s[38:39]
	v_mov_b32_e32 v15, 0
	v_mov_b32_e32 v28, 0
	s_cbranch_vccz .LBB191_141
.LBB191_108:
	s_andn2_b64 vcc, exec, s[40:41]
	s_cbranch_vccz .LBB191_142
.LBB191_109:
	s_andn2_b64 vcc, exec, s[42:43]
	v_mov_b32_e32 v16, 0
	v_mov_b32_e32 v29, 0
	s_cbranch_vccz .LBB191_143
.LBB191_110:
	s_andn2_b64 vcc, exec, s[44:45]
	s_cbranch_vccz .LBB191_144
.LBB191_111:
	s_andn2_b64 vcc, exec, s[46:47]
	v_mov_b32_e32 v17, 0
	v_mov_b32_e32 v31, 0
	s_cbranch_vccz .LBB191_145
.LBB191_112:
	s_andn2_b64 vcc, exec, s[48:49]
	s_cbranch_vccz .LBB191_146
.LBB191_113:
	s_andn2_b64 vcc, exec, s[50:51]
	v_mov_b32_e32 v18, 0
	v_mov_b32_e32 v32, 0
	s_cbranch_vccz .LBB191_147
.LBB191_114:
	s_andn2_b64 vcc, exec, s[52:53]
	s_cbranch_vccz .LBB191_148
.LBB191_115:
	s_andn2_b64 vcc, exec, s[54:55]
	v_mov_b32_e32 v19, 0
	v_mov_b32_e32 v33, 0
	s_cbranch_vccz .LBB191_149
.LBB191_116:
	s_andn2_b64 vcc, exec, s[56:57]
	s_cbranch_vccz .LBB191_150
.LBB191_117:
	s_andn2_b64 vcc, exec, s[58:59]
	v_mov_b32_e32 v20, 0
	v_mov_b32_e32 v34, 0
	s_cbranch_vccz .LBB191_151
.LBB191_118:
	s_andn2_b64 vcc, exec, s[60:61]
	s_cbranch_vccz .LBB191_152
.LBB191_119:
	s_andn2_b64 vcc, exec, s[64:65]
	v_mov_b32_e32 v25, 0
	v_mov_b32_e32 v35, 0
	s_cbranch_vccz .LBB191_153
.LBB191_120:
	s_andn2_b64 vcc, exec, s[66:67]
	s_cbranch_vccz .LBB191_154
.LBB191_121:
	s_andn2_b64 vcc, exec, s[68:69]
	v_mov_b32_e32 v30, 0
	s_cbranch_vccnz .LBB191_123
.LBB191_122:
	ds_read_b32 v9, v9 offset:124
	s_waitcnt lgkmcnt(0)
	v_mul_f32_e32 v30, v39, v9
.LBB191_123:
	v_add_f32_e32 v6, v6, v36
	v_add_f32_e32 v4, v6, v4
	;; [unrolled: 1-line block ×32, first 2 shown]
	v_mad_i64_i32 v[2:3], s[0:1], s33, v8, 0
	v_lshl_add_u64 v[0:1], v[2:3], 2, v[0:1]
	global_store_dword v[0:1], v4, off
.LBB191_124:
	s_endpgm
.LBB191_125:
	ds_read_b32 v4, v9 offset:4
	s_waitcnt lgkmcnt(0)
	v_mul_f32_e32 v4, v21, v4
	s_andn2_b64 vcc, exec, s[6:7]
	s_cbranch_vccnz .LBB191_93
.LBB191_126:
	ds_read_b32 v3, v9 offset:8
	s_waitcnt lgkmcnt(0)
	v_mul_f32_e32 v3, v2, v3
	s_andn2_b64 vcc, exec, s[8:9]
	v_mov_b32_e32 v2, 0
	v_mov_b32_e32 v5, 0
	s_cbranch_vccnz .LBB191_94
.LBB191_127:
	ds_read_b32 v5, v9 offset:12
	s_waitcnt lgkmcnt(0)
	v_mul_f32_e32 v5, v22, v5
	s_andn2_b64 vcc, exec, s[10:11]
	s_cbranch_vccnz .LBB191_95
.LBB191_128:
	ds_read_b32 v2, v9 offset:16
	s_waitcnt lgkmcnt(0)
	v_mul_f32_e32 v2, v7, v2
	s_andn2_b64 vcc, exec, s[12:13]
	v_mov_b32_e32 v7, 0
	v_mov_b32_e32 v21, 0
	s_cbranch_vccnz .LBB191_96
.LBB191_129:
	ds_read_b32 v21, v9 offset:20
	s_waitcnt lgkmcnt(0)
	v_mul_f32_e32 v21, v23, v21
	s_andn2_b64 vcc, exec, s[14:15]
	s_cbranch_vccnz .LBB191_97
.LBB191_130:
	ds_read_b32 v7, v9 offset:24
	s_waitcnt lgkmcnt(0)
	v_mul_f32_e32 v7, v10, v7
	s_andn2_b64 vcc, exec, s[16:17]
	v_mov_b32_e32 v10, 0
	v_mov_b32_e32 v22, 0
	s_cbranch_vccnz .LBB191_98
.LBB191_131:
	ds_read_b32 v22, v9 offset:28
	s_waitcnt lgkmcnt(0)
	v_mul_f32_e32 v22, v24, v22
	s_andn2_b64 vcc, exec, s[18:19]
	s_cbranch_vccnz .LBB191_99
.LBB191_132:
	ds_read_b32 v10, v9 offset:32
	s_waitcnt lgkmcnt(0)
	v_mul_f32_e32 v10, v11, v10
	s_andn2_b64 vcc, exec, s[20:21]
	v_mov_b32_e32 v11, 0
	v_mov_b32_e32 v23, 0
	s_cbranch_vccnz .LBB191_100
.LBB191_133:
	ds_read_b32 v23, v9 offset:36
	s_waitcnt lgkmcnt(0)
	v_mul_f32_e32 v23, v26, v23
	s_andn2_b64 vcc, exec, s[22:23]
	s_cbranch_vccnz .LBB191_101
.LBB191_134:
	ds_read_b32 v11, v9 offset:40
	s_waitcnt lgkmcnt(0)
	v_mul_f32_e32 v11, v12, v11
	s_andn2_b64 vcc, exec, s[24:25]
	v_mov_b32_e32 v12, 0
	v_mov_b32_e32 v24, 0
	s_cbranch_vccnz .LBB191_102
.LBB191_135:
	ds_read_b32 v24, v9 offset:44
	s_waitcnt lgkmcnt(0)
	v_mul_f32_e32 v24, v27, v24
	s_andn2_b64 vcc, exec, s[26:27]
	s_cbranch_vccnz .LBB191_103
.LBB191_136:
	ds_read_b32 v12, v9 offset:48
	s_waitcnt lgkmcnt(0)
	v_mul_f32_e32 v12, v13, v12
	s_andn2_b64 vcc, exec, s[28:29]
	v_mov_b32_e32 v13, 0
	v_mov_b32_e32 v26, 0
	s_cbranch_vccnz .LBB191_104
.LBB191_137:
	ds_read_b32 v26, v9 offset:52
	s_waitcnt lgkmcnt(0)
	v_mul_f32_e32 v26, v28, v26
	s_andn2_b64 vcc, exec, s[30:31]
	s_cbranch_vccnz .LBB191_105
.LBB191_138:
	ds_read_b32 v13, v9 offset:56
	s_waitcnt lgkmcnt(0)
	v_mul_f32_e32 v13, v14, v13
	s_andn2_b64 vcc, exec, s[34:35]
	v_mov_b32_e32 v14, 0
	v_mov_b32_e32 v27, 0
	s_cbranch_vccnz .LBB191_106
.LBB191_139:
	ds_read_b32 v27, v9 offset:60
	s_waitcnt lgkmcnt(0)
	v_mul_f32_e32 v27, v29, v27
	s_andn2_b64 vcc, exec, s[36:37]
	s_cbranch_vccnz .LBB191_107
.LBB191_140:
	ds_read_b32 v14, v9 offset:64
	s_waitcnt lgkmcnt(0)
	v_mul_f32_e32 v14, v15, v14
	s_andn2_b64 vcc, exec, s[38:39]
	v_mov_b32_e32 v15, 0
	v_mov_b32_e32 v28, 0
	s_cbranch_vccnz .LBB191_108
.LBB191_141:
	ds_read_b32 v28, v9 offset:68
	s_waitcnt lgkmcnt(0)
	v_mul_f32_e32 v28, v31, v28
	s_andn2_b64 vcc, exec, s[40:41]
	s_cbranch_vccnz .LBB191_109
.LBB191_142:
	ds_read_b32 v15, v9 offset:72
	s_waitcnt lgkmcnt(0)
	v_mul_f32_e32 v15, v16, v15
	s_andn2_b64 vcc, exec, s[42:43]
	v_mov_b32_e32 v16, 0
	v_mov_b32_e32 v29, 0
	s_cbranch_vccnz .LBB191_110
.LBB191_143:
	ds_read_b32 v29, v9 offset:76
	s_waitcnt lgkmcnt(0)
	v_mul_f32_e32 v29, v32, v29
	s_andn2_b64 vcc, exec, s[44:45]
	s_cbranch_vccnz .LBB191_111
.LBB191_144:
	ds_read_b32 v16, v9 offset:80
	s_waitcnt lgkmcnt(0)
	v_mul_f32_e32 v16, v17, v16
	s_andn2_b64 vcc, exec, s[46:47]
	v_mov_b32_e32 v17, 0
	v_mov_b32_e32 v31, 0
	s_cbranch_vccnz .LBB191_112
.LBB191_145:
	ds_read_b32 v31, v9 offset:84
	s_waitcnt lgkmcnt(0)
	v_mul_f32_e32 v31, v33, v31
	s_andn2_b64 vcc, exec, s[48:49]
	s_cbranch_vccnz .LBB191_113
.LBB191_146:
	ds_read_b32 v17, v9 offset:88
	s_waitcnt lgkmcnt(0)
	v_mul_f32_e32 v17, v18, v17
	s_andn2_b64 vcc, exec, s[50:51]
	v_mov_b32_e32 v18, 0
	v_mov_b32_e32 v32, 0
	s_cbranch_vccnz .LBB191_114
.LBB191_147:
	ds_read_b32 v32, v9 offset:92
	s_waitcnt lgkmcnt(0)
	v_mul_f32_e32 v32, v34, v32
	s_andn2_b64 vcc, exec, s[52:53]
	s_cbranch_vccnz .LBB191_115
.LBB191_148:
	ds_read_b32 v18, v9 offset:96
	s_waitcnt lgkmcnt(0)
	v_mul_f32_e32 v18, v19, v18
	s_andn2_b64 vcc, exec, s[54:55]
	v_mov_b32_e32 v19, 0
	v_mov_b32_e32 v33, 0
	s_cbranch_vccnz .LBB191_116
.LBB191_149:
	ds_read_b32 v33, v9 offset:100
	s_waitcnt lgkmcnt(0)
	v_mul_f32_e32 v33, v35, v33
	s_andn2_b64 vcc, exec, s[56:57]
	s_cbranch_vccnz .LBB191_117
.LBB191_150:
	ds_read_b32 v19, v9 offset:104
	s_waitcnt lgkmcnt(0)
	v_mul_f32_e32 v19, v20, v19
	s_andn2_b64 vcc, exec, s[58:59]
	v_mov_b32_e32 v20, 0
	v_mov_b32_e32 v34, 0
	s_cbranch_vccnz .LBB191_118
.LBB191_151:
	ds_read_b32 v34, v9 offset:108
	s_waitcnt lgkmcnt(0)
	v_mul_f32_e32 v34, v37, v34
	s_andn2_b64 vcc, exec, s[60:61]
	s_cbranch_vccnz .LBB191_119
.LBB191_152:
	ds_read_b32 v20, v9 offset:112
	s_waitcnt lgkmcnt(0)
	v_mul_f32_e32 v20, v25, v20
	s_andn2_b64 vcc, exec, s[64:65]
	v_mov_b32_e32 v25, 0
	v_mov_b32_e32 v35, 0
	s_cbranch_vccnz .LBB191_120
.LBB191_153:
	ds_read_b32 v35, v9 offset:116
	s_waitcnt lgkmcnt(0)
	v_mul_f32_e32 v35, v38, v35
	s_andn2_b64 vcc, exec, s[66:67]
	s_cbranch_vccnz .LBB191_121
.LBB191_154:
	ds_read_b32 v25, v9 offset:120
	s_waitcnt lgkmcnt(0)
	v_mul_f32_e32 v25, v30, v25
	s_andn2_b64 vcc, exec, s[68:69]
	v_mov_b32_e32 v30, 0
	s_cbranch_vccz .LBB191_122
	s_branch .LBB191_123
	.section	.rodata,"a",@progbits
	.p2align	6, 0x0
	.amdhsa_kernel _ZL34rocblas_gemvn_sm_mn_batched_kernelILi32ELi24EPKffKPfEviiT2_lPKT1_lilS7_lilS4_lPT3_lili
		.amdhsa_group_segment_fixed_size 3072
		.amdhsa_private_segment_fixed_size 0
		.amdhsa_kernarg_size 400
		.amdhsa_user_sgpr_count 2
		.amdhsa_user_sgpr_dispatch_ptr 0
		.amdhsa_user_sgpr_queue_ptr 0
		.amdhsa_user_sgpr_kernarg_segment_ptr 1
		.amdhsa_user_sgpr_dispatch_id 0
		.amdhsa_user_sgpr_kernarg_preload_length 0
		.amdhsa_user_sgpr_kernarg_preload_offset 0
		.amdhsa_user_sgpr_private_segment_size 0
		.amdhsa_uses_dynamic_stack 0
		.amdhsa_enable_private_segment 0
		.amdhsa_system_sgpr_workgroup_id_x 1
		.amdhsa_system_sgpr_workgroup_id_y 0
		.amdhsa_system_sgpr_workgroup_id_z 0
		.amdhsa_system_sgpr_workgroup_info 0
		.amdhsa_system_vgpr_workitem_id 1
		.amdhsa_next_free_vgpr 42
		.amdhsa_next_free_sgpr 70
		.amdhsa_accum_offset 44
		.amdhsa_reserve_vcc 1
		.amdhsa_float_round_mode_32 0
		.amdhsa_float_round_mode_16_64 0
		.amdhsa_float_denorm_mode_32 3
		.amdhsa_float_denorm_mode_16_64 3
		.amdhsa_dx10_clamp 1
		.amdhsa_ieee_mode 1
		.amdhsa_fp16_overflow 0
		.amdhsa_tg_split 0
		.amdhsa_exception_fp_ieee_invalid_op 0
		.amdhsa_exception_fp_denorm_src 0
		.amdhsa_exception_fp_ieee_div_zero 0
		.amdhsa_exception_fp_ieee_overflow 0
		.amdhsa_exception_fp_ieee_underflow 0
		.amdhsa_exception_fp_ieee_inexact 0
		.amdhsa_exception_int_div_zero 0
	.end_amdhsa_kernel
	.section	.text._ZL34rocblas_gemvn_sm_mn_batched_kernelILi32ELi24EPKffKPfEviiT2_lPKT1_lilS7_lilS4_lPT3_lili,"axG",@progbits,_ZL34rocblas_gemvn_sm_mn_batched_kernelILi32ELi24EPKffKPfEviiT2_lPKT1_lilS7_lilS4_lPT3_lili,comdat
.Lfunc_end191:
	.size	_ZL34rocblas_gemvn_sm_mn_batched_kernelILi32ELi24EPKffKPfEviiT2_lPKT1_lilS7_lilS4_lPT3_lili, .Lfunc_end191-_ZL34rocblas_gemvn_sm_mn_batched_kernelILi32ELi24EPKffKPfEviiT2_lPKT1_lilS7_lilS4_lPT3_lili
                                        ; -- End function
	.section	.AMDGPU.csdata,"",@progbits
; Kernel info:
; codeLenInByte = 3344
; NumSgprs: 76
; NumVgprs: 42
; NumAgprs: 0
; TotalNumVgprs: 42
; ScratchSize: 0
; MemoryBound: 0
; FloatMode: 240
; IeeeMode: 1
; LDSByteSize: 3072 bytes/workgroup (compile time only)
; SGPRBlocks: 9
; VGPRBlocks: 5
; NumSGPRsForWavesPerEU: 76
; NumVGPRsForWavesPerEU: 42
; AccumOffset: 44
; Occupancy: 6
; WaveLimiterHint : 1
; COMPUTE_PGM_RSRC2:SCRATCH_EN: 0
; COMPUTE_PGM_RSRC2:USER_SGPR: 2
; COMPUTE_PGM_RSRC2:TRAP_HANDLER: 0
; COMPUTE_PGM_RSRC2:TGID_X_EN: 1
; COMPUTE_PGM_RSRC2:TGID_Y_EN: 0
; COMPUTE_PGM_RSRC2:TGID_Z_EN: 0
; COMPUTE_PGM_RSRC2:TIDIG_COMP_CNT: 1
; COMPUTE_PGM_RSRC3_GFX90A:ACCUM_OFFSET: 10
; COMPUTE_PGM_RSRC3_GFX90A:TG_SPLIT: 0
	.section	.text._ZL20rocblas_gemvn_kernelILi64ELi4EiPKfS1_KPfEviiT3_lPKT2_lT1_lS7_lS8_lS4_lPT4_lS8_li,"axG",@progbits,_ZL20rocblas_gemvn_kernelILi64ELi4EiPKfS1_KPfEviiT3_lPKT2_lT1_lS7_lS8_lS4_lPT4_lS8_li,comdat
	.globl	_ZL20rocblas_gemvn_kernelILi64ELi4EiPKfS1_KPfEviiT3_lPKT2_lT1_lS7_lS8_lS4_lPT4_lS8_li ; -- Begin function _ZL20rocblas_gemvn_kernelILi64ELi4EiPKfS1_KPfEviiT3_lPKT2_lT1_lS7_lS8_lS4_lPT4_lS8_li
	.p2align	8
	.type	_ZL20rocblas_gemvn_kernelILi64ELi4EiPKfS1_KPfEviiT3_lPKT2_lT1_lS7_lS8_lS4_lPT4_lS8_li,@function
_ZL20rocblas_gemvn_kernelILi64ELi4EiPKfS1_KPfEviiT3_lPKT2_lT1_lS7_lS8_lS4_lPT4_lS8_li: ; @_ZL20rocblas_gemvn_kernelILi64ELi4EiPKfS1_KPfEviiT3_lPKT2_lT1_lS7_lS8_lS4_lPT4_lS8_li
; %bb.0:
	s_load_dwordx2 s[4:5], s[0:1], 0x9c
	s_mov_b32 s22, s3
	s_waitcnt lgkmcnt(0)
	s_and_b32 s3, s5, 0xffff
	s_lshr_b32 s5, s4, 16
	s_and_b32 s4, s4, 0xffff
	s_mul_i32 s4, s5, s4
	s_mul_i32 s4, s4, s3
	s_cmpk_lg_i32 s4, 0x100
	s_cbranch_scc1 .LBB192_54
; %bb.1:
	s_load_dwordx8 s[12:19], s[0:1], 0x8
	s_load_dwordx8 s[4:11], s[0:1], 0x58
	s_waitcnt lgkmcnt(0)
	s_mul_i32 s3, s22, s15
	s_mul_hi_u32 s15, s22, s14
	s_mul_i32 s14, s22, s14
	s_add_i32 s15, s15, s3
	s_lshl_b64 s[14:15], s[14:15], 2
	s_mul_i32 s7, s22, s7
	s_add_u32 s12, s12, s14
	s_mul_hi_u32 s3, s22, s6
	s_addc_u32 s13, s13, s15
	s_add_i32 s7, s3, s7
	s_mul_i32 s6, s22, s6
	s_lshl_b64 s[6:7], s[6:7], 2
	s_add_u32 s4, s4, s6
	s_addc_u32 s5, s5, s7
	s_load_dword s29, s[12:13], 0x0
	s_load_dword s28, s[4:5], 0x0
	s_waitcnt lgkmcnt(0)
	v_cmp_eq_f32_e64 s[4:5], s29, 0
	v_cmp_eq_f32_e64 s[6:7], s28, 1.0
	s_and_b64 s[6:7], s[4:5], s[6:7]
	s_and_b64 vcc, exec, s[6:7]
	s_cbranch_vccnz .LBB192_54
; %bb.2:
	s_mov_b32 s23, 0
	v_cmp_neq_f32_e64 s[6:7], s29, 0
	s_mov_b64 s[20:21], 0
	s_and_b64 vcc, exec, s[4:5]
	s_mov_b64 s[14:15], 0
	s_cbranch_vccnz .LBB192_4
; %bb.3:
	s_lshl_b64 s[12:13], s[22:23], 3
	s_add_u32 s12, s16, s12
	s_addc_u32 s13, s17, s13
	s_load_dwordx2 s[12:13], s[12:13], 0x0
	s_lshl_b64 s[14:15], s[18:19], 2
	s_waitcnt lgkmcnt(0)
	s_add_u32 s14, s12, s14
	s_addc_u32 s15, s13, s15
.LBB192_4:
	s_andn2_b64 vcc, exec, s[6:7]
	s_cbranch_vccnz .LBB192_6
; %bb.5:
	s_load_dwordx4 s[16:19], s[0:1], 0x38
	s_lshl_b64 s[6:7], s[22:23], 3
	s_waitcnt lgkmcnt(0)
	s_add_u32 s6, s16, s6
	s_addc_u32 s7, s17, s7
	s_load_dwordx2 s[6:7], s[6:7], 0x0
	s_lshl_b64 s[12:13], s[18:19], 2
	s_waitcnt lgkmcnt(0)
	s_add_u32 s20, s6, s12
	s_addc_u32 s21, s7, s13
.LBB192_6:
	s_lshl_b64 s[6:7], s[22:23], 3
	s_add_u32 s6, s8, s6
	s_addc_u32 s7, s9, s7
	s_load_dwordx2 s[8:9], s[6:7], 0x0
	s_load_dwordx2 s[12:13], s[0:1], 0x0
	s_load_dword s30, s[0:1], 0x78
	s_lshl_b64 s[6:7], s[10:11], 2
	v_and_b32_e32 v2, 0x3ff, v0
	s_waitcnt lgkmcnt(0)
	s_add_u32 s8, s8, s6
	v_bfe_u32 v14, v0, 10, 10
	s_addc_u32 s9, s9, s7
	s_andn2_b64 vcc, exec, s[4:5]
	v_lshl_add_u32 v3, v14, 6, v2
	s_cbranch_vccnz .LBB192_13
; %bb.7:
	s_movk_i32 s3, 0x100
	v_cmp_gt_u32_e32 vcc, s3, v3
	s_mov_b64 s[4:5], 0
	s_mov_b64 s[10:11], 0
                                        ; implicit-def: $vgpr1
                                        ; implicit-def: $vgpr4_vgpr5
	s_and_saveexec_b64 s[6:7], vcc
	s_cbranch_execz .LBB192_14
; %bb.8:
	v_lshl_or_b32 v0, s2, 8, v3
	v_mov_b32_e32 v1, 0
	s_ashr_i32 s11, s12, 31
	s_mov_b32 s10, s12
	v_cmp_gt_i64_e32 vcc, s[10:11], v[0:1]
	s_mov_b64 s[16:17], 0
                                        ; implicit-def: $vgpr4_vgpr5
	s_and_saveexec_b64 s[10:11], vcc
	s_cbranch_execz .LBB192_12
; %bb.9:
	v_mad_u64_u32 v[4:5], s[18:19], s30, v0, 0
	s_ashr_i32 s3, s30, 31
	v_mov_b32_e32 v6, v5
	v_cmp_eq_f32_e64 s[16:17], s28, 0
	v_mad_u64_u32 v[6:7], s[18:19], s3, v0, v[6:7]
	v_mov_b32_e32 v5, v6
	s_and_b64 vcc, exec, s[16:17]
	s_cbranch_vccnz .LBB192_11
; %bb.10:
	v_lshl_add_u64 v[0:1], v[4:5], 2, s[8:9]
	global_load_dword v0, v[0:1], off
	s_waitcnt vmcnt(0)
	v_mul_f32_e32 v1, s28, v0
.LBB192_11:
	s_mov_b64 s[16:17], exec
.LBB192_12:
	s_or_b64 exec, exec, s[10:11]
	s_and_b64 s[10:11], s[16:17], exec
	s_or_b64 exec, exec, s[6:7]
	s_and_b64 vcc, exec, s[4:5]
	s_cbranch_vccnz .LBB192_15
	s_branch .LBB192_52
.LBB192_13:
	s_mov_b64 s[10:11], 0
                                        ; implicit-def: $vgpr1
                                        ; implicit-def: $vgpr4_vgpr5
	s_cbranch_execnz .LBB192_15
	s_branch .LBB192_52
.LBB192_14:
	s_or_b64 exec, exec, s[6:7]
	s_and_b64 vcc, exec, s[4:5]
	s_cbranch_vccz .LBB192_52
.LBB192_15:
	s_load_dword s33, s[0:1], 0x28
	s_load_dword s34, s[0:1], 0x48
	s_ashr_i32 s0, s13, 31
	s_lshr_b32 s0, s0, 28
	s_add_i32 s0, s13, s0
	s_lshl_b32 s31, s2, 8
	s_and_b32 s35, s0, -16
	v_lshlrev_b32_e32 v20, 2, v14
	v_add_u32_e32 v19, s31, v2
	v_cmp_gt_i32_e32 vcc, s35, v20
	v_mov_b32_e32 v15, 0
	v_mov_b32_e32 v16, 0
	v_mov_b32_e32 v17, 0
	v_mov_b32_e32 v18, 0
	s_and_saveexec_b64 s[16:17], vcc
	s_cbranch_execz .LBB192_27
; %bb.16:
	v_add_u32_e32 v0, 64, v19
	v_cmp_gt_i32_e64 s[0:1], s12, v0
	v_add_u32_e32 v0, 0x80, v19
	v_cmp_gt_i32_e64 s[2:3], s12, v0
	;; [unrolled: 2-line block ×3, first 2 shown]
	s_waitcnt lgkmcnt(0)
	v_mul_lo_u32 v0, s33, v20
	v_add_u32_e32 v6, 2, v20
	v_add_u32_e32 v7, 3, v20
	v_add3_u32 v21, v0, s33, v2
	v_mad_u64_u32 v[0:1], s[6:7], s33, v6, v[2:3]
	v_mad_u64_u32 v[4:5], s[6:7], s33, v7, v[2:3]
	v_mul_lo_u32 v1, v14, s33
	v_mul_lo_u32 v5, s34, v20
	;; [unrolled: 1-line block ×4, first 2 shown]
	v_cmp_gt_i32_e32 vcc, s12, v19
	s_lshl_b32 s36, s33, 4
	v_lshl_add_u32 v1, v1, 2, v2
	v_add_u32_e32 v5, s34, v5
	s_lshl_b32 s37, s34, 4
	v_mul_lo_u32 v23, s34, v7
	v_lshlrev_b32_e32 v24, 2, v6
	s_mov_b32 s38, 0
	s_mov_b64 s[18:19], 0
	v_mov_b32_e32 v15, 0
	v_mov_b32_e32 v16, 0
	;; [unrolled: 1-line block ×4, first 2 shown]
	s_branch .LBB192_21
.LBB192_17:                             ;   in Loop: Header=BB192_21 Depth=1
	s_or_b64 exec, exec, s[26:27]
	s_waitcnt vmcnt(0) lgkmcnt(0)
	v_fmac_f32_e32 v17, v28, v40
	v_fmac_f32_e32 v17, v27, v39
	;; [unrolled: 1-line block ×4, first 2 shown]
.LBB192_18:                             ;   in Loop: Header=BB192_21 Depth=1
	s_or_b64 exec, exec, s[24:25]
	s_waitcnt vmcnt(0) lgkmcnt(0)
	v_fmac_f32_e32 v16, v28, v36
	v_fmac_f32_e32 v16, v27, v35
	;; [unrolled: 1-line block ×4, first 2 shown]
.LBB192_19:                             ;   in Loop: Header=BB192_21 Depth=1
	s_or_b64 exec, exec, s[22:23]
	s_waitcnt vmcnt(0) lgkmcnt(0)
	v_fmac_f32_e32 v15, v28, v32
	v_fmac_f32_e32 v15, v27, v31
	;; [unrolled: 1-line block ×4, first 2 shown]
.LBB192_20:                             ;   in Loop: Header=BB192_21 Depth=1
	s_or_b64 exec, exec, s[6:7]
	v_add_u32_e32 v20, 16, v20
	s_add_i32 s38, s38, s37
	v_cmp_le_i32_e64 s[6:7], s35, v20
	v_add_u32_e32 v21, s36, v21
	v_add_u32_e32 v0, s36, v0
	;; [unrolled: 1-line block ×3, first 2 shown]
	s_or_b64 s[18:19], s[6:7], s[18:19]
	v_add_u32_e32 v1, s36, v1
	s_andn2_b64 exec, exec, s[18:19]
	s_cbranch_execz .LBB192_26
.LBB192_21:                             ; =>This Inner Loop Header: Depth=1
	s_and_saveexec_b64 s[6:7], vcc
	s_cbranch_execz .LBB192_20
; %bb.22:                               ;   in Loop: Header=BB192_21 Depth=1
	v_add_u32_e32 v6, s38, v24
	v_ashrrev_i32_e32 v7, 31, v6
	v_add_u32_e32 v8, s38, v5
	v_add_u32_e32 v10, s38, v22
	;; [unrolled: 1-line block ×3, first 2 shown]
	v_lshl_add_u64 v[6:7], v[6:7], 2, s[20:21]
	v_ashrrev_i32_e32 v9, 31, v8
	v_ashrrev_i32_e32 v11, 31, v10
	;; [unrolled: 1-line block ×3, first 2 shown]
	v_lshl_add_u64 v[8:9], v[8:9], 2, s[20:21]
	v_lshl_add_u64 v[10:11], v[10:11], 2, s[20:21]
	;; [unrolled: 1-line block ×3, first 2 shown]
	flat_load_dword v28, v[6:7]
	flat_load_dword v27, v[8:9]
	;; [unrolled: 1-line block ×4, first 2 shown]
	v_add_u32_e32 v6, s31, v1
	v_ashrrev_i32_e32 v7, 31, v6
	v_add_u32_e32 v8, s31, v21
	v_add_u32_e32 v10, s31, v0
	;; [unrolled: 1-line block ×3, first 2 shown]
	v_lshl_add_u64 v[6:7], v[6:7], 2, s[14:15]
	v_ashrrev_i32_e32 v9, 31, v8
	v_ashrrev_i32_e32 v11, 31, v10
	;; [unrolled: 1-line block ×3, first 2 shown]
	v_lshl_add_u64 v[8:9], v[8:9], 2, s[14:15]
	v_lshl_add_u64 v[10:11], v[10:11], 2, s[14:15]
	;; [unrolled: 1-line block ×3, first 2 shown]
	flat_load_dword v32, v[6:7]
	flat_load_dword v31, v[8:9]
	;; [unrolled: 1-line block ×4, first 2 shown]
	s_and_saveexec_b64 s[22:23], s[0:1]
	s_cbranch_execz .LBB192_19
; %bb.23:                               ;   in Loop: Header=BB192_21 Depth=1
	flat_load_dword v36, v[6:7] offset:256
	flat_load_dword v35, v[8:9] offset:256
	flat_load_dword v34, v[10:11] offset:256
	flat_load_dword v33, v[12:13] offset:256
	s_and_saveexec_b64 s[24:25], s[2:3]
	s_cbranch_execz .LBB192_18
; %bb.24:                               ;   in Loop: Header=BB192_21 Depth=1
	flat_load_dword v40, v[6:7] offset:512
	flat_load_dword v39, v[8:9] offset:512
	flat_load_dword v38, v[10:11] offset:512
	flat_load_dword v37, v[12:13] offset:512
	;; [unrolled: 7-line block ×3, first 2 shown]
	s_waitcnt vmcnt(0) lgkmcnt(0)
	v_fmac_f32_e32 v18, v28, v41
	v_fmac_f32_e32 v18, v27, v42
	;; [unrolled: 1-line block ×4, first 2 shown]
	s_branch .LBB192_17
.LBB192_26:
	s_or_b64 exec, exec, s[18:19]
.LBB192_27:
	s_or_b64 exec, exec, s[16:17]
	s_sub_i32 s0, s13, s35
	s_cmp_lt_i32 s0, 1
	s_cbranch_scc1 .LBB192_45
; %bb.28:
	v_cmp_gt_i32_e32 vcc, s13, v20
	v_mov_b32_e32 v10, 0
	v_or_b32_e32 v4, 1, v20
	v_mov_b32_e32 v13, 0
	v_mov_b32_e32 v12, 0
	;; [unrolled: 1-line block ×3, first 2 shown]
	s_and_saveexec_b64 s[2:3], vcc
	s_cbranch_execz .LBB192_36
; %bb.29:
	s_waitcnt lgkmcnt(0)
	v_mul_lo_u32 v0, v20, s34
	v_ashrrev_i32_e32 v1, 31, v0
	v_lshl_add_u64 v[0:1], v[0:1], 2, s[20:21]
	flat_load_dword v11, v[0:1]
	v_cmp_gt_i32_e64 s[0:1], s13, v4
	v_mov_b32_e32 v12, 0
	v_mov_b32_e32 v13, 0
	;; [unrolled: 1-line block ×3, first 2 shown]
	s_and_saveexec_b64 s[4:5], s[0:1]
	s_cbranch_execz .LBB192_35
; %bb.30:
	v_mul_lo_u32 v0, v4, s34
	v_ashrrev_i32_e32 v1, 31, v0
	v_lshl_add_u64 v[0:1], v[0:1], 2, s[20:21]
	flat_load_dword v12, v[0:1]
	v_or_b32_e32 v0, 2, v20
	v_cmp_gt_i32_e64 s[0:1], s13, v0
	v_mov_b32_e32 v13, 0
	v_mov_b32_e32 v10, 0
	s_and_saveexec_b64 s[6:7], s[0:1]
	s_cbranch_execz .LBB192_34
; %bb.31:
	v_mul_lo_u32 v0, v0, s34
	v_ashrrev_i32_e32 v1, 31, v0
	v_lshl_add_u64 v[0:1], v[0:1], 2, s[20:21]
	flat_load_dword v13, v[0:1]
	v_or_b32_e32 v0, 3, v20
	v_cmp_gt_i32_e64 s[0:1], s13, v0
	v_mov_b32_e32 v10, 0
	s_and_saveexec_b64 s[16:17], s[0:1]
	s_cbranch_execz .LBB192_33
; %bb.32:
	v_mul_lo_u32 v0, v0, s34
	v_ashrrev_i32_e32 v1, 31, v0
	v_lshl_add_u64 v[0:1], v[0:1], 2, s[20:21]
	flat_load_dword v10, v[0:1]
.LBB192_33:
	s_or_b64 exec, exec, s[16:17]
.LBB192_34:
	s_or_b64 exec, exec, s[6:7]
.LBB192_35:
	s_or_b64 exec, exec, s[4:5]
.LBB192_36:
	s_or_b64 exec, exec, s[2:3]
	v_cmp_gt_i32_e64 s[0:1], s12, v19
	s_and_saveexec_b64 s[2:3], s[0:1]
	s_cbranch_execz .LBB192_44
; %bb.37:
	s_waitcnt lgkmcnt(0)
	v_mul_lo_u32 v0, v20, s33
	v_cndmask_b32_e32 v0, 0, v0, vcc
	v_mul_lo_u32 v5, v4, s33
	v_cmp_gt_i32_e32 vcc, s13, v4
	v_or_b32_e32 v6, 2, v20
	v_mul_lo_u32 v7, v6, s33
	v_cndmask_b32_e32 v4, 0, v5, vcc
	v_cmp_gt_i32_e32 vcc, s13, v6
	v_or_b32_e32 v8, 3, v20
	v_mul_lo_u32 v9, v8, s33
	v_cndmask_b32_e32 v6, 0, v7, vcc
	v_cmp_gt_i32_e32 vcc, s13, v8
	v_add_u32_e32 v0, v0, v19
	v_ashrrev_i32_e32 v1, 31, v0
	v_cndmask_b32_e32 v8, 0, v9, vcc
	v_add_u32_e32 v4, v4, v19
	v_add_u32_e32 v6, v6, v19
	;; [unrolled: 1-line block ×3, first 2 shown]
	v_lshl_add_u64 v[0:1], v[0:1], 2, s[14:15]
	v_ashrrev_i32_e32 v5, 31, v4
	v_ashrrev_i32_e32 v7, 31, v6
	;; [unrolled: 1-line block ×3, first 2 shown]
	v_lshl_add_u64 v[4:5], v[4:5], 2, s[14:15]
	v_lshl_add_u64 v[6:7], v[6:7], 2, s[14:15]
	flat_load_dword v21, v[0:1]
	flat_load_dword v22, v[4:5]
	;; [unrolled: 1-line block ×3, first 2 shown]
	v_lshl_add_u64 v[8:9], v[8:9], 2, s[14:15]
	flat_load_dword v20, v[8:9]
	v_add_u32_e32 v24, 64, v19
	v_cmp_gt_i32_e32 vcc, s12, v24
	s_waitcnt vmcnt(0) lgkmcnt(0)
	v_fmac_f32_e32 v15, v11, v21
	v_fmac_f32_e32 v15, v12, v22
	v_fmac_f32_e32 v15, v13, v23
	s_and_saveexec_b64 s[0:1], vcc
	s_cbranch_execz .LBB192_43
; %bb.38:
	flat_load_dword v22, v[0:1] offset:256
	flat_load_dword v23, v[4:5] offset:256
	flat_load_dword v24, v[6:7] offset:256
	flat_load_dword v21, v[8:9] offset:256
	v_add_u32_e32 v25, 0x80, v19
	v_cmp_gt_i32_e32 vcc, s12, v25
	s_waitcnt vmcnt(0) lgkmcnt(0)
	v_fmac_f32_e32 v16, v11, v22
	v_fmac_f32_e32 v16, v12, v23
	v_fmac_f32_e32 v16, v13, v24
	s_and_saveexec_b64 s[4:5], vcc
	s_cbranch_execz .LBB192_42
; %bb.39:
	flat_load_dword v23, v[0:1] offset:512
	flat_load_dword v24, v[4:5] offset:512
	flat_load_dword v25, v[6:7] offset:512
	flat_load_dword v22, v[8:9] offset:512
	;; [unrolled: 13-line block ×3, first 2 shown]
	s_waitcnt vmcnt(0) lgkmcnt(0)
	v_fmac_f32_e32 v18, v11, v19
	v_fmac_f32_e32 v18, v12, v23
	v_fmac_f32_e32 v18, v13, v24
	v_fmac_f32_e32 v18, v10, v25
.LBB192_41:
	s_or_b64 exec, exec, s[6:7]
	v_fmac_f32_e32 v17, v10, v22
.LBB192_42:
	s_or_b64 exec, exec, s[4:5]
	v_fmac_f32_e32 v16, v10, v21
.LBB192_43:
	s_or_b64 exec, exec, s[0:1]
	v_fmac_f32_e32 v15, v10, v20
.LBB192_44:
	s_or_b64 exec, exec, s[2:3]
.LBB192_45:
	v_lshlrev_b32_e32 v0, 8, v14
	s_movk_i32 s0, 0x100
	v_add_lshl_u32 v0, v0, v2, 2
	v_cmp_gt_u32_e32 vcc, s0, v3
	ds_write2st64_b32 v0, v15, v16 offset1:1
	ds_write2st64_b32 v0, v17, v18 offset0:2 offset1:3
	s_waitcnt lgkmcnt(0)
	s_barrier
	s_waitcnt lgkmcnt(0)
                                        ; implicit-def: $vgpr1
                                        ; implicit-def: $vgpr4_vgpr5
	s_and_saveexec_b64 s[0:1], vcc
	s_cbranch_execz .LBB192_51
; %bb.46:
	v_lshlrev_b32_e32 v1, 2, v3
	ds_read2st64_b32 v[4:5], v1 offset1:4
	ds_read2st64_b32 v[6:7], v1 offset0:8 offset1:12
	v_or_b32_e32 v0, s31, v3
	v_cmp_gt_i32_e32 vcc, s12, v0
	s_mov_b64 s[4:5], s[10:11]
	s_waitcnt lgkmcnt(0)
	v_add_f32_e32 v2, v4, v5
	v_add_f32_e32 v2, v6, v2
	;; [unrolled: 1-line block ×3, first 2 shown]
	ds_write_b32 v1, v2
                                        ; implicit-def: $vgpr1
                                        ; implicit-def: $vgpr4_vgpr5
	s_and_saveexec_b64 s[2:3], vcc
	s_cbranch_execz .LBB192_50
; %bb.47:
	v_cmp_eq_f32_e64 s[4:5], s28, 0
	v_mul_lo_u32 v4, v0, s30
	v_mul_f32_e32 v1, s29, v2
	v_ashrrev_i32_e32 v5, 31, v4
	s_and_b64 vcc, exec, s[4:5]
	s_cbranch_vccnz .LBB192_49
; %bb.48:
	v_lshl_add_u64 v[2:3], v[4:5], 2, s[8:9]
	global_load_dword v0, v[2:3], off
	s_waitcnt vmcnt(0)
	v_fmac_f32_e32 v1, s28, v0
.LBB192_49:
	s_or_b64 s[4:5], s[10:11], exec
.LBB192_50:
	s_or_b64 exec, exec, s[2:3]
	s_andn2_b64 s[2:3], s[10:11], exec
	s_and_b64 s[4:5], s[4:5], exec
	s_or_b64 s[10:11], s[2:3], s[4:5]
.LBB192_51:
	s_or_b64 exec, exec, s[0:1]
.LBB192_52:
	s_and_saveexec_b64 s[0:1], s[10:11]
	s_cbranch_execz .LBB192_54
; %bb.53:
	v_lshl_add_u64 v[2:3], v[4:5], 2, s[8:9]
	global_store_dword v[2:3], v1, off
.LBB192_54:
	s_endpgm
	.section	.rodata,"a",@progbits
	.p2align	6, 0x0
	.amdhsa_kernel _ZL20rocblas_gemvn_kernelILi64ELi4EiPKfS1_KPfEviiT3_lPKT2_lT1_lS7_lS8_lS4_lPT4_lS8_li
		.amdhsa_group_segment_fixed_size 4096
		.amdhsa_private_segment_fixed_size 0
		.amdhsa_kernarg_size 400
		.amdhsa_user_sgpr_count 2
		.amdhsa_user_sgpr_dispatch_ptr 0
		.amdhsa_user_sgpr_queue_ptr 0
		.amdhsa_user_sgpr_kernarg_segment_ptr 1
		.amdhsa_user_sgpr_dispatch_id 0
		.amdhsa_user_sgpr_kernarg_preload_length 0
		.amdhsa_user_sgpr_kernarg_preload_offset 0
		.amdhsa_user_sgpr_private_segment_size 0
		.amdhsa_uses_dynamic_stack 0
		.amdhsa_enable_private_segment 0
		.amdhsa_system_sgpr_workgroup_id_x 1
		.amdhsa_system_sgpr_workgroup_id_y 0
		.amdhsa_system_sgpr_workgroup_id_z 1
		.amdhsa_system_sgpr_workgroup_info 0
		.amdhsa_system_vgpr_workitem_id 1
		.amdhsa_next_free_vgpr 45
		.amdhsa_next_free_sgpr 39
		.amdhsa_accum_offset 48
		.amdhsa_reserve_vcc 1
		.amdhsa_float_round_mode_32 0
		.amdhsa_float_round_mode_16_64 0
		.amdhsa_float_denorm_mode_32 3
		.amdhsa_float_denorm_mode_16_64 3
		.amdhsa_dx10_clamp 1
		.amdhsa_ieee_mode 1
		.amdhsa_fp16_overflow 0
		.amdhsa_tg_split 0
		.amdhsa_exception_fp_ieee_invalid_op 0
		.amdhsa_exception_fp_denorm_src 0
		.amdhsa_exception_fp_ieee_div_zero 0
		.amdhsa_exception_fp_ieee_overflow 0
		.amdhsa_exception_fp_ieee_underflow 0
		.amdhsa_exception_fp_ieee_inexact 0
		.amdhsa_exception_int_div_zero 0
	.end_amdhsa_kernel
	.section	.text._ZL20rocblas_gemvn_kernelILi64ELi4EiPKfS1_KPfEviiT3_lPKT2_lT1_lS7_lS8_lS4_lPT4_lS8_li,"axG",@progbits,_ZL20rocblas_gemvn_kernelILi64ELi4EiPKfS1_KPfEviiT3_lPKT2_lT1_lS7_lS8_lS4_lPT4_lS8_li,comdat
.Lfunc_end192:
	.size	_ZL20rocblas_gemvn_kernelILi64ELi4EiPKfS1_KPfEviiT3_lPKT2_lT1_lS7_lS8_lS4_lPT4_lS8_li, .Lfunc_end192-_ZL20rocblas_gemvn_kernelILi64ELi4EiPKfS1_KPfEviiT3_lPKT2_lT1_lS7_lS8_lS4_lPT4_lS8_li
                                        ; -- End function
	.section	.AMDGPU.csdata,"",@progbits
; Kernel info:
; codeLenInByte = 2204
; NumSgprs: 45
; NumVgprs: 45
; NumAgprs: 0
; TotalNumVgprs: 45
; ScratchSize: 0
; MemoryBound: 0
; FloatMode: 240
; IeeeMode: 1
; LDSByteSize: 4096 bytes/workgroup (compile time only)
; SGPRBlocks: 5
; VGPRBlocks: 5
; NumSGPRsForWavesPerEU: 45
; NumVGPRsForWavesPerEU: 45
; AccumOffset: 48
; Occupancy: 8
; WaveLimiterHint : 1
; COMPUTE_PGM_RSRC2:SCRATCH_EN: 0
; COMPUTE_PGM_RSRC2:USER_SGPR: 2
; COMPUTE_PGM_RSRC2:TRAP_HANDLER: 0
; COMPUTE_PGM_RSRC2:TGID_X_EN: 1
; COMPUTE_PGM_RSRC2:TGID_Y_EN: 0
; COMPUTE_PGM_RSRC2:TGID_Z_EN: 1
; COMPUTE_PGM_RSRC2:TIDIG_COMP_CNT: 1
; COMPUTE_PGM_RSRC3_GFX90A:ACCUM_OFFSET: 11
; COMPUTE_PGM_RSRC3_GFX90A:TG_SPLIT: 0
	.section	.text._ZL20rocblas_gemvn_kernelILi64ELi4ElPKfS1_KPfEviiT3_lPKT2_lT1_lS7_lS8_lS4_lPT4_lS8_li,"axG",@progbits,_ZL20rocblas_gemvn_kernelILi64ELi4ElPKfS1_KPfEviiT3_lPKT2_lT1_lS7_lS8_lS4_lPT4_lS8_li,comdat
	.globl	_ZL20rocblas_gemvn_kernelILi64ELi4ElPKfS1_KPfEviiT3_lPKT2_lT1_lS7_lS8_lS4_lPT4_lS8_li ; -- Begin function _ZL20rocblas_gemvn_kernelILi64ELi4ElPKfS1_KPfEviiT3_lPKT2_lT1_lS7_lS8_lS4_lPT4_lS8_li
	.p2align	8
	.type	_ZL20rocblas_gemvn_kernelILi64ELi4ElPKfS1_KPfEviiT3_lPKT2_lT1_lS7_lS8_lS4_lPT4_lS8_li,@function
_ZL20rocblas_gemvn_kernelILi64ELi4ElPKfS1_KPfEviiT3_lPKT2_lT1_lS7_lS8_lS4_lPT4_lS8_li: ; @_ZL20rocblas_gemvn_kernelILi64ELi4ElPKfS1_KPfEviiT3_lPKT2_lT1_lS7_lS8_lS4_lPT4_lS8_li
; %bb.0:
	s_load_dwordx2 s[4:5], s[0:1], 0x9c
	s_mov_b32 s26, s3
	s_waitcnt lgkmcnt(0)
	s_and_b32 s3, s5, 0xffff
	s_lshr_b32 s5, s4, 16
	s_and_b32 s4, s4, 0xffff
	s_mul_i32 s4, s5, s4
	s_mul_i32 s4, s4, s3
	s_cmpk_lg_i32 s4, 0x100
	s_cbranch_scc1 .LBB193_54
; %bb.1:
	s_load_dwordx8 s[12:19], s[0:1], 0x8
	s_load_dwordx8 s[4:11], s[0:1], 0x58
	s_waitcnt lgkmcnt(0)
	s_mul_i32 s3, s26, s15
	s_mul_hi_u32 s15, s26, s14
	s_mul_i32 s14, s26, s14
	s_add_i32 s15, s15, s3
	s_lshl_b64 s[14:15], s[14:15], 2
	s_mul_i32 s7, s26, s7
	s_add_u32 s12, s12, s14
	s_mul_hi_u32 s3, s26, s6
	s_addc_u32 s13, s13, s15
	s_add_i32 s7, s3, s7
	s_mul_i32 s6, s26, s6
	s_lshl_b64 s[6:7], s[6:7], 2
	s_add_u32 s4, s4, s6
	s_addc_u32 s5, s5, s7
	s_load_dword s42, s[12:13], 0x0
	s_load_dword s33, s[4:5], 0x0
	s_waitcnt lgkmcnt(0)
	v_cmp_eq_f32_e64 s[28:29], s42, 0
	v_cmp_eq_f32_e64 s[4:5], s33, 1.0
	s_and_b64 s[4:5], s[28:29], s[4:5]
	s_and_b64 vcc, exec, s[4:5]
	s_cbranch_vccnz .LBB193_54
; %bb.2:
	s_load_dwordx2 s[20:21], s[0:1], 0x28
	s_load_dwordx2 s[12:13], s[0:1], 0x78
	s_mov_b32 s27, 0
	v_cmp_neq_f32_e64 s[14:15], s42, 0
	s_mov_b64 s[24:25], 0
	s_and_b64 vcc, exec, s[28:29]
	s_mov_b64 s[22:23], 0
	s_cbranch_vccnz .LBB193_4
; %bb.3:
	s_lshl_b64 s[4:5], s[26:27], 3
	s_add_u32 s4, s16, s4
	s_addc_u32 s5, s17, s5
	s_load_dwordx2 s[4:5], s[4:5], 0x0
	s_lshl_b64 s[6:7], s[18:19], 2
	s_waitcnt lgkmcnt(0)
	s_add_u32 s22, s4, s6
	s_addc_u32 s23, s5, s7
.LBB193_4:
	s_load_dwordx4 s[4:7], s[0:1], 0x38
	s_load_dwordx2 s[16:17], s[0:1], 0x48
	s_andn2_b64 vcc, exec, s[14:15]
	s_cbranch_vccnz .LBB193_6
; %bb.5:
	s_lshl_b64 s[14:15], s[26:27], 3
	s_waitcnt lgkmcnt(0)
	s_add_u32 s4, s4, s14
	s_addc_u32 s5, s5, s15
	s_load_dwordx2 s[4:5], s[4:5], 0x0
	s_lshl_b64 s[6:7], s[6:7], 2
	s_waitcnt lgkmcnt(0)
	s_add_u32 s24, s4, s6
	s_addc_u32 s25, s5, s7
.LBB193_6:
	s_waitcnt lgkmcnt(0)
	s_lshl_b64 s[4:5], s[26:27], 3
	s_add_u32 s4, s8, s4
	s_addc_u32 s5, s9, s5
	s_load_dwordx2 s[6:7], s[4:5], 0x0
	s_load_dwordx2 s[14:15], s[0:1], 0x0
	s_lshl_b64 s[0:1], s[10:11], 2
	v_and_b32_e32 v29, 0x3ff, v0
	v_bfe_u32 v30, v0, 10, 10
	s_waitcnt lgkmcnt(0)
	s_add_u32 s8, s6, s0
	s_addc_u32 s9, s7, s1
	s_andn2_b64 vcc, exec, s[28:29]
	v_lshl_add_u32 v28, v30, 6, v29
	s_cbranch_vccnz .LBB193_13
; %bb.7:
	s_movk_i32 s0, 0x100
	v_cmp_gt_u32_e32 vcc, s0, v28
	s_mov_b64 s[0:1], 0
	s_mov_b64 s[10:11], 0
                                        ; implicit-def: $vgpr1
                                        ; implicit-def: $vgpr2_vgpr3
	s_and_saveexec_b64 s[4:5], vcc
	s_cbranch_execz .LBB193_14
; %bb.8:
	v_lshl_or_b32 v0, s2, 8, v28
	v_mov_b32_e32 v1, 0
	s_ashr_i32 s7, s14, 31
	s_mov_b32 s6, s14
	v_cmp_gt_i64_e32 vcc, s[6:7], v[0:1]
                                        ; implicit-def: $vgpr2_vgpr3
	s_and_saveexec_b64 s[6:7], vcc
	s_cbranch_execz .LBB193_12
; %bb.9:
	v_mad_u64_u32 v[2:3], s[18:19], v0, s12, 0
	v_mov_b32_e32 v4, v3
	v_cmp_eq_f32_e64 s[10:11], s33, 0
	v_mad_u64_u32 v[4:5], s[18:19], v0, s13, v[4:5]
	v_mov_b32_e32 v3, v4
	s_and_b64 vcc, exec, s[10:11]
	s_cbranch_vccnz .LBB193_11
; %bb.10:
	v_lshl_add_u64 v[0:1], v[2:3], 2, s[8:9]
	global_load_dword v0, v[0:1], off
	s_waitcnt vmcnt(0)
	v_mul_f32_e32 v1, s33, v0
.LBB193_11:
	s_mov_b64 s[10:11], exec
.LBB193_12:
	s_or_b64 exec, exec, s[6:7]
	s_and_b64 s[10:11], s[10:11], exec
	s_or_b64 exec, exec, s[4:5]
	s_and_b64 vcc, exec, s[0:1]
	s_cbranch_vccnz .LBB193_15
	s_branch .LBB193_52
.LBB193_13:
	s_mov_b64 s[10:11], 0
                                        ; implicit-def: $vgpr1
                                        ; implicit-def: $vgpr2_vgpr3
	s_cbranch_execnz .LBB193_15
	s_branch .LBB193_52
.LBB193_14:
	s_or_b64 exec, exec, s[4:5]
	s_and_b64 vcc, exec, s[0:1]
	s_cbranch_vccz .LBB193_52
.LBB193_15:
	s_ashr_i32 s0, s15, 31
	s_lshr_b32 s0, s0, 28
	s_add_i32 s0, s15, s0
	s_lshl_b32 s43, s2, 8
	s_and_b32 s44, s0, -16
	v_lshlrev_b32_e32 v35, 2, v30
	v_add_u32_e32 v0, s43, v29
	v_cmp_gt_i32_e32 vcc, s44, v35
	v_mov_b32_e32 v31, 0
	v_mov_b32_e32 v32, 0
	;; [unrolled: 1-line block ×4, first 2 shown]
	s_and_saveexec_b64 s[18:19], vcc
	s_cbranch_execz .LBB193_27
; %bb.16:
	v_add_u32_e32 v2, 64, v0
	v_cmp_gt_i32_e64 s[0:1], s14, v2
	v_add_u32_e32 v2, 0x80, v0
	v_ashrrev_i32_e32 v1, 31, v0
	v_cmp_gt_i32_e64 s[2:3], s14, v2
	v_add_u32_e32 v2, 0xc0, v0
	v_cmp_gt_i32_e64 s[4:5], s14, v2
	v_lshlrev_b64 v[2:3], 2, v[0:1]
	v_lshlrev_b32_e32 v1, 2, v30
	v_or_b32_e32 v15, 3, v1
	v_mad_u64_u32 v[4:5], s[6:7], s20, v15, 0
	v_mov_b32_e32 v6, v5
	v_mad_u64_u32 v[6:7], s[6:7], s21, v15, v[6:7]
	v_mov_b32_e32 v5, v6
	;; [unrolled: 2-line block ×6, first 2 shown]
	v_mov_b64_e32 v[10:11], s[16:17]
	v_mad_u64_u32 v[10:11], s[6:7], s16, v1, v[10:11]
	v_mov_b32_e32 v12, v11
	v_mad_u64_u32 v[12:13], s[6:7], s17, v1, v[12:13]
	v_mov_b32_e32 v11, v12
	;; [unrolled: 2-line block ×3, first 2 shown]
	v_mad_u64_u32 v[14:15], s[6:7], s17, v15, v[14:15]
	v_or_b32_e32 v21, 2, v1
	v_mov_b32_e32 v13, v14
	v_mad_u64_u32 v[14:15], s[6:7], s20, v21, 0
	v_mov_b32_e32 v16, v15
	v_mad_u64_u32 v[16:17], s[6:7], s21, v21, v[16:17]
	v_mov_b32_e32 v15, v16
	v_mov_b64_e32 v[16:17], s[20:21]
	v_mad_u64_u32 v[16:17], s[6:7], s20, v1, v[16:17]
	v_mov_b32_e32 v18, v17
	v_mad_u64_u32 v[18:19], s[6:7], s21, v1, v[18:19]
	v_mov_b32_e32 v17, v18
	;; [unrolled: 2-line block ×4, first 2 shown]
	v_cmp_gt_i32_e32 vcc, s14, v0
	v_lshl_add_u64 v[4:5], v[4:5], 2, s[22:23]
	s_lshl_b64 s[26:27], s[20:21], 6
	v_lshlrev_b64 v[6:7], 4, v[6:7]
	s_lshl_b64 s[28:29], s[16:17], 6
	v_lshl_add_u64 v[8:9], v[8:9], 4, s[22:23]
	v_lshlrev_b64 v[10:11], 2, v[10:11]
	v_lshlrev_b64 v[12:13], 2, v[12:13]
	v_lshl_add_u64 v[14:15], v[14:15], 2, s[22:23]
	v_lshl_add_u64 v[16:17], v[16:17], 2, s[22:23]
	v_lshlrev_b64 v[18:19], 2, v[18:19]
	s_mov_b64 s[30:31], 0
	v_mov_b32_e32 v31, 0
	s_mov_b64 s[34:35], s[24:25]
	v_mov_b32_e32 v32, 0
	v_mov_b32_e32 v33, 0
	v_mov_b32_e32 v34, 0
	s_branch .LBB193_21
.LBB193_17:                             ;   in Loop: Header=BB193_21 Depth=1
	s_or_b64 exec, exec, s[40:41]
	s_waitcnt vmcnt(0) lgkmcnt(0)
	v_fmac_f32_e32 v33, v38, v50
	v_fmac_f32_e32 v33, v37, v49
	v_fmac_f32_e32 v33, v36, v48
	v_fmac_f32_e32 v33, v1, v47
.LBB193_18:                             ;   in Loop: Header=BB193_21 Depth=1
	s_or_b64 exec, exec, s[38:39]
	s_waitcnt vmcnt(0) lgkmcnt(0)
	v_fmac_f32_e32 v32, v38, v46
	v_fmac_f32_e32 v32, v37, v45
	;; [unrolled: 1-line block ×4, first 2 shown]
.LBB193_19:                             ;   in Loop: Header=BB193_21 Depth=1
	s_or_b64 exec, exec, s[36:37]
	s_waitcnt vmcnt(0) lgkmcnt(0)
	v_fmac_f32_e32 v31, v38, v39
	v_fmac_f32_e32 v31, v37, v40
	;; [unrolled: 1-line block ×4, first 2 shown]
.LBB193_20:                             ;   in Loop: Header=BB193_21 Depth=1
	s_or_b64 exec, exec, s[6:7]
	v_add_u32_e32 v35, 16, v35
	s_add_u32 s34, s34, s28
	s_addc_u32 s35, s35, s29
	v_cmp_le_i32_e64 s[6:7], s44, v35
	v_lshl_add_u64 v[4:5], v[4:5], 0, s[26:27]
	v_lshl_add_u64 v[8:9], v[8:9], 0, s[26:27]
	;; [unrolled: 1-line block ×3, first 2 shown]
	s_or_b64 s[30:31], s[6:7], s[30:31]
	v_lshl_add_u64 v[16:17], v[16:17], 0, s[26:27]
	s_andn2_b64 exec, exec, s[30:31]
	s_cbranch_execz .LBB193_26
.LBB193_21:                             ; =>This Inner Loop Header: Depth=1
	s_and_saveexec_b64 s[6:7], vcc
	s_cbranch_execz .LBB193_20
; %bb.22:                               ;   in Loop: Header=BB193_21 Depth=1
	v_lshl_add_u64 v[20:21], s[34:35], 0, v[6:7]
	v_lshl_add_u64 v[22:23], s[34:35], 0, v[10:11]
	;; [unrolled: 1-line block ×4, first 2 shown]
	flat_load_dword v38, v[20:21]
	flat_load_dword v37, v[22:23]
	flat_load_dword v36, v[24:25]
	flat_load_dword v1, v[26:27]
	v_lshl_add_u64 v[20:21], v[8:9], 0, v[2:3]
	v_lshl_add_u64 v[22:23], v[16:17], 0, v[2:3]
	;; [unrolled: 1-line block ×4, first 2 shown]
	flat_load_dword v39, v[20:21]
	flat_load_dword v40, v[22:23]
	;; [unrolled: 1-line block ×4, first 2 shown]
	s_and_saveexec_b64 s[36:37], s[0:1]
	s_cbranch_execz .LBB193_19
; %bb.23:                               ;   in Loop: Header=BB193_21 Depth=1
	flat_load_dword v46, v[20:21] offset:256
	flat_load_dword v45, v[22:23] offset:256
	flat_load_dword v44, v[24:25] offset:256
	flat_load_dword v43, v[26:27] offset:256
	s_and_saveexec_b64 s[38:39], s[2:3]
	s_cbranch_execz .LBB193_18
; %bb.24:                               ;   in Loop: Header=BB193_21 Depth=1
	flat_load_dword v50, v[20:21] offset:512
	flat_load_dword v49, v[22:23] offset:512
	flat_load_dword v48, v[24:25] offset:512
	flat_load_dword v47, v[26:27] offset:512
	;; [unrolled: 7-line block ×3, first 2 shown]
	s_waitcnt vmcnt(0) lgkmcnt(0)
	v_fmac_f32_e32 v34, v38, v51
	v_fmac_f32_e32 v34, v37, v52
	;; [unrolled: 1-line block ×4, first 2 shown]
	s_branch .LBB193_17
.LBB193_26:
	s_or_b64 exec, exec, s[30:31]
.LBB193_27:
	s_or_b64 exec, exec, s[18:19]
	s_sub_i32 s0, s15, s44
	s_cmp_lt_i32 s0, 1
	s_cbranch_scc1 .LBB193_45
; %bb.28:
	v_cmp_gt_i32_e32 vcc, s15, v35
	v_mov_b32_e32 v11, 0
	v_or_b32_e32 v4, 1, v35
	v_mov_b32_e32 v13, 0
	v_mov_b32_e32 v12, 0
	;; [unrolled: 1-line block ×3, first 2 shown]
	s_and_saveexec_b64 s[2:3], vcc
	s_cbranch_execz .LBB193_36
; %bb.29:
	v_mad_u64_u32 v[2:3], s[0:1], v35, s16, 0
	v_mov_b32_e32 v6, v3
	v_mad_u64_u32 v[6:7], s[0:1], v35, s17, v[6:7]
	v_mov_b32_e32 v3, v6
	v_lshl_add_u64 v[2:3], v[2:3], 2, s[24:25]
	flat_load_dword v10, v[2:3]
	v_cmp_gt_i32_e64 s[0:1], s15, v4
	v_mov_b32_e32 v12, 0
	v_mov_b32_e32 v13, 0
	;; [unrolled: 1-line block ×3, first 2 shown]
	s_and_saveexec_b64 s[4:5], s[0:1]
	s_cbranch_execz .LBB193_35
; %bb.30:
	v_mad_u64_u32 v[2:3], s[0:1], v4, s16, 0
	v_mov_b32_e32 v6, v3
	v_mad_u64_u32 v[6:7], s[0:1], v4, s17, v[6:7]
	v_mov_b32_e32 v3, v6
	v_lshl_add_u64 v[2:3], v[2:3], 2, s[24:25]
	flat_load_dword v12, v[2:3]
	v_or_b32_e32 v1, 2, v35
	v_cmp_gt_i32_e64 s[0:1], s15, v1
	v_mov_b32_e32 v13, 0
	v_mov_b32_e32 v11, 0
	s_and_saveexec_b64 s[6:7], s[0:1]
	s_cbranch_execz .LBB193_34
; %bb.31:
	v_mad_u64_u32 v[2:3], s[0:1], v1, s16, 0
	v_mov_b32_e32 v6, v3
	v_mad_u64_u32 v[6:7], s[0:1], v1, s17, v[6:7]
	v_mov_b32_e32 v3, v6
	v_lshl_add_u64 v[2:3], v[2:3], 2, s[24:25]
	flat_load_dword v13, v[2:3]
	v_or_b32_e32 v1, 3, v35
	v_cmp_gt_i32_e64 s[0:1], s15, v1
	v_mov_b32_e32 v11, 0
	s_and_saveexec_b64 s[18:19], s[0:1]
	s_cbranch_execz .LBB193_33
; %bb.32:
	v_mad_u64_u32 v[2:3], s[0:1], v1, s16, 0
	v_mov_b32_e32 v6, v3
	v_mad_u64_u32 v[6:7], s[0:1], v1, s17, v[6:7]
	v_mov_b32_e32 v3, v6
	v_lshl_add_u64 v[2:3], v[2:3], 2, s[24:25]
	flat_load_dword v11, v[2:3]
.LBB193_33:
	s_or_b64 exec, exec, s[18:19]
.LBB193_34:
	s_or_b64 exec, exec, s[6:7]
.LBB193_35:
	s_or_b64 exec, exec, s[4:5]
.LBB193_36:
	s_or_b64 exec, exec, s[2:3]
	v_cmp_gt_i32_e64 s[0:1], s14, v0
	s_and_saveexec_b64 s[2:3], s[0:1]
	s_cbranch_execz .LBB193_44
; %bb.37:
	v_mad_u64_u32 v[2:3], s[0:1], v35, s20, 0
	v_mov_b32_e32 v6, v3
	v_mad_u64_u32 v[6:7], s[0:1], v35, s21, v[6:7]
	v_ashrrev_i32_e32 v1, 31, v0
	v_cndmask_b32_e32 v3, 0, v6, vcc
	v_mad_u64_u32 v[6:7], s[0:1], v4, s20, 0
	v_cndmask_b32_e32 v2, 0, v2, vcc
	v_lshlrev_b64 v[8:9], 2, v[0:1]
	v_mov_b32_e32 v14, v7
	v_cmp_gt_i32_e32 vcc, s15, v4
	v_or_b32_e32 v1, 2, v35
	v_mad_u64_u32 v[14:15], s[0:1], v4, s21, v[14:15]
	v_cndmask_b32_e32 v4, 0, v6, vcc
	v_mad_u64_u32 v[6:7], s[0:1], v1, s20, 0
	v_cndmask_b32_e32 v5, 0, v14, vcc
	v_mov_b32_e32 v14, v7
	v_mad_u64_u32 v[14:15], s[0:1], v1, s21, v[14:15]
	v_cmp_gt_i32_e32 vcc, s15, v1
	v_or_b32_e32 v1, 3, v35
	v_lshl_add_u64 v[2:3], v[2:3], 2, s[22:23]
	v_cndmask_b32_e32 v7, 0, v14, vcc
	v_mad_u64_u32 v[14:15], s[0:1], v1, s20, 0
	v_mov_b32_e32 v16, v15
	v_cndmask_b32_e32 v6, 0, v6, vcc
	v_mad_u64_u32 v[16:17], s[0:1], v1, s21, v[16:17]
	v_cmp_gt_i32_e32 vcc, s15, v1
	v_lshl_add_u64 v[2:3], v[2:3], 0, v[8:9]
	v_lshl_add_u64 v[4:5], v[4:5], 2, s[22:23]
	v_cndmask_b32_e32 v14, 0, v14, vcc
	v_cndmask_b32_e32 v15, 0, v16, vcc
	v_lshl_add_u64 v[6:7], v[6:7], 2, s[22:23]
	v_lshl_add_u64 v[14:15], v[14:15], 2, s[22:23]
	;; [unrolled: 1-line block ×4, first 2 shown]
	flat_load_dword v16, v[2:3]
	flat_load_dword v17, v[4:5]
	;; [unrolled: 1-line block ×3, first 2 shown]
	v_lshl_add_u64 v[8:9], v[14:15], 0, v[8:9]
	flat_load_dword v1, v[8:9]
	v_add_u32_e32 v14, 64, v0
	v_cmp_gt_i32_e32 vcc, s14, v14
	s_waitcnt vmcnt(0) lgkmcnt(0)
	v_fmac_f32_e32 v31, v10, v16
	v_fmac_f32_e32 v31, v12, v17
	v_fmac_f32_e32 v31, v13, v18
	s_and_saveexec_b64 s[0:1], vcc
	s_cbranch_execz .LBB193_43
; %bb.38:
	flat_load_dword v15, v[2:3] offset:256
	flat_load_dword v16, v[4:5] offset:256
	flat_load_dword v17, v[6:7] offset:256
	flat_load_dword v14, v[8:9] offset:256
	v_add_u32_e32 v18, 0x80, v0
	v_cmp_gt_i32_e32 vcc, s14, v18
	s_waitcnt vmcnt(0) lgkmcnt(0)
	v_fmac_f32_e32 v32, v10, v15
	v_fmac_f32_e32 v32, v12, v16
	v_fmac_f32_e32 v32, v13, v17
	s_and_saveexec_b64 s[4:5], vcc
	s_cbranch_execz .LBB193_42
; %bb.39:
	flat_load_dword v16, v[2:3] offset:512
	flat_load_dword v17, v[4:5] offset:512
	flat_load_dword v18, v[6:7] offset:512
	flat_load_dword v15, v[8:9] offset:512
	;; [unrolled: 13-line block ×3, first 2 shown]
	s_waitcnt vmcnt(0) lgkmcnt(0)
	v_fmac_f32_e32 v34, v10, v0
	v_fmac_f32_e32 v34, v12, v16
	;; [unrolled: 1-line block ×4, first 2 shown]
.LBB193_41:
	s_or_b64 exec, exec, s[6:7]
	v_fmac_f32_e32 v33, v11, v15
.LBB193_42:
	s_or_b64 exec, exec, s[4:5]
	v_fmac_f32_e32 v32, v11, v14
.LBB193_43:
	s_or_b64 exec, exec, s[0:1]
	v_fmac_f32_e32 v31, v11, v1
.LBB193_44:
	s_or_b64 exec, exec, s[2:3]
.LBB193_45:
	v_lshlrev_b32_e32 v0, 8, v30
	s_movk_i32 s0, 0x100
	v_add_lshl_u32 v0, v0, v29, 2
	v_cmp_gt_u32_e32 vcc, s0, v28
	ds_write2st64_b32 v0, v31, v32 offset1:1
	ds_write2st64_b32 v0, v33, v34 offset0:2 offset1:3
	s_waitcnt lgkmcnt(0)
	s_barrier
	s_waitcnt lgkmcnt(0)
                                        ; implicit-def: $vgpr1
                                        ; implicit-def: $vgpr2_vgpr3
	s_and_saveexec_b64 s[0:1], vcc
	s_cbranch_execz .LBB193_51
; %bb.46:
	v_lshlrev_b32_e32 v1, 2, v28
	ds_read2st64_b32 v[2:3], v1 offset1:4
	ds_read2st64_b32 v[4:5], v1 offset0:8 offset1:12
	v_or_b32_e32 v0, s43, v28
	v_cmp_gt_i32_e32 vcc, s14, v0
	s_mov_b64 s[4:5], s[10:11]
	s_waitcnt lgkmcnt(0)
	v_add_f32_e32 v2, v2, v3
	v_add_f32_e32 v2, v4, v2
	;; [unrolled: 1-line block ×3, first 2 shown]
	ds_write_b32 v1, v4
                                        ; implicit-def: $vgpr1
                                        ; implicit-def: $vgpr2_vgpr3
	s_and_saveexec_b64 s[2:3], vcc
	s_cbranch_execz .LBB193_50
; %bb.47:
	v_ashrrev_i32_e32 v2, 31, v0
	v_cmp_eq_f32_e64 s[4:5], s33, 0
	v_mul_f32_e32 v1, s42, v4
	v_mul_lo_u32 v4, v0, s13
	v_mul_lo_u32 v5, v2, s12
	v_mad_u64_u32 v[2:3], s[6:7], v0, s12, 0
	v_add3_u32 v3, v3, v4, v5
	s_and_b64 vcc, exec, s[4:5]
	s_cbranch_vccnz .LBB193_49
; %bb.48:
	v_lshl_add_u64 v[4:5], v[2:3], 2, s[8:9]
	global_load_dword v0, v[4:5], off
	s_waitcnt vmcnt(0)
	v_fmac_f32_e32 v1, s33, v0
.LBB193_49:
	s_or_b64 s[4:5], s[10:11], exec
.LBB193_50:
	s_or_b64 exec, exec, s[2:3]
	s_andn2_b64 s[2:3], s[10:11], exec
	s_and_b64 s[4:5], s[4:5], exec
	s_or_b64 s[10:11], s[2:3], s[4:5]
.LBB193_51:
	s_or_b64 exec, exec, s[0:1]
.LBB193_52:
	s_and_saveexec_b64 s[0:1], s[10:11]
	s_cbranch_execz .LBB193_54
; %bb.53:
	v_lshl_add_u64 v[2:3], v[2:3], 2, s[8:9]
	global_store_dword v[2:3], v1, off
.LBB193_54:
	s_endpgm
	.section	.rodata,"a",@progbits
	.p2align	6, 0x0
	.amdhsa_kernel _ZL20rocblas_gemvn_kernelILi64ELi4ElPKfS1_KPfEviiT3_lPKT2_lT1_lS7_lS8_lS4_lPT4_lS8_li
		.amdhsa_group_segment_fixed_size 4096
		.amdhsa_private_segment_fixed_size 0
		.amdhsa_kernarg_size 400
		.amdhsa_user_sgpr_count 2
		.amdhsa_user_sgpr_dispatch_ptr 0
		.amdhsa_user_sgpr_queue_ptr 0
		.amdhsa_user_sgpr_kernarg_segment_ptr 1
		.amdhsa_user_sgpr_dispatch_id 0
		.amdhsa_user_sgpr_kernarg_preload_length 0
		.amdhsa_user_sgpr_kernarg_preload_offset 0
		.amdhsa_user_sgpr_private_segment_size 0
		.amdhsa_uses_dynamic_stack 0
		.amdhsa_enable_private_segment 0
		.amdhsa_system_sgpr_workgroup_id_x 1
		.amdhsa_system_sgpr_workgroup_id_y 0
		.amdhsa_system_sgpr_workgroup_id_z 1
		.amdhsa_system_sgpr_workgroup_info 0
		.amdhsa_system_vgpr_workitem_id 1
		.amdhsa_next_free_vgpr 55
		.amdhsa_next_free_sgpr 45
		.amdhsa_accum_offset 56
		.amdhsa_reserve_vcc 1
		.amdhsa_float_round_mode_32 0
		.amdhsa_float_round_mode_16_64 0
		.amdhsa_float_denorm_mode_32 3
		.amdhsa_float_denorm_mode_16_64 3
		.amdhsa_dx10_clamp 1
		.amdhsa_ieee_mode 1
		.amdhsa_fp16_overflow 0
		.amdhsa_tg_split 0
		.amdhsa_exception_fp_ieee_invalid_op 0
		.amdhsa_exception_fp_denorm_src 0
		.amdhsa_exception_fp_ieee_div_zero 0
		.amdhsa_exception_fp_ieee_overflow 0
		.amdhsa_exception_fp_ieee_underflow 0
		.amdhsa_exception_fp_ieee_inexact 0
		.amdhsa_exception_int_div_zero 0
	.end_amdhsa_kernel
	.section	.text._ZL20rocblas_gemvn_kernelILi64ELi4ElPKfS1_KPfEviiT3_lPKT2_lT1_lS7_lS8_lS4_lPT4_lS8_li,"axG",@progbits,_ZL20rocblas_gemvn_kernelILi64ELi4ElPKfS1_KPfEviiT3_lPKT2_lT1_lS7_lS8_lS4_lPT4_lS8_li,comdat
.Lfunc_end193:
	.size	_ZL20rocblas_gemvn_kernelILi64ELi4ElPKfS1_KPfEviiT3_lPKT2_lT1_lS7_lS8_lS4_lPT4_lS8_li, .Lfunc_end193-_ZL20rocblas_gemvn_kernelILi64ELi4ElPKfS1_KPfEviiT3_lPKT2_lT1_lS7_lS8_lS4_lPT4_lS8_li
                                        ; -- End function
	.section	.AMDGPU.csdata,"",@progbits
; Kernel info:
; codeLenInByte = 2484
; NumSgprs: 51
; NumVgprs: 55
; NumAgprs: 0
; TotalNumVgprs: 55
; ScratchSize: 0
; MemoryBound: 0
; FloatMode: 240
; IeeeMode: 1
; LDSByteSize: 4096 bytes/workgroup (compile time only)
; SGPRBlocks: 6
; VGPRBlocks: 6
; NumSGPRsForWavesPerEU: 51
; NumVGPRsForWavesPerEU: 55
; AccumOffset: 56
; Occupancy: 8
; WaveLimiterHint : 1
; COMPUTE_PGM_RSRC2:SCRATCH_EN: 0
; COMPUTE_PGM_RSRC2:USER_SGPR: 2
; COMPUTE_PGM_RSRC2:TRAP_HANDLER: 0
; COMPUTE_PGM_RSRC2:TGID_X_EN: 1
; COMPUTE_PGM_RSRC2:TGID_Y_EN: 0
; COMPUTE_PGM_RSRC2:TGID_Z_EN: 1
; COMPUTE_PGM_RSRC2:TIDIG_COMP_CNT: 1
; COMPUTE_PGM_RSRC3_GFX90A:ACCUM_OFFSET: 13
; COMPUTE_PGM_RSRC3_GFX90A:TG_SPLIT: 0
	.section	.text._ZL20rocblas_gemvn_kernelILi64ELi4EiPKffKPfEviiT3_lPKT2_lT1_lS7_lS8_lS4_lPT4_lS8_li,"axG",@progbits,_ZL20rocblas_gemvn_kernelILi64ELi4EiPKffKPfEviiT3_lPKT2_lT1_lS7_lS8_lS4_lPT4_lS8_li,comdat
	.globl	_ZL20rocblas_gemvn_kernelILi64ELi4EiPKffKPfEviiT3_lPKT2_lT1_lS7_lS8_lS4_lPT4_lS8_li ; -- Begin function _ZL20rocblas_gemvn_kernelILi64ELi4EiPKffKPfEviiT3_lPKT2_lT1_lS7_lS8_lS4_lPT4_lS8_li
	.p2align	8
	.type	_ZL20rocblas_gemvn_kernelILi64ELi4EiPKffKPfEviiT3_lPKT2_lT1_lS7_lS8_lS4_lPT4_lS8_li,@function
_ZL20rocblas_gemvn_kernelILi64ELi4EiPKffKPfEviiT3_lPKT2_lT1_lS7_lS8_lS4_lPT4_lS8_li: ; @_ZL20rocblas_gemvn_kernelILi64ELi4EiPKffKPfEviiT3_lPKT2_lT1_lS7_lS8_lS4_lPT4_lS8_li
; %bb.0:
	s_load_dwordx2 s[4:5], s[0:1], 0x9c
	s_mov_b32 s6, s3
	s_waitcnt lgkmcnt(0)
	s_and_b32 s3, s5, 0xffff
	s_lshr_b32 s5, s4, 16
	s_and_b32 s4, s4, 0xffff
	s_mul_i32 s4, s5, s4
	s_mul_i32 s4, s4, s3
	s_cmpk_lg_i32 s4, 0x100
	s_cbranch_scc1 .LBB194_56
; %bb.1:
	s_load_dwordx4 s[8:11], s[0:1], 0x0
	s_waitcnt lgkmcnt(0)
	s_load_dword s11, s[0:1], 0x58
	v_cmp_eq_f32_e64 s[4:5], s10, 0
	s_waitcnt lgkmcnt(0)
	v_cmp_eq_f32_e64 s[12:13], s11, 1.0
	s_and_b64 s[12:13], s[4:5], s[12:13]
	s_and_b64 vcc, exec, s[12:13]
	s_cbranch_vccnz .LBB194_56
; %bb.2:
	v_cmp_neq_f32_e64 s[12:13], s10, 0
	s_mov_b32 s7, 0
	s_and_b64 vcc, exec, s[12:13]
	s_cbranch_vccnz .LBB194_4
; %bb.3:
	s_mov_b64 s[16:17], 0
	s_cbranch_execz .LBB194_5
	s_branch .LBB194_6
.LBB194_4:
                                        ; implicit-def: $sgpr16_sgpr17
.LBB194_5:
	s_load_dwordx4 s[16:19], s[0:1], 0x18
	s_lshl_b64 s[14:15], s[6:7], 3
	s_waitcnt lgkmcnt(0)
	s_add_u32 s14, s16, s14
	s_addc_u32 s15, s17, s15
	s_load_dwordx2 s[14:15], s[14:15], 0x0
	s_lshl_b64 s[16:17], s[18:19], 2
	s_waitcnt lgkmcnt(0)
	s_add_u32 s16, s14, s16
	s_addc_u32 s17, s15, s17
.LBB194_6:
	s_mov_b64 s[14:15], 0
	s_andn2_b64 vcc, exec, s[12:13]
	s_mov_b64 s[18:19], 0
	s_cbranch_vccnz .LBB194_8
; %bb.7:
	s_load_dwordx4 s[20:23], s[0:1], 0x38
	s_lshl_b64 s[12:13], s[6:7], 3
	s_waitcnt lgkmcnt(0)
	s_add_u32 s12, s20, s12
	s_addc_u32 s13, s21, s13
	s_load_dwordx2 s[12:13], s[12:13], 0x0
	s_lshl_b64 s[18:19], s[22:23], 2
	s_waitcnt lgkmcnt(0)
	s_add_u32 s18, s12, s18
	s_addc_u32 s19, s13, s19
.LBB194_8:
	s_load_dwordx4 s[20:23], s[0:1], 0x68
	s_load_dword s30, s[0:1], 0x78
	s_lshl_b64 s[6:7], s[6:7], 3
	v_and_b32_e32 v2, 0x3ff, v0
	v_bfe_u32 v14, v0, 10, 10
	s_waitcnt lgkmcnt(0)
	s_add_u32 s6, s20, s6
	s_addc_u32 s7, s21, s7
	s_load_dwordx2 s[6:7], s[6:7], 0x0
	s_lshl_b64 s[12:13], s[22:23], 2
	v_lshl_add_u32 v3, v14, 6, v2
	s_waitcnt lgkmcnt(0)
	s_add_u32 s12, s6, s12
	s_addc_u32 s13, s7, s13
	s_andn2_b64 vcc, exec, s[4:5]
	s_cbranch_vccnz .LBB194_15
; %bb.9:
	s_movk_i32 s3, 0x100
	v_cmp_gt_u32_e32 vcc, s3, v3
	s_mov_b64 s[4:5], 0
                                        ; implicit-def: $vgpr1
                                        ; implicit-def: $vgpr4_vgpr5
	s_and_saveexec_b64 s[6:7], vcc
	s_cbranch_execz .LBB194_16
; %bb.10:
	v_lshl_or_b32 v0, s2, 8, v3
	v_mov_b32_e32 v1, 0
	s_ashr_i32 s15, s8, 31
	s_mov_b32 s14, s8
	v_cmp_gt_i64_e32 vcc, s[14:15], v[0:1]
	s_mov_b64 s[20:21], 0
                                        ; implicit-def: $vgpr4_vgpr5
	s_and_saveexec_b64 s[14:15], vcc
	s_cbranch_execz .LBB194_14
; %bb.11:
	v_mad_u64_u32 v[4:5], s[22:23], s30, v0, 0
	s_ashr_i32 s3, s30, 31
	v_mov_b32_e32 v6, v5
	v_cmp_eq_f32_e64 s[20:21], s11, 0
	v_mad_u64_u32 v[6:7], s[22:23], s3, v0, v[6:7]
	v_mov_b32_e32 v5, v6
	s_and_b64 vcc, exec, s[20:21]
	s_cbranch_vccnz .LBB194_13
; %bb.12:
	v_lshl_add_u64 v[0:1], v[4:5], 2, s[12:13]
	global_load_dword v0, v[0:1], off
	s_waitcnt vmcnt(0)
	v_mul_f32_e32 v1, s11, v0
.LBB194_13:
	s_mov_b64 s[20:21], exec
.LBB194_14:
	s_or_b64 exec, exec, s[14:15]
	s_and_b64 s[14:15], s[20:21], exec
	s_or_b64 exec, exec, s[6:7]
	s_and_b64 vcc, exec, s[4:5]
	s_cbranch_vccnz .LBB194_17
	s_branch .LBB194_54
.LBB194_15:
                                        ; implicit-def: $vgpr1
                                        ; implicit-def: $vgpr4_vgpr5
	s_cbranch_execnz .LBB194_17
	s_branch .LBB194_54
.LBB194_16:
	s_or_b64 exec, exec, s[6:7]
	s_and_b64 vcc, exec, s[4:5]
	s_cbranch_vccz .LBB194_54
.LBB194_17:
	s_load_dword s33, s[0:1], 0x28
	s_load_dword s34, s[0:1], 0x48
	s_ashr_i32 s0, s9, 31
	s_lshr_b32 s0, s0, 28
	s_add_i32 s0, s9, s0
	s_lshl_b32 s31, s2, 8
	s_and_b32 s35, s0, -16
	v_lshlrev_b32_e32 v20, 2, v14
	v_add_u32_e32 v19, s31, v2
	v_cmp_gt_i32_e32 vcc, s35, v20
	v_mov_b32_e32 v15, 0
	v_mov_b32_e32 v16, 0
	;; [unrolled: 1-line block ×4, first 2 shown]
	s_and_saveexec_b64 s[20:21], vcc
	s_cbranch_execz .LBB194_29
; %bb.18:
	v_add_u32_e32 v0, 64, v19
	v_cmp_gt_i32_e64 s[0:1], s8, v0
	v_add_u32_e32 v0, 0x80, v19
	v_cmp_gt_i32_e64 s[2:3], s8, v0
	;; [unrolled: 2-line block ×3, first 2 shown]
	s_waitcnt lgkmcnt(0)
	v_mul_lo_u32 v0, s33, v20
	v_add_u32_e32 v6, 2, v20
	v_add_u32_e32 v7, 3, v20
	v_add3_u32 v21, v0, s33, v2
	v_mad_u64_u32 v[0:1], s[6:7], s33, v6, v[2:3]
	v_mad_u64_u32 v[4:5], s[6:7], s33, v7, v[2:3]
	v_mul_lo_u32 v1, v14, s33
	v_mul_lo_u32 v5, s34, v20
	;; [unrolled: 1-line block ×4, first 2 shown]
	v_cmp_gt_i32_e32 vcc, s8, v19
	s_lshl_b32 s36, s33, 4
	v_lshl_add_u32 v1, v1, 2, v2
	v_add_u32_e32 v5, s34, v5
	s_lshl_b32 s37, s34, 4
	v_mul_lo_u32 v23, s34, v7
	v_lshlrev_b32_e32 v24, 2, v6
	s_mov_b32 s38, 0
	s_mov_b64 s[22:23], 0
	v_mov_b32_e32 v15, 0
	v_mov_b32_e32 v16, 0
	;; [unrolled: 1-line block ×4, first 2 shown]
	s_branch .LBB194_23
.LBB194_19:                             ;   in Loop: Header=BB194_23 Depth=1
	s_or_b64 exec, exec, s[28:29]
	s_waitcnt vmcnt(0) lgkmcnt(0)
	v_fmac_f32_e32 v17, v28, v40
	v_fmac_f32_e32 v17, v27, v39
	;; [unrolled: 1-line block ×4, first 2 shown]
.LBB194_20:                             ;   in Loop: Header=BB194_23 Depth=1
	s_or_b64 exec, exec, s[26:27]
	s_waitcnt vmcnt(0) lgkmcnt(0)
	v_fmac_f32_e32 v16, v28, v36
	v_fmac_f32_e32 v16, v27, v35
	v_fmac_f32_e32 v16, v26, v34
	v_fmac_f32_e32 v16, v25, v33
.LBB194_21:                             ;   in Loop: Header=BB194_23 Depth=1
	s_or_b64 exec, exec, s[24:25]
	s_waitcnt vmcnt(0) lgkmcnt(0)
	v_fmac_f32_e32 v15, v28, v32
	v_fmac_f32_e32 v15, v27, v31
	v_fmac_f32_e32 v15, v26, v30
	v_fmac_f32_e32 v15, v25, v29
.LBB194_22:                             ;   in Loop: Header=BB194_23 Depth=1
	s_or_b64 exec, exec, s[6:7]
	v_add_u32_e32 v20, 16, v20
	s_add_i32 s38, s38, s37
	v_cmp_le_i32_e64 s[6:7], s35, v20
	v_add_u32_e32 v21, s36, v21
	v_add_u32_e32 v0, s36, v0
	;; [unrolled: 1-line block ×3, first 2 shown]
	s_or_b64 s[22:23], s[6:7], s[22:23]
	v_add_u32_e32 v1, s36, v1
	s_andn2_b64 exec, exec, s[22:23]
	s_cbranch_execz .LBB194_28
.LBB194_23:                             ; =>This Inner Loop Header: Depth=1
	s_and_saveexec_b64 s[6:7], vcc
	s_cbranch_execz .LBB194_22
; %bb.24:                               ;   in Loop: Header=BB194_23 Depth=1
	v_add_u32_e32 v6, s38, v24
	v_ashrrev_i32_e32 v7, 31, v6
	v_add_u32_e32 v8, s38, v5
	v_add_u32_e32 v10, s38, v22
	;; [unrolled: 1-line block ×3, first 2 shown]
	v_lshl_add_u64 v[6:7], v[6:7], 2, s[18:19]
	v_ashrrev_i32_e32 v9, 31, v8
	v_ashrrev_i32_e32 v11, 31, v10
	;; [unrolled: 1-line block ×3, first 2 shown]
	v_lshl_add_u64 v[8:9], v[8:9], 2, s[18:19]
	v_lshl_add_u64 v[10:11], v[10:11], 2, s[18:19]
	;; [unrolled: 1-line block ×3, first 2 shown]
	flat_load_dword v28, v[6:7]
	flat_load_dword v27, v[8:9]
	;; [unrolled: 1-line block ×4, first 2 shown]
	v_add_u32_e32 v6, s31, v1
	v_ashrrev_i32_e32 v7, 31, v6
	v_add_u32_e32 v8, s31, v21
	v_add_u32_e32 v10, s31, v0
	;; [unrolled: 1-line block ×3, first 2 shown]
	v_lshl_add_u64 v[6:7], v[6:7], 2, s[16:17]
	v_ashrrev_i32_e32 v9, 31, v8
	v_ashrrev_i32_e32 v11, 31, v10
	;; [unrolled: 1-line block ×3, first 2 shown]
	v_lshl_add_u64 v[8:9], v[8:9], 2, s[16:17]
	v_lshl_add_u64 v[10:11], v[10:11], 2, s[16:17]
	;; [unrolled: 1-line block ×3, first 2 shown]
	flat_load_dword v32, v[6:7]
	flat_load_dword v31, v[8:9]
	;; [unrolled: 1-line block ×4, first 2 shown]
	s_and_saveexec_b64 s[24:25], s[0:1]
	s_cbranch_execz .LBB194_21
; %bb.25:                               ;   in Loop: Header=BB194_23 Depth=1
	flat_load_dword v36, v[6:7] offset:256
	flat_load_dword v35, v[8:9] offset:256
	flat_load_dword v34, v[10:11] offset:256
	flat_load_dword v33, v[12:13] offset:256
	s_and_saveexec_b64 s[26:27], s[2:3]
	s_cbranch_execz .LBB194_20
; %bb.26:                               ;   in Loop: Header=BB194_23 Depth=1
	flat_load_dword v40, v[6:7] offset:512
	flat_load_dword v39, v[8:9] offset:512
	flat_load_dword v38, v[10:11] offset:512
	flat_load_dword v37, v[12:13] offset:512
	;; [unrolled: 7-line block ×3, first 2 shown]
	s_waitcnt vmcnt(0) lgkmcnt(0)
	v_fmac_f32_e32 v18, v28, v41
	v_fmac_f32_e32 v18, v27, v42
	;; [unrolled: 1-line block ×4, first 2 shown]
	s_branch .LBB194_19
.LBB194_28:
	s_or_b64 exec, exec, s[22:23]
.LBB194_29:
	s_or_b64 exec, exec, s[20:21]
	s_sub_i32 s0, s9, s35
	s_cmp_lt_i32 s0, 1
	s_cbranch_scc1 .LBB194_47
; %bb.30:
	v_cmp_gt_i32_e32 vcc, s9, v20
	v_mov_b32_e32 v10, 0
	v_or_b32_e32 v4, 1, v20
	v_mov_b32_e32 v13, 0
	v_mov_b32_e32 v12, 0
	v_mov_b32_e32 v11, 0
	s_and_saveexec_b64 s[2:3], vcc
	s_cbranch_execz .LBB194_38
; %bb.31:
	s_waitcnt lgkmcnt(0)
	v_mul_lo_u32 v0, v20, s34
	v_ashrrev_i32_e32 v1, 31, v0
	v_lshl_add_u64 v[0:1], v[0:1], 2, s[18:19]
	flat_load_dword v11, v[0:1]
	v_cmp_gt_i32_e64 s[0:1], s9, v4
	v_mov_b32_e32 v12, 0
	v_mov_b32_e32 v13, 0
	;; [unrolled: 1-line block ×3, first 2 shown]
	s_and_saveexec_b64 s[4:5], s[0:1]
	s_cbranch_execz .LBB194_37
; %bb.32:
	v_mul_lo_u32 v0, v4, s34
	v_ashrrev_i32_e32 v1, 31, v0
	v_lshl_add_u64 v[0:1], v[0:1], 2, s[18:19]
	flat_load_dword v12, v[0:1]
	v_or_b32_e32 v0, 2, v20
	v_cmp_gt_i32_e64 s[0:1], s9, v0
	v_mov_b32_e32 v13, 0
	v_mov_b32_e32 v10, 0
	s_and_saveexec_b64 s[6:7], s[0:1]
	s_cbranch_execz .LBB194_36
; %bb.33:
	v_mul_lo_u32 v0, v0, s34
	v_ashrrev_i32_e32 v1, 31, v0
	v_lshl_add_u64 v[0:1], v[0:1], 2, s[18:19]
	flat_load_dword v13, v[0:1]
	v_or_b32_e32 v0, 3, v20
	v_cmp_gt_i32_e64 s[0:1], s9, v0
	v_mov_b32_e32 v10, 0
	s_and_saveexec_b64 s[20:21], s[0:1]
	s_cbranch_execz .LBB194_35
; %bb.34:
	v_mul_lo_u32 v0, v0, s34
	v_ashrrev_i32_e32 v1, 31, v0
	v_lshl_add_u64 v[0:1], v[0:1], 2, s[18:19]
	flat_load_dword v10, v[0:1]
.LBB194_35:
	s_or_b64 exec, exec, s[20:21]
.LBB194_36:
	s_or_b64 exec, exec, s[6:7]
.LBB194_37:
	s_or_b64 exec, exec, s[4:5]
.LBB194_38:
	s_or_b64 exec, exec, s[2:3]
	v_cmp_gt_i32_e64 s[0:1], s8, v19
	s_and_saveexec_b64 s[2:3], s[0:1]
	s_cbranch_execz .LBB194_46
; %bb.39:
	s_waitcnt lgkmcnt(0)
	v_mul_lo_u32 v0, v20, s33
	v_cndmask_b32_e32 v0, 0, v0, vcc
	v_mul_lo_u32 v5, v4, s33
	v_cmp_gt_i32_e32 vcc, s9, v4
	v_or_b32_e32 v6, 2, v20
	v_mul_lo_u32 v7, v6, s33
	v_cndmask_b32_e32 v4, 0, v5, vcc
	v_cmp_gt_i32_e32 vcc, s9, v6
	v_or_b32_e32 v8, 3, v20
	v_mul_lo_u32 v9, v8, s33
	v_cndmask_b32_e32 v6, 0, v7, vcc
	v_cmp_gt_i32_e32 vcc, s9, v8
	v_add_u32_e32 v0, v0, v19
	v_ashrrev_i32_e32 v1, 31, v0
	v_cndmask_b32_e32 v8, 0, v9, vcc
	v_add_u32_e32 v4, v4, v19
	v_add_u32_e32 v6, v6, v19
	;; [unrolled: 1-line block ×3, first 2 shown]
	v_lshl_add_u64 v[0:1], v[0:1], 2, s[16:17]
	v_ashrrev_i32_e32 v5, 31, v4
	v_ashrrev_i32_e32 v7, 31, v6
	;; [unrolled: 1-line block ×3, first 2 shown]
	v_lshl_add_u64 v[4:5], v[4:5], 2, s[16:17]
	v_lshl_add_u64 v[6:7], v[6:7], 2, s[16:17]
	flat_load_dword v21, v[0:1]
	flat_load_dword v22, v[4:5]
	;; [unrolled: 1-line block ×3, first 2 shown]
	v_lshl_add_u64 v[8:9], v[8:9], 2, s[16:17]
	flat_load_dword v20, v[8:9]
	v_add_u32_e32 v24, 64, v19
	v_cmp_gt_i32_e32 vcc, s8, v24
	s_waitcnt vmcnt(0) lgkmcnt(0)
	v_fmac_f32_e32 v15, v11, v21
	v_fmac_f32_e32 v15, v12, v22
	v_fmac_f32_e32 v15, v13, v23
	s_and_saveexec_b64 s[0:1], vcc
	s_cbranch_execz .LBB194_45
; %bb.40:
	flat_load_dword v22, v[0:1] offset:256
	flat_load_dword v23, v[4:5] offset:256
	flat_load_dword v24, v[6:7] offset:256
	flat_load_dword v21, v[8:9] offset:256
	v_add_u32_e32 v25, 0x80, v19
	v_cmp_gt_i32_e32 vcc, s8, v25
	s_waitcnt vmcnt(0) lgkmcnt(0)
	v_fmac_f32_e32 v16, v11, v22
	v_fmac_f32_e32 v16, v12, v23
	v_fmac_f32_e32 v16, v13, v24
	s_and_saveexec_b64 s[4:5], vcc
	s_cbranch_execz .LBB194_44
; %bb.41:
	flat_load_dword v23, v[0:1] offset:512
	flat_load_dword v24, v[4:5] offset:512
	flat_load_dword v25, v[6:7] offset:512
	flat_load_dword v22, v[8:9] offset:512
	;; [unrolled: 13-line block ×3, first 2 shown]
	s_waitcnt vmcnt(0) lgkmcnt(0)
	v_fmac_f32_e32 v18, v11, v19
	v_fmac_f32_e32 v18, v12, v23
	;; [unrolled: 1-line block ×4, first 2 shown]
.LBB194_43:
	s_or_b64 exec, exec, s[6:7]
	v_fmac_f32_e32 v17, v10, v22
.LBB194_44:
	s_or_b64 exec, exec, s[4:5]
	v_fmac_f32_e32 v16, v10, v21
.LBB194_45:
	s_or_b64 exec, exec, s[0:1]
	v_fmac_f32_e32 v15, v10, v20
.LBB194_46:
	s_or_b64 exec, exec, s[2:3]
.LBB194_47:
	v_lshlrev_b32_e32 v0, 8, v14
	s_movk_i32 s0, 0x100
	v_add_lshl_u32 v0, v0, v2, 2
	v_cmp_gt_u32_e32 vcc, s0, v3
	ds_write2st64_b32 v0, v15, v16 offset1:1
	ds_write2st64_b32 v0, v17, v18 offset0:2 offset1:3
	s_waitcnt lgkmcnt(0)
	s_barrier
	s_waitcnt lgkmcnt(0)
                                        ; implicit-def: $vgpr1
                                        ; implicit-def: $vgpr4_vgpr5
	s_and_saveexec_b64 s[0:1], vcc
	s_cbranch_execz .LBB194_53
; %bb.48:
	v_lshlrev_b32_e32 v1, 2, v3
	ds_read2st64_b32 v[4:5], v1 offset1:4
	ds_read2st64_b32 v[6:7], v1 offset0:8 offset1:12
	v_or_b32_e32 v0, s31, v3
	v_cmp_gt_i32_e32 vcc, s8, v0
	s_mov_b64 s[4:5], s[14:15]
	s_waitcnt lgkmcnt(0)
	v_add_f32_e32 v2, v4, v5
	v_add_f32_e32 v2, v6, v2
	;; [unrolled: 1-line block ×3, first 2 shown]
	ds_write_b32 v1, v2
                                        ; implicit-def: $vgpr1
                                        ; implicit-def: $vgpr4_vgpr5
	s_and_saveexec_b64 s[2:3], vcc
	s_cbranch_execz .LBB194_52
; %bb.49:
	v_cmp_eq_f32_e64 s[4:5], s11, 0
	v_mul_lo_u32 v4, v0, s30
	v_mul_f32_e32 v1, s10, v2
	v_ashrrev_i32_e32 v5, 31, v4
	s_and_b64 vcc, exec, s[4:5]
	s_cbranch_vccnz .LBB194_51
; %bb.50:
	v_lshl_add_u64 v[2:3], v[4:5], 2, s[12:13]
	global_load_dword v0, v[2:3], off
	s_waitcnt vmcnt(0)
	v_fmac_f32_e32 v1, s11, v0
.LBB194_51:
	s_or_b64 s[4:5], s[14:15], exec
.LBB194_52:
	s_or_b64 exec, exec, s[2:3]
	s_andn2_b64 s[2:3], s[14:15], exec
	s_and_b64 s[4:5], s[4:5], exec
	s_or_b64 s[14:15], s[2:3], s[4:5]
.LBB194_53:
	s_or_b64 exec, exec, s[0:1]
.LBB194_54:
	s_and_saveexec_b64 s[0:1], s[14:15]
	s_cbranch_execz .LBB194_56
; %bb.55:
	v_lshl_add_u64 v[2:3], v[4:5], 2, s[12:13]
	global_store_dword v[2:3], v1, off
.LBB194_56:
	s_endpgm
	.section	.rodata,"a",@progbits
	.p2align	6, 0x0
	.amdhsa_kernel _ZL20rocblas_gemvn_kernelILi64ELi4EiPKffKPfEviiT3_lPKT2_lT1_lS7_lS8_lS4_lPT4_lS8_li
		.amdhsa_group_segment_fixed_size 4096
		.amdhsa_private_segment_fixed_size 0
		.amdhsa_kernarg_size 400
		.amdhsa_user_sgpr_count 2
		.amdhsa_user_sgpr_dispatch_ptr 0
		.amdhsa_user_sgpr_queue_ptr 0
		.amdhsa_user_sgpr_kernarg_segment_ptr 1
		.amdhsa_user_sgpr_dispatch_id 0
		.amdhsa_user_sgpr_kernarg_preload_length 0
		.amdhsa_user_sgpr_kernarg_preload_offset 0
		.amdhsa_user_sgpr_private_segment_size 0
		.amdhsa_uses_dynamic_stack 0
		.amdhsa_enable_private_segment 0
		.amdhsa_system_sgpr_workgroup_id_x 1
		.amdhsa_system_sgpr_workgroup_id_y 0
		.amdhsa_system_sgpr_workgroup_id_z 1
		.amdhsa_system_sgpr_workgroup_info 0
		.amdhsa_system_vgpr_workitem_id 1
		.amdhsa_next_free_vgpr 45
		.amdhsa_next_free_sgpr 39
		.amdhsa_accum_offset 48
		.amdhsa_reserve_vcc 1
		.amdhsa_float_round_mode_32 0
		.amdhsa_float_round_mode_16_64 0
		.amdhsa_float_denorm_mode_32 3
		.amdhsa_float_denorm_mode_16_64 3
		.amdhsa_dx10_clamp 1
		.amdhsa_ieee_mode 1
		.amdhsa_fp16_overflow 0
		.amdhsa_tg_split 0
		.amdhsa_exception_fp_ieee_invalid_op 0
		.amdhsa_exception_fp_denorm_src 0
		.amdhsa_exception_fp_ieee_div_zero 0
		.amdhsa_exception_fp_ieee_overflow 0
		.amdhsa_exception_fp_ieee_underflow 0
		.amdhsa_exception_fp_ieee_inexact 0
		.amdhsa_exception_int_div_zero 0
	.end_amdhsa_kernel
	.section	.text._ZL20rocblas_gemvn_kernelILi64ELi4EiPKffKPfEviiT3_lPKT2_lT1_lS7_lS8_lS4_lPT4_lS8_li,"axG",@progbits,_ZL20rocblas_gemvn_kernelILi64ELi4EiPKffKPfEviiT3_lPKT2_lT1_lS7_lS8_lS4_lPT4_lS8_li,comdat
.Lfunc_end194:
	.size	_ZL20rocblas_gemvn_kernelILi64ELi4EiPKffKPfEviiT3_lPKT2_lT1_lS7_lS8_lS4_lPT4_lS8_li, .Lfunc_end194-_ZL20rocblas_gemvn_kernelILi64ELi4EiPKffKPfEviiT3_lPKT2_lT1_lS7_lS8_lS4_lPT4_lS8_li
                                        ; -- End function
	.section	.AMDGPU.csdata,"",@progbits
; Kernel info:
; codeLenInByte = 2152
; NumSgprs: 45
; NumVgprs: 45
; NumAgprs: 0
; TotalNumVgprs: 45
; ScratchSize: 0
; MemoryBound: 0
; FloatMode: 240
; IeeeMode: 1
; LDSByteSize: 4096 bytes/workgroup (compile time only)
; SGPRBlocks: 5
; VGPRBlocks: 5
; NumSGPRsForWavesPerEU: 45
; NumVGPRsForWavesPerEU: 45
; AccumOffset: 48
; Occupancy: 8
; WaveLimiterHint : 1
; COMPUTE_PGM_RSRC2:SCRATCH_EN: 0
; COMPUTE_PGM_RSRC2:USER_SGPR: 2
; COMPUTE_PGM_RSRC2:TRAP_HANDLER: 0
; COMPUTE_PGM_RSRC2:TGID_X_EN: 1
; COMPUTE_PGM_RSRC2:TGID_Y_EN: 0
; COMPUTE_PGM_RSRC2:TGID_Z_EN: 1
; COMPUTE_PGM_RSRC2:TIDIG_COMP_CNT: 1
; COMPUTE_PGM_RSRC3_GFX90A:ACCUM_OFFSET: 11
; COMPUTE_PGM_RSRC3_GFX90A:TG_SPLIT: 0
	.section	.text._ZL20rocblas_gemvn_kernelILi64ELi4ElPKffKPfEviiT3_lPKT2_lT1_lS7_lS8_lS4_lPT4_lS8_li,"axG",@progbits,_ZL20rocblas_gemvn_kernelILi64ELi4ElPKffKPfEviiT3_lPKT2_lT1_lS7_lS8_lS4_lPT4_lS8_li,comdat
	.globl	_ZL20rocblas_gemvn_kernelILi64ELi4ElPKffKPfEviiT3_lPKT2_lT1_lS7_lS8_lS4_lPT4_lS8_li ; -- Begin function _ZL20rocblas_gemvn_kernelILi64ELi4ElPKffKPfEviiT3_lPKT2_lT1_lS7_lS8_lS4_lPT4_lS8_li
	.p2align	8
	.type	_ZL20rocblas_gemvn_kernelILi64ELi4ElPKffKPfEviiT3_lPKT2_lT1_lS7_lS8_lS4_lPT4_lS8_li,@function
_ZL20rocblas_gemvn_kernelILi64ELi4ElPKffKPfEviiT3_lPKT2_lT1_lS7_lS8_lS4_lPT4_lS8_li: ; @_ZL20rocblas_gemvn_kernelILi64ELi4ElPKffKPfEviiT3_lPKT2_lT1_lS7_lS8_lS4_lPT4_lS8_li
; %bb.0:
	s_load_dwordx2 s[4:5], s[0:1], 0x9c
	s_mov_b32 s12, s3
	s_waitcnt lgkmcnt(0)
	s_and_b32 s3, s5, 0xffff
	s_lshr_b32 s5, s4, 16
	s_and_b32 s4, s4, 0xffff
	s_mul_i32 s4, s5, s4
	s_mul_i32 s4, s4, s3
	s_cmpk_lg_i32 s4, 0x100
	s_cbranch_scc1 .LBB195_56
; %bb.1:
	s_load_dwordx4 s[8:11], s[0:1], 0x0
	s_waitcnt lgkmcnt(0)
	s_load_dword s11, s[0:1], 0x58
	v_cmp_eq_f32_e64 s[26:27], s10, 0
	s_waitcnt lgkmcnt(0)
	v_cmp_eq_f32_e64 s[4:5], s11, 1.0
	s_and_b64 s[4:5], s[26:27], s[4:5]
	s_and_b64 vcc, exec, s[4:5]
	s_cbranch_vccnz .LBB195_56
; %bb.2:
	s_load_dwordx4 s[4:7], s[0:1], 0x18
	s_load_dwordx2 s[18:19], s[0:1], 0x28
	v_cmp_neq_f32_e64 s[16:17], s10, 0
	s_mov_b32 s13, 0
	s_and_b64 vcc, exec, s[16:17]
	s_cbranch_vccnz .LBB195_4
; %bb.3:
	s_mov_b64 s[20:21], 0
	s_cbranch_execz .LBB195_5
	s_branch .LBB195_6
.LBB195_4:
                                        ; implicit-def: $sgpr20_sgpr21
.LBB195_5:
	s_lshl_b64 s[14:15], s[12:13], 3
	s_waitcnt lgkmcnt(0)
	s_add_u32 s4, s4, s14
	s_addc_u32 s5, s5, s15
	s_load_dwordx2 s[4:5], s[4:5], 0x0
	s_lshl_b64 s[6:7], s[6:7], 2
	s_waitcnt lgkmcnt(0)
	s_add_u32 s20, s4, s6
	s_addc_u32 s21, s5, s7
.LBB195_6:
	s_waitcnt lgkmcnt(0)
	s_load_dwordx4 s[4:7], s[0:1], 0x38
	s_load_dwordx2 s[22:23], s[0:1], 0x48
	s_mov_b64 s[14:15], 0
	s_andn2_b64 vcc, exec, s[16:17]
	s_mov_b64 s[24:25], 0
	s_cbranch_vccnz .LBB195_8
; %bb.7:
	s_lshl_b64 s[16:17], s[12:13], 3
	s_waitcnt lgkmcnt(0)
	s_add_u32 s4, s4, s16
	s_addc_u32 s5, s5, s17
	s_load_dwordx2 s[4:5], s[4:5], 0x0
	s_lshl_b64 s[6:7], s[6:7], 2
	s_waitcnt lgkmcnt(0)
	s_add_u32 s24, s4, s6
	s_addc_u32 s25, s5, s7
.LBB195_8:
	s_waitcnt lgkmcnt(0)
	s_load_dwordx4 s[4:7], s[0:1], 0x68
	s_load_dwordx2 s[16:17], s[0:1], 0x78
	s_lshl_b64 s[0:1], s[12:13], 3
	v_and_b32_e32 v29, 0x3ff, v0
	v_bfe_u32 v30, v0, 10, 10
	s_waitcnt lgkmcnt(0)
	s_add_u32 s0, s4, s0
	s_addc_u32 s1, s5, s1
	s_load_dwordx2 s[0:1], s[0:1], 0x0
	s_lshl_b64 s[4:5], s[6:7], 2
	v_lshl_add_u32 v28, v30, 6, v29
	s_waitcnt lgkmcnt(0)
	s_add_u32 s12, s0, s4
	s_addc_u32 s13, s1, s5
	s_andn2_b64 vcc, exec, s[26:27]
	s_cbranch_vccnz .LBB195_15
; %bb.9:
	s_movk_i32 s0, 0x100
	v_cmp_gt_u32_e32 vcc, s0, v28
	s_mov_b64 s[0:1], 0
                                        ; implicit-def: $vgpr1
                                        ; implicit-def: $vgpr2_vgpr3
	s_and_saveexec_b64 s[4:5], vcc
	s_cbranch_execz .LBB195_16
; %bb.10:
	v_lshl_or_b32 v0, s2, 8, v28
	v_mov_b32_e32 v1, 0
	s_ashr_i32 s7, s8, 31
	s_mov_b32 s6, s8
	v_cmp_gt_i64_e32 vcc, s[6:7], v[0:1]
                                        ; implicit-def: $vgpr2_vgpr3
	s_and_saveexec_b64 s[6:7], vcc
	s_cbranch_execz .LBB195_14
; %bb.11:
	v_mad_u64_u32 v[2:3], s[26:27], v0, s16, 0
	v_mov_b32_e32 v4, v3
	v_cmp_eq_f32_e64 s[14:15], s11, 0
	v_mad_u64_u32 v[4:5], s[26:27], v0, s17, v[4:5]
	v_mov_b32_e32 v3, v4
	s_and_b64 vcc, exec, s[14:15]
	s_cbranch_vccnz .LBB195_13
; %bb.12:
	v_lshl_add_u64 v[0:1], v[2:3], 2, s[12:13]
	global_load_dword v0, v[0:1], off
	s_waitcnt vmcnt(0)
	v_mul_f32_e32 v1, s11, v0
.LBB195_13:
	s_mov_b64 s[14:15], exec
.LBB195_14:
	s_or_b64 exec, exec, s[6:7]
	s_and_b64 s[14:15], s[14:15], exec
	s_or_b64 exec, exec, s[4:5]
	s_and_b64 vcc, exec, s[0:1]
	s_cbranch_vccnz .LBB195_17
	s_branch .LBB195_54
.LBB195_15:
                                        ; implicit-def: $vgpr1
                                        ; implicit-def: $vgpr2_vgpr3
	s_cbranch_execnz .LBB195_17
	s_branch .LBB195_54
.LBB195_16:
	s_or_b64 exec, exec, s[4:5]
	s_and_b64 vcc, exec, s[0:1]
	s_cbranch_vccz .LBB195_54
.LBB195_17:
	s_ashr_i32 s0, s9, 31
	s_lshr_b32 s0, s0, 28
	s_add_i32 s0, s9, s0
	s_lshl_b32 s33, s2, 8
	s_and_b32 s44, s0, -16
	v_lshlrev_b32_e32 v35, 2, v30
	v_add_u32_e32 v0, s33, v29
	v_cmp_gt_i32_e32 vcc, s44, v35
	v_mov_b32_e32 v31, 0
	v_mov_b32_e32 v32, 0
	;; [unrolled: 1-line block ×4, first 2 shown]
	s_and_saveexec_b64 s[26:27], vcc
	s_cbranch_execz .LBB195_29
; %bb.18:
	v_add_u32_e32 v2, 64, v0
	v_cmp_gt_i32_e64 s[0:1], s8, v2
	v_add_u32_e32 v2, 0x80, v0
	v_ashrrev_i32_e32 v1, 31, v0
	v_cmp_gt_i32_e64 s[2:3], s8, v2
	v_add_u32_e32 v2, 0xc0, v0
	v_cmp_gt_i32_e64 s[4:5], s8, v2
	v_lshlrev_b64 v[2:3], 2, v[0:1]
	v_lshlrev_b32_e32 v1, 2, v30
	v_or_b32_e32 v15, 3, v1
	v_mad_u64_u32 v[4:5], s[6:7], s18, v15, 0
	v_mov_b32_e32 v6, v5
	v_mad_u64_u32 v[6:7], s[6:7], s19, v15, v[6:7]
	v_mov_b32_e32 v5, v6
	;; [unrolled: 2-line block ×6, first 2 shown]
	v_mov_b64_e32 v[10:11], s[22:23]
	v_mad_u64_u32 v[10:11], s[6:7], s22, v1, v[10:11]
	v_mov_b32_e32 v12, v11
	v_mad_u64_u32 v[12:13], s[6:7], s23, v1, v[12:13]
	v_mov_b32_e32 v11, v12
	;; [unrolled: 2-line block ×3, first 2 shown]
	v_mad_u64_u32 v[14:15], s[6:7], s23, v15, v[14:15]
	v_or_b32_e32 v21, 2, v1
	v_mov_b32_e32 v13, v14
	v_mad_u64_u32 v[14:15], s[6:7], s18, v21, 0
	v_mov_b32_e32 v16, v15
	v_mad_u64_u32 v[16:17], s[6:7], s19, v21, v[16:17]
	v_mov_b32_e32 v15, v16
	v_mov_b64_e32 v[16:17], s[18:19]
	v_mad_u64_u32 v[16:17], s[6:7], s18, v1, v[16:17]
	v_mov_b32_e32 v18, v17
	v_mad_u64_u32 v[18:19], s[6:7], s19, v1, v[18:19]
	v_mov_b32_e32 v17, v18
	;; [unrolled: 2-line block ×4, first 2 shown]
	v_cmp_gt_i32_e32 vcc, s8, v0
	v_lshl_add_u64 v[4:5], v[4:5], 2, s[20:21]
	s_lshl_b64 s[28:29], s[18:19], 6
	v_lshlrev_b64 v[6:7], 4, v[6:7]
	s_lshl_b64 s[30:31], s[22:23], 6
	v_lshl_add_u64 v[8:9], v[8:9], 4, s[20:21]
	v_lshlrev_b64 v[10:11], 2, v[10:11]
	v_lshlrev_b64 v[12:13], 2, v[12:13]
	v_lshl_add_u64 v[14:15], v[14:15], 2, s[20:21]
	v_lshl_add_u64 v[16:17], v[16:17], 2, s[20:21]
	v_lshlrev_b64 v[18:19], 2, v[18:19]
	s_mov_b64 s[34:35], 0
	v_mov_b32_e32 v31, 0
	s_mov_b64 s[36:37], s[24:25]
	v_mov_b32_e32 v32, 0
	v_mov_b32_e32 v33, 0
	;; [unrolled: 1-line block ×3, first 2 shown]
	s_branch .LBB195_23
.LBB195_19:                             ;   in Loop: Header=BB195_23 Depth=1
	s_or_b64 exec, exec, s[42:43]
	s_waitcnt vmcnt(0) lgkmcnt(0)
	v_fmac_f32_e32 v33, v38, v50
	v_fmac_f32_e32 v33, v37, v49
	;; [unrolled: 1-line block ×4, first 2 shown]
.LBB195_20:                             ;   in Loop: Header=BB195_23 Depth=1
	s_or_b64 exec, exec, s[40:41]
	s_waitcnt vmcnt(0) lgkmcnt(0)
	v_fmac_f32_e32 v32, v38, v46
	v_fmac_f32_e32 v32, v37, v45
	;; [unrolled: 1-line block ×4, first 2 shown]
.LBB195_21:                             ;   in Loop: Header=BB195_23 Depth=1
	s_or_b64 exec, exec, s[38:39]
	s_waitcnt vmcnt(0) lgkmcnt(0)
	v_fmac_f32_e32 v31, v38, v39
	v_fmac_f32_e32 v31, v37, v40
	;; [unrolled: 1-line block ×4, first 2 shown]
.LBB195_22:                             ;   in Loop: Header=BB195_23 Depth=1
	s_or_b64 exec, exec, s[6:7]
	v_add_u32_e32 v35, 16, v35
	s_add_u32 s36, s36, s30
	s_addc_u32 s37, s37, s31
	v_cmp_le_i32_e64 s[6:7], s44, v35
	v_lshl_add_u64 v[4:5], v[4:5], 0, s[28:29]
	v_lshl_add_u64 v[8:9], v[8:9], 0, s[28:29]
	;; [unrolled: 1-line block ×3, first 2 shown]
	s_or_b64 s[34:35], s[6:7], s[34:35]
	v_lshl_add_u64 v[16:17], v[16:17], 0, s[28:29]
	s_andn2_b64 exec, exec, s[34:35]
	s_cbranch_execz .LBB195_28
.LBB195_23:                             ; =>This Inner Loop Header: Depth=1
	s_and_saveexec_b64 s[6:7], vcc
	s_cbranch_execz .LBB195_22
; %bb.24:                               ;   in Loop: Header=BB195_23 Depth=1
	v_lshl_add_u64 v[20:21], s[36:37], 0, v[6:7]
	v_lshl_add_u64 v[22:23], s[36:37], 0, v[10:11]
	;; [unrolled: 1-line block ×4, first 2 shown]
	flat_load_dword v38, v[20:21]
	flat_load_dword v37, v[22:23]
	;; [unrolled: 1-line block ×4, first 2 shown]
	v_lshl_add_u64 v[20:21], v[8:9], 0, v[2:3]
	v_lshl_add_u64 v[22:23], v[16:17], 0, v[2:3]
	;; [unrolled: 1-line block ×4, first 2 shown]
	flat_load_dword v39, v[20:21]
	flat_load_dword v40, v[22:23]
	;; [unrolled: 1-line block ×4, first 2 shown]
	s_and_saveexec_b64 s[38:39], s[0:1]
	s_cbranch_execz .LBB195_21
; %bb.25:                               ;   in Loop: Header=BB195_23 Depth=1
	flat_load_dword v46, v[20:21] offset:256
	flat_load_dword v45, v[22:23] offset:256
	flat_load_dword v44, v[24:25] offset:256
	flat_load_dword v43, v[26:27] offset:256
	s_and_saveexec_b64 s[40:41], s[2:3]
	s_cbranch_execz .LBB195_20
; %bb.26:                               ;   in Loop: Header=BB195_23 Depth=1
	flat_load_dword v50, v[20:21] offset:512
	flat_load_dword v49, v[22:23] offset:512
	flat_load_dword v48, v[24:25] offset:512
	flat_load_dword v47, v[26:27] offset:512
	;; [unrolled: 7-line block ×3, first 2 shown]
	s_waitcnt vmcnt(0) lgkmcnt(0)
	v_fmac_f32_e32 v34, v38, v51
	v_fmac_f32_e32 v34, v37, v52
	;; [unrolled: 1-line block ×4, first 2 shown]
	s_branch .LBB195_19
.LBB195_28:
	s_or_b64 exec, exec, s[34:35]
.LBB195_29:
	s_or_b64 exec, exec, s[26:27]
	s_sub_i32 s0, s9, s44
	s_cmp_lt_i32 s0, 1
	s_cbranch_scc1 .LBB195_47
; %bb.30:
	v_cmp_gt_i32_e32 vcc, s9, v35
	v_mov_b32_e32 v11, 0
	v_or_b32_e32 v4, 1, v35
	v_mov_b32_e32 v13, 0
	v_mov_b32_e32 v12, 0
	;; [unrolled: 1-line block ×3, first 2 shown]
	s_and_saveexec_b64 s[2:3], vcc
	s_cbranch_execz .LBB195_38
; %bb.31:
	v_mad_u64_u32 v[2:3], s[0:1], v35, s22, 0
	v_mov_b32_e32 v6, v3
	v_mad_u64_u32 v[6:7], s[0:1], v35, s23, v[6:7]
	v_mov_b32_e32 v3, v6
	v_lshl_add_u64 v[2:3], v[2:3], 2, s[24:25]
	flat_load_dword v10, v[2:3]
	v_cmp_gt_i32_e64 s[0:1], s9, v4
	v_mov_b32_e32 v12, 0
	v_mov_b32_e32 v13, 0
	;; [unrolled: 1-line block ×3, first 2 shown]
	s_and_saveexec_b64 s[4:5], s[0:1]
	s_cbranch_execz .LBB195_37
; %bb.32:
	v_mad_u64_u32 v[2:3], s[0:1], v4, s22, 0
	v_mov_b32_e32 v6, v3
	v_mad_u64_u32 v[6:7], s[0:1], v4, s23, v[6:7]
	v_mov_b32_e32 v3, v6
	v_lshl_add_u64 v[2:3], v[2:3], 2, s[24:25]
	flat_load_dword v12, v[2:3]
	v_or_b32_e32 v1, 2, v35
	v_cmp_gt_i32_e64 s[0:1], s9, v1
	v_mov_b32_e32 v13, 0
	v_mov_b32_e32 v11, 0
	s_and_saveexec_b64 s[6:7], s[0:1]
	s_cbranch_execz .LBB195_36
; %bb.33:
	v_mad_u64_u32 v[2:3], s[0:1], v1, s22, 0
	v_mov_b32_e32 v6, v3
	v_mad_u64_u32 v[6:7], s[0:1], v1, s23, v[6:7]
	v_mov_b32_e32 v3, v6
	v_lshl_add_u64 v[2:3], v[2:3], 2, s[24:25]
	flat_load_dword v13, v[2:3]
	v_or_b32_e32 v1, 3, v35
	v_cmp_gt_i32_e64 s[0:1], s9, v1
	v_mov_b32_e32 v11, 0
	s_and_saveexec_b64 s[26:27], s[0:1]
	s_cbranch_execz .LBB195_35
; %bb.34:
	v_mad_u64_u32 v[2:3], s[0:1], v1, s22, 0
	v_mov_b32_e32 v6, v3
	v_mad_u64_u32 v[6:7], s[0:1], v1, s23, v[6:7]
	v_mov_b32_e32 v3, v6
	v_lshl_add_u64 v[2:3], v[2:3], 2, s[24:25]
	flat_load_dword v11, v[2:3]
.LBB195_35:
	s_or_b64 exec, exec, s[26:27]
.LBB195_36:
	s_or_b64 exec, exec, s[6:7]
.LBB195_37:
	s_or_b64 exec, exec, s[4:5]
.LBB195_38:
	s_or_b64 exec, exec, s[2:3]
	v_cmp_gt_i32_e64 s[0:1], s8, v0
	s_and_saveexec_b64 s[2:3], s[0:1]
	s_cbranch_execz .LBB195_46
; %bb.39:
	v_mad_u64_u32 v[2:3], s[0:1], v35, s18, 0
	v_mov_b32_e32 v6, v3
	v_mad_u64_u32 v[6:7], s[0:1], v35, s19, v[6:7]
	v_ashrrev_i32_e32 v1, 31, v0
	v_cndmask_b32_e32 v3, 0, v6, vcc
	v_mad_u64_u32 v[6:7], s[0:1], v4, s18, 0
	v_cndmask_b32_e32 v2, 0, v2, vcc
	v_lshlrev_b64 v[8:9], 2, v[0:1]
	v_mov_b32_e32 v14, v7
	v_cmp_gt_i32_e32 vcc, s9, v4
	v_or_b32_e32 v1, 2, v35
	v_mad_u64_u32 v[14:15], s[0:1], v4, s19, v[14:15]
	v_cndmask_b32_e32 v4, 0, v6, vcc
	v_mad_u64_u32 v[6:7], s[0:1], v1, s18, 0
	v_cndmask_b32_e32 v5, 0, v14, vcc
	v_mov_b32_e32 v14, v7
	v_mad_u64_u32 v[14:15], s[0:1], v1, s19, v[14:15]
	v_cmp_gt_i32_e32 vcc, s9, v1
	v_or_b32_e32 v1, 3, v35
	v_lshl_add_u64 v[2:3], v[2:3], 2, s[20:21]
	v_cndmask_b32_e32 v7, 0, v14, vcc
	v_mad_u64_u32 v[14:15], s[0:1], v1, s18, 0
	v_mov_b32_e32 v16, v15
	v_cndmask_b32_e32 v6, 0, v6, vcc
	v_mad_u64_u32 v[16:17], s[0:1], v1, s19, v[16:17]
	v_cmp_gt_i32_e32 vcc, s9, v1
	v_lshl_add_u64 v[2:3], v[2:3], 0, v[8:9]
	v_lshl_add_u64 v[4:5], v[4:5], 2, s[20:21]
	v_cndmask_b32_e32 v14, 0, v14, vcc
	v_cndmask_b32_e32 v15, 0, v16, vcc
	v_lshl_add_u64 v[6:7], v[6:7], 2, s[20:21]
	v_lshl_add_u64 v[14:15], v[14:15], 2, s[20:21]
	;; [unrolled: 1-line block ×4, first 2 shown]
	flat_load_dword v16, v[2:3]
	flat_load_dword v17, v[4:5]
	;; [unrolled: 1-line block ×3, first 2 shown]
	v_lshl_add_u64 v[8:9], v[14:15], 0, v[8:9]
	flat_load_dword v1, v[8:9]
	v_add_u32_e32 v14, 64, v0
	v_cmp_gt_i32_e32 vcc, s8, v14
	s_waitcnt vmcnt(0) lgkmcnt(0)
	v_fmac_f32_e32 v31, v10, v16
	v_fmac_f32_e32 v31, v12, v17
	v_fmac_f32_e32 v31, v13, v18
	s_and_saveexec_b64 s[0:1], vcc
	s_cbranch_execz .LBB195_45
; %bb.40:
	flat_load_dword v15, v[2:3] offset:256
	flat_load_dword v16, v[4:5] offset:256
	flat_load_dword v17, v[6:7] offset:256
	flat_load_dword v14, v[8:9] offset:256
	v_add_u32_e32 v18, 0x80, v0
	v_cmp_gt_i32_e32 vcc, s8, v18
	s_waitcnt vmcnt(0) lgkmcnt(0)
	v_fmac_f32_e32 v32, v10, v15
	v_fmac_f32_e32 v32, v12, v16
	v_fmac_f32_e32 v32, v13, v17
	s_and_saveexec_b64 s[4:5], vcc
	s_cbranch_execz .LBB195_44
; %bb.41:
	flat_load_dword v16, v[2:3] offset:512
	flat_load_dword v17, v[4:5] offset:512
	flat_load_dword v18, v[6:7] offset:512
	flat_load_dword v15, v[8:9] offset:512
	;; [unrolled: 13-line block ×3, first 2 shown]
	s_waitcnt vmcnt(0) lgkmcnt(0)
	v_fmac_f32_e32 v34, v10, v0
	v_fmac_f32_e32 v34, v12, v16
	;; [unrolled: 1-line block ×4, first 2 shown]
.LBB195_43:
	s_or_b64 exec, exec, s[6:7]
	v_fmac_f32_e32 v33, v11, v15
.LBB195_44:
	s_or_b64 exec, exec, s[4:5]
	v_fmac_f32_e32 v32, v11, v14
.LBB195_45:
	s_or_b64 exec, exec, s[0:1]
	v_fmac_f32_e32 v31, v11, v1
.LBB195_46:
	s_or_b64 exec, exec, s[2:3]
.LBB195_47:
	v_lshlrev_b32_e32 v0, 8, v30
	s_movk_i32 s0, 0x100
	v_add_lshl_u32 v0, v0, v29, 2
	v_cmp_gt_u32_e32 vcc, s0, v28
	ds_write2st64_b32 v0, v31, v32 offset1:1
	ds_write2st64_b32 v0, v33, v34 offset0:2 offset1:3
	s_waitcnt lgkmcnt(0)
	s_barrier
	s_waitcnt lgkmcnt(0)
                                        ; implicit-def: $vgpr1
                                        ; implicit-def: $vgpr2_vgpr3
	s_and_saveexec_b64 s[0:1], vcc
	s_cbranch_execz .LBB195_53
; %bb.48:
	v_lshlrev_b32_e32 v1, 2, v28
	ds_read2st64_b32 v[2:3], v1 offset1:4
	ds_read2st64_b32 v[4:5], v1 offset0:8 offset1:12
	v_or_b32_e32 v0, s33, v28
	v_cmp_gt_i32_e32 vcc, s8, v0
	s_mov_b64 s[4:5], s[14:15]
	s_waitcnt lgkmcnt(0)
	v_add_f32_e32 v2, v2, v3
	v_add_f32_e32 v2, v4, v2
	;; [unrolled: 1-line block ×3, first 2 shown]
	ds_write_b32 v1, v4
                                        ; implicit-def: $vgpr1
                                        ; implicit-def: $vgpr2_vgpr3
	s_and_saveexec_b64 s[2:3], vcc
	s_cbranch_execz .LBB195_52
; %bb.49:
	v_ashrrev_i32_e32 v2, 31, v0
	v_cmp_eq_f32_e64 s[4:5], s11, 0
	v_mul_f32_e32 v1, s10, v4
	v_mul_lo_u32 v4, v0, s17
	v_mul_lo_u32 v5, v2, s16
	v_mad_u64_u32 v[2:3], s[6:7], v0, s16, 0
	v_add3_u32 v3, v3, v4, v5
	s_and_b64 vcc, exec, s[4:5]
	s_cbranch_vccnz .LBB195_51
; %bb.50:
	v_lshl_add_u64 v[4:5], v[2:3], 2, s[12:13]
	global_load_dword v0, v[4:5], off
	s_waitcnt vmcnt(0)
	v_fmac_f32_e32 v1, s11, v0
.LBB195_51:
	s_or_b64 s[4:5], s[14:15], exec
.LBB195_52:
	s_or_b64 exec, exec, s[2:3]
	s_andn2_b64 s[2:3], s[14:15], exec
	s_and_b64 s[4:5], s[4:5], exec
	s_or_b64 s[14:15], s[2:3], s[4:5]
.LBB195_53:
	s_or_b64 exec, exec, s[0:1]
.LBB195_54:
	s_and_saveexec_b64 s[0:1], s[14:15]
	s_cbranch_execz .LBB195_56
; %bb.55:
	v_lshl_add_u64 v[2:3], v[2:3], 2, s[12:13]
	global_store_dword v[2:3], v1, off
.LBB195_56:
	s_endpgm
	.section	.rodata,"a",@progbits
	.p2align	6, 0x0
	.amdhsa_kernel _ZL20rocblas_gemvn_kernelILi64ELi4ElPKffKPfEviiT3_lPKT2_lT1_lS7_lS8_lS4_lPT4_lS8_li
		.amdhsa_group_segment_fixed_size 4096
		.amdhsa_private_segment_fixed_size 0
		.amdhsa_kernarg_size 400
		.amdhsa_user_sgpr_count 2
		.amdhsa_user_sgpr_dispatch_ptr 0
		.amdhsa_user_sgpr_queue_ptr 0
		.amdhsa_user_sgpr_kernarg_segment_ptr 1
		.amdhsa_user_sgpr_dispatch_id 0
		.amdhsa_user_sgpr_kernarg_preload_length 0
		.amdhsa_user_sgpr_kernarg_preload_offset 0
		.amdhsa_user_sgpr_private_segment_size 0
		.amdhsa_uses_dynamic_stack 0
		.amdhsa_enable_private_segment 0
		.amdhsa_system_sgpr_workgroup_id_x 1
		.amdhsa_system_sgpr_workgroup_id_y 0
		.amdhsa_system_sgpr_workgroup_id_z 1
		.amdhsa_system_sgpr_workgroup_info 0
		.amdhsa_system_vgpr_workitem_id 1
		.amdhsa_next_free_vgpr 55
		.amdhsa_next_free_sgpr 45
		.amdhsa_accum_offset 56
		.amdhsa_reserve_vcc 1
		.amdhsa_float_round_mode_32 0
		.amdhsa_float_round_mode_16_64 0
		.amdhsa_float_denorm_mode_32 3
		.amdhsa_float_denorm_mode_16_64 3
		.amdhsa_dx10_clamp 1
		.amdhsa_ieee_mode 1
		.amdhsa_fp16_overflow 0
		.amdhsa_tg_split 0
		.amdhsa_exception_fp_ieee_invalid_op 0
		.amdhsa_exception_fp_denorm_src 0
		.amdhsa_exception_fp_ieee_div_zero 0
		.amdhsa_exception_fp_ieee_overflow 0
		.amdhsa_exception_fp_ieee_underflow 0
		.amdhsa_exception_fp_ieee_inexact 0
		.amdhsa_exception_int_div_zero 0
	.end_amdhsa_kernel
	.section	.text._ZL20rocblas_gemvn_kernelILi64ELi4ElPKffKPfEviiT3_lPKT2_lT1_lS7_lS8_lS4_lPT4_lS8_li,"axG",@progbits,_ZL20rocblas_gemvn_kernelILi64ELi4ElPKffKPfEviiT3_lPKT2_lT1_lS7_lS8_lS4_lPT4_lS8_li,comdat
.Lfunc_end195:
	.size	_ZL20rocblas_gemvn_kernelILi64ELi4ElPKffKPfEviiT3_lPKT2_lT1_lS7_lS8_lS4_lPT4_lS8_li, .Lfunc_end195-_ZL20rocblas_gemvn_kernelILi64ELi4ElPKffKPfEviiT3_lPKT2_lT1_lS7_lS8_lS4_lPT4_lS8_li
                                        ; -- End function
	.section	.AMDGPU.csdata,"",@progbits
; Kernel info:
; codeLenInByte = 2436
; NumSgprs: 51
; NumVgprs: 55
; NumAgprs: 0
; TotalNumVgprs: 55
; ScratchSize: 0
; MemoryBound: 0
; FloatMode: 240
; IeeeMode: 1
; LDSByteSize: 4096 bytes/workgroup (compile time only)
; SGPRBlocks: 6
; VGPRBlocks: 6
; NumSGPRsForWavesPerEU: 51
; NumVGPRsForWavesPerEU: 55
; AccumOffset: 56
; Occupancy: 8
; WaveLimiterHint : 1
; COMPUTE_PGM_RSRC2:SCRATCH_EN: 0
; COMPUTE_PGM_RSRC2:USER_SGPR: 2
; COMPUTE_PGM_RSRC2:TRAP_HANDLER: 0
; COMPUTE_PGM_RSRC2:TGID_X_EN: 1
; COMPUTE_PGM_RSRC2:TGID_Y_EN: 0
; COMPUTE_PGM_RSRC2:TGID_Z_EN: 1
; COMPUTE_PGM_RSRC2:TIDIG_COMP_CNT: 1
; COMPUTE_PGM_RSRC3_GFX90A:ACCUM_OFFSET: 13
; COMPUTE_PGM_RSRC3_GFX90A:TG_SPLIT: 0
	.section	.text._ZL24rocblas_gemv_scal_kernelILi256EPKfPKPfEviT0_lT1_lili,"axG",@progbits,_ZL24rocblas_gemv_scal_kernelILi256EPKfPKPfEviT0_lT1_lili,comdat
	.globl	_ZL24rocblas_gemv_scal_kernelILi256EPKfPKPfEviT0_lT1_lili ; -- Begin function _ZL24rocblas_gemv_scal_kernelILi256EPKfPKPfEviT0_lT1_lili
	.p2align	8
	.type	_ZL24rocblas_gemv_scal_kernelILi256EPKfPKPfEviT0_lT1_lili,@function
_ZL24rocblas_gemv_scal_kernelILi256EPKfPKPfEviT0_lT1_lili: ; @_ZL24rocblas_gemv_scal_kernelILi256EPKfPKPfEviT0_lT1_lili
; %bb.0:
	s_load_dwordx8 s[4:11], s[0:1], 0x8
	s_mov_b32 s12, s3
	s_waitcnt lgkmcnt(0)
	s_mul_i32 s3, s3, s7
	s_mul_hi_u32 s7, s12, s6
	s_add_i32 s7, s7, s3
	s_mul_i32 s6, s12, s6
	s_lshl_b64 s[6:7], s[6:7], 2
	s_add_u32 s4, s4, s6
	s_addc_u32 s5, s5, s7
	s_load_dword s3, s[4:5], 0x0
	s_waitcnt lgkmcnt(0)
	v_cmp_eq_f32_e64 s[4:5], s3, 1.0
	s_and_b64 vcc, exec, s[4:5]
	s_cbranch_vccnz .LBB196_5
; %bb.1:
	s_load_dword s4, s[0:1], 0x0
	s_load_dword s6, s[0:1], 0x4c
	v_mov_b32_e32 v1, 0
	s_waitcnt lgkmcnt(0)
	s_ashr_i32 s5, s4, 31
	s_and_b32 s6, s6, 0xffff
	s_mul_i32 s2, s2, s6
	v_add_u32_e32 v0, s2, v0
	v_cmp_gt_i64_e32 vcc, s[4:5], v[0:1]
	s_and_saveexec_b64 s[4:5], vcc
	s_cbranch_execz .LBB196_5
; %bb.2:
	s_mov_b32 s13, 0
	s_lshl_b64 s[4:5], s[12:13], 3
	s_add_u32 s4, s8, s4
	s_addc_u32 s5, s9, s5
	s_load_dword s2, s[0:1], 0x28
	s_load_dwordx2 s[6:7], s[4:5], 0x0
	s_lshl_b64 s[4:5], s[10:11], 2
	v_cmp_eq_f32_e64 s[0:1], s3, 0
	s_waitcnt lgkmcnt(0)
	s_ashr_i32 s8, s2, 31
	s_add_u32 s4, s6, s4
	s_addc_u32 s5, s7, s5
	v_mad_u64_u32 v[2:3], s[6:7], v0, s2, 0
	v_mov_b32_e32 v4, v3
	v_mad_u64_u32 v[4:5], s[6:7], v0, s8, v[4:5]
	v_mov_b32_e32 v3, v4
	v_lshl_add_u64 v[2:3], v[2:3], 2, s[4:5]
	s_and_b64 vcc, exec, s[0:1]
	s_cbranch_vccnz .LBB196_4
; %bb.3:
	global_load_dword v0, v[2:3], off
	s_waitcnt vmcnt(0)
	v_mul_f32_e32 v1, s3, v0
.LBB196_4:
	global_store_dword v[2:3], v1, off
.LBB196_5:
	s_endpgm
	.section	.rodata,"a",@progbits
	.p2align	6, 0x0
	.amdhsa_kernel _ZL24rocblas_gemv_scal_kernelILi256EPKfPKPfEviT0_lT1_lili
		.amdhsa_group_segment_fixed_size 0
		.amdhsa_private_segment_fixed_size 0
		.amdhsa_kernarg_size 320
		.amdhsa_user_sgpr_count 2
		.amdhsa_user_sgpr_dispatch_ptr 0
		.amdhsa_user_sgpr_queue_ptr 0
		.amdhsa_user_sgpr_kernarg_segment_ptr 1
		.amdhsa_user_sgpr_dispatch_id 0
		.amdhsa_user_sgpr_kernarg_preload_length 0
		.amdhsa_user_sgpr_kernarg_preload_offset 0
		.amdhsa_user_sgpr_private_segment_size 0
		.amdhsa_uses_dynamic_stack 0
		.amdhsa_enable_private_segment 0
		.amdhsa_system_sgpr_workgroup_id_x 1
		.amdhsa_system_sgpr_workgroup_id_y 0
		.amdhsa_system_sgpr_workgroup_id_z 1
		.amdhsa_system_sgpr_workgroup_info 0
		.amdhsa_system_vgpr_workitem_id 0
		.amdhsa_next_free_vgpr 6
		.amdhsa_next_free_sgpr 14
		.amdhsa_accum_offset 8
		.amdhsa_reserve_vcc 1
		.amdhsa_float_round_mode_32 0
		.amdhsa_float_round_mode_16_64 0
		.amdhsa_float_denorm_mode_32 3
		.amdhsa_float_denorm_mode_16_64 3
		.amdhsa_dx10_clamp 1
		.amdhsa_ieee_mode 1
		.amdhsa_fp16_overflow 0
		.amdhsa_tg_split 0
		.amdhsa_exception_fp_ieee_invalid_op 0
		.amdhsa_exception_fp_denorm_src 0
		.amdhsa_exception_fp_ieee_div_zero 0
		.amdhsa_exception_fp_ieee_overflow 0
		.amdhsa_exception_fp_ieee_underflow 0
		.amdhsa_exception_fp_ieee_inexact 0
		.amdhsa_exception_int_div_zero 0
	.end_amdhsa_kernel
	.section	.text._ZL24rocblas_gemv_scal_kernelILi256EPKfPKPfEviT0_lT1_lili,"axG",@progbits,_ZL24rocblas_gemv_scal_kernelILi256EPKfPKPfEviT0_lT1_lili,comdat
.Lfunc_end196:
	.size	_ZL24rocblas_gemv_scal_kernelILi256EPKfPKPfEviT0_lT1_lili, .Lfunc_end196-_ZL24rocblas_gemv_scal_kernelILi256EPKfPKPfEviT0_lT1_lili
                                        ; -- End function
	.section	.AMDGPU.csdata,"",@progbits
; Kernel info:
; codeLenInByte = 256
; NumSgprs: 20
; NumVgprs: 6
; NumAgprs: 0
; TotalNumVgprs: 6
; ScratchSize: 0
; MemoryBound: 0
; FloatMode: 240
; IeeeMode: 1
; LDSByteSize: 0 bytes/workgroup (compile time only)
; SGPRBlocks: 2
; VGPRBlocks: 0
; NumSGPRsForWavesPerEU: 20
; NumVGPRsForWavesPerEU: 6
; AccumOffset: 8
; Occupancy: 8
; WaveLimiterHint : 1
; COMPUTE_PGM_RSRC2:SCRATCH_EN: 0
; COMPUTE_PGM_RSRC2:USER_SGPR: 2
; COMPUTE_PGM_RSRC2:TRAP_HANDLER: 0
; COMPUTE_PGM_RSRC2:TGID_X_EN: 1
; COMPUTE_PGM_RSRC2:TGID_Y_EN: 0
; COMPUTE_PGM_RSRC2:TGID_Z_EN: 1
; COMPUTE_PGM_RSRC2:TIDIG_COMP_CNT: 0
; COMPUTE_PGM_RSRC3_GFX90A:ACCUM_OFFSET: 1
; COMPUTE_PGM_RSRC3_GFX90A:TG_SPLIT: 0
	.section	.text._ZL24rocblas_gemv_scal_kernelILi256EfPKPfEviT0_lT1_lili,"axG",@progbits,_ZL24rocblas_gemv_scal_kernelILi256EfPKPfEviT0_lT1_lili,comdat
	.globl	_ZL24rocblas_gemv_scal_kernelILi256EfPKPfEviT0_lT1_lili ; -- Begin function _ZL24rocblas_gemv_scal_kernelILi256EfPKPfEviT0_lT1_lili
	.p2align	8
	.type	_ZL24rocblas_gemv_scal_kernelILi256EfPKPfEviT0_lT1_lili,@function
_ZL24rocblas_gemv_scal_kernelILi256EfPKPfEviT0_lT1_lili: ; @_ZL24rocblas_gemv_scal_kernelILi256EfPKPfEviT0_lT1_lili
; %bb.0:
	s_load_dwordx2 s[4:5], s[0:1], 0x0
	s_waitcnt lgkmcnt(0)
	v_cmp_eq_f32_e64 s[8:9], s5, 1.0
	s_and_b64 vcc, exec, s[8:9]
	s_cbranch_vccnz .LBB197_5
; %bb.1:
	s_load_dword s7, s[0:1], 0x44
	s_mov_b32 s6, s3
	v_mov_b32_e32 v1, 0
	s_ashr_i32 s3, s4, 31
	s_waitcnt lgkmcnt(0)
	s_and_b32 s7, s7, 0xffff
	s_mul_i32 s2, s2, s7
	v_add_u32_e32 v0, s2, v0
	s_mov_b32 s2, s4
	v_cmp_gt_i64_e32 vcc, s[2:3], v[0:1]
	s_and_saveexec_b64 s[2:3], vcc
	s_cbranch_execz .LBB197_5
; %bb.2:
	s_load_dwordx4 s[8:11], s[0:1], 0x10
	s_load_dword s4, s[0:1], 0x20
	s_mov_b32 s7, 0
	s_lshl_b64 s[2:3], s[6:7], 3
	v_cmp_eq_f32_e64 s[0:1], s5, 0
	s_waitcnt lgkmcnt(0)
	s_add_u32 s2, s8, s2
	s_addc_u32 s3, s9, s3
	s_load_dwordx2 s[2:3], s[2:3], 0x0
	v_mad_u64_u32 v[2:3], s[6:7], v0, s4, 0
	s_ashr_i32 s4, s4, 31
	s_lshl_b64 s[6:7], s[10:11], 2
	s_waitcnt lgkmcnt(0)
	s_add_u32 s2, s2, s6
	v_mov_b32_e32 v4, v3
	s_addc_u32 s3, s3, s7
	v_mad_u64_u32 v[4:5], s[6:7], v0, s4, v[4:5]
	v_mov_b32_e32 v3, v4
	v_lshl_add_u64 v[2:3], v[2:3], 2, s[2:3]
	s_and_b64 vcc, exec, s[0:1]
	s_cbranch_vccnz .LBB197_4
; %bb.3:
	global_load_dword v0, v[2:3], off
	s_waitcnt vmcnt(0)
	v_mul_f32_e32 v1, s5, v0
.LBB197_4:
	global_store_dword v[2:3], v1, off
.LBB197_5:
	s_endpgm
	.section	.rodata,"a",@progbits
	.p2align	6, 0x0
	.amdhsa_kernel _ZL24rocblas_gemv_scal_kernelILi256EfPKPfEviT0_lT1_lili
		.amdhsa_group_segment_fixed_size 0
		.amdhsa_private_segment_fixed_size 0
		.amdhsa_kernarg_size 312
		.amdhsa_user_sgpr_count 2
		.amdhsa_user_sgpr_dispatch_ptr 0
		.amdhsa_user_sgpr_queue_ptr 0
		.amdhsa_user_sgpr_kernarg_segment_ptr 1
		.amdhsa_user_sgpr_dispatch_id 0
		.amdhsa_user_sgpr_kernarg_preload_length 0
		.amdhsa_user_sgpr_kernarg_preload_offset 0
		.amdhsa_user_sgpr_private_segment_size 0
		.amdhsa_uses_dynamic_stack 0
		.amdhsa_enable_private_segment 0
		.amdhsa_system_sgpr_workgroup_id_x 1
		.amdhsa_system_sgpr_workgroup_id_y 0
		.amdhsa_system_sgpr_workgroup_id_z 1
		.amdhsa_system_sgpr_workgroup_info 0
		.amdhsa_system_vgpr_workitem_id 0
		.amdhsa_next_free_vgpr 6
		.amdhsa_next_free_sgpr 12
		.amdhsa_accum_offset 8
		.amdhsa_reserve_vcc 1
		.amdhsa_float_round_mode_32 0
		.amdhsa_float_round_mode_16_64 0
		.amdhsa_float_denorm_mode_32 3
		.amdhsa_float_denorm_mode_16_64 3
		.amdhsa_dx10_clamp 1
		.amdhsa_ieee_mode 1
		.amdhsa_fp16_overflow 0
		.amdhsa_tg_split 0
		.amdhsa_exception_fp_ieee_invalid_op 0
		.amdhsa_exception_fp_denorm_src 0
		.amdhsa_exception_fp_ieee_div_zero 0
		.amdhsa_exception_fp_ieee_overflow 0
		.amdhsa_exception_fp_ieee_underflow 0
		.amdhsa_exception_fp_ieee_inexact 0
		.amdhsa_exception_int_div_zero 0
	.end_amdhsa_kernel
	.section	.text._ZL24rocblas_gemv_scal_kernelILi256EfPKPfEviT0_lT1_lili,"axG",@progbits,_ZL24rocblas_gemv_scal_kernelILi256EfPKPfEviT0_lT1_lili,comdat
.Lfunc_end197:
	.size	_ZL24rocblas_gemv_scal_kernelILi256EfPKPfEviT0_lT1_lili, .Lfunc_end197-_ZL24rocblas_gemv_scal_kernelILi256EfPKPfEviT0_lT1_lili
                                        ; -- End function
	.section	.AMDGPU.csdata,"",@progbits
; Kernel info:
; codeLenInByte = 224
; NumSgprs: 18
; NumVgprs: 6
; NumAgprs: 0
; TotalNumVgprs: 6
; ScratchSize: 0
; MemoryBound: 0
; FloatMode: 240
; IeeeMode: 1
; LDSByteSize: 0 bytes/workgroup (compile time only)
; SGPRBlocks: 2
; VGPRBlocks: 0
; NumSGPRsForWavesPerEU: 18
; NumVGPRsForWavesPerEU: 6
; AccumOffset: 8
; Occupancy: 8
; WaveLimiterHint : 1
; COMPUTE_PGM_RSRC2:SCRATCH_EN: 0
; COMPUTE_PGM_RSRC2:USER_SGPR: 2
; COMPUTE_PGM_RSRC2:TRAP_HANDLER: 0
; COMPUTE_PGM_RSRC2:TGID_X_EN: 1
; COMPUTE_PGM_RSRC2:TGID_Y_EN: 0
; COMPUTE_PGM_RSRC2:TGID_Z_EN: 1
; COMPUTE_PGM_RSRC2:TIDIG_COMP_CNT: 0
; COMPUTE_PGM_RSRC3_GFX90A:ACCUM_OFFSET: 1
; COMPUTE_PGM_RSRC3_GFX90A:TG_SPLIT: 0
	.section	.text._ZL36rocblas_gemvn_double_buffered_kernelILi128ELi8ELi8EPKfS1_KPfEviiT3_lPKT2_lilS7_lilPT4_lili,"axG",@progbits,_ZL36rocblas_gemvn_double_buffered_kernelILi128ELi8ELi8EPKfS1_KPfEviiT3_lPKT2_lilS7_lilPT4_lili,comdat
	.globl	_ZL36rocblas_gemvn_double_buffered_kernelILi128ELi8ELi8EPKfS1_KPfEviiT3_lPKT2_lilS7_lilPT4_lili ; -- Begin function _ZL36rocblas_gemvn_double_buffered_kernelILi128ELi8ELi8EPKfS1_KPfEviiT3_lPKT2_lilS7_lilPT4_lili
	.p2align	8
	.type	_ZL36rocblas_gemvn_double_buffered_kernelILi128ELi8ELi8EPKfS1_KPfEviiT3_lPKT2_lilS7_lilPT4_lili,@function
_ZL36rocblas_gemvn_double_buffered_kernelILi128ELi8ELi8EPKfS1_KPfEviiT3_lPKT2_lilS7_lilPT4_lili: ; @_ZL36rocblas_gemvn_double_buffered_kernelILi128ELi8ELi8EPKfS1_KPfEviiT3_lPKT2_lilS7_lilPT4_lili
; %bb.0:
	s_load_dwordx8 s[8:15], s[0:1], 0x8
	s_waitcnt lgkmcnt(0)
	s_mul_i32 s5, s4, s11
	s_mul_hi_u32 s6, s4, s10
	s_add_i32 s7, s6, s5
	s_mul_i32 s6, s4, s10
	s_lshl_b64 s[6:7], s[6:7], 2
	s_add_u32 s6, s8, s6
	s_addc_u32 s7, s9, s7
	s_load_dword s26, s[6:7], 0x0
	s_waitcnt lgkmcnt(0)
	v_cmp_eq_f32_e64 s[6:7], s26, 0
	s_and_b64 vcc, exec, s[6:7]
	s_cbranch_vccnz .LBB198_10
; %bb.1:
	s_load_dword s5, s[0:1], 0x84
	s_load_dword s6, s[0:1], 0x4
	s_waitcnt lgkmcnt(0)
	v_cvt_f32_u32_e32 v1, s5
	s_ashr_i32 s7, s6, 31
	s_lshr_b32 s7, s7, 25
	s_sub_i32 s8, 0, s5
	v_rcp_iflag_f32_e32 v1, v1
	s_add_i32 s6, s6, s7
	s_ashr_i32 s6, s6, 7
	v_mul_f32_e32 v1, 0x4f7ffffe, v1
	v_cvt_u32_f32_e32 v1, v1
	s_nop 0
	v_readfirstlane_b32 s7, v1
	s_mul_i32 s8, s8, s7
	s_mul_hi_u32 s8, s7, s8
	s_add_i32 s7, s7, s8
	s_mul_hi_u32 s7, s6, s7
	s_mul_i32 s8, s7, s5
	s_sub_i32 s8, s6, s8
	s_add_i32 s9, s7, 1
	s_sub_i32 s10, s8, s5
	s_cmp_ge_u32 s8, s5
	s_cselect_b32 s7, s9, s7
	s_cselect_b32 s8, s10, s8
	s_add_i32 s9, s7, 1
	s_cmp_ge_u32 s8, s5
	s_cselect_b32 s29, s9, s7
	s_mul_i32 s5, s29, s5
	s_sub_i32 s28, s6, s5
	s_cmp_lt_u32 s3, s28
	s_cselect_b64 s[6:7], -1, 0
	s_cmp_lg_u64 s[6:7], 0
	s_addc_u32 s27, s29, 0
	s_cmp_eq_u32 s27, 0
	s_cbranch_scc1 .LBB198_10
; %bb.2:
	s_load_dwordx4 s[8:11], s[0:1], 0x58
	s_mov_b32 s5, 0
	s_lshl_b64 s[24:25], s[4:5], 3
	v_and_b32_e32 v24, 0x3ff, v0
	v_bfe_u32 v25, v0, 10, 10
	s_waitcnt lgkmcnt(0)
	s_add_u32 s6, s8, s24
	s_addc_u32 s7, s9, s25
	s_load_dwordx2 s[6:7], s[6:7], 0x0
	s_lshl_b32 s8, s2, 7
	v_lshl_add_u32 v4, v25, 7, v24
	v_and_b32_e32 v0, 63, v24
	s_ashr_i32 s9, s8, 31
	v_lshrrev_b32_e32 v26, 6, v4
	s_cmp_lt_i32 s27, 1
	v_mov_b32_e32 v1, 0
	v_lshlrev_b32_e32 v2, 2, v0
	v_mov_b32_e32 v35, 0
	s_cbranch_scc1 .LBB198_8
; %bb.3:
	s_load_dword s22, s[0:1], 0x28
	s_load_dwordx4 s[16:19], s[0:1], 0x38
	s_load_dword s20, s[0:1], 0x48
	s_mul_i32 s29, s29, s3
	v_cvt_f64_i32_e32 v[10:11], s3
	s_waitcnt lgkmcnt(0)
	s_ashr_i32 s23, s22, 31
	s_add_u32 s12, s12, s24
	s_addc_u32 s13, s13, s25
	s_load_dwordx2 s[30:31], s[12:13], 0x0
	s_add_u32 s12, s16, s24
	v_cvt_f64_u32_e32 v[12:13], s28
	s_addc_u32 s13, s17, s25
	s_ashr_i32 s21, s20, 31
	s_lshl_b64 s[24:25], s[14:15], 2
	v_cvt_f64_u32_e32 v[8:9], s29
	v_min_f64 v[10:11], v[10:11], v[12:13]
	v_lshlrev_b32_e32 v3, 3, v26
	v_mov_b32_e32 v1, 0
	s_waitcnt lgkmcnt(0)
	s_add_u32 s2, s30, s24
	v_add_f64 v[8:9], v[10:11], v[8:9]
	s_load_dwordx2 s[16:17], s[12:13], 0x0
	v_mad_i64_i32 v[6:7], s[12:13], s22, v3, v[0:1]
	s_addc_u32 s4, s31, s25
	v_cvt_i32_f64_e32 v0, v[8:9]
	s_lshl_b64 s[28:29], s[8:9], 2
	s_add_u32 s9, s2, s28
	v_readfirstlane_b32 s2, v0
	s_addc_u32 s4, s4, s29
	s_lshl_b32 s34, s2, 7
	s_mul_hi_i32 s3, s34, s22
	s_mul_i32 s2, s34, s22
	s_ashr_i32 s35, s34, 31
	s_lshl_b64 s[2:3], s[2:3], 2
	s_add_u32 s2, s9, s2
	s_addc_u32 s3, s4, s3
	v_lshl_add_u64 v[6:7], v[6:7], 2, s[2:3]
	s_lshl_b64 s[2:3], s[22:23], 2
	v_lshl_add_u64 v[8:9], v[6:7], 0, s[2:3]
	global_load_dword v27, v[6:7], off
	global_load_dword v28, v[8:9], off
	v_lshl_add_u64 v[6:7], v[8:9], 0, s[2:3]
	global_load_dword v29, v[6:7], off
	v_lshl_add_u64 v[6:7], v[6:7], 0, s[2:3]
	;; [unrolled: 2-line block ×6, first 2 shown]
	global_load_dword v34, v[6:7], off
	s_lshl_b32 s14, s20, 7
	s_lshl_b64 s[12:13], s[22:23], 9
	s_add_i32 s4, s27, -1
	s_ashr_i32 s15, s14, 31
	s_add_u32 s9, s30, s28
	s_addc_u32 s28, s31, s29
	v_lshrrev_b32_e32 v0, 1, v4
	s_add_u32 s24, s9, s24
	v_and_b32_e32 v0, 0x1ffe0, v0
	s_addc_u32 s25, s28, s25
	v_lshl_add_u64 v[22:23], s[34:35], 2, v[0:1]
	v_mov_b64_e32 v[20:21], s[24:25]
	v_mul_lo_u32 v0, v22, s23
	v_mul_lo_u32 v6, v23, s22
	v_mad_u64_u32 v[4:5], s[24:25], v22, s22, v[20:21]
	v_add3_u32 v5, v6, v5, v0
	s_mov_b64 s[24:25], 0x100
	v_lshl_add_u64 v[4:5], v[4:5], 0, s[24:25]
	s_mov_b64 s[24:25], 0x200
	v_lshl_add_u64 v[6:7], v[22:23], 0, s[24:25]
	v_mul_lo_u32 v0, v6, s23
	v_mul_lo_u32 v8, v7, s22
	v_mad_u64_u32 v[6:7], s[24:25], v6, s22, v[20:21]
	s_mov_b64 s[24:25], 0x208
	v_add3_u32 v7, v8, v7, v0
	v_lshl_add_u64 v[8:9], v[22:23], 0, s[24:25]
	v_mul_lo_u32 v0, v8, s23
	v_mul_lo_u32 v10, v9, s22
	v_mad_u64_u32 v[8:9], s[24:25], v8, s22, v[20:21]
	s_mov_b64 s[24:25], 0x20c
	v_add3_u32 v9, v10, v9, v0
	;; [unrolled: 6-line block ×6, first 2 shown]
	v_lshl_add_u64 v[18:19], v[22:23], 0, s[24:25]
	v_mul_lo_u32 v0, v18, s23
	v_mul_lo_u32 v35, v19, s22
	v_mad_u64_u32 v[18:19], s[24:25], v18, s22, v[20:21]
	s_lshl_b64 s[18:19], s[18:19], 2
	s_mov_b64 s[24:25], 0x204
	s_waitcnt lgkmcnt(0)
	s_add_u32 s16, s16, s18
	v_lshl_add_u64 v[36:37], v[22:23], 0, s[24:25]
	s_addc_u32 s17, s17, s19
	v_add3_u32 v19, v35, v19, v0
	v_mul_lo_u32 v0, v36, s23
	v_mul_lo_u32 v35, v37, s22
	v_mad_u64_u32 v[20:21], s[22:23], v36, s22, v[20:21]
	v_mov_b64_e32 v[36:37], s[16:17]
	v_add3_u32 v21, v35, v21, v0
	v_mul_lo_u32 v0, v22, s21
	v_mul_lo_u32 v35, v23, s20
	v_mad_u64_u32 v[22:23], s[16:17], v22, s20, v[36:37]
	v_mov_b32_e32 v3, v1
	v_add3_u32 v23, v35, v23, v0
	s_lshl_b64 s[14:15], s[14:15], 2
	s_lshl_b64 s[16:17], s[20:21], 2
	v_mov_b32_e32 v35, v1
	s_waitcnt vmcnt(7)
	v_mov_b32_e32 v0, v27
	s_waitcnt vmcnt(6)
	;; [unrolled: 2-line block ×8, first 2 shown]
	v_mov_b32_e32 v42, v34
.LBB198_4:                              ; =>This Inner Loop Header: Depth=1
	v_lshl_add_u64 v[50:51], v[4:5], 0, v[2:3]
	v_lshl_add_u64 v[52:53], v[50:51], 0, s[2:3]
	;; [unrolled: 1-line block ×6, first 2 shown]
	global_load_dword v48, v[50:51], off
	global_load_dword v47, v[52:53], off
	;; [unrolled: 1-line block ×6, first 2 shown]
	v_lshl_add_u64 v[50:51], v[60:61], 0, s[2:3]
	v_lshl_add_u64 v[52:53], v[50:51], 0, s[2:3]
	global_load_dword v49, v[50:51], off
	s_nop 0
	global_load_dword v50, v[52:53], off
	global_load_dword v51, v[22:23], off
	v_lshl_add_u64 v[52:53], v[22:23], 0, s[16:17]
	v_lshl_add_u64 v[54:55], v[52:53], 0, s[16:17]
	;; [unrolled: 1-line block ×6, first 2 shown]
	global_load_dword v58, v[52:53], off
	global_load_dword v57, v[54:55], off
	s_nop 0
	global_load_dword v54, v[60:61], off
	global_load_dword v52, v[62:63], off
                                        ; kill: killed $vgpr62_vgpr63
                                        ; kill: killed $vgpr60_vgpr61
	global_load_dword v55, v[64:65], off
	global_load_dword v53, v[66:67], off
	v_lshl_add_u64 v[60:61], v[66:67], 0, s[16:17]
	global_load_dword v56, v[60:61], off
	s_cmp_eq_u32 s4, s5
	s_cbranch_scc1 .LBB198_6
; %bb.5:                                ;   in Loop: Header=BB198_4 Depth=1
	v_lshl_add_u64 v[36:37], v[6:7], 0, v[2:3]
	global_load_dword v0, v[36:37], off
	v_lshl_add_u64 v[36:37], v[20:21], 0, v[2:3]
	v_lshl_add_u64 v[38:39], v[8:9], 0, v[2:3]
	global_load_dword v36, v[36:37], off
	v_lshl_add_u64 v[40:41], v[12:13], 0, v[2:3]
	global_load_dword v37, v[38:39], off
	;; [unrolled: 2-line block ×5, first 2 shown]
	s_nop 0
	global_load_dword v41, v[60:61], off
	v_lshl_add_u64 v[60:61], v[18:19], 0, v[2:3]
	global_load_dword v42, v[60:61], off
.LBB198_6:                              ;   in Loop: Header=BB198_4 Depth=1
	s_waitcnt vmcnt(7)
	v_fmac_f32_e32 v35, v27, v51
	v_fmac_f32_e32 v1, v48, v51
	s_waitcnt vmcnt(6)
	v_fmac_f32_e32 v35, v28, v58
	v_fmac_f32_e32 v1, v47, v58
	;; [unrolled: 3-line block ×7, first 2 shown]
	s_add_i32 s5, s5, 1
	s_waitcnt vmcnt(0)
	v_fmac_f32_e32 v35, v34, v56
	v_fmac_f32_e32 v1, v50, v56
	v_lshl_add_u64 v[4:5], v[4:5], 0, s[12:13]
	v_lshl_add_u64 v[6:7], v[6:7], 0, s[12:13]
	;; [unrolled: 1-line block ×9, first 2 shown]
	s_cmp_lt_i32 s5, s27
	v_lshl_add_u64 v[22:23], v[22:23], 0, s[14:15]
	s_cbranch_scc0 .LBB198_8
; %bb.7:                                ;   in Loop: Header=BB198_4 Depth=1
	v_mov_b32_e32 v27, v0
	v_mov_b32_e32 v28, v36
	;; [unrolled: 1-line block ×8, first 2 shown]
	s_branch .LBB198_4
.LBB198_8:
	v_lshl_or_b32 v0, v26, 9, v2
	v_cmp_eq_u32_e32 vcc, 0, v25
	ds_write2st64_b32 v0, v35, v1 offset1:1
	s_waitcnt lgkmcnt(0)
	s_barrier
	s_and_saveexec_b64 s[2:3], vcc
	s_cbranch_execz .LBB198_10
; %bb.9:
	v_lshlrev_b32_e32 v6, 2, v24
	ds_read2st64_b32 v[0:1], v6 offset1:2
	ds_read2st64_b32 v[2:3], v6 offset0:4 offset1:6
	ds_read2st64_b32 v[4:5], v6 offset0:8 offset1:10
	s_load_dword s2, s[0:1], 0x68
	s_lshl_b64 s[0:1], s[10:11], 2
	s_waitcnt lgkmcnt(0)
	v_add_f32_e32 v0, 0, v0
	v_add_f32_e32 v0, v0, v1
	;; [unrolled: 1-line block ×3, first 2 shown]
	ds_read2st64_b32 v[0:1], v6 offset0:12 offset1:14
	v_add_f32_e32 v2, v2, v3
	v_add_f32_e32 v4, v2, v4
	ds_read2st64_b32 v[2:3], v6 offset0:16 offset1:18
	v_add_f32_e32 v4, v4, v5
	s_waitcnt lgkmcnt(1)
	v_add_f32_e32 v0, v4, v0
	v_add_f32_e32 v4, v0, v1
	ds_read2st64_b32 v[0:1], v6 offset0:20 offset1:22
	s_waitcnt lgkmcnt(1)
	v_add_f32_e32 v2, v4, v2
	ds_read2st64_b32 v[4:5], v6 offset0:24 offset1:26
	v_add_f32_e32 v7, v2, v3
	ds_read2st64_b32 v[2:3], v6 offset0:28 offset1:30
	s_waitcnt lgkmcnt(2)
	v_add_f32_e32 v0, v7, v0
	s_add_u32 s3, s6, s0
	v_add_f32_e32 v0, v0, v1
	s_addc_u32 s4, s7, s1
	s_mul_hi_i32 s1, s2, s8
	s_mul_i32 s0, s2, s8
	s_waitcnt lgkmcnt(1)
	v_add_f32_e32 v0, v0, v4
	s_lshl_b64 s[0:1], s[0:1], 2
	v_add_f32_e32 v0, v0, v5
	s_add_u32 s0, s3, s0
	s_waitcnt lgkmcnt(0)
	v_add_f32_e32 v0, v0, v2
	s_addc_u32 s1, s4, s1
	v_add_f32_e32 v2, v0, v3
	v_mad_i64_i32 v[0:1], s[2:3], s2, v24, 0
	v_lshl_add_u64 v[0:1], v[0:1], 2, s[0:1]
	v_mul_f32_e32 v2, s26, v2
	global_atomic_add_f32 v[0:1], v2, off
.LBB198_10:
	s_endpgm
	.section	.rodata,"a",@progbits
	.p2align	6, 0x0
	.amdhsa_kernel _ZL36rocblas_gemvn_double_buffered_kernelILi128ELi8ELi8EPKfS1_KPfEviiT3_lPKT2_lilS7_lilPT4_lili
		.amdhsa_group_segment_fixed_size 8192
		.amdhsa_private_segment_fixed_size 0
		.amdhsa_kernarg_size 384
		.amdhsa_user_sgpr_count 2
		.amdhsa_user_sgpr_dispatch_ptr 0
		.amdhsa_user_sgpr_queue_ptr 0
		.amdhsa_user_sgpr_kernarg_segment_ptr 1
		.amdhsa_user_sgpr_dispatch_id 0
		.amdhsa_user_sgpr_kernarg_preload_length 0
		.amdhsa_user_sgpr_kernarg_preload_offset 0
		.amdhsa_user_sgpr_private_segment_size 0
		.amdhsa_uses_dynamic_stack 0
		.amdhsa_enable_private_segment 0
		.amdhsa_system_sgpr_workgroup_id_x 1
		.amdhsa_system_sgpr_workgroup_id_y 1
		.amdhsa_system_sgpr_workgroup_id_z 1
		.amdhsa_system_sgpr_workgroup_info 0
		.amdhsa_system_vgpr_workitem_id 1
		.amdhsa_next_free_vgpr 68
		.amdhsa_next_free_sgpr 36
		.amdhsa_accum_offset 68
		.amdhsa_reserve_vcc 1
		.amdhsa_float_round_mode_32 0
		.amdhsa_float_round_mode_16_64 0
		.amdhsa_float_denorm_mode_32 3
		.amdhsa_float_denorm_mode_16_64 3
		.amdhsa_dx10_clamp 1
		.amdhsa_ieee_mode 1
		.amdhsa_fp16_overflow 0
		.amdhsa_tg_split 0
		.amdhsa_exception_fp_ieee_invalid_op 0
		.amdhsa_exception_fp_denorm_src 0
		.amdhsa_exception_fp_ieee_div_zero 0
		.amdhsa_exception_fp_ieee_overflow 0
		.amdhsa_exception_fp_ieee_underflow 0
		.amdhsa_exception_fp_ieee_inexact 0
		.amdhsa_exception_int_div_zero 0
	.end_amdhsa_kernel
	.section	.text._ZL36rocblas_gemvn_double_buffered_kernelILi128ELi8ELi8EPKfS1_KPfEviiT3_lPKT2_lilS7_lilPT4_lili,"axG",@progbits,_ZL36rocblas_gemvn_double_buffered_kernelILi128ELi8ELi8EPKfS1_KPfEviiT3_lPKT2_lilS7_lilPT4_lili,comdat
.Lfunc_end198:
	.size	_ZL36rocblas_gemvn_double_buffered_kernelILi128ELi8ELi8EPKfS1_KPfEviiT3_lPKT2_lilS7_lilPT4_lili, .Lfunc_end198-_ZL36rocblas_gemvn_double_buffered_kernelILi128ELi8ELi8EPKfS1_KPfEviiT3_lPKT2_lilS7_lilPT4_lili
                                        ; -- End function
	.section	.AMDGPU.csdata,"",@progbits
; Kernel info:
; codeLenInByte = 2136
; NumSgprs: 42
; NumVgprs: 68
; NumAgprs: 0
; TotalNumVgprs: 68
; ScratchSize: 0
; MemoryBound: 0
; FloatMode: 240
; IeeeMode: 1
; LDSByteSize: 8192 bytes/workgroup (compile time only)
; SGPRBlocks: 5
; VGPRBlocks: 8
; NumSGPRsForWavesPerEU: 42
; NumVGPRsForWavesPerEU: 68
; AccumOffset: 68
; Occupancy: 7
; WaveLimiterHint : 1
; COMPUTE_PGM_RSRC2:SCRATCH_EN: 0
; COMPUTE_PGM_RSRC2:USER_SGPR: 2
; COMPUTE_PGM_RSRC2:TRAP_HANDLER: 0
; COMPUTE_PGM_RSRC2:TGID_X_EN: 1
; COMPUTE_PGM_RSRC2:TGID_Y_EN: 1
; COMPUTE_PGM_RSRC2:TGID_Z_EN: 1
; COMPUTE_PGM_RSRC2:TIDIG_COMP_CNT: 1
; COMPUTE_PGM_RSRC3_GFX90A:ACCUM_OFFSET: 16
; COMPUTE_PGM_RSRC3_GFX90A:TG_SPLIT: 0
	.section	.text._ZL36rocblas_gemvn_double_buffered_kernelILi128ELi8ELi8EPKffKPfEviiT3_lPKT2_lilS7_lilPT4_lili,"axG",@progbits,_ZL36rocblas_gemvn_double_buffered_kernelILi128ELi8ELi8EPKffKPfEviiT3_lPKT2_lilS7_lilPT4_lili,comdat
	.globl	_ZL36rocblas_gemvn_double_buffered_kernelILi128ELi8ELi8EPKffKPfEviiT3_lPKT2_lilS7_lilPT4_lili ; -- Begin function _ZL36rocblas_gemvn_double_buffered_kernelILi128ELi8ELi8EPKffKPfEviiT3_lPKT2_lilS7_lilPT4_lili
	.p2align	8
	.type	_ZL36rocblas_gemvn_double_buffered_kernelILi128ELi8ELi8EPKffKPfEviiT3_lPKT2_lilS7_lilPT4_lili,@function
_ZL36rocblas_gemvn_double_buffered_kernelILi128ELi8ELi8EPKffKPfEviiT3_lPKT2_lilS7_lilPT4_lili: ; @_ZL36rocblas_gemvn_double_buffered_kernelILi128ELi8ELi8EPKffKPfEviiT3_lPKT2_lilS7_lilPT4_lili
; %bb.0:
	s_load_dwordx2 s[6:7], s[0:1], 0x4
	s_waitcnt lgkmcnt(0)
	v_cmp_eq_f32_e64 s[8:9], s7, 0
	s_and_b64 vcc, exec, s[8:9]
	s_cbranch_vccnz .LBB199_10
; %bb.1:
	s_load_dword s5, s[0:1], 0x84
	s_ashr_i32 s8, s6, 31
	s_lshr_b32 s8, s8, 25
	s_add_i32 s6, s6, s8
	s_ashr_i32 s6, s6, 7
	s_waitcnt lgkmcnt(0)
	v_cvt_f32_u32_e32 v1, s5
	s_sub_i32 s8, 0, s5
	v_rcp_iflag_f32_e32 v1, v1
	s_nop 0
	v_mul_f32_e32 v1, 0x4f7ffffe, v1
	v_cvt_u32_f32_e32 v1, v1
	s_nop 0
	v_readfirstlane_b32 s9, v1
	s_mul_i32 s8, s8, s9
	s_mul_hi_u32 s8, s9, s8
	s_add_i32 s9, s9, s8
	s_mul_hi_u32 s8, s6, s9
	s_mul_i32 s9, s8, s5
	s_sub_i32 s9, s6, s9
	s_add_i32 s10, s8, 1
	s_sub_i32 s11, s9, s5
	s_cmp_ge_u32 s9, s5
	s_cselect_b32 s8, s10, s8
	s_cselect_b32 s9, s11, s9
	s_add_i32 s10, s8, 1
	s_cmp_ge_u32 s9, s5
	s_cselect_b32 s25, s10, s8
	s_mul_i32 s5, s25, s5
	s_sub_i32 s24, s6, s5
	s_cmp_lt_u32 s3, s24
	s_cselect_b64 s[8:9], -1, 0
	s_cmp_lg_u64 s[8:9], 0
	s_addc_u32 s6, s25, 0
	s_cmp_eq_u32 s6, 0
	s_cbranch_scc1 .LBB199_10
; %bb.2:
	s_load_dwordx4 s[8:11], s[0:1], 0x58
	s_mov_b32 s5, 0
	s_lshl_b64 s[22:23], s[4:5], 3
	v_and_b32_e32 v24, 0x3ff, v0
	v_bfe_u32 v25, v0, 10, 10
	s_waitcnt lgkmcnt(0)
	s_add_u32 s8, s8, s22
	s_addc_u32 s9, s9, s23
	s_load_dwordx2 s[8:9], s[8:9], 0x0
	s_lshl_b32 s16, s2, 7
	v_lshl_add_u32 v4, v25, 7, v24
	v_and_b32_e32 v0, 63, v24
	s_ashr_i32 s17, s16, 31
	v_lshrrev_b32_e32 v26, 6, v4
	s_cmp_lt_i32 s6, 1
	v_mov_b32_e32 v1, 0
	v_lshlrev_b32_e32 v2, 2, v0
	v_mov_b32_e32 v35, 0
	s_cbranch_scc1 .LBB199_8
; %bb.3:
	s_load_dword s20, s[0:1], 0x28
	s_load_dwordx4 s[28:31], s[0:1], 0x18
	s_load_dwordx4 s[12:15], s[0:1], 0x38
	s_load_dword s18, s[0:1], 0x48
	s_mul_i32 s25, s25, s3
	s_waitcnt lgkmcnt(0)
	s_ashr_i32 s21, s20, 31
	s_add_u32 s26, s28, s22
	s_addc_u32 s27, s29, s23
	s_load_dwordx2 s[26:27], s[26:27], 0x0
	s_add_u32 s12, s12, s22
	v_cvt_f64_i32_e32 v[10:11], s3
	v_cvt_f64_u32_e32 v[12:13], s24
	s_addc_u32 s13, s13, s23
	s_ashr_i32 s19, s18, 31
	s_lshl_b64 s[28:29], s[30:31], 2
	v_cvt_f64_u32_e32 v[8:9], s25
	v_min_f64 v[10:11], v[10:11], v[12:13]
	v_lshlrev_b32_e32 v3, 3, v26
	v_mov_b32_e32 v1, 0
	s_waitcnt lgkmcnt(0)
	s_add_u32 s2, s26, s28
	v_add_f64 v[8:9], v[10:11], v[8:9]
	s_load_dwordx2 s[22:23], s[12:13], 0x0
	v_mad_i64_i32 v[6:7], s[12:13], s20, v3, v[0:1]
	s_addc_u32 s4, s27, s29
	v_cvt_i32_f64_e32 v0, v[8:9]
	s_lshl_b64 s[30:31], s[16:17], 2
	s_add_u32 s12, s2, s30
	v_readfirstlane_b32 s2, v0
	s_addc_u32 s4, s4, s31
	s_lshl_b32 s34, s2, 7
	s_mul_hi_i32 s3, s34, s20
	s_mul_i32 s2, s34, s20
	s_ashr_i32 s35, s34, 31
	s_lshl_b64 s[2:3], s[2:3], 2
	s_add_u32 s2, s12, s2
	s_addc_u32 s3, s4, s3
	v_lshl_add_u64 v[6:7], v[6:7], 2, s[2:3]
	s_lshl_b64 s[2:3], s[20:21], 2
	v_lshl_add_u64 v[8:9], v[6:7], 0, s[2:3]
	global_load_dword v27, v[6:7], off
	global_load_dword v28, v[8:9], off
	v_lshl_add_u64 v[6:7], v[8:9], 0, s[2:3]
	global_load_dword v29, v[6:7], off
	v_lshl_add_u64 v[6:7], v[6:7], 0, s[2:3]
	;; [unrolled: 2-line block ×6, first 2 shown]
	global_load_dword v34, v[6:7], off
	s_lshl_b32 s24, s18, 7
	s_lshl_b64 s[12:13], s[20:21], 9
	s_add_i32 s4, s6, -1
	s_ashr_i32 s25, s24, 31
	s_add_u32 s17, s26, s30
	s_addc_u32 s27, s27, s31
	v_lshrrev_b32_e32 v0, 1, v4
	s_add_u32 s26, s17, s28
	v_and_b32_e32 v0, 0x1ffe0, v0
	s_addc_u32 s27, s27, s29
	v_lshl_add_u64 v[22:23], s[34:35], 2, v[0:1]
	v_mov_b64_e32 v[20:21], s[26:27]
	v_mul_lo_u32 v0, v22, s21
	v_mul_lo_u32 v6, v23, s20
	v_mad_u64_u32 v[4:5], s[26:27], v22, s20, v[20:21]
	v_add3_u32 v5, v6, v5, v0
	s_mov_b64 s[26:27], 0x100
	v_lshl_add_u64 v[4:5], v[4:5], 0, s[26:27]
	s_mov_b64 s[26:27], 0x200
	v_lshl_add_u64 v[6:7], v[22:23], 0, s[26:27]
	v_mul_lo_u32 v0, v6, s21
	v_mul_lo_u32 v8, v7, s20
	v_mad_u64_u32 v[6:7], s[26:27], v6, s20, v[20:21]
	s_mov_b64 s[26:27], 0x208
	v_add3_u32 v7, v8, v7, v0
	v_lshl_add_u64 v[8:9], v[22:23], 0, s[26:27]
	v_mul_lo_u32 v0, v8, s21
	v_mul_lo_u32 v10, v9, s20
	v_mad_u64_u32 v[8:9], s[26:27], v8, s20, v[20:21]
	s_mov_b64 s[26:27], 0x20c
	v_add3_u32 v9, v10, v9, v0
	;; [unrolled: 6-line block ×6, first 2 shown]
	v_lshl_add_u64 v[18:19], v[22:23], 0, s[26:27]
	v_mul_lo_u32 v0, v18, s21
	v_mul_lo_u32 v35, v19, s20
	v_mad_u64_u32 v[18:19], s[26:27], v18, s20, v[20:21]
	s_lshl_b64 s[14:15], s[14:15], 2
	s_mov_b64 s[26:27], 0x204
	s_waitcnt lgkmcnt(0)
	s_add_u32 s14, s22, s14
	v_lshl_add_u64 v[36:37], v[22:23], 0, s[26:27]
	s_addc_u32 s15, s23, s15
	v_add3_u32 v19, v35, v19, v0
	v_mul_lo_u32 v0, v36, s21
	v_mul_lo_u32 v35, v37, s20
	v_mad_u64_u32 v[20:21], s[20:21], v36, s20, v[20:21]
	v_mov_b64_e32 v[36:37], s[14:15]
	v_add3_u32 v21, v35, v21, v0
	v_mul_lo_u32 v0, v22, s19
	v_mul_lo_u32 v35, v23, s18
	v_mad_u64_u32 v[22:23], s[14:15], v22, s18, v[36:37]
	v_mov_b32_e32 v3, v1
	v_add3_u32 v23, v35, v23, v0
	s_lshl_b64 s[14:15], s[24:25], 2
	s_lshl_b64 s[18:19], s[18:19], 2
	v_mov_b32_e32 v35, v1
	s_waitcnt vmcnt(7)
	v_mov_b32_e32 v0, v27
	s_waitcnt vmcnt(6)
	;; [unrolled: 2-line block ×8, first 2 shown]
	v_mov_b32_e32 v42, v34
.LBB199_4:                              ; =>This Inner Loop Header: Depth=1
	v_lshl_add_u64 v[50:51], v[4:5], 0, v[2:3]
	v_lshl_add_u64 v[52:53], v[50:51], 0, s[2:3]
	;; [unrolled: 1-line block ×6, first 2 shown]
	global_load_dword v48, v[50:51], off
	global_load_dword v47, v[52:53], off
	;; [unrolled: 1-line block ×6, first 2 shown]
	v_lshl_add_u64 v[50:51], v[60:61], 0, s[2:3]
	v_lshl_add_u64 v[52:53], v[50:51], 0, s[2:3]
	global_load_dword v49, v[50:51], off
	s_nop 0
	global_load_dword v50, v[52:53], off
	global_load_dword v51, v[22:23], off
	v_lshl_add_u64 v[52:53], v[22:23], 0, s[18:19]
	v_lshl_add_u64 v[54:55], v[52:53], 0, s[18:19]
	;; [unrolled: 1-line block ×6, first 2 shown]
	global_load_dword v58, v[52:53], off
	global_load_dword v57, v[54:55], off
	s_nop 0
	global_load_dword v54, v[60:61], off
	global_load_dword v52, v[62:63], off
                                        ; kill: killed $vgpr62_vgpr63
                                        ; kill: killed $vgpr60_vgpr61
	global_load_dword v55, v[64:65], off
	global_load_dword v53, v[66:67], off
	v_lshl_add_u64 v[60:61], v[66:67], 0, s[18:19]
	global_load_dword v56, v[60:61], off
	s_cmp_eq_u32 s4, s5
	s_cbranch_scc1 .LBB199_6
; %bb.5:                                ;   in Loop: Header=BB199_4 Depth=1
	v_lshl_add_u64 v[36:37], v[6:7], 0, v[2:3]
	global_load_dword v0, v[36:37], off
	v_lshl_add_u64 v[36:37], v[20:21], 0, v[2:3]
	v_lshl_add_u64 v[38:39], v[8:9], 0, v[2:3]
	global_load_dword v36, v[36:37], off
	v_lshl_add_u64 v[40:41], v[12:13], 0, v[2:3]
	global_load_dword v37, v[38:39], off
	;; [unrolled: 2-line block ×5, first 2 shown]
	s_nop 0
	global_load_dword v41, v[60:61], off
	v_lshl_add_u64 v[60:61], v[18:19], 0, v[2:3]
	global_load_dword v42, v[60:61], off
.LBB199_6:                              ;   in Loop: Header=BB199_4 Depth=1
	s_waitcnt vmcnt(7)
	v_fmac_f32_e32 v35, v27, v51
	v_fmac_f32_e32 v1, v48, v51
	s_waitcnt vmcnt(6)
	v_fmac_f32_e32 v35, v28, v58
	v_fmac_f32_e32 v1, v47, v58
	;; [unrolled: 3-line block ×7, first 2 shown]
	s_add_i32 s5, s5, 1
	s_waitcnt vmcnt(0)
	v_fmac_f32_e32 v35, v34, v56
	v_fmac_f32_e32 v1, v50, v56
	v_lshl_add_u64 v[4:5], v[4:5], 0, s[12:13]
	v_lshl_add_u64 v[6:7], v[6:7], 0, s[12:13]
	;; [unrolled: 1-line block ×9, first 2 shown]
	s_cmp_lt_i32 s5, s6
	v_lshl_add_u64 v[22:23], v[22:23], 0, s[14:15]
	s_cbranch_scc0 .LBB199_8
; %bb.7:                                ;   in Loop: Header=BB199_4 Depth=1
	v_mov_b32_e32 v27, v0
	v_mov_b32_e32 v28, v36
	;; [unrolled: 1-line block ×8, first 2 shown]
	s_branch .LBB199_4
.LBB199_8:
	v_lshl_or_b32 v0, v26, 9, v2
	v_cmp_eq_u32_e32 vcc, 0, v25
	ds_write2st64_b32 v0, v35, v1 offset1:1
	s_waitcnt lgkmcnt(0)
	s_barrier
	s_and_saveexec_b64 s[2:3], vcc
	s_cbranch_execz .LBB199_10
; %bb.9:
	v_lshlrev_b32_e32 v6, 2, v24
	ds_read2st64_b32 v[0:1], v6 offset1:2
	ds_read2st64_b32 v[2:3], v6 offset0:4 offset1:6
	ds_read2st64_b32 v[4:5], v6 offset0:8 offset1:10
	s_load_dword s2, s[0:1], 0x68
	s_lshl_b64 s[0:1], s[10:11], 2
	s_waitcnt lgkmcnt(0)
	v_add_f32_e32 v0, 0, v0
	v_add_f32_e32 v0, v0, v1
	;; [unrolled: 1-line block ×3, first 2 shown]
	ds_read2st64_b32 v[0:1], v6 offset0:12 offset1:14
	v_add_f32_e32 v2, v2, v3
	v_add_f32_e32 v4, v2, v4
	ds_read2st64_b32 v[2:3], v6 offset0:16 offset1:18
	v_add_f32_e32 v4, v4, v5
	s_waitcnt lgkmcnt(1)
	v_add_f32_e32 v0, v4, v0
	v_add_f32_e32 v4, v0, v1
	ds_read2st64_b32 v[0:1], v6 offset0:20 offset1:22
	s_waitcnt lgkmcnt(1)
	v_add_f32_e32 v2, v4, v2
	ds_read2st64_b32 v[4:5], v6 offset0:24 offset1:26
	v_add_f32_e32 v7, v2, v3
	ds_read2st64_b32 v[2:3], v6 offset0:28 offset1:30
	s_waitcnt lgkmcnt(2)
	v_add_f32_e32 v0, v7, v0
	s_add_u32 s3, s8, s0
	v_add_f32_e32 v0, v0, v1
	s_addc_u32 s4, s9, s1
	s_mul_hi_i32 s1, s2, s16
	s_mul_i32 s0, s2, s16
	s_waitcnt lgkmcnt(1)
	v_add_f32_e32 v0, v0, v4
	s_lshl_b64 s[0:1], s[0:1], 2
	v_add_f32_e32 v0, v0, v5
	s_add_u32 s0, s3, s0
	s_waitcnt lgkmcnt(0)
	v_add_f32_e32 v0, v0, v2
	s_addc_u32 s1, s4, s1
	v_add_f32_e32 v2, v0, v3
	v_mad_i64_i32 v[0:1], s[2:3], s2, v24, 0
	v_lshl_add_u64 v[0:1], v[0:1], 2, s[0:1]
	v_mul_f32_e32 v2, s7, v2
	global_atomic_add_f32 v[0:1], v2, off
.LBB199_10:
	s_endpgm
	.section	.rodata,"a",@progbits
	.p2align	6, 0x0
	.amdhsa_kernel _ZL36rocblas_gemvn_double_buffered_kernelILi128ELi8ELi8EPKffKPfEviiT3_lPKT2_lilS7_lilPT4_lili
		.amdhsa_group_segment_fixed_size 8192
		.amdhsa_private_segment_fixed_size 0
		.amdhsa_kernarg_size 384
		.amdhsa_user_sgpr_count 2
		.amdhsa_user_sgpr_dispatch_ptr 0
		.amdhsa_user_sgpr_queue_ptr 0
		.amdhsa_user_sgpr_kernarg_segment_ptr 1
		.amdhsa_user_sgpr_dispatch_id 0
		.amdhsa_user_sgpr_kernarg_preload_length 0
		.amdhsa_user_sgpr_kernarg_preload_offset 0
		.amdhsa_user_sgpr_private_segment_size 0
		.amdhsa_uses_dynamic_stack 0
		.amdhsa_enable_private_segment 0
		.amdhsa_system_sgpr_workgroup_id_x 1
		.amdhsa_system_sgpr_workgroup_id_y 1
		.amdhsa_system_sgpr_workgroup_id_z 1
		.amdhsa_system_sgpr_workgroup_info 0
		.amdhsa_system_vgpr_workitem_id 1
		.amdhsa_next_free_vgpr 68
		.amdhsa_next_free_sgpr 36
		.amdhsa_accum_offset 68
		.amdhsa_reserve_vcc 1
		.amdhsa_float_round_mode_32 0
		.amdhsa_float_round_mode_16_64 0
		.amdhsa_float_denorm_mode_32 3
		.amdhsa_float_denorm_mode_16_64 3
		.amdhsa_dx10_clamp 1
		.amdhsa_ieee_mode 1
		.amdhsa_fp16_overflow 0
		.amdhsa_tg_split 0
		.amdhsa_exception_fp_ieee_invalid_op 0
		.amdhsa_exception_fp_denorm_src 0
		.amdhsa_exception_fp_ieee_div_zero 0
		.amdhsa_exception_fp_ieee_overflow 0
		.amdhsa_exception_fp_ieee_underflow 0
		.amdhsa_exception_fp_ieee_inexact 0
		.amdhsa_exception_int_div_zero 0
	.end_amdhsa_kernel
	.section	.text._ZL36rocblas_gemvn_double_buffered_kernelILi128ELi8ELi8EPKffKPfEviiT3_lPKT2_lilS7_lilPT4_lili,"axG",@progbits,_ZL36rocblas_gemvn_double_buffered_kernelILi128ELi8ELi8EPKffKPfEviiT3_lPKT2_lilS7_lilPT4_lili,comdat
.Lfunc_end199:
	.size	_ZL36rocblas_gemvn_double_buffered_kernelILi128ELi8ELi8EPKffKPfEviiT3_lPKT2_lilS7_lilPT4_lili, .Lfunc_end199-_ZL36rocblas_gemvn_double_buffered_kernelILi128ELi8ELi8EPKffKPfEviiT3_lPKT2_lilS7_lilPT4_lili
                                        ; -- End function
	.section	.AMDGPU.csdata,"",@progbits
; Kernel info:
; codeLenInByte = 2100
; NumSgprs: 42
; NumVgprs: 68
; NumAgprs: 0
; TotalNumVgprs: 68
; ScratchSize: 0
; MemoryBound: 0
; FloatMode: 240
; IeeeMode: 1
; LDSByteSize: 8192 bytes/workgroup (compile time only)
; SGPRBlocks: 5
; VGPRBlocks: 8
; NumSGPRsForWavesPerEU: 42
; NumVGPRsForWavesPerEU: 68
; AccumOffset: 68
; Occupancy: 7
; WaveLimiterHint : 1
; COMPUTE_PGM_RSRC2:SCRATCH_EN: 0
; COMPUTE_PGM_RSRC2:USER_SGPR: 2
; COMPUTE_PGM_RSRC2:TRAP_HANDLER: 0
; COMPUTE_PGM_RSRC2:TGID_X_EN: 1
; COMPUTE_PGM_RSRC2:TGID_Y_EN: 1
; COMPUTE_PGM_RSRC2:TGID_Z_EN: 1
; COMPUTE_PGM_RSRC2:TIDIG_COMP_CNT: 1
; COMPUTE_PGM_RSRC3_GFX90A:ACCUM_OFFSET: 16
; COMPUTE_PGM_RSRC3_GFX90A:TG_SPLIT: 0
	.section	.text._ZL20rocblas_gemvn_kernelILi32ELi16EiPKfS1_KPfEviiT3_lPKT2_lT1_lS7_lS8_lS4_lPT4_lS8_li,"axG",@progbits,_ZL20rocblas_gemvn_kernelILi32ELi16EiPKfS1_KPfEviiT3_lPKT2_lT1_lS7_lS8_lS4_lPT4_lS8_li,comdat
	.globl	_ZL20rocblas_gemvn_kernelILi32ELi16EiPKfS1_KPfEviiT3_lPKT2_lT1_lS7_lS8_lS4_lPT4_lS8_li ; -- Begin function _ZL20rocblas_gemvn_kernelILi32ELi16EiPKfS1_KPfEviiT3_lPKT2_lT1_lS7_lS8_lS4_lPT4_lS8_li
	.p2align	8
	.type	_ZL20rocblas_gemvn_kernelILi32ELi16EiPKfS1_KPfEviiT3_lPKT2_lT1_lS7_lS8_lS4_lPT4_lS8_li,@function
_ZL20rocblas_gemvn_kernelILi32ELi16EiPKfS1_KPfEviiT3_lPKT2_lT1_lS7_lS8_lS4_lPT4_lS8_li: ; @_ZL20rocblas_gemvn_kernelILi32ELi16EiPKfS1_KPfEviiT3_lPKT2_lT1_lS7_lS8_lS4_lPT4_lS8_li
; %bb.0:
	s_load_dwordx2 s[4:5], s[0:1], 0x9c
	s_mov_b32 s22, s3
	s_waitcnt lgkmcnt(0)
	s_and_b32 s3, s5, 0xffff
	s_lshr_b32 s5, s4, 16
	s_and_b32 s4, s4, 0xffff
	s_mul_i32 s4, s5, s4
	s_mul_i32 s4, s4, s3
	s_cmpk_lg_i32 s4, 0x200
	s_cbranch_scc1 .LBB200_54
; %bb.1:
	s_load_dwordx8 s[12:19], s[0:1], 0x8
	s_load_dwordx8 s[4:11], s[0:1], 0x58
	s_waitcnt lgkmcnt(0)
	s_mul_i32 s3, s22, s15
	s_mul_hi_u32 s15, s22, s14
	s_mul_i32 s14, s22, s14
	s_add_i32 s15, s15, s3
	s_lshl_b64 s[14:15], s[14:15], 2
	s_mul_i32 s7, s22, s7
	s_add_u32 s12, s12, s14
	s_mul_hi_u32 s3, s22, s6
	s_addc_u32 s13, s13, s15
	s_add_i32 s7, s3, s7
	s_mul_i32 s6, s22, s6
	s_lshl_b64 s[6:7], s[6:7], 2
	s_add_u32 s4, s4, s6
	s_addc_u32 s5, s5, s7
	s_load_dword s29, s[12:13], 0x0
	s_load_dword s28, s[4:5], 0x0
	s_waitcnt lgkmcnt(0)
	v_cmp_eq_f32_e64 s[4:5], s29, 0
	v_cmp_eq_f32_e64 s[6:7], s28, 1.0
	s_and_b64 s[6:7], s[4:5], s[6:7]
	s_and_b64 vcc, exec, s[6:7]
	s_cbranch_vccnz .LBB200_54
; %bb.2:
	s_mov_b32 s23, 0
	v_cmp_neq_f32_e64 s[6:7], s29, 0
	s_mov_b64 s[20:21], 0
	s_and_b64 vcc, exec, s[4:5]
	s_mov_b64 s[14:15], 0
	s_cbranch_vccnz .LBB200_4
; %bb.3:
	s_lshl_b64 s[12:13], s[22:23], 3
	s_add_u32 s12, s16, s12
	s_addc_u32 s13, s17, s13
	s_load_dwordx2 s[12:13], s[12:13], 0x0
	s_lshl_b64 s[14:15], s[18:19], 2
	s_waitcnt lgkmcnt(0)
	s_add_u32 s14, s12, s14
	s_addc_u32 s15, s13, s15
.LBB200_4:
	s_andn2_b64 vcc, exec, s[6:7]
	s_cbranch_vccnz .LBB200_6
; %bb.5:
	s_load_dwordx4 s[16:19], s[0:1], 0x38
	s_lshl_b64 s[6:7], s[22:23], 3
	s_waitcnt lgkmcnt(0)
	s_add_u32 s6, s16, s6
	s_addc_u32 s7, s17, s7
	s_load_dwordx2 s[6:7], s[6:7], 0x0
	s_lshl_b64 s[12:13], s[18:19], 2
	s_waitcnt lgkmcnt(0)
	s_add_u32 s20, s6, s12
	s_addc_u32 s21, s7, s13
.LBB200_6:
	s_lshl_b64 s[6:7], s[22:23], 3
	s_add_u32 s6, s8, s6
	s_addc_u32 s7, s9, s7
	s_load_dwordx2 s[8:9], s[6:7], 0x0
	s_load_dwordx2 s[12:13], s[0:1], 0x0
	s_load_dword s30, s[0:1], 0x78
	s_lshl_b64 s[6:7], s[10:11], 2
	v_and_b32_e32 v2, 0x3ff, v0
	s_waitcnt lgkmcnt(0)
	s_add_u32 s8, s8, s6
	v_bfe_u32 v14, v0, 10, 10
	s_addc_u32 s9, s9, s7
	s_andn2_b64 vcc, exec, s[4:5]
	v_lshl_add_u32 v3, v14, 5, v2
	s_cbranch_vccnz .LBB200_13
; %bb.7:
	s_movk_i32 s3, 0x80
	v_cmp_gt_u32_e32 vcc, s3, v3
	s_mov_b64 s[4:5], 0
	s_mov_b64 s[10:11], 0
                                        ; implicit-def: $vgpr1
                                        ; implicit-def: $vgpr4_vgpr5
	s_and_saveexec_b64 s[6:7], vcc
	s_cbranch_execz .LBB200_14
; %bb.8:
	v_lshl_or_b32 v0, s2, 7, v3
	v_mov_b32_e32 v1, 0
	s_ashr_i32 s11, s12, 31
	s_mov_b32 s10, s12
	v_cmp_gt_i64_e32 vcc, s[10:11], v[0:1]
	s_mov_b64 s[16:17], 0
                                        ; implicit-def: $vgpr4_vgpr5
	s_and_saveexec_b64 s[10:11], vcc
	s_cbranch_execz .LBB200_12
; %bb.9:
	v_mad_u64_u32 v[4:5], s[18:19], s30, v0, 0
	s_ashr_i32 s3, s30, 31
	v_mov_b32_e32 v6, v5
	v_cmp_eq_f32_e64 s[16:17], s28, 0
	v_mad_u64_u32 v[6:7], s[18:19], s3, v0, v[6:7]
	v_mov_b32_e32 v5, v6
	s_and_b64 vcc, exec, s[16:17]
	s_cbranch_vccnz .LBB200_11
; %bb.10:
	v_lshl_add_u64 v[0:1], v[4:5], 2, s[8:9]
	global_load_dword v0, v[0:1], off
	s_waitcnt vmcnt(0)
	v_mul_f32_e32 v1, s28, v0
.LBB200_11:
	s_mov_b64 s[16:17], exec
.LBB200_12:
	s_or_b64 exec, exec, s[10:11]
	s_and_b64 s[10:11], s[16:17], exec
	s_or_b64 exec, exec, s[6:7]
	s_and_b64 vcc, exec, s[4:5]
	s_cbranch_vccnz .LBB200_15
	s_branch .LBB200_52
.LBB200_13:
	s_mov_b64 s[10:11], 0
                                        ; implicit-def: $vgpr1
                                        ; implicit-def: $vgpr4_vgpr5
	s_cbranch_execnz .LBB200_15
	s_branch .LBB200_52
.LBB200_14:
	s_or_b64 exec, exec, s[6:7]
	s_and_b64 vcc, exec, s[4:5]
	s_cbranch_vccz .LBB200_52
.LBB200_15:
	s_load_dword s33, s[0:1], 0x28
	s_load_dword s34, s[0:1], 0x48
	s_ashr_i32 s0, s13, 31
	s_lshr_b32 s0, s0, 26
	s_add_i32 s35, s13, s0
	s_lshl_b32 s31, s2, 7
	s_andn2_b32 s35, s35, 63
	v_lshlrev_b32_e32 v20, 2, v14
	v_add_u32_e32 v19, s31, v2
	v_cmp_gt_i32_e32 vcc, s35, v20
	v_mov_b32_e32 v15, 0
	v_mov_b32_e32 v16, 0
	;; [unrolled: 1-line block ×4, first 2 shown]
	s_and_saveexec_b64 s[16:17], vcc
	s_cbranch_execz .LBB200_27
; %bb.16:
	v_add_u32_e32 v0, 32, v19
	v_cmp_gt_i32_e64 s[0:1], s12, v0
	v_add_u32_e32 v0, 64, v19
	v_cmp_gt_i32_e64 s[2:3], s12, v0
	;; [unrolled: 2-line block ×3, first 2 shown]
	s_waitcnt lgkmcnt(0)
	v_mul_lo_u32 v0, s33, v20
	v_add_u32_e32 v6, 2, v20
	v_add_u32_e32 v7, 3, v20
	v_add3_u32 v21, v0, s33, v2
	v_mad_u64_u32 v[0:1], s[6:7], s33, v6, v[2:3]
	v_mad_u64_u32 v[4:5], s[6:7], s33, v7, v[2:3]
	v_mul_lo_u32 v1, v14, s33
	v_mul_lo_u32 v5, s34, v20
	;; [unrolled: 1-line block ×4, first 2 shown]
	v_cmp_gt_i32_e32 vcc, s12, v19
	s_lshl_b32 s36, s33, 6
	v_lshl_add_u32 v1, v1, 2, v2
	v_add_u32_e32 v5, s34, v5
	s_lshl_b32 s37, s34, 6
	v_mul_lo_u32 v23, s34, v7
	v_lshlrev_b32_e32 v24, 2, v6
	s_mov_b32 s38, 0
	s_mov_b64 s[18:19], 0
	v_mov_b32_e32 v15, 0
	v_mov_b32_e32 v16, 0
	;; [unrolled: 1-line block ×4, first 2 shown]
	s_branch .LBB200_21
.LBB200_17:                             ;   in Loop: Header=BB200_21 Depth=1
	s_or_b64 exec, exec, s[26:27]
	s_waitcnt vmcnt(0) lgkmcnt(0)
	v_fmac_f32_e32 v17, v28, v40
	v_fmac_f32_e32 v17, v27, v39
	;; [unrolled: 1-line block ×4, first 2 shown]
.LBB200_18:                             ;   in Loop: Header=BB200_21 Depth=1
	s_or_b64 exec, exec, s[24:25]
	s_waitcnt vmcnt(0) lgkmcnt(0)
	v_fmac_f32_e32 v16, v28, v36
	v_fmac_f32_e32 v16, v27, v35
	;; [unrolled: 1-line block ×4, first 2 shown]
.LBB200_19:                             ;   in Loop: Header=BB200_21 Depth=1
	s_or_b64 exec, exec, s[22:23]
	s_waitcnt vmcnt(0) lgkmcnt(0)
	v_fmac_f32_e32 v15, v28, v32
	v_fmac_f32_e32 v15, v27, v31
	;; [unrolled: 1-line block ×4, first 2 shown]
.LBB200_20:                             ;   in Loop: Header=BB200_21 Depth=1
	s_or_b64 exec, exec, s[6:7]
	v_add_u32_e32 v20, 64, v20
	s_add_i32 s38, s38, s37
	v_cmp_le_i32_e64 s[6:7], s35, v20
	v_add_u32_e32 v21, s36, v21
	v_add_u32_e32 v0, s36, v0
	;; [unrolled: 1-line block ×3, first 2 shown]
	s_or_b64 s[18:19], s[6:7], s[18:19]
	v_add_u32_e32 v1, s36, v1
	s_andn2_b64 exec, exec, s[18:19]
	s_cbranch_execz .LBB200_26
.LBB200_21:                             ; =>This Inner Loop Header: Depth=1
	s_and_saveexec_b64 s[6:7], vcc
	s_cbranch_execz .LBB200_20
; %bb.22:                               ;   in Loop: Header=BB200_21 Depth=1
	v_add_u32_e32 v6, s38, v24
	v_ashrrev_i32_e32 v7, 31, v6
	v_add_u32_e32 v8, s38, v5
	v_add_u32_e32 v10, s38, v22
	;; [unrolled: 1-line block ×3, first 2 shown]
	v_lshl_add_u64 v[6:7], v[6:7], 2, s[20:21]
	v_ashrrev_i32_e32 v9, 31, v8
	v_ashrrev_i32_e32 v11, 31, v10
	;; [unrolled: 1-line block ×3, first 2 shown]
	v_lshl_add_u64 v[8:9], v[8:9], 2, s[20:21]
	v_lshl_add_u64 v[10:11], v[10:11], 2, s[20:21]
	;; [unrolled: 1-line block ×3, first 2 shown]
	flat_load_dword v28, v[6:7]
	flat_load_dword v27, v[8:9]
	;; [unrolled: 1-line block ×4, first 2 shown]
	v_add_u32_e32 v6, s31, v1
	v_ashrrev_i32_e32 v7, 31, v6
	v_add_u32_e32 v8, s31, v21
	v_add_u32_e32 v10, s31, v0
	;; [unrolled: 1-line block ×3, first 2 shown]
	v_lshl_add_u64 v[6:7], v[6:7], 2, s[14:15]
	v_ashrrev_i32_e32 v9, 31, v8
	v_ashrrev_i32_e32 v11, 31, v10
	v_ashrrev_i32_e32 v13, 31, v12
	v_lshl_add_u64 v[8:9], v[8:9], 2, s[14:15]
	v_lshl_add_u64 v[10:11], v[10:11], 2, s[14:15]
	;; [unrolled: 1-line block ×3, first 2 shown]
	flat_load_dword v32, v[6:7]
	flat_load_dword v31, v[8:9]
	;; [unrolled: 1-line block ×4, first 2 shown]
	s_and_saveexec_b64 s[22:23], s[0:1]
	s_cbranch_execz .LBB200_19
; %bb.23:                               ;   in Loop: Header=BB200_21 Depth=1
	flat_load_dword v36, v[6:7] offset:128
	flat_load_dword v35, v[8:9] offset:128
	flat_load_dword v34, v[10:11] offset:128
	flat_load_dword v33, v[12:13] offset:128
	s_and_saveexec_b64 s[24:25], s[2:3]
	s_cbranch_execz .LBB200_18
; %bb.24:                               ;   in Loop: Header=BB200_21 Depth=1
	flat_load_dword v40, v[6:7] offset:256
	flat_load_dword v39, v[8:9] offset:256
	flat_load_dword v38, v[10:11] offset:256
	flat_load_dword v37, v[12:13] offset:256
	;; [unrolled: 7-line block ×3, first 2 shown]
	s_waitcnt vmcnt(0) lgkmcnt(0)
	v_fmac_f32_e32 v18, v28, v41
	v_fmac_f32_e32 v18, v27, v42
	;; [unrolled: 1-line block ×4, first 2 shown]
	s_branch .LBB200_17
.LBB200_26:
	s_or_b64 exec, exec, s[18:19]
.LBB200_27:
	s_or_b64 exec, exec, s[16:17]
	s_sub_i32 s0, s13, s35
	s_cmp_lt_i32 s0, 1
	s_cbranch_scc1 .LBB200_45
; %bb.28:
	v_cmp_gt_i32_e32 vcc, s13, v20
	v_mov_b32_e32 v10, 0
	v_or_b32_e32 v4, 1, v20
	v_mov_b32_e32 v13, 0
	v_mov_b32_e32 v12, 0
	;; [unrolled: 1-line block ×3, first 2 shown]
	s_and_saveexec_b64 s[2:3], vcc
	s_cbranch_execz .LBB200_36
; %bb.29:
	s_waitcnt lgkmcnt(0)
	v_mul_lo_u32 v0, v20, s34
	v_ashrrev_i32_e32 v1, 31, v0
	v_lshl_add_u64 v[0:1], v[0:1], 2, s[20:21]
	flat_load_dword v11, v[0:1]
	v_cmp_gt_i32_e64 s[0:1], s13, v4
	v_mov_b32_e32 v12, 0
	v_mov_b32_e32 v13, 0
	;; [unrolled: 1-line block ×3, first 2 shown]
	s_and_saveexec_b64 s[4:5], s[0:1]
	s_cbranch_execz .LBB200_35
; %bb.30:
	v_mul_lo_u32 v0, v4, s34
	v_ashrrev_i32_e32 v1, 31, v0
	v_lshl_add_u64 v[0:1], v[0:1], 2, s[20:21]
	flat_load_dword v12, v[0:1]
	v_or_b32_e32 v0, 2, v20
	v_cmp_gt_i32_e64 s[0:1], s13, v0
	v_mov_b32_e32 v13, 0
	v_mov_b32_e32 v10, 0
	s_and_saveexec_b64 s[6:7], s[0:1]
	s_cbranch_execz .LBB200_34
; %bb.31:
	v_mul_lo_u32 v0, v0, s34
	v_ashrrev_i32_e32 v1, 31, v0
	v_lshl_add_u64 v[0:1], v[0:1], 2, s[20:21]
	flat_load_dword v13, v[0:1]
	v_or_b32_e32 v0, 3, v20
	v_cmp_gt_i32_e64 s[0:1], s13, v0
	v_mov_b32_e32 v10, 0
	s_and_saveexec_b64 s[16:17], s[0:1]
	s_cbranch_execz .LBB200_33
; %bb.32:
	v_mul_lo_u32 v0, v0, s34
	v_ashrrev_i32_e32 v1, 31, v0
	v_lshl_add_u64 v[0:1], v[0:1], 2, s[20:21]
	flat_load_dword v10, v[0:1]
.LBB200_33:
	s_or_b64 exec, exec, s[16:17]
.LBB200_34:
	s_or_b64 exec, exec, s[6:7]
.LBB200_35:
	s_or_b64 exec, exec, s[4:5]
.LBB200_36:
	s_or_b64 exec, exec, s[2:3]
	v_cmp_gt_i32_e64 s[0:1], s12, v19
	s_and_saveexec_b64 s[2:3], s[0:1]
	s_cbranch_execz .LBB200_44
; %bb.37:
	s_waitcnt lgkmcnt(0)
	v_mul_lo_u32 v0, v20, s33
	v_cndmask_b32_e32 v0, 0, v0, vcc
	v_mul_lo_u32 v5, v4, s33
	v_cmp_gt_i32_e32 vcc, s13, v4
	v_or_b32_e32 v6, 2, v20
	v_mul_lo_u32 v7, v6, s33
	v_cndmask_b32_e32 v4, 0, v5, vcc
	v_cmp_gt_i32_e32 vcc, s13, v6
	v_or_b32_e32 v8, 3, v20
	v_mul_lo_u32 v9, v8, s33
	v_cndmask_b32_e32 v6, 0, v7, vcc
	v_cmp_gt_i32_e32 vcc, s13, v8
	v_add_u32_e32 v0, v0, v19
	v_ashrrev_i32_e32 v1, 31, v0
	v_cndmask_b32_e32 v8, 0, v9, vcc
	v_add_u32_e32 v4, v4, v19
	v_add_u32_e32 v6, v6, v19
	;; [unrolled: 1-line block ×3, first 2 shown]
	v_lshl_add_u64 v[0:1], v[0:1], 2, s[14:15]
	v_ashrrev_i32_e32 v5, 31, v4
	v_ashrrev_i32_e32 v7, 31, v6
	;; [unrolled: 1-line block ×3, first 2 shown]
	v_lshl_add_u64 v[4:5], v[4:5], 2, s[14:15]
	v_lshl_add_u64 v[6:7], v[6:7], 2, s[14:15]
	flat_load_dword v21, v[0:1]
	flat_load_dword v22, v[4:5]
	;; [unrolled: 1-line block ×3, first 2 shown]
	v_lshl_add_u64 v[8:9], v[8:9], 2, s[14:15]
	flat_load_dword v20, v[8:9]
	v_add_u32_e32 v24, 32, v19
	v_cmp_gt_i32_e32 vcc, s12, v24
	s_waitcnt vmcnt(0) lgkmcnt(0)
	v_fmac_f32_e32 v15, v11, v21
	v_fmac_f32_e32 v15, v12, v22
	v_fmac_f32_e32 v15, v13, v23
	s_and_saveexec_b64 s[0:1], vcc
	s_cbranch_execz .LBB200_43
; %bb.38:
	flat_load_dword v22, v[0:1] offset:128
	flat_load_dword v23, v[4:5] offset:128
	flat_load_dword v24, v[6:7] offset:128
	flat_load_dword v21, v[8:9] offset:128
	v_add_u32_e32 v25, 64, v19
	v_cmp_gt_i32_e32 vcc, s12, v25
	s_waitcnt vmcnt(0) lgkmcnt(0)
	v_fmac_f32_e32 v16, v11, v22
	v_fmac_f32_e32 v16, v12, v23
	v_fmac_f32_e32 v16, v13, v24
	s_and_saveexec_b64 s[4:5], vcc
	s_cbranch_execz .LBB200_42
; %bb.39:
	flat_load_dword v23, v[0:1] offset:256
	flat_load_dword v24, v[4:5] offset:256
	flat_load_dword v25, v[6:7] offset:256
	flat_load_dword v22, v[8:9] offset:256
	;; [unrolled: 13-line block ×3, first 2 shown]
	s_waitcnt vmcnt(0) lgkmcnt(0)
	v_fmac_f32_e32 v18, v11, v19
	v_fmac_f32_e32 v18, v12, v23
	;; [unrolled: 1-line block ×4, first 2 shown]
.LBB200_41:
	s_or_b64 exec, exec, s[6:7]
	v_fmac_f32_e32 v17, v10, v22
.LBB200_42:
	s_or_b64 exec, exec, s[4:5]
	v_fmac_f32_e32 v16, v10, v21
.LBB200_43:
	s_or_b64 exec, exec, s[0:1]
	v_fmac_f32_e32 v15, v10, v20
.LBB200_44:
	s_or_b64 exec, exec, s[2:3]
.LBB200_45:
	v_lshlrev_b32_e32 v0, 7, v14
	s_movk_i32 s0, 0x80
	v_add_lshl_u32 v0, v0, v2, 2
	v_cmp_gt_u32_e32 vcc, s0, v3
	ds_write2_b32 v0, v15, v16 offset1:32
	ds_write2_b32 v0, v17, v18 offset0:64 offset1:96
	s_waitcnt lgkmcnt(0)
	s_barrier
	s_waitcnt lgkmcnt(0)
                                        ; implicit-def: $vgpr1
                                        ; implicit-def: $vgpr4_vgpr5
	s_and_saveexec_b64 s[0:1], vcc
	s_cbranch_execz .LBB200_51
; %bb.46:
	v_lshlrev_b32_e32 v2, 2, v3
	ds_read2st64_b32 v[0:1], v2 offset1:2
	ds_read2st64_b32 v[4:5], v2 offset0:4 offset1:6
	ds_read2st64_b32 v[6:7], v2 offset0:8 offset1:10
	ds_read2st64_b32 v[8:9], v2 offset0:12 offset1:14
	s_waitcnt vmcnt(0)
	ds_read2st64_b32 v[10:11], v2 offset0:16 offset1:18
	s_waitcnt lgkmcnt(4)
	v_add_f32_e32 v0, v0, v1
	s_waitcnt lgkmcnt(3)
	v_add_f32_e32 v0, v4, v0
	v_add_f32_e32 v0, v5, v0
	s_waitcnt lgkmcnt(2)
	v_add_f32_e32 v0, v6, v0
	;; [unrolled: 3-line block ×3, first 2 shown]
	v_add_f32_e32 v4, v9, v0
	ds_read2st64_b32 v[0:1], v2 offset0:20 offset1:22
	s_waitcnt lgkmcnt(1)
	v_add_f32_e32 v6, v10, v4
	ds_read2st64_b32 v[4:5], v2 offset0:24 offset1:26
	v_add_f32_e32 v8, v11, v6
	ds_read2st64_b32 v[6:7], v2 offset0:28 offset1:30
	s_waitcnt lgkmcnt(2)
	v_add_f32_e32 v0, v0, v8
	v_add_f32_e32 v0, v1, v0
	s_waitcnt lgkmcnt(1)
	v_add_f32_e32 v0, v4, v0
	v_add_f32_e32 v0, v5, v0
	;; [unrolled: 3-line block ×3, first 2 shown]
	ds_write_b32 v2, v0
	v_or_b32_e32 v2, s31, v3
	v_cmp_gt_i32_e32 vcc, s12, v2
	s_mov_b64 s[4:5], s[10:11]
                                        ; implicit-def: $vgpr1
                                        ; implicit-def: $vgpr4_vgpr5
	s_and_saveexec_b64 s[2:3], vcc
	s_cbranch_execz .LBB200_50
; %bb.47:
	v_cmp_eq_f32_e64 s[4:5], s28, 0
	v_mul_lo_u32 v4, v2, s30
	v_mul_f32_e32 v1, s29, v0
	v_ashrrev_i32_e32 v5, 31, v4
	s_and_b64 vcc, exec, s[4:5]
	s_cbranch_vccnz .LBB200_49
; %bb.48:
	v_lshl_add_u64 v[2:3], v[4:5], 2, s[8:9]
	global_load_dword v0, v[2:3], off
	s_waitcnt vmcnt(0)
	v_fmac_f32_e32 v1, s28, v0
.LBB200_49:
	s_or_b64 s[4:5], s[10:11], exec
.LBB200_50:
	s_or_b64 exec, exec, s[2:3]
	s_andn2_b64 s[2:3], s[10:11], exec
	s_and_b64 s[4:5], s[4:5], exec
	s_or_b64 s[10:11], s[2:3], s[4:5]
.LBB200_51:
	s_or_b64 exec, exec, s[0:1]
.LBB200_52:
	s_and_saveexec_b64 s[0:1], s[10:11]
	s_cbranch_execz .LBB200_54
; %bb.53:
	v_lshl_add_u64 v[2:3], v[4:5], 2, s[8:9]
	global_store_dword v[2:3], v1, off
.LBB200_54:
	s_endpgm
	.section	.rodata,"a",@progbits
	.p2align	6, 0x0
	.amdhsa_kernel _ZL20rocblas_gemvn_kernelILi32ELi16EiPKfS1_KPfEviiT3_lPKT2_lT1_lS7_lS8_lS4_lPT4_lS8_li
		.amdhsa_group_segment_fixed_size 8192
		.amdhsa_private_segment_fixed_size 0
		.amdhsa_kernarg_size 400
		.amdhsa_user_sgpr_count 2
		.amdhsa_user_sgpr_dispatch_ptr 0
		.amdhsa_user_sgpr_queue_ptr 0
		.amdhsa_user_sgpr_kernarg_segment_ptr 1
		.amdhsa_user_sgpr_dispatch_id 0
		.amdhsa_user_sgpr_kernarg_preload_length 0
		.amdhsa_user_sgpr_kernarg_preload_offset 0
		.amdhsa_user_sgpr_private_segment_size 0
		.amdhsa_uses_dynamic_stack 0
		.amdhsa_enable_private_segment 0
		.amdhsa_system_sgpr_workgroup_id_x 1
		.amdhsa_system_sgpr_workgroup_id_y 0
		.amdhsa_system_sgpr_workgroup_id_z 1
		.amdhsa_system_sgpr_workgroup_info 0
		.amdhsa_system_vgpr_workitem_id 1
		.amdhsa_next_free_vgpr 45
		.amdhsa_next_free_sgpr 39
		.amdhsa_accum_offset 48
		.amdhsa_reserve_vcc 1
		.amdhsa_float_round_mode_32 0
		.amdhsa_float_round_mode_16_64 0
		.amdhsa_float_denorm_mode_32 3
		.amdhsa_float_denorm_mode_16_64 3
		.amdhsa_dx10_clamp 1
		.amdhsa_ieee_mode 1
		.amdhsa_fp16_overflow 0
		.amdhsa_tg_split 0
		.amdhsa_exception_fp_ieee_invalid_op 0
		.amdhsa_exception_fp_denorm_src 0
		.amdhsa_exception_fp_ieee_div_zero 0
		.amdhsa_exception_fp_ieee_overflow 0
		.amdhsa_exception_fp_ieee_underflow 0
		.amdhsa_exception_fp_ieee_inexact 0
		.amdhsa_exception_int_div_zero 0
	.end_amdhsa_kernel
	.section	.text._ZL20rocblas_gemvn_kernelILi32ELi16EiPKfS1_KPfEviiT3_lPKT2_lT1_lS7_lS8_lS4_lPT4_lS8_li,"axG",@progbits,_ZL20rocblas_gemvn_kernelILi32ELi16EiPKfS1_KPfEviiT3_lPKT2_lT1_lS7_lS8_lS4_lPT4_lS8_li,comdat
.Lfunc_end200:
	.size	_ZL20rocblas_gemvn_kernelILi32ELi16EiPKfS1_KPfEviiT3_lPKT2_lT1_lS7_lS8_lS4_lPT4_lS8_li, .Lfunc_end200-_ZL20rocblas_gemvn_kernelILi32ELi16EiPKfS1_KPfEviiT3_lPKT2_lT1_lS7_lS8_lS4_lPT4_lS8_li
                                        ; -- End function
	.section	.AMDGPU.csdata,"",@progbits
; Kernel info:
; codeLenInByte = 2324
; NumSgprs: 45
; NumVgprs: 45
; NumAgprs: 0
; TotalNumVgprs: 45
; ScratchSize: 0
; MemoryBound: 0
; FloatMode: 240
; IeeeMode: 1
; LDSByteSize: 8192 bytes/workgroup (compile time only)
; SGPRBlocks: 5
; VGPRBlocks: 5
; NumSGPRsForWavesPerEU: 45
; NumVGPRsForWavesPerEU: 45
; AccumOffset: 48
; Occupancy: 8
; WaveLimiterHint : 1
; COMPUTE_PGM_RSRC2:SCRATCH_EN: 0
; COMPUTE_PGM_RSRC2:USER_SGPR: 2
; COMPUTE_PGM_RSRC2:TRAP_HANDLER: 0
; COMPUTE_PGM_RSRC2:TGID_X_EN: 1
; COMPUTE_PGM_RSRC2:TGID_Y_EN: 0
; COMPUTE_PGM_RSRC2:TGID_Z_EN: 1
; COMPUTE_PGM_RSRC2:TIDIG_COMP_CNT: 1
; COMPUTE_PGM_RSRC3_GFX90A:ACCUM_OFFSET: 11
; COMPUTE_PGM_RSRC3_GFX90A:TG_SPLIT: 0
	.section	.text._ZL20rocblas_gemvn_kernelILi32ELi16ElPKfS1_KPfEviiT3_lPKT2_lT1_lS7_lS8_lS4_lPT4_lS8_li,"axG",@progbits,_ZL20rocblas_gemvn_kernelILi32ELi16ElPKfS1_KPfEviiT3_lPKT2_lT1_lS7_lS8_lS4_lPT4_lS8_li,comdat
	.globl	_ZL20rocblas_gemvn_kernelILi32ELi16ElPKfS1_KPfEviiT3_lPKT2_lT1_lS7_lS8_lS4_lPT4_lS8_li ; -- Begin function _ZL20rocblas_gemvn_kernelILi32ELi16ElPKfS1_KPfEviiT3_lPKT2_lT1_lS7_lS8_lS4_lPT4_lS8_li
	.p2align	8
	.type	_ZL20rocblas_gemvn_kernelILi32ELi16ElPKfS1_KPfEviiT3_lPKT2_lT1_lS7_lS8_lS4_lPT4_lS8_li,@function
_ZL20rocblas_gemvn_kernelILi32ELi16ElPKfS1_KPfEviiT3_lPKT2_lT1_lS7_lS8_lS4_lPT4_lS8_li: ; @_ZL20rocblas_gemvn_kernelILi32ELi16ElPKfS1_KPfEviiT3_lPKT2_lT1_lS7_lS8_lS4_lPT4_lS8_li
; %bb.0:
	s_load_dwordx2 s[4:5], s[0:1], 0x9c
	s_mov_b32 s26, s3
	s_waitcnt lgkmcnt(0)
	s_and_b32 s3, s5, 0xffff
	s_lshr_b32 s5, s4, 16
	s_and_b32 s4, s4, 0xffff
	s_mul_i32 s4, s5, s4
	s_mul_i32 s4, s4, s3
	s_cmpk_lg_i32 s4, 0x200
	s_cbranch_scc1 .LBB201_54
; %bb.1:
	s_load_dwordx8 s[12:19], s[0:1], 0x8
	s_load_dwordx8 s[4:11], s[0:1], 0x58
	s_waitcnt lgkmcnt(0)
	s_mul_i32 s3, s26, s15
	s_mul_hi_u32 s15, s26, s14
	s_mul_i32 s14, s26, s14
	s_add_i32 s15, s15, s3
	s_lshl_b64 s[14:15], s[14:15], 2
	s_mul_i32 s7, s26, s7
	s_add_u32 s12, s12, s14
	s_mul_hi_u32 s3, s26, s6
	s_addc_u32 s13, s13, s15
	s_add_i32 s7, s3, s7
	s_mul_i32 s6, s26, s6
	s_lshl_b64 s[6:7], s[6:7], 2
	s_add_u32 s4, s4, s6
	s_addc_u32 s5, s5, s7
	s_load_dword s42, s[12:13], 0x0
	s_load_dword s33, s[4:5], 0x0
	s_waitcnt lgkmcnt(0)
	v_cmp_eq_f32_e64 s[28:29], s42, 0
	v_cmp_eq_f32_e64 s[4:5], s33, 1.0
	s_and_b64 s[4:5], s[28:29], s[4:5]
	s_and_b64 vcc, exec, s[4:5]
	s_cbranch_vccnz .LBB201_54
; %bb.2:
	s_load_dwordx2 s[20:21], s[0:1], 0x28
	s_load_dwordx2 s[12:13], s[0:1], 0x78
	s_mov_b32 s27, 0
	v_cmp_neq_f32_e64 s[14:15], s42, 0
	s_mov_b64 s[24:25], 0
	s_and_b64 vcc, exec, s[28:29]
	s_mov_b64 s[22:23], 0
	s_cbranch_vccnz .LBB201_4
; %bb.3:
	s_lshl_b64 s[4:5], s[26:27], 3
	s_add_u32 s4, s16, s4
	s_addc_u32 s5, s17, s5
	s_load_dwordx2 s[4:5], s[4:5], 0x0
	s_lshl_b64 s[6:7], s[18:19], 2
	s_waitcnt lgkmcnt(0)
	s_add_u32 s22, s4, s6
	s_addc_u32 s23, s5, s7
.LBB201_4:
	s_load_dwordx4 s[4:7], s[0:1], 0x38
	s_load_dwordx2 s[16:17], s[0:1], 0x48
	s_andn2_b64 vcc, exec, s[14:15]
	s_cbranch_vccnz .LBB201_6
; %bb.5:
	s_lshl_b64 s[14:15], s[26:27], 3
	s_waitcnt lgkmcnt(0)
	s_add_u32 s4, s4, s14
	s_addc_u32 s5, s5, s15
	s_load_dwordx2 s[4:5], s[4:5], 0x0
	s_lshl_b64 s[6:7], s[6:7], 2
	s_waitcnt lgkmcnt(0)
	s_add_u32 s24, s4, s6
	s_addc_u32 s25, s5, s7
.LBB201_6:
	s_waitcnt lgkmcnt(0)
	s_lshl_b64 s[4:5], s[26:27], 3
	s_add_u32 s4, s8, s4
	s_addc_u32 s5, s9, s5
	s_load_dwordx2 s[6:7], s[4:5], 0x0
	s_load_dwordx2 s[14:15], s[0:1], 0x0
	s_lshl_b64 s[0:1], s[10:11], 2
	v_and_b32_e32 v29, 0x3ff, v0
	v_bfe_u32 v30, v0, 10, 10
	s_waitcnt lgkmcnt(0)
	s_add_u32 s8, s6, s0
	s_addc_u32 s9, s7, s1
	s_andn2_b64 vcc, exec, s[28:29]
	v_lshl_add_u32 v28, v30, 5, v29
	s_cbranch_vccnz .LBB201_13
; %bb.7:
	s_movk_i32 s0, 0x80
	v_cmp_gt_u32_e32 vcc, s0, v28
	s_mov_b64 s[0:1], 0
	s_mov_b64 s[10:11], 0
                                        ; implicit-def: $vgpr1
                                        ; implicit-def: $vgpr2_vgpr3
	s_and_saveexec_b64 s[4:5], vcc
	s_cbranch_execz .LBB201_14
; %bb.8:
	v_lshl_or_b32 v0, s2, 7, v28
	v_mov_b32_e32 v1, 0
	s_ashr_i32 s7, s14, 31
	s_mov_b32 s6, s14
	v_cmp_gt_i64_e32 vcc, s[6:7], v[0:1]
                                        ; implicit-def: $vgpr2_vgpr3
	s_and_saveexec_b64 s[6:7], vcc
	s_cbranch_execz .LBB201_12
; %bb.9:
	v_mad_u64_u32 v[2:3], s[18:19], v0, s12, 0
	v_mov_b32_e32 v4, v3
	v_cmp_eq_f32_e64 s[10:11], s33, 0
	v_mad_u64_u32 v[4:5], s[18:19], v0, s13, v[4:5]
	v_mov_b32_e32 v3, v4
	s_and_b64 vcc, exec, s[10:11]
	s_cbranch_vccnz .LBB201_11
; %bb.10:
	v_lshl_add_u64 v[0:1], v[2:3], 2, s[8:9]
	global_load_dword v0, v[0:1], off
	s_waitcnt vmcnt(0)
	v_mul_f32_e32 v1, s33, v0
.LBB201_11:
	s_mov_b64 s[10:11], exec
.LBB201_12:
	s_or_b64 exec, exec, s[6:7]
	s_and_b64 s[10:11], s[10:11], exec
	s_or_b64 exec, exec, s[4:5]
	s_and_b64 vcc, exec, s[0:1]
	s_cbranch_vccnz .LBB201_15
	s_branch .LBB201_52
.LBB201_13:
	s_mov_b64 s[10:11], 0
                                        ; implicit-def: $vgpr1
                                        ; implicit-def: $vgpr2_vgpr3
	s_cbranch_execnz .LBB201_15
	s_branch .LBB201_52
.LBB201_14:
	s_or_b64 exec, exec, s[4:5]
	s_and_b64 vcc, exec, s[0:1]
	s_cbranch_vccz .LBB201_52
.LBB201_15:
	s_ashr_i32 s0, s15, 31
	s_lshr_b32 s0, s0, 26
	s_add_i32 s44, s15, s0
	s_lshl_b32 s43, s2, 7
	s_andn2_b32 s44, s44, 63
	v_lshlrev_b32_e32 v35, 2, v30
	v_add_u32_e32 v0, s43, v29
	v_cmp_gt_i32_e32 vcc, s44, v35
	v_mov_b32_e32 v31, 0
	v_mov_b32_e32 v32, 0
	;; [unrolled: 1-line block ×4, first 2 shown]
	s_and_saveexec_b64 s[18:19], vcc
	s_cbranch_execz .LBB201_27
; %bb.16:
	v_add_u32_e32 v2, 32, v0
	v_cmp_gt_i32_e64 s[0:1], s14, v2
	v_add_u32_e32 v2, 64, v0
	v_ashrrev_i32_e32 v1, 31, v0
	v_cmp_gt_i32_e64 s[2:3], s14, v2
	v_add_u32_e32 v2, 0x60, v0
	v_cmp_gt_i32_e64 s[4:5], s14, v2
	v_lshlrev_b64 v[2:3], 2, v[0:1]
	v_lshlrev_b32_e32 v1, 2, v30
	v_or_b32_e32 v15, 3, v1
	v_mad_u64_u32 v[4:5], s[6:7], s20, v15, 0
	v_mov_b32_e32 v6, v5
	v_mad_u64_u32 v[6:7], s[6:7], s21, v15, v[6:7]
	v_mov_b32_e32 v5, v6
	;; [unrolled: 2-line block ×6, first 2 shown]
	v_mov_b64_e32 v[10:11], s[16:17]
	v_mad_u64_u32 v[10:11], s[6:7], s16, v1, v[10:11]
	v_mov_b32_e32 v12, v11
	v_mad_u64_u32 v[12:13], s[6:7], s17, v1, v[12:13]
	v_mov_b32_e32 v11, v12
	;; [unrolled: 2-line block ×3, first 2 shown]
	v_mad_u64_u32 v[14:15], s[6:7], s17, v15, v[14:15]
	v_or_b32_e32 v21, 2, v1
	v_mov_b32_e32 v13, v14
	v_mad_u64_u32 v[14:15], s[6:7], s20, v21, 0
	v_mov_b32_e32 v16, v15
	v_mad_u64_u32 v[16:17], s[6:7], s21, v21, v[16:17]
	v_mov_b32_e32 v15, v16
	v_mov_b64_e32 v[16:17], s[20:21]
	v_mad_u64_u32 v[16:17], s[6:7], s20, v1, v[16:17]
	v_mov_b32_e32 v18, v17
	v_mad_u64_u32 v[18:19], s[6:7], s21, v1, v[18:19]
	v_mov_b32_e32 v17, v18
	;; [unrolled: 2-line block ×4, first 2 shown]
	v_cmp_gt_i32_e32 vcc, s14, v0
	v_lshl_add_u64 v[4:5], v[4:5], 2, s[22:23]
	s_lshl_b64 s[26:27], s[20:21], 8
	v_lshlrev_b64 v[6:7], 4, v[6:7]
	s_lshl_b64 s[28:29], s[16:17], 8
	v_lshl_add_u64 v[8:9], v[8:9], 4, s[22:23]
	v_lshlrev_b64 v[10:11], 2, v[10:11]
	v_lshlrev_b64 v[12:13], 2, v[12:13]
	v_lshl_add_u64 v[14:15], v[14:15], 2, s[22:23]
	v_lshl_add_u64 v[16:17], v[16:17], 2, s[22:23]
	v_lshlrev_b64 v[18:19], 2, v[18:19]
	s_mov_b64 s[30:31], 0
	v_mov_b32_e32 v31, 0
	s_mov_b64 s[34:35], s[24:25]
	v_mov_b32_e32 v32, 0
	v_mov_b32_e32 v33, 0
	;; [unrolled: 1-line block ×3, first 2 shown]
	s_branch .LBB201_21
.LBB201_17:                             ;   in Loop: Header=BB201_21 Depth=1
	s_or_b64 exec, exec, s[40:41]
	s_waitcnt vmcnt(0) lgkmcnt(0)
	v_fmac_f32_e32 v33, v38, v50
	v_fmac_f32_e32 v33, v37, v49
	;; [unrolled: 1-line block ×4, first 2 shown]
.LBB201_18:                             ;   in Loop: Header=BB201_21 Depth=1
	s_or_b64 exec, exec, s[38:39]
	s_waitcnt vmcnt(0) lgkmcnt(0)
	v_fmac_f32_e32 v32, v38, v46
	v_fmac_f32_e32 v32, v37, v45
	;; [unrolled: 1-line block ×4, first 2 shown]
.LBB201_19:                             ;   in Loop: Header=BB201_21 Depth=1
	s_or_b64 exec, exec, s[36:37]
	s_waitcnt vmcnt(0) lgkmcnt(0)
	v_fmac_f32_e32 v31, v38, v39
	v_fmac_f32_e32 v31, v37, v40
	;; [unrolled: 1-line block ×4, first 2 shown]
.LBB201_20:                             ;   in Loop: Header=BB201_21 Depth=1
	s_or_b64 exec, exec, s[6:7]
	v_add_u32_e32 v35, 64, v35
	s_add_u32 s34, s34, s28
	s_addc_u32 s35, s35, s29
	v_cmp_le_i32_e64 s[6:7], s44, v35
	v_lshl_add_u64 v[4:5], v[4:5], 0, s[26:27]
	v_lshl_add_u64 v[8:9], v[8:9], 0, s[26:27]
	;; [unrolled: 1-line block ×3, first 2 shown]
	s_or_b64 s[30:31], s[6:7], s[30:31]
	v_lshl_add_u64 v[16:17], v[16:17], 0, s[26:27]
	s_andn2_b64 exec, exec, s[30:31]
	s_cbranch_execz .LBB201_26
.LBB201_21:                             ; =>This Inner Loop Header: Depth=1
	s_and_saveexec_b64 s[6:7], vcc
	s_cbranch_execz .LBB201_20
; %bb.22:                               ;   in Loop: Header=BB201_21 Depth=1
	v_lshl_add_u64 v[20:21], s[34:35], 0, v[6:7]
	v_lshl_add_u64 v[22:23], s[34:35], 0, v[10:11]
	v_lshl_add_u64 v[24:25], s[34:35], 0, v[18:19]
	v_lshl_add_u64 v[26:27], s[34:35], 0, v[12:13]
	flat_load_dword v38, v[20:21]
	flat_load_dword v37, v[22:23]
	;; [unrolled: 1-line block ×4, first 2 shown]
	v_lshl_add_u64 v[20:21], v[8:9], 0, v[2:3]
	v_lshl_add_u64 v[22:23], v[16:17], 0, v[2:3]
	;; [unrolled: 1-line block ×4, first 2 shown]
	flat_load_dword v39, v[20:21]
	flat_load_dword v40, v[22:23]
	;; [unrolled: 1-line block ×4, first 2 shown]
	s_and_saveexec_b64 s[36:37], s[0:1]
	s_cbranch_execz .LBB201_19
; %bb.23:                               ;   in Loop: Header=BB201_21 Depth=1
	flat_load_dword v46, v[20:21] offset:128
	flat_load_dword v45, v[22:23] offset:128
	flat_load_dword v44, v[24:25] offset:128
	flat_load_dword v43, v[26:27] offset:128
	s_and_saveexec_b64 s[38:39], s[2:3]
	s_cbranch_execz .LBB201_18
; %bb.24:                               ;   in Loop: Header=BB201_21 Depth=1
	flat_load_dword v50, v[20:21] offset:256
	flat_load_dword v49, v[22:23] offset:256
	flat_load_dword v48, v[24:25] offset:256
	flat_load_dword v47, v[26:27] offset:256
	;; [unrolled: 7-line block ×3, first 2 shown]
	s_waitcnt vmcnt(0) lgkmcnt(0)
	v_fmac_f32_e32 v34, v38, v51
	v_fmac_f32_e32 v34, v37, v52
	;; [unrolled: 1-line block ×4, first 2 shown]
	s_branch .LBB201_17
.LBB201_26:
	s_or_b64 exec, exec, s[30:31]
.LBB201_27:
	s_or_b64 exec, exec, s[18:19]
	s_sub_i32 s0, s15, s44
	s_cmp_lt_i32 s0, 1
	s_cbranch_scc1 .LBB201_45
; %bb.28:
	v_cmp_gt_i32_e32 vcc, s15, v35
	v_mov_b32_e32 v11, 0
	v_or_b32_e32 v4, 1, v35
	v_mov_b32_e32 v13, 0
	v_mov_b32_e32 v12, 0
	;; [unrolled: 1-line block ×3, first 2 shown]
	s_and_saveexec_b64 s[2:3], vcc
	s_cbranch_execz .LBB201_36
; %bb.29:
	v_mad_u64_u32 v[2:3], s[0:1], v35, s16, 0
	v_mov_b32_e32 v6, v3
	v_mad_u64_u32 v[6:7], s[0:1], v35, s17, v[6:7]
	v_mov_b32_e32 v3, v6
	v_lshl_add_u64 v[2:3], v[2:3], 2, s[24:25]
	flat_load_dword v10, v[2:3]
	v_cmp_gt_i32_e64 s[0:1], s15, v4
	v_mov_b32_e32 v12, 0
	v_mov_b32_e32 v13, 0
	;; [unrolled: 1-line block ×3, first 2 shown]
	s_and_saveexec_b64 s[4:5], s[0:1]
	s_cbranch_execz .LBB201_35
; %bb.30:
	v_mad_u64_u32 v[2:3], s[0:1], v4, s16, 0
	v_mov_b32_e32 v6, v3
	v_mad_u64_u32 v[6:7], s[0:1], v4, s17, v[6:7]
	v_mov_b32_e32 v3, v6
	v_lshl_add_u64 v[2:3], v[2:3], 2, s[24:25]
	flat_load_dword v12, v[2:3]
	v_or_b32_e32 v1, 2, v35
	v_cmp_gt_i32_e64 s[0:1], s15, v1
	v_mov_b32_e32 v13, 0
	v_mov_b32_e32 v11, 0
	s_and_saveexec_b64 s[6:7], s[0:1]
	s_cbranch_execz .LBB201_34
; %bb.31:
	v_mad_u64_u32 v[2:3], s[0:1], v1, s16, 0
	v_mov_b32_e32 v6, v3
	v_mad_u64_u32 v[6:7], s[0:1], v1, s17, v[6:7]
	v_mov_b32_e32 v3, v6
	v_lshl_add_u64 v[2:3], v[2:3], 2, s[24:25]
	flat_load_dword v13, v[2:3]
	v_or_b32_e32 v1, 3, v35
	v_cmp_gt_i32_e64 s[0:1], s15, v1
	v_mov_b32_e32 v11, 0
	s_and_saveexec_b64 s[18:19], s[0:1]
	s_cbranch_execz .LBB201_33
; %bb.32:
	v_mad_u64_u32 v[2:3], s[0:1], v1, s16, 0
	v_mov_b32_e32 v6, v3
	v_mad_u64_u32 v[6:7], s[0:1], v1, s17, v[6:7]
	v_mov_b32_e32 v3, v6
	v_lshl_add_u64 v[2:3], v[2:3], 2, s[24:25]
	flat_load_dword v11, v[2:3]
.LBB201_33:
	s_or_b64 exec, exec, s[18:19]
.LBB201_34:
	s_or_b64 exec, exec, s[6:7]
.LBB201_35:
	s_or_b64 exec, exec, s[4:5]
.LBB201_36:
	s_or_b64 exec, exec, s[2:3]
	v_cmp_gt_i32_e64 s[0:1], s14, v0
	s_and_saveexec_b64 s[2:3], s[0:1]
	s_cbranch_execz .LBB201_44
; %bb.37:
	v_mad_u64_u32 v[2:3], s[0:1], v35, s20, 0
	v_mov_b32_e32 v6, v3
	v_mad_u64_u32 v[6:7], s[0:1], v35, s21, v[6:7]
	v_ashrrev_i32_e32 v1, 31, v0
	v_cndmask_b32_e32 v3, 0, v6, vcc
	v_mad_u64_u32 v[6:7], s[0:1], v4, s20, 0
	v_cndmask_b32_e32 v2, 0, v2, vcc
	v_lshlrev_b64 v[8:9], 2, v[0:1]
	v_mov_b32_e32 v14, v7
	v_cmp_gt_i32_e32 vcc, s15, v4
	v_or_b32_e32 v1, 2, v35
	v_mad_u64_u32 v[14:15], s[0:1], v4, s21, v[14:15]
	v_cndmask_b32_e32 v4, 0, v6, vcc
	v_mad_u64_u32 v[6:7], s[0:1], v1, s20, 0
	v_cndmask_b32_e32 v5, 0, v14, vcc
	v_mov_b32_e32 v14, v7
	v_mad_u64_u32 v[14:15], s[0:1], v1, s21, v[14:15]
	v_cmp_gt_i32_e32 vcc, s15, v1
	v_or_b32_e32 v1, 3, v35
	v_lshl_add_u64 v[2:3], v[2:3], 2, s[22:23]
	v_cndmask_b32_e32 v7, 0, v14, vcc
	v_mad_u64_u32 v[14:15], s[0:1], v1, s20, 0
	v_mov_b32_e32 v16, v15
	v_cndmask_b32_e32 v6, 0, v6, vcc
	v_mad_u64_u32 v[16:17], s[0:1], v1, s21, v[16:17]
	v_cmp_gt_i32_e32 vcc, s15, v1
	v_lshl_add_u64 v[2:3], v[2:3], 0, v[8:9]
	v_lshl_add_u64 v[4:5], v[4:5], 2, s[22:23]
	v_cndmask_b32_e32 v14, 0, v14, vcc
	v_cndmask_b32_e32 v15, 0, v16, vcc
	v_lshl_add_u64 v[6:7], v[6:7], 2, s[22:23]
	v_lshl_add_u64 v[14:15], v[14:15], 2, s[22:23]
	;; [unrolled: 1-line block ×4, first 2 shown]
	flat_load_dword v16, v[2:3]
	flat_load_dword v17, v[4:5]
	flat_load_dword v18, v[6:7]
	v_lshl_add_u64 v[8:9], v[14:15], 0, v[8:9]
	flat_load_dword v1, v[8:9]
	v_add_u32_e32 v14, 32, v0
	v_cmp_gt_i32_e32 vcc, s14, v14
	s_waitcnt vmcnt(0) lgkmcnt(0)
	v_fmac_f32_e32 v31, v10, v16
	v_fmac_f32_e32 v31, v12, v17
	v_fmac_f32_e32 v31, v13, v18
	s_and_saveexec_b64 s[0:1], vcc
	s_cbranch_execz .LBB201_43
; %bb.38:
	flat_load_dword v15, v[2:3] offset:128
	flat_load_dword v16, v[4:5] offset:128
	flat_load_dword v17, v[6:7] offset:128
	flat_load_dword v14, v[8:9] offset:128
	v_add_u32_e32 v18, 64, v0
	v_cmp_gt_i32_e32 vcc, s14, v18
	s_waitcnt vmcnt(0) lgkmcnt(0)
	v_fmac_f32_e32 v32, v10, v15
	v_fmac_f32_e32 v32, v12, v16
	v_fmac_f32_e32 v32, v13, v17
	s_and_saveexec_b64 s[4:5], vcc
	s_cbranch_execz .LBB201_42
; %bb.39:
	flat_load_dword v16, v[2:3] offset:256
	flat_load_dword v17, v[4:5] offset:256
	flat_load_dword v18, v[6:7] offset:256
	flat_load_dword v15, v[8:9] offset:256
	;; [unrolled: 13-line block ×3, first 2 shown]
	s_waitcnt vmcnt(0) lgkmcnt(0)
	v_fmac_f32_e32 v34, v10, v0
	v_fmac_f32_e32 v34, v12, v16
	;; [unrolled: 1-line block ×4, first 2 shown]
.LBB201_41:
	s_or_b64 exec, exec, s[6:7]
	v_fmac_f32_e32 v33, v11, v15
.LBB201_42:
	s_or_b64 exec, exec, s[4:5]
	v_fmac_f32_e32 v32, v11, v14
.LBB201_43:
	s_or_b64 exec, exec, s[0:1]
	v_fmac_f32_e32 v31, v11, v1
.LBB201_44:
	s_or_b64 exec, exec, s[2:3]
.LBB201_45:
	v_lshlrev_b32_e32 v0, 7, v30
	s_movk_i32 s0, 0x80
	v_add_lshl_u32 v0, v0, v29, 2
	v_cmp_gt_u32_e32 vcc, s0, v28
	ds_write2_b32 v0, v31, v32 offset1:32
	ds_write2_b32 v0, v33, v34 offset0:64 offset1:96
	s_waitcnt lgkmcnt(0)
	s_barrier
	s_waitcnt lgkmcnt(0)
                                        ; implicit-def: $vgpr1
                                        ; implicit-def: $vgpr2_vgpr3
	s_and_saveexec_b64 s[0:1], vcc
	s_cbranch_execz .LBB201_51
; %bb.46:
	s_waitcnt vmcnt(0)
	v_lshlrev_b32_e32 v10, 2, v28
	ds_read2st64_b32 v[0:1], v10 offset1:2
	ds_read2st64_b32 v[2:3], v10 offset0:4 offset1:6
	ds_read2st64_b32 v[4:5], v10 offset0:8 offset1:10
	;; [unrolled: 1-line block ×4, first 2 shown]
	s_waitcnt lgkmcnt(4)
	v_add_f32_e32 v0, v0, v1
	s_waitcnt lgkmcnt(3)
	v_add_f32_e32 v0, v2, v0
	v_add_f32_e32 v0, v3, v0
	s_waitcnt lgkmcnt(2)
	v_add_f32_e32 v0, v4, v0
	;; [unrolled: 3-line block ×3, first 2 shown]
	v_add_f32_e32 v2, v7, v0
	ds_read2st64_b32 v[0:1], v10 offset0:20 offset1:22
	s_waitcnt lgkmcnt(1)
	v_add_f32_e32 v4, v8, v2
	ds_read2st64_b32 v[2:3], v10 offset0:24 offset1:26
	v_add_f32_e32 v6, v9, v4
	ds_read2st64_b32 v[4:5], v10 offset0:28 offset1:30
	s_waitcnt lgkmcnt(2)
	v_add_f32_e32 v0, v0, v6
	v_add_f32_e32 v0, v1, v0
	s_waitcnt lgkmcnt(1)
	v_add_f32_e32 v0, v2, v0
	v_add_f32_e32 v0, v3, v0
	;; [unrolled: 3-line block ×3, first 2 shown]
	v_or_b32_e32 v0, s43, v28
	v_cmp_gt_i32_e32 vcc, s14, v0
	s_mov_b64 s[4:5], s[10:11]
	ds_write_b32 v10, v4
                                        ; implicit-def: $vgpr1
                                        ; implicit-def: $vgpr2_vgpr3
	s_and_saveexec_b64 s[2:3], vcc
	s_cbranch_execz .LBB201_50
; %bb.47:
	v_ashrrev_i32_e32 v2, 31, v0
	v_cmp_eq_f32_e64 s[4:5], s33, 0
	v_mul_f32_e32 v1, s42, v4
	v_mul_lo_u32 v4, v0, s13
	v_mul_lo_u32 v5, v2, s12
	v_mad_u64_u32 v[2:3], s[6:7], v0, s12, 0
	v_add3_u32 v3, v3, v4, v5
	s_and_b64 vcc, exec, s[4:5]
	s_cbranch_vccnz .LBB201_49
; %bb.48:
	v_lshl_add_u64 v[4:5], v[2:3], 2, s[8:9]
	global_load_dword v0, v[4:5], off
	s_waitcnt vmcnt(0)
	v_fmac_f32_e32 v1, s33, v0
.LBB201_49:
	s_or_b64 s[4:5], s[10:11], exec
.LBB201_50:
	s_or_b64 exec, exec, s[2:3]
	s_andn2_b64 s[2:3], s[10:11], exec
	s_and_b64 s[4:5], s[4:5], exec
	s_or_b64 s[10:11], s[2:3], s[4:5]
.LBB201_51:
	s_or_b64 exec, exec, s[0:1]
.LBB201_52:
	s_and_saveexec_b64 s[0:1], s[10:11]
	s_cbranch_execz .LBB201_54
; %bb.53:
	v_lshl_add_u64 v[2:3], v[2:3], 2, s[8:9]
	global_store_dword v[2:3], v1, off
.LBB201_54:
	s_endpgm
	.section	.rodata,"a",@progbits
	.p2align	6, 0x0
	.amdhsa_kernel _ZL20rocblas_gemvn_kernelILi32ELi16ElPKfS1_KPfEviiT3_lPKT2_lT1_lS7_lS8_lS4_lPT4_lS8_li
		.amdhsa_group_segment_fixed_size 8192
		.amdhsa_private_segment_fixed_size 0
		.amdhsa_kernarg_size 400
		.amdhsa_user_sgpr_count 2
		.amdhsa_user_sgpr_dispatch_ptr 0
		.amdhsa_user_sgpr_queue_ptr 0
		.amdhsa_user_sgpr_kernarg_segment_ptr 1
		.amdhsa_user_sgpr_dispatch_id 0
		.amdhsa_user_sgpr_kernarg_preload_length 0
		.amdhsa_user_sgpr_kernarg_preload_offset 0
		.amdhsa_user_sgpr_private_segment_size 0
		.amdhsa_uses_dynamic_stack 0
		.amdhsa_enable_private_segment 0
		.amdhsa_system_sgpr_workgroup_id_x 1
		.amdhsa_system_sgpr_workgroup_id_y 0
		.amdhsa_system_sgpr_workgroup_id_z 1
		.amdhsa_system_sgpr_workgroup_info 0
		.amdhsa_system_vgpr_workitem_id 1
		.amdhsa_next_free_vgpr 55
		.amdhsa_next_free_sgpr 45
		.amdhsa_accum_offset 56
		.amdhsa_reserve_vcc 1
		.amdhsa_float_round_mode_32 0
		.amdhsa_float_round_mode_16_64 0
		.amdhsa_float_denorm_mode_32 3
		.amdhsa_float_denorm_mode_16_64 3
		.amdhsa_dx10_clamp 1
		.amdhsa_ieee_mode 1
		.amdhsa_fp16_overflow 0
		.amdhsa_tg_split 0
		.amdhsa_exception_fp_ieee_invalid_op 0
		.amdhsa_exception_fp_denorm_src 0
		.amdhsa_exception_fp_ieee_div_zero 0
		.amdhsa_exception_fp_ieee_overflow 0
		.amdhsa_exception_fp_ieee_underflow 0
		.amdhsa_exception_fp_ieee_inexact 0
		.amdhsa_exception_int_div_zero 0
	.end_amdhsa_kernel
	.section	.text._ZL20rocblas_gemvn_kernelILi32ELi16ElPKfS1_KPfEviiT3_lPKT2_lT1_lS7_lS8_lS4_lPT4_lS8_li,"axG",@progbits,_ZL20rocblas_gemvn_kernelILi32ELi16ElPKfS1_KPfEviiT3_lPKT2_lT1_lS7_lS8_lS4_lPT4_lS8_li,comdat
.Lfunc_end201:
	.size	_ZL20rocblas_gemvn_kernelILi32ELi16ElPKfS1_KPfEviiT3_lPKT2_lT1_lS7_lS8_lS4_lPT4_lS8_li, .Lfunc_end201-_ZL20rocblas_gemvn_kernelILi32ELi16ElPKfS1_KPfEviiT3_lPKT2_lT1_lS7_lS8_lS4_lPT4_lS8_li
                                        ; -- End function
	.section	.AMDGPU.csdata,"",@progbits
; Kernel info:
; codeLenInByte = 2604
; NumSgprs: 51
; NumVgprs: 55
; NumAgprs: 0
; TotalNumVgprs: 55
; ScratchSize: 0
; MemoryBound: 0
; FloatMode: 240
; IeeeMode: 1
; LDSByteSize: 8192 bytes/workgroup (compile time only)
; SGPRBlocks: 6
; VGPRBlocks: 6
; NumSGPRsForWavesPerEU: 51
; NumVGPRsForWavesPerEU: 55
; AccumOffset: 56
; Occupancy: 8
; WaveLimiterHint : 1
; COMPUTE_PGM_RSRC2:SCRATCH_EN: 0
; COMPUTE_PGM_RSRC2:USER_SGPR: 2
; COMPUTE_PGM_RSRC2:TRAP_HANDLER: 0
; COMPUTE_PGM_RSRC2:TGID_X_EN: 1
; COMPUTE_PGM_RSRC2:TGID_Y_EN: 0
; COMPUTE_PGM_RSRC2:TGID_Z_EN: 1
; COMPUTE_PGM_RSRC2:TIDIG_COMP_CNT: 1
; COMPUTE_PGM_RSRC3_GFX90A:ACCUM_OFFSET: 13
; COMPUTE_PGM_RSRC3_GFX90A:TG_SPLIT: 0
	.section	.text._ZL20rocblas_gemvn_kernelILi32ELi16EiPKffKPfEviiT3_lPKT2_lT1_lS7_lS8_lS4_lPT4_lS8_li,"axG",@progbits,_ZL20rocblas_gemvn_kernelILi32ELi16EiPKffKPfEviiT3_lPKT2_lT1_lS7_lS8_lS4_lPT4_lS8_li,comdat
	.globl	_ZL20rocblas_gemvn_kernelILi32ELi16EiPKffKPfEviiT3_lPKT2_lT1_lS7_lS8_lS4_lPT4_lS8_li ; -- Begin function _ZL20rocblas_gemvn_kernelILi32ELi16EiPKffKPfEviiT3_lPKT2_lT1_lS7_lS8_lS4_lPT4_lS8_li
	.p2align	8
	.type	_ZL20rocblas_gemvn_kernelILi32ELi16EiPKffKPfEviiT3_lPKT2_lT1_lS7_lS8_lS4_lPT4_lS8_li,@function
_ZL20rocblas_gemvn_kernelILi32ELi16EiPKffKPfEviiT3_lPKT2_lT1_lS7_lS8_lS4_lPT4_lS8_li: ; @_ZL20rocblas_gemvn_kernelILi32ELi16EiPKffKPfEviiT3_lPKT2_lT1_lS7_lS8_lS4_lPT4_lS8_li
; %bb.0:
	s_load_dwordx2 s[4:5], s[0:1], 0x9c
	s_mov_b32 s6, s3
	s_waitcnt lgkmcnt(0)
	s_and_b32 s3, s5, 0xffff
	s_lshr_b32 s5, s4, 16
	s_and_b32 s4, s4, 0xffff
	s_mul_i32 s4, s5, s4
	s_mul_i32 s4, s4, s3
	s_cmpk_lg_i32 s4, 0x200
	s_cbranch_scc1 .LBB202_56
; %bb.1:
	s_load_dwordx4 s[8:11], s[0:1], 0x0
	s_waitcnt lgkmcnt(0)
	s_load_dword s11, s[0:1], 0x58
	v_cmp_eq_f32_e64 s[4:5], s10, 0
	s_waitcnt lgkmcnt(0)
	v_cmp_eq_f32_e64 s[12:13], s11, 1.0
	s_and_b64 s[12:13], s[4:5], s[12:13]
	s_and_b64 vcc, exec, s[12:13]
	s_cbranch_vccnz .LBB202_56
; %bb.2:
	v_cmp_neq_f32_e64 s[12:13], s10, 0
	s_mov_b32 s7, 0
	s_and_b64 vcc, exec, s[12:13]
	s_cbranch_vccnz .LBB202_4
; %bb.3:
	s_mov_b64 s[16:17], 0
	s_cbranch_execz .LBB202_5
	s_branch .LBB202_6
.LBB202_4:
                                        ; implicit-def: $sgpr16_sgpr17
.LBB202_5:
	s_load_dwordx4 s[16:19], s[0:1], 0x18
	s_lshl_b64 s[14:15], s[6:7], 3
	s_waitcnt lgkmcnt(0)
	s_add_u32 s14, s16, s14
	s_addc_u32 s15, s17, s15
	s_load_dwordx2 s[14:15], s[14:15], 0x0
	s_lshl_b64 s[16:17], s[18:19], 2
	s_waitcnt lgkmcnt(0)
	s_add_u32 s16, s14, s16
	s_addc_u32 s17, s15, s17
.LBB202_6:
	s_mov_b64 s[14:15], 0
	s_andn2_b64 vcc, exec, s[12:13]
	s_mov_b64 s[18:19], 0
	s_cbranch_vccnz .LBB202_8
; %bb.7:
	s_load_dwordx4 s[20:23], s[0:1], 0x38
	s_lshl_b64 s[12:13], s[6:7], 3
	s_waitcnt lgkmcnt(0)
	s_add_u32 s12, s20, s12
	s_addc_u32 s13, s21, s13
	s_load_dwordx2 s[12:13], s[12:13], 0x0
	s_lshl_b64 s[18:19], s[22:23], 2
	s_waitcnt lgkmcnt(0)
	s_add_u32 s18, s12, s18
	s_addc_u32 s19, s13, s19
.LBB202_8:
	s_load_dwordx4 s[20:23], s[0:1], 0x68
	s_load_dword s30, s[0:1], 0x78
	s_lshl_b64 s[6:7], s[6:7], 3
	v_and_b32_e32 v2, 0x3ff, v0
	v_bfe_u32 v14, v0, 10, 10
	s_waitcnt lgkmcnt(0)
	s_add_u32 s6, s20, s6
	s_addc_u32 s7, s21, s7
	s_load_dwordx2 s[6:7], s[6:7], 0x0
	s_lshl_b64 s[12:13], s[22:23], 2
	v_lshl_add_u32 v3, v14, 5, v2
	s_waitcnt lgkmcnt(0)
	s_add_u32 s12, s6, s12
	s_addc_u32 s13, s7, s13
	s_andn2_b64 vcc, exec, s[4:5]
	s_cbranch_vccnz .LBB202_15
; %bb.9:
	s_movk_i32 s3, 0x80
	v_cmp_gt_u32_e32 vcc, s3, v3
	s_mov_b64 s[4:5], 0
                                        ; implicit-def: $vgpr1
                                        ; implicit-def: $vgpr4_vgpr5
	s_and_saveexec_b64 s[6:7], vcc
	s_cbranch_execz .LBB202_16
; %bb.10:
	v_lshl_or_b32 v0, s2, 7, v3
	v_mov_b32_e32 v1, 0
	s_ashr_i32 s15, s8, 31
	s_mov_b32 s14, s8
	v_cmp_gt_i64_e32 vcc, s[14:15], v[0:1]
	s_mov_b64 s[20:21], 0
                                        ; implicit-def: $vgpr4_vgpr5
	s_and_saveexec_b64 s[14:15], vcc
	s_cbranch_execz .LBB202_14
; %bb.11:
	v_mad_u64_u32 v[4:5], s[22:23], s30, v0, 0
	s_ashr_i32 s3, s30, 31
	v_mov_b32_e32 v6, v5
	v_cmp_eq_f32_e64 s[20:21], s11, 0
	v_mad_u64_u32 v[6:7], s[22:23], s3, v0, v[6:7]
	v_mov_b32_e32 v5, v6
	s_and_b64 vcc, exec, s[20:21]
	s_cbranch_vccnz .LBB202_13
; %bb.12:
	v_lshl_add_u64 v[0:1], v[4:5], 2, s[12:13]
	global_load_dword v0, v[0:1], off
	s_waitcnt vmcnt(0)
	v_mul_f32_e32 v1, s11, v0
.LBB202_13:
	s_mov_b64 s[20:21], exec
.LBB202_14:
	s_or_b64 exec, exec, s[14:15]
	s_and_b64 s[14:15], s[20:21], exec
	s_or_b64 exec, exec, s[6:7]
	s_and_b64 vcc, exec, s[4:5]
	s_cbranch_vccnz .LBB202_17
	s_branch .LBB202_54
.LBB202_15:
                                        ; implicit-def: $vgpr1
                                        ; implicit-def: $vgpr4_vgpr5
	s_cbranch_execnz .LBB202_17
	s_branch .LBB202_54
.LBB202_16:
	s_or_b64 exec, exec, s[6:7]
	s_and_b64 vcc, exec, s[4:5]
	s_cbranch_vccz .LBB202_54
.LBB202_17:
	s_load_dword s33, s[0:1], 0x28
	s_load_dword s34, s[0:1], 0x48
	s_ashr_i32 s0, s9, 31
	s_lshr_b32 s0, s0, 26
	s_add_i32 s35, s9, s0
	s_lshl_b32 s31, s2, 7
	s_andn2_b32 s35, s35, 63
	v_lshlrev_b32_e32 v20, 2, v14
	v_add_u32_e32 v19, s31, v2
	v_cmp_gt_i32_e32 vcc, s35, v20
	v_mov_b32_e32 v15, 0
	v_mov_b32_e32 v16, 0
	v_mov_b32_e32 v17, 0
	v_mov_b32_e32 v18, 0
	s_and_saveexec_b64 s[20:21], vcc
	s_cbranch_execz .LBB202_29
; %bb.18:
	v_add_u32_e32 v0, 32, v19
	v_cmp_gt_i32_e64 s[0:1], s8, v0
	v_add_u32_e32 v0, 64, v19
	v_cmp_gt_i32_e64 s[2:3], s8, v0
	;; [unrolled: 2-line block ×3, first 2 shown]
	s_waitcnt lgkmcnt(0)
	v_mul_lo_u32 v0, s33, v20
	v_add_u32_e32 v6, 2, v20
	v_add_u32_e32 v7, 3, v20
	v_add3_u32 v21, v0, s33, v2
	v_mad_u64_u32 v[0:1], s[6:7], s33, v6, v[2:3]
	v_mad_u64_u32 v[4:5], s[6:7], s33, v7, v[2:3]
	v_mul_lo_u32 v1, v14, s33
	v_mul_lo_u32 v5, s34, v20
	;; [unrolled: 1-line block ×4, first 2 shown]
	v_cmp_gt_i32_e32 vcc, s8, v19
	s_lshl_b32 s36, s33, 6
	v_lshl_add_u32 v1, v1, 2, v2
	v_add_u32_e32 v5, s34, v5
	s_lshl_b32 s37, s34, 6
	v_mul_lo_u32 v23, s34, v7
	v_lshlrev_b32_e32 v24, 2, v6
	s_mov_b32 s38, 0
	s_mov_b64 s[22:23], 0
	v_mov_b32_e32 v15, 0
	v_mov_b32_e32 v16, 0
	;; [unrolled: 1-line block ×4, first 2 shown]
	s_branch .LBB202_23
.LBB202_19:                             ;   in Loop: Header=BB202_23 Depth=1
	s_or_b64 exec, exec, s[28:29]
	s_waitcnt vmcnt(0) lgkmcnt(0)
	v_fmac_f32_e32 v17, v28, v40
	v_fmac_f32_e32 v17, v27, v39
	;; [unrolled: 1-line block ×4, first 2 shown]
.LBB202_20:                             ;   in Loop: Header=BB202_23 Depth=1
	s_or_b64 exec, exec, s[26:27]
	s_waitcnt vmcnt(0) lgkmcnt(0)
	v_fmac_f32_e32 v16, v28, v36
	v_fmac_f32_e32 v16, v27, v35
	;; [unrolled: 1-line block ×4, first 2 shown]
.LBB202_21:                             ;   in Loop: Header=BB202_23 Depth=1
	s_or_b64 exec, exec, s[24:25]
	s_waitcnt vmcnt(0) lgkmcnt(0)
	v_fmac_f32_e32 v15, v28, v32
	v_fmac_f32_e32 v15, v27, v31
	;; [unrolled: 1-line block ×4, first 2 shown]
.LBB202_22:                             ;   in Loop: Header=BB202_23 Depth=1
	s_or_b64 exec, exec, s[6:7]
	v_add_u32_e32 v20, 64, v20
	s_add_i32 s38, s38, s37
	v_cmp_le_i32_e64 s[6:7], s35, v20
	v_add_u32_e32 v21, s36, v21
	v_add_u32_e32 v0, s36, v0
	v_add_u32_e32 v4, s36, v4
	s_or_b64 s[22:23], s[6:7], s[22:23]
	v_add_u32_e32 v1, s36, v1
	s_andn2_b64 exec, exec, s[22:23]
	s_cbranch_execz .LBB202_28
.LBB202_23:                             ; =>This Inner Loop Header: Depth=1
	s_and_saveexec_b64 s[6:7], vcc
	s_cbranch_execz .LBB202_22
; %bb.24:                               ;   in Loop: Header=BB202_23 Depth=1
	v_add_u32_e32 v6, s38, v24
	v_ashrrev_i32_e32 v7, 31, v6
	v_add_u32_e32 v8, s38, v5
	v_add_u32_e32 v10, s38, v22
	;; [unrolled: 1-line block ×3, first 2 shown]
	v_lshl_add_u64 v[6:7], v[6:7], 2, s[18:19]
	v_ashrrev_i32_e32 v9, 31, v8
	v_ashrrev_i32_e32 v11, 31, v10
	;; [unrolled: 1-line block ×3, first 2 shown]
	v_lshl_add_u64 v[8:9], v[8:9], 2, s[18:19]
	v_lshl_add_u64 v[10:11], v[10:11], 2, s[18:19]
	;; [unrolled: 1-line block ×3, first 2 shown]
	flat_load_dword v28, v[6:7]
	flat_load_dword v27, v[8:9]
	;; [unrolled: 1-line block ×4, first 2 shown]
	v_add_u32_e32 v6, s31, v1
	v_ashrrev_i32_e32 v7, 31, v6
	v_add_u32_e32 v8, s31, v21
	v_add_u32_e32 v10, s31, v0
	;; [unrolled: 1-line block ×3, first 2 shown]
	v_lshl_add_u64 v[6:7], v[6:7], 2, s[16:17]
	v_ashrrev_i32_e32 v9, 31, v8
	v_ashrrev_i32_e32 v11, 31, v10
	;; [unrolled: 1-line block ×3, first 2 shown]
	v_lshl_add_u64 v[8:9], v[8:9], 2, s[16:17]
	v_lshl_add_u64 v[10:11], v[10:11], 2, s[16:17]
	;; [unrolled: 1-line block ×3, first 2 shown]
	flat_load_dword v32, v[6:7]
	flat_load_dword v31, v[8:9]
	;; [unrolled: 1-line block ×4, first 2 shown]
	s_and_saveexec_b64 s[24:25], s[0:1]
	s_cbranch_execz .LBB202_21
; %bb.25:                               ;   in Loop: Header=BB202_23 Depth=1
	flat_load_dword v36, v[6:7] offset:128
	flat_load_dword v35, v[8:9] offset:128
	flat_load_dword v34, v[10:11] offset:128
	flat_load_dword v33, v[12:13] offset:128
	s_and_saveexec_b64 s[26:27], s[2:3]
	s_cbranch_execz .LBB202_20
; %bb.26:                               ;   in Loop: Header=BB202_23 Depth=1
	flat_load_dword v40, v[6:7] offset:256
	flat_load_dword v39, v[8:9] offset:256
	flat_load_dword v38, v[10:11] offset:256
	flat_load_dword v37, v[12:13] offset:256
	s_and_saveexec_b64 s[28:29], s[4:5]
	s_cbranch_execz .LBB202_19
; %bb.27:                               ;   in Loop: Header=BB202_23 Depth=1
	flat_load_dword v41, v[6:7] offset:384
	flat_load_dword v42, v[8:9] offset:384
	flat_load_dword v43, v[10:11] offset:384
	flat_load_dword v44, v[12:13] offset:384
	s_waitcnt vmcnt(0) lgkmcnt(0)
	v_fmac_f32_e32 v18, v28, v41
	v_fmac_f32_e32 v18, v27, v42
	;; [unrolled: 1-line block ×4, first 2 shown]
	s_branch .LBB202_19
.LBB202_28:
	s_or_b64 exec, exec, s[22:23]
.LBB202_29:
	s_or_b64 exec, exec, s[20:21]
	s_sub_i32 s0, s9, s35
	s_cmp_lt_i32 s0, 1
	s_cbranch_scc1 .LBB202_47
; %bb.30:
	v_cmp_gt_i32_e32 vcc, s9, v20
	v_mov_b32_e32 v10, 0
	v_or_b32_e32 v4, 1, v20
	v_mov_b32_e32 v13, 0
	v_mov_b32_e32 v12, 0
	;; [unrolled: 1-line block ×3, first 2 shown]
	s_and_saveexec_b64 s[2:3], vcc
	s_cbranch_execz .LBB202_38
; %bb.31:
	s_waitcnt lgkmcnt(0)
	v_mul_lo_u32 v0, v20, s34
	v_ashrrev_i32_e32 v1, 31, v0
	v_lshl_add_u64 v[0:1], v[0:1], 2, s[18:19]
	flat_load_dword v11, v[0:1]
	v_cmp_gt_i32_e64 s[0:1], s9, v4
	v_mov_b32_e32 v12, 0
	v_mov_b32_e32 v13, 0
	;; [unrolled: 1-line block ×3, first 2 shown]
	s_and_saveexec_b64 s[4:5], s[0:1]
	s_cbranch_execz .LBB202_37
; %bb.32:
	v_mul_lo_u32 v0, v4, s34
	v_ashrrev_i32_e32 v1, 31, v0
	v_lshl_add_u64 v[0:1], v[0:1], 2, s[18:19]
	flat_load_dword v12, v[0:1]
	v_or_b32_e32 v0, 2, v20
	v_cmp_gt_i32_e64 s[0:1], s9, v0
	v_mov_b32_e32 v13, 0
	v_mov_b32_e32 v10, 0
	s_and_saveexec_b64 s[6:7], s[0:1]
	s_cbranch_execz .LBB202_36
; %bb.33:
	v_mul_lo_u32 v0, v0, s34
	v_ashrrev_i32_e32 v1, 31, v0
	v_lshl_add_u64 v[0:1], v[0:1], 2, s[18:19]
	flat_load_dword v13, v[0:1]
	v_or_b32_e32 v0, 3, v20
	v_cmp_gt_i32_e64 s[0:1], s9, v0
	v_mov_b32_e32 v10, 0
	s_and_saveexec_b64 s[20:21], s[0:1]
	s_cbranch_execz .LBB202_35
; %bb.34:
	v_mul_lo_u32 v0, v0, s34
	v_ashrrev_i32_e32 v1, 31, v0
	v_lshl_add_u64 v[0:1], v[0:1], 2, s[18:19]
	flat_load_dword v10, v[0:1]
.LBB202_35:
	s_or_b64 exec, exec, s[20:21]
.LBB202_36:
	s_or_b64 exec, exec, s[6:7]
.LBB202_37:
	s_or_b64 exec, exec, s[4:5]
.LBB202_38:
	s_or_b64 exec, exec, s[2:3]
	v_cmp_gt_i32_e64 s[0:1], s8, v19
	s_and_saveexec_b64 s[2:3], s[0:1]
	s_cbranch_execz .LBB202_46
; %bb.39:
	s_waitcnt lgkmcnt(0)
	v_mul_lo_u32 v0, v20, s33
	v_cndmask_b32_e32 v0, 0, v0, vcc
	v_mul_lo_u32 v5, v4, s33
	v_cmp_gt_i32_e32 vcc, s9, v4
	v_or_b32_e32 v6, 2, v20
	v_mul_lo_u32 v7, v6, s33
	v_cndmask_b32_e32 v4, 0, v5, vcc
	v_cmp_gt_i32_e32 vcc, s9, v6
	v_or_b32_e32 v8, 3, v20
	v_mul_lo_u32 v9, v8, s33
	v_cndmask_b32_e32 v6, 0, v7, vcc
	v_cmp_gt_i32_e32 vcc, s9, v8
	v_add_u32_e32 v0, v0, v19
	v_ashrrev_i32_e32 v1, 31, v0
	v_cndmask_b32_e32 v8, 0, v9, vcc
	v_add_u32_e32 v4, v4, v19
	v_add_u32_e32 v6, v6, v19
	;; [unrolled: 1-line block ×3, first 2 shown]
	v_lshl_add_u64 v[0:1], v[0:1], 2, s[16:17]
	v_ashrrev_i32_e32 v5, 31, v4
	v_ashrrev_i32_e32 v7, 31, v6
	;; [unrolled: 1-line block ×3, first 2 shown]
	v_lshl_add_u64 v[4:5], v[4:5], 2, s[16:17]
	v_lshl_add_u64 v[6:7], v[6:7], 2, s[16:17]
	flat_load_dword v21, v[0:1]
	flat_load_dword v22, v[4:5]
	;; [unrolled: 1-line block ×3, first 2 shown]
	v_lshl_add_u64 v[8:9], v[8:9], 2, s[16:17]
	flat_load_dword v20, v[8:9]
	v_add_u32_e32 v24, 32, v19
	v_cmp_gt_i32_e32 vcc, s8, v24
	s_waitcnt vmcnt(0) lgkmcnt(0)
	v_fmac_f32_e32 v15, v11, v21
	v_fmac_f32_e32 v15, v12, v22
	v_fmac_f32_e32 v15, v13, v23
	s_and_saveexec_b64 s[0:1], vcc
	s_cbranch_execz .LBB202_45
; %bb.40:
	flat_load_dword v22, v[0:1] offset:128
	flat_load_dword v23, v[4:5] offset:128
	flat_load_dword v24, v[6:7] offset:128
	flat_load_dword v21, v[8:9] offset:128
	v_add_u32_e32 v25, 64, v19
	v_cmp_gt_i32_e32 vcc, s8, v25
	s_waitcnt vmcnt(0) lgkmcnt(0)
	v_fmac_f32_e32 v16, v11, v22
	v_fmac_f32_e32 v16, v12, v23
	v_fmac_f32_e32 v16, v13, v24
	s_and_saveexec_b64 s[4:5], vcc
	s_cbranch_execz .LBB202_44
; %bb.41:
	flat_load_dword v23, v[0:1] offset:256
	flat_load_dword v24, v[4:5] offset:256
	flat_load_dword v25, v[6:7] offset:256
	flat_load_dword v22, v[8:9] offset:256
	;; [unrolled: 13-line block ×3, first 2 shown]
	s_waitcnt vmcnt(0) lgkmcnt(0)
	v_fmac_f32_e32 v18, v11, v19
	v_fmac_f32_e32 v18, v12, v23
	;; [unrolled: 1-line block ×4, first 2 shown]
.LBB202_43:
	s_or_b64 exec, exec, s[6:7]
	v_fmac_f32_e32 v17, v10, v22
.LBB202_44:
	s_or_b64 exec, exec, s[4:5]
	v_fmac_f32_e32 v16, v10, v21
.LBB202_45:
	s_or_b64 exec, exec, s[0:1]
	v_fmac_f32_e32 v15, v10, v20
.LBB202_46:
	s_or_b64 exec, exec, s[2:3]
.LBB202_47:
	v_lshlrev_b32_e32 v0, 7, v14
	s_movk_i32 s0, 0x80
	v_add_lshl_u32 v0, v0, v2, 2
	v_cmp_gt_u32_e32 vcc, s0, v3
	ds_write2_b32 v0, v15, v16 offset1:32
	ds_write2_b32 v0, v17, v18 offset0:64 offset1:96
	s_waitcnt lgkmcnt(0)
	s_barrier
	s_waitcnt lgkmcnt(0)
                                        ; implicit-def: $vgpr1
                                        ; implicit-def: $vgpr4_vgpr5
	s_and_saveexec_b64 s[0:1], vcc
	s_cbranch_execz .LBB202_53
; %bb.48:
	v_lshlrev_b32_e32 v2, 2, v3
	ds_read2st64_b32 v[0:1], v2 offset1:2
	ds_read2st64_b32 v[4:5], v2 offset0:4 offset1:6
	ds_read2st64_b32 v[6:7], v2 offset0:8 offset1:10
	;; [unrolled: 1-line block ×3, first 2 shown]
	s_waitcnt vmcnt(0)
	ds_read2st64_b32 v[10:11], v2 offset0:16 offset1:18
	s_waitcnt lgkmcnt(4)
	v_add_f32_e32 v0, v0, v1
	s_waitcnt lgkmcnt(3)
	v_add_f32_e32 v0, v4, v0
	v_add_f32_e32 v0, v5, v0
	s_waitcnt lgkmcnt(2)
	v_add_f32_e32 v0, v6, v0
	;; [unrolled: 3-line block ×3, first 2 shown]
	v_add_f32_e32 v4, v9, v0
	ds_read2st64_b32 v[0:1], v2 offset0:20 offset1:22
	s_waitcnt lgkmcnt(1)
	v_add_f32_e32 v6, v10, v4
	ds_read2st64_b32 v[4:5], v2 offset0:24 offset1:26
	v_add_f32_e32 v8, v11, v6
	ds_read2st64_b32 v[6:7], v2 offset0:28 offset1:30
	s_waitcnt lgkmcnt(2)
	v_add_f32_e32 v0, v0, v8
	v_add_f32_e32 v0, v1, v0
	s_waitcnt lgkmcnt(1)
	v_add_f32_e32 v0, v4, v0
	v_add_f32_e32 v0, v5, v0
	;; [unrolled: 3-line block ×3, first 2 shown]
	ds_write_b32 v2, v0
	v_or_b32_e32 v2, s31, v3
	v_cmp_gt_i32_e32 vcc, s8, v2
	s_mov_b64 s[4:5], s[14:15]
                                        ; implicit-def: $vgpr1
                                        ; implicit-def: $vgpr4_vgpr5
	s_and_saveexec_b64 s[2:3], vcc
	s_cbranch_execz .LBB202_52
; %bb.49:
	v_cmp_eq_f32_e64 s[4:5], s11, 0
	v_mul_lo_u32 v4, v2, s30
	v_mul_f32_e32 v1, s10, v0
	v_ashrrev_i32_e32 v5, 31, v4
	s_and_b64 vcc, exec, s[4:5]
	s_cbranch_vccnz .LBB202_51
; %bb.50:
	v_lshl_add_u64 v[2:3], v[4:5], 2, s[12:13]
	global_load_dword v0, v[2:3], off
	s_waitcnt vmcnt(0)
	v_fmac_f32_e32 v1, s11, v0
.LBB202_51:
	s_or_b64 s[4:5], s[14:15], exec
.LBB202_52:
	s_or_b64 exec, exec, s[2:3]
	s_andn2_b64 s[2:3], s[14:15], exec
	s_and_b64 s[4:5], s[4:5], exec
	s_or_b64 s[14:15], s[2:3], s[4:5]
.LBB202_53:
	s_or_b64 exec, exec, s[0:1]
.LBB202_54:
	s_and_saveexec_b64 s[0:1], s[14:15]
	s_cbranch_execz .LBB202_56
; %bb.55:
	v_lshl_add_u64 v[2:3], v[4:5], 2, s[12:13]
	global_store_dword v[2:3], v1, off
.LBB202_56:
	s_endpgm
	.section	.rodata,"a",@progbits
	.p2align	6, 0x0
	.amdhsa_kernel _ZL20rocblas_gemvn_kernelILi32ELi16EiPKffKPfEviiT3_lPKT2_lT1_lS7_lS8_lS4_lPT4_lS8_li
		.amdhsa_group_segment_fixed_size 8192
		.amdhsa_private_segment_fixed_size 0
		.amdhsa_kernarg_size 400
		.amdhsa_user_sgpr_count 2
		.amdhsa_user_sgpr_dispatch_ptr 0
		.amdhsa_user_sgpr_queue_ptr 0
		.amdhsa_user_sgpr_kernarg_segment_ptr 1
		.amdhsa_user_sgpr_dispatch_id 0
		.amdhsa_user_sgpr_kernarg_preload_length 0
		.amdhsa_user_sgpr_kernarg_preload_offset 0
		.amdhsa_user_sgpr_private_segment_size 0
		.amdhsa_uses_dynamic_stack 0
		.amdhsa_enable_private_segment 0
		.amdhsa_system_sgpr_workgroup_id_x 1
		.amdhsa_system_sgpr_workgroup_id_y 0
		.amdhsa_system_sgpr_workgroup_id_z 1
		.amdhsa_system_sgpr_workgroup_info 0
		.amdhsa_system_vgpr_workitem_id 1
		.amdhsa_next_free_vgpr 45
		.amdhsa_next_free_sgpr 39
		.amdhsa_accum_offset 48
		.amdhsa_reserve_vcc 1
		.amdhsa_float_round_mode_32 0
		.amdhsa_float_round_mode_16_64 0
		.amdhsa_float_denorm_mode_32 3
		.amdhsa_float_denorm_mode_16_64 3
		.amdhsa_dx10_clamp 1
		.amdhsa_ieee_mode 1
		.amdhsa_fp16_overflow 0
		.amdhsa_tg_split 0
		.amdhsa_exception_fp_ieee_invalid_op 0
		.amdhsa_exception_fp_denorm_src 0
		.amdhsa_exception_fp_ieee_div_zero 0
		.amdhsa_exception_fp_ieee_overflow 0
		.amdhsa_exception_fp_ieee_underflow 0
		.amdhsa_exception_fp_ieee_inexact 0
		.amdhsa_exception_int_div_zero 0
	.end_amdhsa_kernel
	.section	.text._ZL20rocblas_gemvn_kernelILi32ELi16EiPKffKPfEviiT3_lPKT2_lT1_lS7_lS8_lS4_lPT4_lS8_li,"axG",@progbits,_ZL20rocblas_gemvn_kernelILi32ELi16EiPKffKPfEviiT3_lPKT2_lT1_lS7_lS8_lS4_lPT4_lS8_li,comdat
.Lfunc_end202:
	.size	_ZL20rocblas_gemvn_kernelILi32ELi16EiPKffKPfEviiT3_lPKT2_lT1_lS7_lS8_lS4_lPT4_lS8_li, .Lfunc_end202-_ZL20rocblas_gemvn_kernelILi32ELi16EiPKffKPfEviiT3_lPKT2_lT1_lS7_lS8_lS4_lPT4_lS8_li
                                        ; -- End function
	.section	.AMDGPU.csdata,"",@progbits
; Kernel info:
; codeLenInByte = 2272
; NumSgprs: 45
; NumVgprs: 45
; NumAgprs: 0
; TotalNumVgprs: 45
; ScratchSize: 0
; MemoryBound: 0
; FloatMode: 240
; IeeeMode: 1
; LDSByteSize: 8192 bytes/workgroup (compile time only)
; SGPRBlocks: 5
; VGPRBlocks: 5
; NumSGPRsForWavesPerEU: 45
; NumVGPRsForWavesPerEU: 45
; AccumOffset: 48
; Occupancy: 8
; WaveLimiterHint : 1
; COMPUTE_PGM_RSRC2:SCRATCH_EN: 0
; COMPUTE_PGM_RSRC2:USER_SGPR: 2
; COMPUTE_PGM_RSRC2:TRAP_HANDLER: 0
; COMPUTE_PGM_RSRC2:TGID_X_EN: 1
; COMPUTE_PGM_RSRC2:TGID_Y_EN: 0
; COMPUTE_PGM_RSRC2:TGID_Z_EN: 1
; COMPUTE_PGM_RSRC2:TIDIG_COMP_CNT: 1
; COMPUTE_PGM_RSRC3_GFX90A:ACCUM_OFFSET: 11
; COMPUTE_PGM_RSRC3_GFX90A:TG_SPLIT: 0
	.section	.text._ZL20rocblas_gemvn_kernelILi32ELi16ElPKffKPfEviiT3_lPKT2_lT1_lS7_lS8_lS4_lPT4_lS8_li,"axG",@progbits,_ZL20rocblas_gemvn_kernelILi32ELi16ElPKffKPfEviiT3_lPKT2_lT1_lS7_lS8_lS4_lPT4_lS8_li,comdat
	.globl	_ZL20rocblas_gemvn_kernelILi32ELi16ElPKffKPfEviiT3_lPKT2_lT1_lS7_lS8_lS4_lPT4_lS8_li ; -- Begin function _ZL20rocblas_gemvn_kernelILi32ELi16ElPKffKPfEviiT3_lPKT2_lT1_lS7_lS8_lS4_lPT4_lS8_li
	.p2align	8
	.type	_ZL20rocblas_gemvn_kernelILi32ELi16ElPKffKPfEviiT3_lPKT2_lT1_lS7_lS8_lS4_lPT4_lS8_li,@function
_ZL20rocblas_gemvn_kernelILi32ELi16ElPKffKPfEviiT3_lPKT2_lT1_lS7_lS8_lS4_lPT4_lS8_li: ; @_ZL20rocblas_gemvn_kernelILi32ELi16ElPKffKPfEviiT3_lPKT2_lT1_lS7_lS8_lS4_lPT4_lS8_li
; %bb.0:
	s_load_dwordx2 s[4:5], s[0:1], 0x9c
	s_mov_b32 s12, s3
	s_waitcnt lgkmcnt(0)
	s_and_b32 s3, s5, 0xffff
	s_lshr_b32 s5, s4, 16
	s_and_b32 s4, s4, 0xffff
	s_mul_i32 s4, s5, s4
	s_mul_i32 s4, s4, s3
	s_cmpk_lg_i32 s4, 0x200
	s_cbranch_scc1 .LBB203_56
; %bb.1:
	s_load_dwordx4 s[8:11], s[0:1], 0x0
	s_waitcnt lgkmcnt(0)
	s_load_dword s11, s[0:1], 0x58
	v_cmp_eq_f32_e64 s[26:27], s10, 0
	s_waitcnt lgkmcnt(0)
	v_cmp_eq_f32_e64 s[4:5], s11, 1.0
	s_and_b64 s[4:5], s[26:27], s[4:5]
	s_and_b64 vcc, exec, s[4:5]
	s_cbranch_vccnz .LBB203_56
; %bb.2:
	s_load_dwordx4 s[4:7], s[0:1], 0x18
	s_load_dwordx2 s[18:19], s[0:1], 0x28
	v_cmp_neq_f32_e64 s[16:17], s10, 0
	s_mov_b32 s13, 0
	s_and_b64 vcc, exec, s[16:17]
	s_cbranch_vccnz .LBB203_4
; %bb.3:
	s_mov_b64 s[20:21], 0
	s_cbranch_execz .LBB203_5
	s_branch .LBB203_6
.LBB203_4:
                                        ; implicit-def: $sgpr20_sgpr21
.LBB203_5:
	s_lshl_b64 s[14:15], s[12:13], 3
	s_waitcnt lgkmcnt(0)
	s_add_u32 s4, s4, s14
	s_addc_u32 s5, s5, s15
	s_load_dwordx2 s[4:5], s[4:5], 0x0
	s_lshl_b64 s[6:7], s[6:7], 2
	s_waitcnt lgkmcnt(0)
	s_add_u32 s20, s4, s6
	s_addc_u32 s21, s5, s7
.LBB203_6:
	s_waitcnt lgkmcnt(0)
	s_load_dwordx4 s[4:7], s[0:1], 0x38
	s_load_dwordx2 s[22:23], s[0:1], 0x48
	s_mov_b64 s[14:15], 0
	s_andn2_b64 vcc, exec, s[16:17]
	s_mov_b64 s[24:25], 0
	s_cbranch_vccnz .LBB203_8
; %bb.7:
	s_lshl_b64 s[16:17], s[12:13], 3
	s_waitcnt lgkmcnt(0)
	s_add_u32 s4, s4, s16
	s_addc_u32 s5, s5, s17
	s_load_dwordx2 s[4:5], s[4:5], 0x0
	s_lshl_b64 s[6:7], s[6:7], 2
	s_waitcnt lgkmcnt(0)
	s_add_u32 s24, s4, s6
	s_addc_u32 s25, s5, s7
.LBB203_8:
	s_waitcnt lgkmcnt(0)
	s_load_dwordx4 s[4:7], s[0:1], 0x68
	s_load_dwordx2 s[16:17], s[0:1], 0x78
	s_lshl_b64 s[0:1], s[12:13], 3
	v_and_b32_e32 v29, 0x3ff, v0
	v_bfe_u32 v30, v0, 10, 10
	s_waitcnt lgkmcnt(0)
	s_add_u32 s0, s4, s0
	s_addc_u32 s1, s5, s1
	s_load_dwordx2 s[0:1], s[0:1], 0x0
	s_lshl_b64 s[4:5], s[6:7], 2
	v_lshl_add_u32 v28, v30, 5, v29
	s_waitcnt lgkmcnt(0)
	s_add_u32 s12, s0, s4
	s_addc_u32 s13, s1, s5
	s_andn2_b64 vcc, exec, s[26:27]
	s_cbranch_vccnz .LBB203_15
; %bb.9:
	s_movk_i32 s0, 0x80
	v_cmp_gt_u32_e32 vcc, s0, v28
	s_mov_b64 s[0:1], 0
                                        ; implicit-def: $vgpr1
                                        ; implicit-def: $vgpr2_vgpr3
	s_and_saveexec_b64 s[4:5], vcc
	s_cbranch_execz .LBB203_16
; %bb.10:
	v_lshl_or_b32 v0, s2, 7, v28
	v_mov_b32_e32 v1, 0
	s_ashr_i32 s7, s8, 31
	s_mov_b32 s6, s8
	v_cmp_gt_i64_e32 vcc, s[6:7], v[0:1]
                                        ; implicit-def: $vgpr2_vgpr3
	s_and_saveexec_b64 s[6:7], vcc
	s_cbranch_execz .LBB203_14
; %bb.11:
	v_mad_u64_u32 v[2:3], s[26:27], v0, s16, 0
	v_mov_b32_e32 v4, v3
	v_cmp_eq_f32_e64 s[14:15], s11, 0
	v_mad_u64_u32 v[4:5], s[26:27], v0, s17, v[4:5]
	v_mov_b32_e32 v3, v4
	s_and_b64 vcc, exec, s[14:15]
	s_cbranch_vccnz .LBB203_13
; %bb.12:
	v_lshl_add_u64 v[0:1], v[2:3], 2, s[12:13]
	global_load_dword v0, v[0:1], off
	s_waitcnt vmcnt(0)
	v_mul_f32_e32 v1, s11, v0
.LBB203_13:
	s_mov_b64 s[14:15], exec
.LBB203_14:
	s_or_b64 exec, exec, s[6:7]
	s_and_b64 s[14:15], s[14:15], exec
	s_or_b64 exec, exec, s[4:5]
	s_and_b64 vcc, exec, s[0:1]
	s_cbranch_vccnz .LBB203_17
	s_branch .LBB203_54
.LBB203_15:
                                        ; implicit-def: $vgpr1
                                        ; implicit-def: $vgpr2_vgpr3
	s_cbranch_execnz .LBB203_17
	s_branch .LBB203_54
.LBB203_16:
	s_or_b64 exec, exec, s[4:5]
	s_and_b64 vcc, exec, s[0:1]
	s_cbranch_vccz .LBB203_54
.LBB203_17:
	s_ashr_i32 s0, s9, 31
	s_lshr_b32 s0, s0, 26
	s_add_i32 s44, s9, s0
	s_lshl_b32 s33, s2, 7
	s_andn2_b32 s44, s44, 63
	v_lshlrev_b32_e32 v35, 2, v30
	v_add_u32_e32 v0, s33, v29
	v_cmp_gt_i32_e32 vcc, s44, v35
	v_mov_b32_e32 v31, 0
	v_mov_b32_e32 v32, 0
	;; [unrolled: 1-line block ×4, first 2 shown]
	s_and_saveexec_b64 s[26:27], vcc
	s_cbranch_execz .LBB203_29
; %bb.18:
	v_add_u32_e32 v2, 32, v0
	v_cmp_gt_i32_e64 s[0:1], s8, v2
	v_add_u32_e32 v2, 64, v0
	v_ashrrev_i32_e32 v1, 31, v0
	v_cmp_gt_i32_e64 s[2:3], s8, v2
	v_add_u32_e32 v2, 0x60, v0
	v_cmp_gt_i32_e64 s[4:5], s8, v2
	v_lshlrev_b64 v[2:3], 2, v[0:1]
	v_lshlrev_b32_e32 v1, 2, v30
	v_or_b32_e32 v15, 3, v1
	v_mad_u64_u32 v[4:5], s[6:7], s18, v15, 0
	v_mov_b32_e32 v6, v5
	v_mad_u64_u32 v[6:7], s[6:7], s19, v15, v[6:7]
	v_mov_b32_e32 v5, v6
	;; [unrolled: 2-line block ×6, first 2 shown]
	v_mov_b64_e32 v[10:11], s[22:23]
	v_mad_u64_u32 v[10:11], s[6:7], s22, v1, v[10:11]
	v_mov_b32_e32 v12, v11
	v_mad_u64_u32 v[12:13], s[6:7], s23, v1, v[12:13]
	v_mov_b32_e32 v11, v12
	;; [unrolled: 2-line block ×3, first 2 shown]
	v_mad_u64_u32 v[14:15], s[6:7], s23, v15, v[14:15]
	v_or_b32_e32 v21, 2, v1
	v_mov_b32_e32 v13, v14
	v_mad_u64_u32 v[14:15], s[6:7], s18, v21, 0
	v_mov_b32_e32 v16, v15
	v_mad_u64_u32 v[16:17], s[6:7], s19, v21, v[16:17]
	v_mov_b32_e32 v15, v16
	v_mov_b64_e32 v[16:17], s[18:19]
	v_mad_u64_u32 v[16:17], s[6:7], s18, v1, v[16:17]
	v_mov_b32_e32 v18, v17
	v_mad_u64_u32 v[18:19], s[6:7], s19, v1, v[18:19]
	v_mov_b32_e32 v17, v18
	;; [unrolled: 2-line block ×4, first 2 shown]
	v_cmp_gt_i32_e32 vcc, s8, v0
	v_lshl_add_u64 v[4:5], v[4:5], 2, s[20:21]
	s_lshl_b64 s[28:29], s[18:19], 8
	v_lshlrev_b64 v[6:7], 4, v[6:7]
	s_lshl_b64 s[30:31], s[22:23], 8
	v_lshl_add_u64 v[8:9], v[8:9], 4, s[20:21]
	v_lshlrev_b64 v[10:11], 2, v[10:11]
	v_lshlrev_b64 v[12:13], 2, v[12:13]
	v_lshl_add_u64 v[14:15], v[14:15], 2, s[20:21]
	v_lshl_add_u64 v[16:17], v[16:17], 2, s[20:21]
	v_lshlrev_b64 v[18:19], 2, v[18:19]
	s_mov_b64 s[34:35], 0
	v_mov_b32_e32 v31, 0
	s_mov_b64 s[36:37], s[24:25]
	v_mov_b32_e32 v32, 0
	v_mov_b32_e32 v33, 0
	;; [unrolled: 1-line block ×3, first 2 shown]
	s_branch .LBB203_23
.LBB203_19:                             ;   in Loop: Header=BB203_23 Depth=1
	s_or_b64 exec, exec, s[42:43]
	s_waitcnt vmcnt(0) lgkmcnt(0)
	v_fmac_f32_e32 v33, v38, v50
	v_fmac_f32_e32 v33, v37, v49
	;; [unrolled: 1-line block ×4, first 2 shown]
.LBB203_20:                             ;   in Loop: Header=BB203_23 Depth=1
	s_or_b64 exec, exec, s[40:41]
	s_waitcnt vmcnt(0) lgkmcnt(0)
	v_fmac_f32_e32 v32, v38, v46
	v_fmac_f32_e32 v32, v37, v45
	;; [unrolled: 1-line block ×4, first 2 shown]
.LBB203_21:                             ;   in Loop: Header=BB203_23 Depth=1
	s_or_b64 exec, exec, s[38:39]
	s_waitcnt vmcnt(0) lgkmcnt(0)
	v_fmac_f32_e32 v31, v38, v39
	v_fmac_f32_e32 v31, v37, v40
	;; [unrolled: 1-line block ×4, first 2 shown]
.LBB203_22:                             ;   in Loop: Header=BB203_23 Depth=1
	s_or_b64 exec, exec, s[6:7]
	v_add_u32_e32 v35, 64, v35
	s_add_u32 s36, s36, s30
	s_addc_u32 s37, s37, s31
	v_cmp_le_i32_e64 s[6:7], s44, v35
	v_lshl_add_u64 v[4:5], v[4:5], 0, s[28:29]
	v_lshl_add_u64 v[8:9], v[8:9], 0, s[28:29]
	;; [unrolled: 1-line block ×3, first 2 shown]
	s_or_b64 s[34:35], s[6:7], s[34:35]
	v_lshl_add_u64 v[16:17], v[16:17], 0, s[28:29]
	s_andn2_b64 exec, exec, s[34:35]
	s_cbranch_execz .LBB203_28
.LBB203_23:                             ; =>This Inner Loop Header: Depth=1
	s_and_saveexec_b64 s[6:7], vcc
	s_cbranch_execz .LBB203_22
; %bb.24:                               ;   in Loop: Header=BB203_23 Depth=1
	v_lshl_add_u64 v[20:21], s[36:37], 0, v[6:7]
	v_lshl_add_u64 v[22:23], s[36:37], 0, v[10:11]
	;; [unrolled: 1-line block ×4, first 2 shown]
	flat_load_dword v38, v[20:21]
	flat_load_dword v37, v[22:23]
	;; [unrolled: 1-line block ×4, first 2 shown]
	v_lshl_add_u64 v[20:21], v[8:9], 0, v[2:3]
	v_lshl_add_u64 v[22:23], v[16:17], 0, v[2:3]
	;; [unrolled: 1-line block ×4, first 2 shown]
	flat_load_dword v39, v[20:21]
	flat_load_dword v40, v[22:23]
	;; [unrolled: 1-line block ×4, first 2 shown]
	s_and_saveexec_b64 s[38:39], s[0:1]
	s_cbranch_execz .LBB203_21
; %bb.25:                               ;   in Loop: Header=BB203_23 Depth=1
	flat_load_dword v46, v[20:21] offset:128
	flat_load_dword v45, v[22:23] offset:128
	flat_load_dword v44, v[24:25] offset:128
	flat_load_dword v43, v[26:27] offset:128
	s_and_saveexec_b64 s[40:41], s[2:3]
	s_cbranch_execz .LBB203_20
; %bb.26:                               ;   in Loop: Header=BB203_23 Depth=1
	flat_load_dword v50, v[20:21] offset:256
	flat_load_dword v49, v[22:23] offset:256
	flat_load_dword v48, v[24:25] offset:256
	flat_load_dword v47, v[26:27] offset:256
	;; [unrolled: 7-line block ×3, first 2 shown]
	s_waitcnt vmcnt(0) lgkmcnt(0)
	v_fmac_f32_e32 v34, v38, v51
	v_fmac_f32_e32 v34, v37, v52
	;; [unrolled: 1-line block ×4, first 2 shown]
	s_branch .LBB203_19
.LBB203_28:
	s_or_b64 exec, exec, s[34:35]
.LBB203_29:
	s_or_b64 exec, exec, s[26:27]
	s_sub_i32 s0, s9, s44
	s_cmp_lt_i32 s0, 1
	s_cbranch_scc1 .LBB203_47
; %bb.30:
	v_cmp_gt_i32_e32 vcc, s9, v35
	v_mov_b32_e32 v11, 0
	v_or_b32_e32 v4, 1, v35
	v_mov_b32_e32 v13, 0
	v_mov_b32_e32 v12, 0
	;; [unrolled: 1-line block ×3, first 2 shown]
	s_and_saveexec_b64 s[2:3], vcc
	s_cbranch_execz .LBB203_38
; %bb.31:
	v_mad_u64_u32 v[2:3], s[0:1], v35, s22, 0
	v_mov_b32_e32 v6, v3
	v_mad_u64_u32 v[6:7], s[0:1], v35, s23, v[6:7]
	v_mov_b32_e32 v3, v6
	v_lshl_add_u64 v[2:3], v[2:3], 2, s[24:25]
	flat_load_dword v10, v[2:3]
	v_cmp_gt_i32_e64 s[0:1], s9, v4
	v_mov_b32_e32 v12, 0
	v_mov_b32_e32 v13, 0
	;; [unrolled: 1-line block ×3, first 2 shown]
	s_and_saveexec_b64 s[4:5], s[0:1]
	s_cbranch_execz .LBB203_37
; %bb.32:
	v_mad_u64_u32 v[2:3], s[0:1], v4, s22, 0
	v_mov_b32_e32 v6, v3
	v_mad_u64_u32 v[6:7], s[0:1], v4, s23, v[6:7]
	v_mov_b32_e32 v3, v6
	v_lshl_add_u64 v[2:3], v[2:3], 2, s[24:25]
	flat_load_dword v12, v[2:3]
	v_or_b32_e32 v1, 2, v35
	v_cmp_gt_i32_e64 s[0:1], s9, v1
	v_mov_b32_e32 v13, 0
	v_mov_b32_e32 v11, 0
	s_and_saveexec_b64 s[6:7], s[0:1]
	s_cbranch_execz .LBB203_36
; %bb.33:
	v_mad_u64_u32 v[2:3], s[0:1], v1, s22, 0
	v_mov_b32_e32 v6, v3
	v_mad_u64_u32 v[6:7], s[0:1], v1, s23, v[6:7]
	v_mov_b32_e32 v3, v6
	v_lshl_add_u64 v[2:3], v[2:3], 2, s[24:25]
	flat_load_dword v13, v[2:3]
	v_or_b32_e32 v1, 3, v35
	v_cmp_gt_i32_e64 s[0:1], s9, v1
	v_mov_b32_e32 v11, 0
	s_and_saveexec_b64 s[26:27], s[0:1]
	s_cbranch_execz .LBB203_35
; %bb.34:
	v_mad_u64_u32 v[2:3], s[0:1], v1, s22, 0
	v_mov_b32_e32 v6, v3
	v_mad_u64_u32 v[6:7], s[0:1], v1, s23, v[6:7]
	v_mov_b32_e32 v3, v6
	v_lshl_add_u64 v[2:3], v[2:3], 2, s[24:25]
	flat_load_dword v11, v[2:3]
.LBB203_35:
	s_or_b64 exec, exec, s[26:27]
.LBB203_36:
	s_or_b64 exec, exec, s[6:7]
.LBB203_37:
	s_or_b64 exec, exec, s[4:5]
.LBB203_38:
	s_or_b64 exec, exec, s[2:3]
	v_cmp_gt_i32_e64 s[0:1], s8, v0
	s_and_saveexec_b64 s[2:3], s[0:1]
	s_cbranch_execz .LBB203_46
; %bb.39:
	v_mad_u64_u32 v[2:3], s[0:1], v35, s18, 0
	v_mov_b32_e32 v6, v3
	v_mad_u64_u32 v[6:7], s[0:1], v35, s19, v[6:7]
	v_ashrrev_i32_e32 v1, 31, v0
	v_cndmask_b32_e32 v3, 0, v6, vcc
	v_mad_u64_u32 v[6:7], s[0:1], v4, s18, 0
	v_cndmask_b32_e32 v2, 0, v2, vcc
	v_lshlrev_b64 v[8:9], 2, v[0:1]
	v_mov_b32_e32 v14, v7
	v_cmp_gt_i32_e32 vcc, s9, v4
	v_or_b32_e32 v1, 2, v35
	v_mad_u64_u32 v[14:15], s[0:1], v4, s19, v[14:15]
	v_cndmask_b32_e32 v4, 0, v6, vcc
	v_mad_u64_u32 v[6:7], s[0:1], v1, s18, 0
	v_cndmask_b32_e32 v5, 0, v14, vcc
	v_mov_b32_e32 v14, v7
	v_mad_u64_u32 v[14:15], s[0:1], v1, s19, v[14:15]
	v_cmp_gt_i32_e32 vcc, s9, v1
	v_or_b32_e32 v1, 3, v35
	v_lshl_add_u64 v[2:3], v[2:3], 2, s[20:21]
	v_cndmask_b32_e32 v7, 0, v14, vcc
	v_mad_u64_u32 v[14:15], s[0:1], v1, s18, 0
	v_mov_b32_e32 v16, v15
	v_cndmask_b32_e32 v6, 0, v6, vcc
	v_mad_u64_u32 v[16:17], s[0:1], v1, s19, v[16:17]
	v_cmp_gt_i32_e32 vcc, s9, v1
	v_lshl_add_u64 v[2:3], v[2:3], 0, v[8:9]
	v_lshl_add_u64 v[4:5], v[4:5], 2, s[20:21]
	v_cndmask_b32_e32 v14, 0, v14, vcc
	v_cndmask_b32_e32 v15, 0, v16, vcc
	v_lshl_add_u64 v[6:7], v[6:7], 2, s[20:21]
	v_lshl_add_u64 v[14:15], v[14:15], 2, s[20:21]
	;; [unrolled: 1-line block ×4, first 2 shown]
	flat_load_dword v16, v[2:3]
	flat_load_dword v17, v[4:5]
	;; [unrolled: 1-line block ×3, first 2 shown]
	v_lshl_add_u64 v[8:9], v[14:15], 0, v[8:9]
	flat_load_dword v1, v[8:9]
	v_add_u32_e32 v14, 32, v0
	v_cmp_gt_i32_e32 vcc, s8, v14
	s_waitcnt vmcnt(0) lgkmcnt(0)
	v_fmac_f32_e32 v31, v10, v16
	v_fmac_f32_e32 v31, v12, v17
	v_fmac_f32_e32 v31, v13, v18
	s_and_saveexec_b64 s[0:1], vcc
	s_cbranch_execz .LBB203_45
; %bb.40:
	flat_load_dword v15, v[2:3] offset:128
	flat_load_dword v16, v[4:5] offset:128
	flat_load_dword v17, v[6:7] offset:128
	flat_load_dword v14, v[8:9] offset:128
	v_add_u32_e32 v18, 64, v0
	v_cmp_gt_i32_e32 vcc, s8, v18
	s_waitcnt vmcnt(0) lgkmcnt(0)
	v_fmac_f32_e32 v32, v10, v15
	v_fmac_f32_e32 v32, v12, v16
	v_fmac_f32_e32 v32, v13, v17
	s_and_saveexec_b64 s[4:5], vcc
	s_cbranch_execz .LBB203_44
; %bb.41:
	flat_load_dword v16, v[2:3] offset:256
	flat_load_dword v17, v[4:5] offset:256
	flat_load_dword v18, v[6:7] offset:256
	flat_load_dword v15, v[8:9] offset:256
	;; [unrolled: 13-line block ×3, first 2 shown]
	s_waitcnt vmcnt(0) lgkmcnt(0)
	v_fmac_f32_e32 v34, v10, v0
	v_fmac_f32_e32 v34, v12, v16
	v_fmac_f32_e32 v34, v13, v17
	v_fmac_f32_e32 v34, v11, v18
.LBB203_43:
	s_or_b64 exec, exec, s[6:7]
	v_fmac_f32_e32 v33, v11, v15
.LBB203_44:
	s_or_b64 exec, exec, s[4:5]
	v_fmac_f32_e32 v32, v11, v14
.LBB203_45:
	s_or_b64 exec, exec, s[0:1]
	v_fmac_f32_e32 v31, v11, v1
.LBB203_46:
	s_or_b64 exec, exec, s[2:3]
.LBB203_47:
	v_lshlrev_b32_e32 v0, 7, v30
	s_movk_i32 s0, 0x80
	v_add_lshl_u32 v0, v0, v29, 2
	v_cmp_gt_u32_e32 vcc, s0, v28
	ds_write2_b32 v0, v31, v32 offset1:32
	ds_write2_b32 v0, v33, v34 offset0:64 offset1:96
	s_waitcnt lgkmcnt(0)
	s_barrier
	s_waitcnt lgkmcnt(0)
                                        ; implicit-def: $vgpr1
                                        ; implicit-def: $vgpr2_vgpr3
	s_and_saveexec_b64 s[0:1], vcc
	s_cbranch_execz .LBB203_53
; %bb.48:
	s_waitcnt vmcnt(0)
	v_lshlrev_b32_e32 v10, 2, v28
	ds_read2st64_b32 v[0:1], v10 offset1:2
	ds_read2st64_b32 v[2:3], v10 offset0:4 offset1:6
	ds_read2st64_b32 v[4:5], v10 offset0:8 offset1:10
	;; [unrolled: 1-line block ×4, first 2 shown]
	s_waitcnt lgkmcnt(4)
	v_add_f32_e32 v0, v0, v1
	s_waitcnt lgkmcnt(3)
	v_add_f32_e32 v0, v2, v0
	v_add_f32_e32 v0, v3, v0
	s_waitcnt lgkmcnt(2)
	v_add_f32_e32 v0, v4, v0
	;; [unrolled: 3-line block ×3, first 2 shown]
	v_add_f32_e32 v2, v7, v0
	ds_read2st64_b32 v[0:1], v10 offset0:20 offset1:22
	s_waitcnt lgkmcnt(1)
	v_add_f32_e32 v4, v8, v2
	ds_read2st64_b32 v[2:3], v10 offset0:24 offset1:26
	v_add_f32_e32 v6, v9, v4
	ds_read2st64_b32 v[4:5], v10 offset0:28 offset1:30
	s_waitcnt lgkmcnt(2)
	v_add_f32_e32 v0, v0, v6
	v_add_f32_e32 v0, v1, v0
	s_waitcnt lgkmcnt(1)
	v_add_f32_e32 v0, v2, v0
	v_add_f32_e32 v0, v3, v0
	;; [unrolled: 3-line block ×3, first 2 shown]
	v_or_b32_e32 v0, s33, v28
	v_cmp_gt_i32_e32 vcc, s8, v0
	s_mov_b64 s[4:5], s[14:15]
	ds_write_b32 v10, v4
                                        ; implicit-def: $vgpr1
                                        ; implicit-def: $vgpr2_vgpr3
	s_and_saveexec_b64 s[2:3], vcc
	s_cbranch_execz .LBB203_52
; %bb.49:
	v_ashrrev_i32_e32 v2, 31, v0
	v_cmp_eq_f32_e64 s[4:5], s11, 0
	v_mul_f32_e32 v1, s10, v4
	v_mul_lo_u32 v4, v0, s17
	v_mul_lo_u32 v5, v2, s16
	v_mad_u64_u32 v[2:3], s[6:7], v0, s16, 0
	v_add3_u32 v3, v3, v4, v5
	s_and_b64 vcc, exec, s[4:5]
	s_cbranch_vccnz .LBB203_51
; %bb.50:
	v_lshl_add_u64 v[4:5], v[2:3], 2, s[12:13]
	global_load_dword v0, v[4:5], off
	s_waitcnt vmcnt(0)
	v_fmac_f32_e32 v1, s11, v0
.LBB203_51:
	s_or_b64 s[4:5], s[14:15], exec
.LBB203_52:
	s_or_b64 exec, exec, s[2:3]
	s_andn2_b64 s[2:3], s[14:15], exec
	s_and_b64 s[4:5], s[4:5], exec
	s_or_b64 s[14:15], s[2:3], s[4:5]
.LBB203_53:
	s_or_b64 exec, exec, s[0:1]
.LBB203_54:
	s_and_saveexec_b64 s[0:1], s[14:15]
	s_cbranch_execz .LBB203_56
; %bb.55:
	v_lshl_add_u64 v[2:3], v[2:3], 2, s[12:13]
	global_store_dword v[2:3], v1, off
.LBB203_56:
	s_endpgm
	.section	.rodata,"a",@progbits
	.p2align	6, 0x0
	.amdhsa_kernel _ZL20rocblas_gemvn_kernelILi32ELi16ElPKffKPfEviiT3_lPKT2_lT1_lS7_lS8_lS4_lPT4_lS8_li
		.amdhsa_group_segment_fixed_size 8192
		.amdhsa_private_segment_fixed_size 0
		.amdhsa_kernarg_size 400
		.amdhsa_user_sgpr_count 2
		.amdhsa_user_sgpr_dispatch_ptr 0
		.amdhsa_user_sgpr_queue_ptr 0
		.amdhsa_user_sgpr_kernarg_segment_ptr 1
		.amdhsa_user_sgpr_dispatch_id 0
		.amdhsa_user_sgpr_kernarg_preload_length 0
		.amdhsa_user_sgpr_kernarg_preload_offset 0
		.amdhsa_user_sgpr_private_segment_size 0
		.amdhsa_uses_dynamic_stack 0
		.amdhsa_enable_private_segment 0
		.amdhsa_system_sgpr_workgroup_id_x 1
		.amdhsa_system_sgpr_workgroup_id_y 0
		.amdhsa_system_sgpr_workgroup_id_z 1
		.amdhsa_system_sgpr_workgroup_info 0
		.amdhsa_system_vgpr_workitem_id 1
		.amdhsa_next_free_vgpr 55
		.amdhsa_next_free_sgpr 45
		.amdhsa_accum_offset 56
		.amdhsa_reserve_vcc 1
		.amdhsa_float_round_mode_32 0
		.amdhsa_float_round_mode_16_64 0
		.amdhsa_float_denorm_mode_32 3
		.amdhsa_float_denorm_mode_16_64 3
		.amdhsa_dx10_clamp 1
		.amdhsa_ieee_mode 1
		.amdhsa_fp16_overflow 0
		.amdhsa_tg_split 0
		.amdhsa_exception_fp_ieee_invalid_op 0
		.amdhsa_exception_fp_denorm_src 0
		.amdhsa_exception_fp_ieee_div_zero 0
		.amdhsa_exception_fp_ieee_overflow 0
		.amdhsa_exception_fp_ieee_underflow 0
		.amdhsa_exception_fp_ieee_inexact 0
		.amdhsa_exception_int_div_zero 0
	.end_amdhsa_kernel
	.section	.text._ZL20rocblas_gemvn_kernelILi32ELi16ElPKffKPfEviiT3_lPKT2_lT1_lS7_lS8_lS4_lPT4_lS8_li,"axG",@progbits,_ZL20rocblas_gemvn_kernelILi32ELi16ElPKffKPfEviiT3_lPKT2_lT1_lS7_lS8_lS4_lPT4_lS8_li,comdat
.Lfunc_end203:
	.size	_ZL20rocblas_gemvn_kernelILi32ELi16ElPKffKPfEviiT3_lPKT2_lT1_lS7_lS8_lS4_lPT4_lS8_li, .Lfunc_end203-_ZL20rocblas_gemvn_kernelILi32ELi16ElPKffKPfEviiT3_lPKT2_lT1_lS7_lS8_lS4_lPT4_lS8_li
                                        ; -- End function
	.section	.AMDGPU.csdata,"",@progbits
; Kernel info:
; codeLenInByte = 2556
; NumSgprs: 51
; NumVgprs: 55
; NumAgprs: 0
; TotalNumVgprs: 55
; ScratchSize: 0
; MemoryBound: 0
; FloatMode: 240
; IeeeMode: 1
; LDSByteSize: 8192 bytes/workgroup (compile time only)
; SGPRBlocks: 6
; VGPRBlocks: 6
; NumSGPRsForWavesPerEU: 51
; NumVGPRsForWavesPerEU: 55
; AccumOffset: 56
; Occupancy: 8
; WaveLimiterHint : 1
; COMPUTE_PGM_RSRC2:SCRATCH_EN: 0
; COMPUTE_PGM_RSRC2:USER_SGPR: 2
; COMPUTE_PGM_RSRC2:TRAP_HANDLER: 0
; COMPUTE_PGM_RSRC2:TGID_X_EN: 1
; COMPUTE_PGM_RSRC2:TGID_Y_EN: 0
; COMPUTE_PGM_RSRC2:TGID_Z_EN: 1
; COMPUTE_PGM_RSRC2:TIDIG_COMP_CNT: 1
; COMPUTE_PGM_RSRC3_GFX90A:ACCUM_OFFSET: 13
; COMPUTE_PGM_RSRC3_GFX90A:TG_SPLIT: 0
	.section	.text._ZL20rocblas_gemvn_kernelILi64ELi16EiPKfS1_KPfEviiT3_lPKT2_lT1_lS7_lS8_lS4_lPT4_lS8_li,"axG",@progbits,_ZL20rocblas_gemvn_kernelILi64ELi16EiPKfS1_KPfEviiT3_lPKT2_lT1_lS7_lS8_lS4_lPT4_lS8_li,comdat
	.globl	_ZL20rocblas_gemvn_kernelILi64ELi16EiPKfS1_KPfEviiT3_lPKT2_lT1_lS7_lS8_lS4_lPT4_lS8_li ; -- Begin function _ZL20rocblas_gemvn_kernelILi64ELi16EiPKfS1_KPfEviiT3_lPKT2_lT1_lS7_lS8_lS4_lPT4_lS8_li
	.p2align	8
	.type	_ZL20rocblas_gemvn_kernelILi64ELi16EiPKfS1_KPfEviiT3_lPKT2_lT1_lS7_lS8_lS4_lPT4_lS8_li,@function
_ZL20rocblas_gemvn_kernelILi64ELi16EiPKfS1_KPfEviiT3_lPKT2_lT1_lS7_lS8_lS4_lPT4_lS8_li: ; @_ZL20rocblas_gemvn_kernelILi64ELi16EiPKfS1_KPfEviiT3_lPKT2_lT1_lS7_lS8_lS4_lPT4_lS8_li
; %bb.0:
	s_load_dwordx2 s[4:5], s[0:1], 0x9c
	s_mov_b32 s22, s3
	s_waitcnt lgkmcnt(0)
	s_and_b32 s3, s5, 0xffff
	s_lshr_b32 s5, s4, 16
	s_and_b32 s4, s4, 0xffff
	s_mul_i32 s4, s5, s4
	s_mul_i32 s4, s4, s3
	s_cmpk_lg_i32 s4, 0x400
	s_cbranch_scc1 .LBB204_54
; %bb.1:
	s_load_dwordx8 s[12:19], s[0:1], 0x8
	s_load_dwordx8 s[4:11], s[0:1], 0x58
	s_waitcnt lgkmcnt(0)
	s_mul_i32 s3, s22, s15
	s_mul_hi_u32 s15, s22, s14
	s_mul_i32 s14, s22, s14
	s_add_i32 s15, s15, s3
	s_lshl_b64 s[14:15], s[14:15], 2
	s_mul_i32 s7, s22, s7
	s_add_u32 s12, s12, s14
	s_mul_hi_u32 s3, s22, s6
	s_addc_u32 s13, s13, s15
	s_add_i32 s7, s3, s7
	s_mul_i32 s6, s22, s6
	s_lshl_b64 s[6:7], s[6:7], 2
	s_add_u32 s4, s4, s6
	s_addc_u32 s5, s5, s7
	s_load_dword s29, s[12:13], 0x0
	s_load_dword s28, s[4:5], 0x0
	s_waitcnt lgkmcnt(0)
	v_cmp_eq_f32_e64 s[4:5], s29, 0
	v_cmp_eq_f32_e64 s[6:7], s28, 1.0
	s_and_b64 s[6:7], s[4:5], s[6:7]
	s_and_b64 vcc, exec, s[6:7]
	s_cbranch_vccnz .LBB204_54
; %bb.2:
	s_mov_b32 s23, 0
	v_cmp_neq_f32_e64 s[6:7], s29, 0
	s_mov_b64 s[20:21], 0
	s_and_b64 vcc, exec, s[4:5]
	s_mov_b64 s[14:15], 0
	s_cbranch_vccnz .LBB204_4
; %bb.3:
	s_lshl_b64 s[12:13], s[22:23], 3
	s_add_u32 s12, s16, s12
	s_addc_u32 s13, s17, s13
	s_load_dwordx2 s[12:13], s[12:13], 0x0
	s_lshl_b64 s[14:15], s[18:19], 2
	s_waitcnt lgkmcnt(0)
	s_add_u32 s14, s12, s14
	s_addc_u32 s15, s13, s15
.LBB204_4:
	s_andn2_b64 vcc, exec, s[6:7]
	s_cbranch_vccnz .LBB204_6
; %bb.5:
	s_load_dwordx4 s[16:19], s[0:1], 0x38
	s_lshl_b64 s[6:7], s[22:23], 3
	s_waitcnt lgkmcnt(0)
	s_add_u32 s6, s16, s6
	s_addc_u32 s7, s17, s7
	s_load_dwordx2 s[6:7], s[6:7], 0x0
	s_lshl_b64 s[12:13], s[18:19], 2
	s_waitcnt lgkmcnt(0)
	s_add_u32 s20, s6, s12
	s_addc_u32 s21, s7, s13
.LBB204_6:
	s_lshl_b64 s[6:7], s[22:23], 3
	s_add_u32 s6, s8, s6
	s_addc_u32 s7, s9, s7
	s_load_dwordx2 s[8:9], s[6:7], 0x0
	s_load_dwordx2 s[12:13], s[0:1], 0x0
	s_load_dword s30, s[0:1], 0x78
	s_lshl_b64 s[6:7], s[10:11], 2
	v_and_b32_e32 v2, 0x3ff, v0
	s_waitcnt lgkmcnt(0)
	s_add_u32 s8, s8, s6
	v_bfe_u32 v14, v0, 10, 10
	s_addc_u32 s9, s9, s7
	s_andn2_b64 vcc, exec, s[4:5]
	v_lshl_add_u32 v3, v14, 6, v2
	s_cbranch_vccnz .LBB204_13
; %bb.7:
	s_movk_i32 s3, 0x100
	v_cmp_gt_u32_e32 vcc, s3, v3
	s_mov_b64 s[4:5], 0
	s_mov_b64 s[10:11], 0
                                        ; implicit-def: $vgpr1
                                        ; implicit-def: $vgpr4_vgpr5
	s_and_saveexec_b64 s[6:7], vcc
	s_cbranch_execz .LBB204_14
; %bb.8:
	v_lshl_or_b32 v0, s2, 8, v3
	v_mov_b32_e32 v1, 0
	s_ashr_i32 s11, s12, 31
	s_mov_b32 s10, s12
	v_cmp_gt_i64_e32 vcc, s[10:11], v[0:1]
	s_mov_b64 s[16:17], 0
                                        ; implicit-def: $vgpr4_vgpr5
	s_and_saveexec_b64 s[10:11], vcc
	s_cbranch_execz .LBB204_12
; %bb.9:
	v_mad_u64_u32 v[4:5], s[18:19], s30, v0, 0
	s_ashr_i32 s3, s30, 31
	v_mov_b32_e32 v6, v5
	v_cmp_eq_f32_e64 s[16:17], s28, 0
	v_mad_u64_u32 v[6:7], s[18:19], s3, v0, v[6:7]
	v_mov_b32_e32 v5, v6
	s_and_b64 vcc, exec, s[16:17]
	s_cbranch_vccnz .LBB204_11
; %bb.10:
	v_lshl_add_u64 v[0:1], v[4:5], 2, s[8:9]
	global_load_dword v0, v[0:1], off
	s_waitcnt vmcnt(0)
	v_mul_f32_e32 v1, s28, v0
.LBB204_11:
	s_mov_b64 s[16:17], exec
.LBB204_12:
	s_or_b64 exec, exec, s[10:11]
	s_and_b64 s[10:11], s[16:17], exec
	s_or_b64 exec, exec, s[6:7]
	s_and_b64 vcc, exec, s[4:5]
	s_cbranch_vccnz .LBB204_15
	s_branch .LBB204_52
.LBB204_13:
	s_mov_b64 s[10:11], 0
                                        ; implicit-def: $vgpr1
                                        ; implicit-def: $vgpr4_vgpr5
	s_cbranch_execnz .LBB204_15
	s_branch .LBB204_52
.LBB204_14:
	s_or_b64 exec, exec, s[6:7]
	s_and_b64 vcc, exec, s[4:5]
	s_cbranch_vccz .LBB204_52
.LBB204_15:
	s_load_dword s33, s[0:1], 0x28
	s_load_dword s34, s[0:1], 0x48
	s_ashr_i32 s0, s13, 31
	s_lshr_b32 s0, s0, 26
	s_add_i32 s35, s13, s0
	s_lshl_b32 s31, s2, 8
	s_andn2_b32 s35, s35, 63
	v_lshlrev_b32_e32 v20, 2, v14
	v_add_u32_e32 v19, s31, v2
	v_cmp_gt_i32_e32 vcc, s35, v20
	v_mov_b32_e32 v15, 0
	v_mov_b32_e32 v16, 0
	v_mov_b32_e32 v17, 0
	v_mov_b32_e32 v18, 0
	s_and_saveexec_b64 s[16:17], vcc
	s_cbranch_execz .LBB204_27
; %bb.16:
	v_add_u32_e32 v0, 64, v19
	v_cmp_gt_i32_e64 s[0:1], s12, v0
	v_add_u32_e32 v0, 0x80, v19
	v_cmp_gt_i32_e64 s[2:3], s12, v0
	;; [unrolled: 2-line block ×3, first 2 shown]
	s_waitcnt lgkmcnt(0)
	v_mul_lo_u32 v0, s33, v20
	v_add_u32_e32 v6, 2, v20
	v_add_u32_e32 v7, 3, v20
	v_add3_u32 v21, v0, s33, v2
	v_mad_u64_u32 v[0:1], s[6:7], s33, v6, v[2:3]
	v_mad_u64_u32 v[4:5], s[6:7], s33, v7, v[2:3]
	v_mul_lo_u32 v1, v14, s33
	v_mul_lo_u32 v5, s34, v20
	;; [unrolled: 1-line block ×4, first 2 shown]
	v_cmp_gt_i32_e32 vcc, s12, v19
	s_lshl_b32 s36, s33, 6
	v_lshl_add_u32 v1, v1, 2, v2
	v_add_u32_e32 v5, s34, v5
	s_lshl_b32 s37, s34, 6
	v_mul_lo_u32 v23, s34, v7
	v_lshlrev_b32_e32 v24, 2, v6
	s_mov_b32 s38, 0
	s_mov_b64 s[18:19], 0
	v_mov_b32_e32 v15, 0
	v_mov_b32_e32 v16, 0
	v_mov_b32_e32 v17, 0
	v_mov_b32_e32 v18, 0
	s_branch .LBB204_21
.LBB204_17:                             ;   in Loop: Header=BB204_21 Depth=1
	s_or_b64 exec, exec, s[26:27]
	s_waitcnt vmcnt(0) lgkmcnt(0)
	v_fmac_f32_e32 v17, v28, v40
	v_fmac_f32_e32 v17, v27, v39
	;; [unrolled: 1-line block ×4, first 2 shown]
.LBB204_18:                             ;   in Loop: Header=BB204_21 Depth=1
	s_or_b64 exec, exec, s[24:25]
	s_waitcnt vmcnt(0) lgkmcnt(0)
	v_fmac_f32_e32 v16, v28, v36
	v_fmac_f32_e32 v16, v27, v35
	;; [unrolled: 1-line block ×4, first 2 shown]
.LBB204_19:                             ;   in Loop: Header=BB204_21 Depth=1
	s_or_b64 exec, exec, s[22:23]
	s_waitcnt vmcnt(0) lgkmcnt(0)
	v_fmac_f32_e32 v15, v28, v32
	v_fmac_f32_e32 v15, v27, v31
	;; [unrolled: 1-line block ×4, first 2 shown]
.LBB204_20:                             ;   in Loop: Header=BB204_21 Depth=1
	s_or_b64 exec, exec, s[6:7]
	v_add_u32_e32 v20, 64, v20
	s_add_i32 s38, s38, s37
	v_cmp_le_i32_e64 s[6:7], s35, v20
	v_add_u32_e32 v21, s36, v21
	v_add_u32_e32 v0, s36, v0
	;; [unrolled: 1-line block ×3, first 2 shown]
	s_or_b64 s[18:19], s[6:7], s[18:19]
	v_add_u32_e32 v1, s36, v1
	s_andn2_b64 exec, exec, s[18:19]
	s_cbranch_execz .LBB204_26
.LBB204_21:                             ; =>This Inner Loop Header: Depth=1
	s_and_saveexec_b64 s[6:7], vcc
	s_cbranch_execz .LBB204_20
; %bb.22:                               ;   in Loop: Header=BB204_21 Depth=1
	v_add_u32_e32 v6, s38, v24
	v_ashrrev_i32_e32 v7, 31, v6
	v_add_u32_e32 v8, s38, v5
	v_add_u32_e32 v10, s38, v22
	;; [unrolled: 1-line block ×3, first 2 shown]
	v_lshl_add_u64 v[6:7], v[6:7], 2, s[20:21]
	v_ashrrev_i32_e32 v9, 31, v8
	v_ashrrev_i32_e32 v11, 31, v10
	;; [unrolled: 1-line block ×3, first 2 shown]
	v_lshl_add_u64 v[8:9], v[8:9], 2, s[20:21]
	v_lshl_add_u64 v[10:11], v[10:11], 2, s[20:21]
	v_lshl_add_u64 v[12:13], v[12:13], 2, s[20:21]
	flat_load_dword v28, v[6:7]
	flat_load_dword v27, v[8:9]
	;; [unrolled: 1-line block ×4, first 2 shown]
	v_add_u32_e32 v6, s31, v1
	v_ashrrev_i32_e32 v7, 31, v6
	v_add_u32_e32 v8, s31, v21
	v_add_u32_e32 v10, s31, v0
	;; [unrolled: 1-line block ×3, first 2 shown]
	v_lshl_add_u64 v[6:7], v[6:7], 2, s[14:15]
	v_ashrrev_i32_e32 v9, 31, v8
	v_ashrrev_i32_e32 v11, 31, v10
	;; [unrolled: 1-line block ×3, first 2 shown]
	v_lshl_add_u64 v[8:9], v[8:9], 2, s[14:15]
	v_lshl_add_u64 v[10:11], v[10:11], 2, s[14:15]
	;; [unrolled: 1-line block ×3, first 2 shown]
	flat_load_dword v32, v[6:7]
	flat_load_dword v31, v[8:9]
	;; [unrolled: 1-line block ×4, first 2 shown]
	s_and_saveexec_b64 s[22:23], s[0:1]
	s_cbranch_execz .LBB204_19
; %bb.23:                               ;   in Loop: Header=BB204_21 Depth=1
	flat_load_dword v36, v[6:7] offset:256
	flat_load_dword v35, v[8:9] offset:256
	flat_load_dword v34, v[10:11] offset:256
	flat_load_dword v33, v[12:13] offset:256
	s_and_saveexec_b64 s[24:25], s[2:3]
	s_cbranch_execz .LBB204_18
; %bb.24:                               ;   in Loop: Header=BB204_21 Depth=1
	flat_load_dword v40, v[6:7] offset:512
	flat_load_dword v39, v[8:9] offset:512
	flat_load_dword v38, v[10:11] offset:512
	flat_load_dword v37, v[12:13] offset:512
	;; [unrolled: 7-line block ×3, first 2 shown]
	s_waitcnt vmcnt(0) lgkmcnt(0)
	v_fmac_f32_e32 v18, v28, v41
	v_fmac_f32_e32 v18, v27, v42
	;; [unrolled: 1-line block ×4, first 2 shown]
	s_branch .LBB204_17
.LBB204_26:
	s_or_b64 exec, exec, s[18:19]
.LBB204_27:
	s_or_b64 exec, exec, s[16:17]
	s_sub_i32 s0, s13, s35
	s_cmp_lt_i32 s0, 1
	s_cbranch_scc1 .LBB204_45
; %bb.28:
	v_cmp_gt_i32_e32 vcc, s13, v20
	v_mov_b32_e32 v10, 0
	v_or_b32_e32 v4, 1, v20
	v_mov_b32_e32 v13, 0
	v_mov_b32_e32 v12, 0
	;; [unrolled: 1-line block ×3, first 2 shown]
	s_and_saveexec_b64 s[2:3], vcc
	s_cbranch_execz .LBB204_36
; %bb.29:
	s_waitcnt lgkmcnt(0)
	v_mul_lo_u32 v0, v20, s34
	v_ashrrev_i32_e32 v1, 31, v0
	v_lshl_add_u64 v[0:1], v[0:1], 2, s[20:21]
	flat_load_dword v11, v[0:1]
	v_cmp_gt_i32_e64 s[0:1], s13, v4
	v_mov_b32_e32 v12, 0
	v_mov_b32_e32 v13, 0
	;; [unrolled: 1-line block ×3, first 2 shown]
	s_and_saveexec_b64 s[4:5], s[0:1]
	s_cbranch_execz .LBB204_35
; %bb.30:
	v_mul_lo_u32 v0, v4, s34
	v_ashrrev_i32_e32 v1, 31, v0
	v_lshl_add_u64 v[0:1], v[0:1], 2, s[20:21]
	flat_load_dword v12, v[0:1]
	v_or_b32_e32 v0, 2, v20
	v_cmp_gt_i32_e64 s[0:1], s13, v0
	v_mov_b32_e32 v13, 0
	v_mov_b32_e32 v10, 0
	s_and_saveexec_b64 s[6:7], s[0:1]
	s_cbranch_execz .LBB204_34
; %bb.31:
	v_mul_lo_u32 v0, v0, s34
	v_ashrrev_i32_e32 v1, 31, v0
	v_lshl_add_u64 v[0:1], v[0:1], 2, s[20:21]
	flat_load_dword v13, v[0:1]
	v_or_b32_e32 v0, 3, v20
	v_cmp_gt_i32_e64 s[0:1], s13, v0
	v_mov_b32_e32 v10, 0
	s_and_saveexec_b64 s[16:17], s[0:1]
	s_cbranch_execz .LBB204_33
; %bb.32:
	v_mul_lo_u32 v0, v0, s34
	v_ashrrev_i32_e32 v1, 31, v0
	v_lshl_add_u64 v[0:1], v[0:1], 2, s[20:21]
	flat_load_dword v10, v[0:1]
.LBB204_33:
	s_or_b64 exec, exec, s[16:17]
.LBB204_34:
	s_or_b64 exec, exec, s[6:7]
.LBB204_35:
	s_or_b64 exec, exec, s[4:5]
.LBB204_36:
	s_or_b64 exec, exec, s[2:3]
	v_cmp_gt_i32_e64 s[0:1], s12, v19
	s_and_saveexec_b64 s[2:3], s[0:1]
	s_cbranch_execz .LBB204_44
; %bb.37:
	s_waitcnt lgkmcnt(0)
	v_mul_lo_u32 v0, v20, s33
	v_cndmask_b32_e32 v0, 0, v0, vcc
	v_mul_lo_u32 v5, v4, s33
	v_cmp_gt_i32_e32 vcc, s13, v4
	v_or_b32_e32 v6, 2, v20
	v_mul_lo_u32 v7, v6, s33
	v_cndmask_b32_e32 v4, 0, v5, vcc
	v_cmp_gt_i32_e32 vcc, s13, v6
	v_or_b32_e32 v8, 3, v20
	v_mul_lo_u32 v9, v8, s33
	v_cndmask_b32_e32 v6, 0, v7, vcc
	v_cmp_gt_i32_e32 vcc, s13, v8
	v_add_u32_e32 v0, v0, v19
	v_ashrrev_i32_e32 v1, 31, v0
	v_cndmask_b32_e32 v8, 0, v9, vcc
	v_add_u32_e32 v4, v4, v19
	v_add_u32_e32 v6, v6, v19
	;; [unrolled: 1-line block ×3, first 2 shown]
	v_lshl_add_u64 v[0:1], v[0:1], 2, s[14:15]
	v_ashrrev_i32_e32 v5, 31, v4
	v_ashrrev_i32_e32 v7, 31, v6
	;; [unrolled: 1-line block ×3, first 2 shown]
	v_lshl_add_u64 v[4:5], v[4:5], 2, s[14:15]
	v_lshl_add_u64 v[6:7], v[6:7], 2, s[14:15]
	flat_load_dword v21, v[0:1]
	flat_load_dword v22, v[4:5]
	;; [unrolled: 1-line block ×3, first 2 shown]
	v_lshl_add_u64 v[8:9], v[8:9], 2, s[14:15]
	flat_load_dword v20, v[8:9]
	v_add_u32_e32 v24, 64, v19
	v_cmp_gt_i32_e32 vcc, s12, v24
	s_waitcnt vmcnt(0) lgkmcnt(0)
	v_fmac_f32_e32 v15, v11, v21
	v_fmac_f32_e32 v15, v12, v22
	v_fmac_f32_e32 v15, v13, v23
	s_and_saveexec_b64 s[0:1], vcc
	s_cbranch_execz .LBB204_43
; %bb.38:
	flat_load_dword v22, v[0:1] offset:256
	flat_load_dword v23, v[4:5] offset:256
	flat_load_dword v24, v[6:7] offset:256
	flat_load_dword v21, v[8:9] offset:256
	v_add_u32_e32 v25, 0x80, v19
	v_cmp_gt_i32_e32 vcc, s12, v25
	s_waitcnt vmcnt(0) lgkmcnt(0)
	v_fmac_f32_e32 v16, v11, v22
	v_fmac_f32_e32 v16, v12, v23
	v_fmac_f32_e32 v16, v13, v24
	s_and_saveexec_b64 s[4:5], vcc
	s_cbranch_execz .LBB204_42
; %bb.39:
	flat_load_dword v23, v[0:1] offset:512
	flat_load_dword v24, v[4:5] offset:512
	flat_load_dword v25, v[6:7] offset:512
	flat_load_dword v22, v[8:9] offset:512
	;; [unrolled: 13-line block ×3, first 2 shown]
	s_waitcnt vmcnt(0) lgkmcnt(0)
	v_fmac_f32_e32 v18, v11, v19
	v_fmac_f32_e32 v18, v12, v23
	;; [unrolled: 1-line block ×4, first 2 shown]
.LBB204_41:
	s_or_b64 exec, exec, s[6:7]
	v_fmac_f32_e32 v17, v10, v22
.LBB204_42:
	s_or_b64 exec, exec, s[4:5]
	v_fmac_f32_e32 v16, v10, v21
.LBB204_43:
	s_or_b64 exec, exec, s[0:1]
	v_fmac_f32_e32 v15, v10, v20
.LBB204_44:
	s_or_b64 exec, exec, s[2:3]
.LBB204_45:
	v_lshlrev_b32_e32 v0, 8, v14
	s_movk_i32 s0, 0x100
	v_add_lshl_u32 v0, v0, v2, 2
	v_cmp_gt_u32_e32 vcc, s0, v3
	ds_write2st64_b32 v0, v15, v16 offset1:1
	ds_write2st64_b32 v0, v17, v18 offset0:2 offset1:3
	s_waitcnt lgkmcnt(0)
	s_barrier
	s_waitcnt lgkmcnt(0)
                                        ; implicit-def: $vgpr1
                                        ; implicit-def: $vgpr4_vgpr5
	s_and_saveexec_b64 s[0:1], vcc
	s_cbranch_execz .LBB204_51
; %bb.46:
	v_lshlrev_b32_e32 v2, 2, v3
	ds_read2st64_b32 v[0:1], v2 offset1:4
	ds_read2st64_b32 v[4:5], v2 offset0:8 offset1:12
	ds_read2st64_b32 v[6:7], v2 offset0:16 offset1:20
	;; [unrolled: 1-line block ×3, first 2 shown]
	s_waitcnt vmcnt(0)
	ds_read2st64_b32 v[10:11], v2 offset0:32 offset1:36
	s_waitcnt lgkmcnt(4)
	v_add_f32_e32 v0, v0, v1
	s_waitcnt lgkmcnt(3)
	v_add_f32_e32 v0, v4, v0
	v_add_f32_e32 v0, v5, v0
	s_waitcnt lgkmcnt(2)
	v_add_f32_e32 v0, v6, v0
	v_add_f32_e32 v0, v7, v0
	s_waitcnt lgkmcnt(1)
	v_add_f32_e32 v0, v8, v0
	v_add_f32_e32 v4, v9, v0
	ds_read2st64_b32 v[0:1], v2 offset0:40 offset1:44
	s_waitcnt lgkmcnt(1)
	v_add_f32_e32 v6, v10, v4
	ds_read2st64_b32 v[4:5], v2 offset0:48 offset1:52
	v_add_f32_e32 v8, v11, v6
	ds_read2st64_b32 v[6:7], v2 offset0:56 offset1:60
	s_waitcnt lgkmcnt(2)
	v_add_f32_e32 v0, v0, v8
	v_add_f32_e32 v0, v1, v0
	s_waitcnt lgkmcnt(1)
	v_add_f32_e32 v0, v4, v0
	v_add_f32_e32 v0, v5, v0
	;; [unrolled: 3-line block ×3, first 2 shown]
	ds_write_b32 v2, v0
	v_or_b32_e32 v2, s31, v3
	v_cmp_gt_i32_e32 vcc, s12, v2
	s_mov_b64 s[4:5], s[10:11]
                                        ; implicit-def: $vgpr1
                                        ; implicit-def: $vgpr4_vgpr5
	s_and_saveexec_b64 s[2:3], vcc
	s_cbranch_execz .LBB204_50
; %bb.47:
	v_cmp_eq_f32_e64 s[4:5], s28, 0
	v_mul_lo_u32 v4, v2, s30
	v_mul_f32_e32 v1, s29, v0
	v_ashrrev_i32_e32 v5, 31, v4
	s_and_b64 vcc, exec, s[4:5]
	s_cbranch_vccnz .LBB204_49
; %bb.48:
	v_lshl_add_u64 v[2:3], v[4:5], 2, s[8:9]
	global_load_dword v0, v[2:3], off
	s_waitcnt vmcnt(0)
	v_fmac_f32_e32 v1, s28, v0
.LBB204_49:
	s_or_b64 s[4:5], s[10:11], exec
.LBB204_50:
	s_or_b64 exec, exec, s[2:3]
	s_andn2_b64 s[2:3], s[10:11], exec
	s_and_b64 s[4:5], s[4:5], exec
	s_or_b64 s[10:11], s[2:3], s[4:5]
.LBB204_51:
	s_or_b64 exec, exec, s[0:1]
.LBB204_52:
	s_and_saveexec_b64 s[0:1], s[10:11]
	s_cbranch_execz .LBB204_54
; %bb.53:
	v_lshl_add_u64 v[2:3], v[4:5], 2, s[8:9]
	global_store_dword v[2:3], v1, off
.LBB204_54:
	s_endpgm
	.section	.rodata,"a",@progbits
	.p2align	6, 0x0
	.amdhsa_kernel _ZL20rocblas_gemvn_kernelILi64ELi16EiPKfS1_KPfEviiT3_lPKT2_lT1_lS7_lS8_lS4_lPT4_lS8_li
		.amdhsa_group_segment_fixed_size 16384
		.amdhsa_private_segment_fixed_size 0
		.amdhsa_kernarg_size 400
		.amdhsa_user_sgpr_count 2
		.amdhsa_user_sgpr_dispatch_ptr 0
		.amdhsa_user_sgpr_queue_ptr 0
		.amdhsa_user_sgpr_kernarg_segment_ptr 1
		.amdhsa_user_sgpr_dispatch_id 0
		.amdhsa_user_sgpr_kernarg_preload_length 0
		.amdhsa_user_sgpr_kernarg_preload_offset 0
		.amdhsa_user_sgpr_private_segment_size 0
		.amdhsa_uses_dynamic_stack 0
		.amdhsa_enable_private_segment 0
		.amdhsa_system_sgpr_workgroup_id_x 1
		.amdhsa_system_sgpr_workgroup_id_y 0
		.amdhsa_system_sgpr_workgroup_id_z 1
		.amdhsa_system_sgpr_workgroup_info 0
		.amdhsa_system_vgpr_workitem_id 1
		.amdhsa_next_free_vgpr 45
		.amdhsa_next_free_sgpr 39
		.amdhsa_accum_offset 48
		.amdhsa_reserve_vcc 1
		.amdhsa_float_round_mode_32 0
		.amdhsa_float_round_mode_16_64 0
		.amdhsa_float_denorm_mode_32 3
		.amdhsa_float_denorm_mode_16_64 3
		.amdhsa_dx10_clamp 1
		.amdhsa_ieee_mode 1
		.amdhsa_fp16_overflow 0
		.amdhsa_tg_split 0
		.amdhsa_exception_fp_ieee_invalid_op 0
		.amdhsa_exception_fp_denorm_src 0
		.amdhsa_exception_fp_ieee_div_zero 0
		.amdhsa_exception_fp_ieee_overflow 0
		.amdhsa_exception_fp_ieee_underflow 0
		.amdhsa_exception_fp_ieee_inexact 0
		.amdhsa_exception_int_div_zero 0
	.end_amdhsa_kernel
	.section	.text._ZL20rocblas_gemvn_kernelILi64ELi16EiPKfS1_KPfEviiT3_lPKT2_lT1_lS7_lS8_lS4_lPT4_lS8_li,"axG",@progbits,_ZL20rocblas_gemvn_kernelILi64ELi16EiPKfS1_KPfEviiT3_lPKT2_lT1_lS7_lS8_lS4_lPT4_lS8_li,comdat
.Lfunc_end204:
	.size	_ZL20rocblas_gemvn_kernelILi64ELi16EiPKfS1_KPfEviiT3_lPKT2_lT1_lS7_lS8_lS4_lPT4_lS8_li, .Lfunc_end204-_ZL20rocblas_gemvn_kernelILi64ELi16EiPKfS1_KPfEviiT3_lPKT2_lT1_lS7_lS8_lS4_lPT4_lS8_li
                                        ; -- End function
	.section	.AMDGPU.csdata,"",@progbits
; Kernel info:
; codeLenInByte = 2332
; NumSgprs: 45
; NumVgprs: 45
; NumAgprs: 0
; TotalNumVgprs: 45
; ScratchSize: 0
; MemoryBound: 0
; FloatMode: 240
; IeeeMode: 1
; LDSByteSize: 16384 bytes/workgroup (compile time only)
; SGPRBlocks: 5
; VGPRBlocks: 5
; NumSGPRsForWavesPerEU: 45
; NumVGPRsForWavesPerEU: 45
; AccumOffset: 48
; Occupancy: 8
; WaveLimiterHint : 1
; COMPUTE_PGM_RSRC2:SCRATCH_EN: 0
; COMPUTE_PGM_RSRC2:USER_SGPR: 2
; COMPUTE_PGM_RSRC2:TRAP_HANDLER: 0
; COMPUTE_PGM_RSRC2:TGID_X_EN: 1
; COMPUTE_PGM_RSRC2:TGID_Y_EN: 0
; COMPUTE_PGM_RSRC2:TGID_Z_EN: 1
; COMPUTE_PGM_RSRC2:TIDIG_COMP_CNT: 1
; COMPUTE_PGM_RSRC3_GFX90A:ACCUM_OFFSET: 11
; COMPUTE_PGM_RSRC3_GFX90A:TG_SPLIT: 0
	.section	.text._ZL20rocblas_gemvn_kernelILi64ELi16ElPKfS1_KPfEviiT3_lPKT2_lT1_lS7_lS8_lS4_lPT4_lS8_li,"axG",@progbits,_ZL20rocblas_gemvn_kernelILi64ELi16ElPKfS1_KPfEviiT3_lPKT2_lT1_lS7_lS8_lS4_lPT4_lS8_li,comdat
	.globl	_ZL20rocblas_gemvn_kernelILi64ELi16ElPKfS1_KPfEviiT3_lPKT2_lT1_lS7_lS8_lS4_lPT4_lS8_li ; -- Begin function _ZL20rocblas_gemvn_kernelILi64ELi16ElPKfS1_KPfEviiT3_lPKT2_lT1_lS7_lS8_lS4_lPT4_lS8_li
	.p2align	8
	.type	_ZL20rocblas_gemvn_kernelILi64ELi16ElPKfS1_KPfEviiT3_lPKT2_lT1_lS7_lS8_lS4_lPT4_lS8_li,@function
_ZL20rocblas_gemvn_kernelILi64ELi16ElPKfS1_KPfEviiT3_lPKT2_lT1_lS7_lS8_lS4_lPT4_lS8_li: ; @_ZL20rocblas_gemvn_kernelILi64ELi16ElPKfS1_KPfEviiT3_lPKT2_lT1_lS7_lS8_lS4_lPT4_lS8_li
; %bb.0:
	s_load_dwordx2 s[4:5], s[0:1], 0x9c
	s_mov_b32 s26, s3
	s_waitcnt lgkmcnt(0)
	s_and_b32 s3, s5, 0xffff
	s_lshr_b32 s5, s4, 16
	s_and_b32 s4, s4, 0xffff
	s_mul_i32 s4, s5, s4
	s_mul_i32 s4, s4, s3
	s_cmpk_lg_i32 s4, 0x400
	s_cbranch_scc1 .LBB205_54
; %bb.1:
	s_load_dwordx8 s[12:19], s[0:1], 0x8
	s_load_dwordx8 s[4:11], s[0:1], 0x58
	s_waitcnt lgkmcnt(0)
	s_mul_i32 s3, s26, s15
	s_mul_hi_u32 s15, s26, s14
	s_mul_i32 s14, s26, s14
	s_add_i32 s15, s15, s3
	s_lshl_b64 s[14:15], s[14:15], 2
	s_mul_i32 s7, s26, s7
	s_add_u32 s12, s12, s14
	s_mul_hi_u32 s3, s26, s6
	s_addc_u32 s13, s13, s15
	s_add_i32 s7, s3, s7
	s_mul_i32 s6, s26, s6
	s_lshl_b64 s[6:7], s[6:7], 2
	s_add_u32 s4, s4, s6
	s_addc_u32 s5, s5, s7
	s_load_dword s42, s[12:13], 0x0
	s_load_dword s33, s[4:5], 0x0
	s_waitcnt lgkmcnt(0)
	v_cmp_eq_f32_e64 s[28:29], s42, 0
	v_cmp_eq_f32_e64 s[4:5], s33, 1.0
	s_and_b64 s[4:5], s[28:29], s[4:5]
	s_and_b64 vcc, exec, s[4:5]
	s_cbranch_vccnz .LBB205_54
; %bb.2:
	s_load_dwordx2 s[20:21], s[0:1], 0x28
	s_load_dwordx2 s[12:13], s[0:1], 0x78
	s_mov_b32 s27, 0
	v_cmp_neq_f32_e64 s[14:15], s42, 0
	s_mov_b64 s[24:25], 0
	s_and_b64 vcc, exec, s[28:29]
	s_mov_b64 s[22:23], 0
	s_cbranch_vccnz .LBB205_4
; %bb.3:
	s_lshl_b64 s[4:5], s[26:27], 3
	s_add_u32 s4, s16, s4
	s_addc_u32 s5, s17, s5
	s_load_dwordx2 s[4:5], s[4:5], 0x0
	s_lshl_b64 s[6:7], s[18:19], 2
	s_waitcnt lgkmcnt(0)
	s_add_u32 s22, s4, s6
	s_addc_u32 s23, s5, s7
.LBB205_4:
	s_load_dwordx4 s[4:7], s[0:1], 0x38
	s_load_dwordx2 s[16:17], s[0:1], 0x48
	s_andn2_b64 vcc, exec, s[14:15]
	s_cbranch_vccnz .LBB205_6
; %bb.5:
	s_lshl_b64 s[14:15], s[26:27], 3
	s_waitcnt lgkmcnt(0)
	s_add_u32 s4, s4, s14
	s_addc_u32 s5, s5, s15
	s_load_dwordx2 s[4:5], s[4:5], 0x0
	s_lshl_b64 s[6:7], s[6:7], 2
	s_waitcnt lgkmcnt(0)
	s_add_u32 s24, s4, s6
	s_addc_u32 s25, s5, s7
.LBB205_6:
	s_waitcnt lgkmcnt(0)
	s_lshl_b64 s[4:5], s[26:27], 3
	s_add_u32 s4, s8, s4
	s_addc_u32 s5, s9, s5
	s_load_dwordx2 s[6:7], s[4:5], 0x0
	s_load_dwordx2 s[14:15], s[0:1], 0x0
	s_lshl_b64 s[0:1], s[10:11], 2
	v_and_b32_e32 v29, 0x3ff, v0
	v_bfe_u32 v30, v0, 10, 10
	s_waitcnt lgkmcnt(0)
	s_add_u32 s8, s6, s0
	s_addc_u32 s9, s7, s1
	s_andn2_b64 vcc, exec, s[28:29]
	v_lshl_add_u32 v28, v30, 6, v29
	s_cbranch_vccnz .LBB205_13
; %bb.7:
	s_movk_i32 s0, 0x100
	v_cmp_gt_u32_e32 vcc, s0, v28
	s_mov_b64 s[0:1], 0
	s_mov_b64 s[10:11], 0
                                        ; implicit-def: $vgpr1
                                        ; implicit-def: $vgpr2_vgpr3
	s_and_saveexec_b64 s[4:5], vcc
	s_cbranch_execz .LBB205_14
; %bb.8:
	v_lshl_or_b32 v0, s2, 8, v28
	v_mov_b32_e32 v1, 0
	s_ashr_i32 s7, s14, 31
	s_mov_b32 s6, s14
	v_cmp_gt_i64_e32 vcc, s[6:7], v[0:1]
                                        ; implicit-def: $vgpr2_vgpr3
	s_and_saveexec_b64 s[6:7], vcc
	s_cbranch_execz .LBB205_12
; %bb.9:
	v_mad_u64_u32 v[2:3], s[18:19], v0, s12, 0
	v_mov_b32_e32 v4, v3
	v_cmp_eq_f32_e64 s[10:11], s33, 0
	v_mad_u64_u32 v[4:5], s[18:19], v0, s13, v[4:5]
	v_mov_b32_e32 v3, v4
	s_and_b64 vcc, exec, s[10:11]
	s_cbranch_vccnz .LBB205_11
; %bb.10:
	v_lshl_add_u64 v[0:1], v[2:3], 2, s[8:9]
	global_load_dword v0, v[0:1], off
	s_waitcnt vmcnt(0)
	v_mul_f32_e32 v1, s33, v0
.LBB205_11:
	s_mov_b64 s[10:11], exec
.LBB205_12:
	s_or_b64 exec, exec, s[6:7]
	s_and_b64 s[10:11], s[10:11], exec
	s_or_b64 exec, exec, s[4:5]
	s_and_b64 vcc, exec, s[0:1]
	s_cbranch_vccnz .LBB205_15
	s_branch .LBB205_52
.LBB205_13:
	s_mov_b64 s[10:11], 0
                                        ; implicit-def: $vgpr1
                                        ; implicit-def: $vgpr2_vgpr3
	s_cbranch_execnz .LBB205_15
	s_branch .LBB205_52
.LBB205_14:
	s_or_b64 exec, exec, s[4:5]
	s_and_b64 vcc, exec, s[0:1]
	s_cbranch_vccz .LBB205_52
.LBB205_15:
	s_ashr_i32 s0, s15, 31
	s_lshr_b32 s0, s0, 26
	s_add_i32 s44, s15, s0
	s_lshl_b32 s43, s2, 8
	s_andn2_b32 s44, s44, 63
	v_lshlrev_b32_e32 v35, 2, v30
	v_add_u32_e32 v0, s43, v29
	v_cmp_gt_i32_e32 vcc, s44, v35
	v_mov_b32_e32 v31, 0
	v_mov_b32_e32 v32, 0
	;; [unrolled: 1-line block ×4, first 2 shown]
	s_and_saveexec_b64 s[18:19], vcc
	s_cbranch_execz .LBB205_27
; %bb.16:
	v_add_u32_e32 v2, 64, v0
	v_cmp_gt_i32_e64 s[0:1], s14, v2
	v_add_u32_e32 v2, 0x80, v0
	v_ashrrev_i32_e32 v1, 31, v0
	v_cmp_gt_i32_e64 s[2:3], s14, v2
	v_add_u32_e32 v2, 0xc0, v0
	v_cmp_gt_i32_e64 s[4:5], s14, v2
	v_lshlrev_b64 v[2:3], 2, v[0:1]
	v_lshlrev_b32_e32 v1, 2, v30
	v_or_b32_e32 v15, 3, v1
	v_mad_u64_u32 v[4:5], s[6:7], s20, v15, 0
	v_mov_b32_e32 v6, v5
	v_mad_u64_u32 v[6:7], s[6:7], s21, v15, v[6:7]
	v_mov_b32_e32 v5, v6
	;; [unrolled: 2-line block ×6, first 2 shown]
	v_mov_b64_e32 v[10:11], s[16:17]
	v_mad_u64_u32 v[10:11], s[6:7], s16, v1, v[10:11]
	v_mov_b32_e32 v12, v11
	v_mad_u64_u32 v[12:13], s[6:7], s17, v1, v[12:13]
	v_mov_b32_e32 v11, v12
	;; [unrolled: 2-line block ×3, first 2 shown]
	v_mad_u64_u32 v[14:15], s[6:7], s17, v15, v[14:15]
	v_or_b32_e32 v21, 2, v1
	v_mov_b32_e32 v13, v14
	v_mad_u64_u32 v[14:15], s[6:7], s20, v21, 0
	v_mov_b32_e32 v16, v15
	v_mad_u64_u32 v[16:17], s[6:7], s21, v21, v[16:17]
	v_mov_b32_e32 v15, v16
	v_mov_b64_e32 v[16:17], s[20:21]
	v_mad_u64_u32 v[16:17], s[6:7], s20, v1, v[16:17]
	v_mov_b32_e32 v18, v17
	v_mad_u64_u32 v[18:19], s[6:7], s21, v1, v[18:19]
	v_mov_b32_e32 v17, v18
	;; [unrolled: 2-line block ×4, first 2 shown]
	v_cmp_gt_i32_e32 vcc, s14, v0
	v_lshl_add_u64 v[4:5], v[4:5], 2, s[22:23]
	s_lshl_b64 s[26:27], s[20:21], 8
	v_lshlrev_b64 v[6:7], 4, v[6:7]
	s_lshl_b64 s[28:29], s[16:17], 8
	v_lshl_add_u64 v[8:9], v[8:9], 4, s[22:23]
	v_lshlrev_b64 v[10:11], 2, v[10:11]
	v_lshlrev_b64 v[12:13], 2, v[12:13]
	v_lshl_add_u64 v[14:15], v[14:15], 2, s[22:23]
	v_lshl_add_u64 v[16:17], v[16:17], 2, s[22:23]
	v_lshlrev_b64 v[18:19], 2, v[18:19]
	s_mov_b64 s[30:31], 0
	v_mov_b32_e32 v31, 0
	s_mov_b64 s[34:35], s[24:25]
	v_mov_b32_e32 v32, 0
	v_mov_b32_e32 v33, 0
	v_mov_b32_e32 v34, 0
	s_branch .LBB205_21
.LBB205_17:                             ;   in Loop: Header=BB205_21 Depth=1
	s_or_b64 exec, exec, s[40:41]
	s_waitcnt vmcnt(0) lgkmcnt(0)
	v_fmac_f32_e32 v33, v38, v50
	v_fmac_f32_e32 v33, v37, v49
	;; [unrolled: 1-line block ×4, first 2 shown]
.LBB205_18:                             ;   in Loop: Header=BB205_21 Depth=1
	s_or_b64 exec, exec, s[38:39]
	s_waitcnt vmcnt(0) lgkmcnt(0)
	v_fmac_f32_e32 v32, v38, v46
	v_fmac_f32_e32 v32, v37, v45
	;; [unrolled: 1-line block ×4, first 2 shown]
.LBB205_19:                             ;   in Loop: Header=BB205_21 Depth=1
	s_or_b64 exec, exec, s[36:37]
	s_waitcnt vmcnt(0) lgkmcnt(0)
	v_fmac_f32_e32 v31, v38, v39
	v_fmac_f32_e32 v31, v37, v40
	;; [unrolled: 1-line block ×4, first 2 shown]
.LBB205_20:                             ;   in Loop: Header=BB205_21 Depth=1
	s_or_b64 exec, exec, s[6:7]
	v_add_u32_e32 v35, 64, v35
	s_add_u32 s34, s34, s28
	s_addc_u32 s35, s35, s29
	v_cmp_le_i32_e64 s[6:7], s44, v35
	v_lshl_add_u64 v[4:5], v[4:5], 0, s[26:27]
	v_lshl_add_u64 v[8:9], v[8:9], 0, s[26:27]
	;; [unrolled: 1-line block ×3, first 2 shown]
	s_or_b64 s[30:31], s[6:7], s[30:31]
	v_lshl_add_u64 v[16:17], v[16:17], 0, s[26:27]
	s_andn2_b64 exec, exec, s[30:31]
	s_cbranch_execz .LBB205_26
.LBB205_21:                             ; =>This Inner Loop Header: Depth=1
	s_and_saveexec_b64 s[6:7], vcc
	s_cbranch_execz .LBB205_20
; %bb.22:                               ;   in Loop: Header=BB205_21 Depth=1
	v_lshl_add_u64 v[20:21], s[34:35], 0, v[6:7]
	v_lshl_add_u64 v[22:23], s[34:35], 0, v[10:11]
	;; [unrolled: 1-line block ×4, first 2 shown]
	flat_load_dword v38, v[20:21]
	flat_load_dword v37, v[22:23]
	;; [unrolled: 1-line block ×4, first 2 shown]
	v_lshl_add_u64 v[20:21], v[8:9], 0, v[2:3]
	v_lshl_add_u64 v[22:23], v[16:17], 0, v[2:3]
	;; [unrolled: 1-line block ×4, first 2 shown]
	flat_load_dword v39, v[20:21]
	flat_load_dword v40, v[22:23]
	;; [unrolled: 1-line block ×4, first 2 shown]
	s_and_saveexec_b64 s[36:37], s[0:1]
	s_cbranch_execz .LBB205_19
; %bb.23:                               ;   in Loop: Header=BB205_21 Depth=1
	flat_load_dword v46, v[20:21] offset:256
	flat_load_dword v45, v[22:23] offset:256
	flat_load_dword v44, v[24:25] offset:256
	flat_load_dword v43, v[26:27] offset:256
	s_and_saveexec_b64 s[38:39], s[2:3]
	s_cbranch_execz .LBB205_18
; %bb.24:                               ;   in Loop: Header=BB205_21 Depth=1
	flat_load_dword v50, v[20:21] offset:512
	flat_load_dword v49, v[22:23] offset:512
	flat_load_dword v48, v[24:25] offset:512
	flat_load_dword v47, v[26:27] offset:512
	;; [unrolled: 7-line block ×3, first 2 shown]
	s_waitcnt vmcnt(0) lgkmcnt(0)
	v_fmac_f32_e32 v34, v38, v51
	v_fmac_f32_e32 v34, v37, v52
	;; [unrolled: 1-line block ×4, first 2 shown]
	s_branch .LBB205_17
.LBB205_26:
	s_or_b64 exec, exec, s[30:31]
.LBB205_27:
	s_or_b64 exec, exec, s[18:19]
	s_sub_i32 s0, s15, s44
	s_cmp_lt_i32 s0, 1
	s_cbranch_scc1 .LBB205_45
; %bb.28:
	v_cmp_gt_i32_e32 vcc, s15, v35
	v_mov_b32_e32 v11, 0
	v_or_b32_e32 v4, 1, v35
	v_mov_b32_e32 v13, 0
	v_mov_b32_e32 v12, 0
	;; [unrolled: 1-line block ×3, first 2 shown]
	s_and_saveexec_b64 s[2:3], vcc
	s_cbranch_execz .LBB205_36
; %bb.29:
	v_mad_u64_u32 v[2:3], s[0:1], v35, s16, 0
	v_mov_b32_e32 v6, v3
	v_mad_u64_u32 v[6:7], s[0:1], v35, s17, v[6:7]
	v_mov_b32_e32 v3, v6
	v_lshl_add_u64 v[2:3], v[2:3], 2, s[24:25]
	flat_load_dword v10, v[2:3]
	v_cmp_gt_i32_e64 s[0:1], s15, v4
	v_mov_b32_e32 v12, 0
	v_mov_b32_e32 v13, 0
	v_mov_b32_e32 v11, 0
	s_and_saveexec_b64 s[4:5], s[0:1]
	s_cbranch_execz .LBB205_35
; %bb.30:
	v_mad_u64_u32 v[2:3], s[0:1], v4, s16, 0
	v_mov_b32_e32 v6, v3
	v_mad_u64_u32 v[6:7], s[0:1], v4, s17, v[6:7]
	v_mov_b32_e32 v3, v6
	v_lshl_add_u64 v[2:3], v[2:3], 2, s[24:25]
	flat_load_dword v12, v[2:3]
	v_or_b32_e32 v1, 2, v35
	v_cmp_gt_i32_e64 s[0:1], s15, v1
	v_mov_b32_e32 v13, 0
	v_mov_b32_e32 v11, 0
	s_and_saveexec_b64 s[6:7], s[0:1]
	s_cbranch_execz .LBB205_34
; %bb.31:
	v_mad_u64_u32 v[2:3], s[0:1], v1, s16, 0
	v_mov_b32_e32 v6, v3
	v_mad_u64_u32 v[6:7], s[0:1], v1, s17, v[6:7]
	v_mov_b32_e32 v3, v6
	v_lshl_add_u64 v[2:3], v[2:3], 2, s[24:25]
	flat_load_dword v13, v[2:3]
	v_or_b32_e32 v1, 3, v35
	v_cmp_gt_i32_e64 s[0:1], s15, v1
	v_mov_b32_e32 v11, 0
	s_and_saveexec_b64 s[18:19], s[0:1]
	s_cbranch_execz .LBB205_33
; %bb.32:
	v_mad_u64_u32 v[2:3], s[0:1], v1, s16, 0
	v_mov_b32_e32 v6, v3
	v_mad_u64_u32 v[6:7], s[0:1], v1, s17, v[6:7]
	v_mov_b32_e32 v3, v6
	v_lshl_add_u64 v[2:3], v[2:3], 2, s[24:25]
	flat_load_dword v11, v[2:3]
.LBB205_33:
	s_or_b64 exec, exec, s[18:19]
.LBB205_34:
	s_or_b64 exec, exec, s[6:7]
.LBB205_35:
	s_or_b64 exec, exec, s[4:5]
.LBB205_36:
	s_or_b64 exec, exec, s[2:3]
	v_cmp_gt_i32_e64 s[0:1], s14, v0
	s_and_saveexec_b64 s[2:3], s[0:1]
	s_cbranch_execz .LBB205_44
; %bb.37:
	v_mad_u64_u32 v[2:3], s[0:1], v35, s20, 0
	v_mov_b32_e32 v6, v3
	v_mad_u64_u32 v[6:7], s[0:1], v35, s21, v[6:7]
	v_ashrrev_i32_e32 v1, 31, v0
	v_cndmask_b32_e32 v3, 0, v6, vcc
	v_mad_u64_u32 v[6:7], s[0:1], v4, s20, 0
	v_cndmask_b32_e32 v2, 0, v2, vcc
	v_lshlrev_b64 v[8:9], 2, v[0:1]
	v_mov_b32_e32 v14, v7
	v_cmp_gt_i32_e32 vcc, s15, v4
	v_or_b32_e32 v1, 2, v35
	v_mad_u64_u32 v[14:15], s[0:1], v4, s21, v[14:15]
	v_cndmask_b32_e32 v4, 0, v6, vcc
	v_mad_u64_u32 v[6:7], s[0:1], v1, s20, 0
	v_cndmask_b32_e32 v5, 0, v14, vcc
	v_mov_b32_e32 v14, v7
	v_mad_u64_u32 v[14:15], s[0:1], v1, s21, v[14:15]
	v_cmp_gt_i32_e32 vcc, s15, v1
	v_or_b32_e32 v1, 3, v35
	v_lshl_add_u64 v[2:3], v[2:3], 2, s[22:23]
	v_cndmask_b32_e32 v7, 0, v14, vcc
	v_mad_u64_u32 v[14:15], s[0:1], v1, s20, 0
	v_mov_b32_e32 v16, v15
	v_cndmask_b32_e32 v6, 0, v6, vcc
	v_mad_u64_u32 v[16:17], s[0:1], v1, s21, v[16:17]
	v_cmp_gt_i32_e32 vcc, s15, v1
	v_lshl_add_u64 v[2:3], v[2:3], 0, v[8:9]
	v_lshl_add_u64 v[4:5], v[4:5], 2, s[22:23]
	v_cndmask_b32_e32 v14, 0, v14, vcc
	v_cndmask_b32_e32 v15, 0, v16, vcc
	v_lshl_add_u64 v[6:7], v[6:7], 2, s[22:23]
	v_lshl_add_u64 v[14:15], v[14:15], 2, s[22:23]
	;; [unrolled: 1-line block ×4, first 2 shown]
	flat_load_dword v16, v[2:3]
	flat_load_dword v17, v[4:5]
	;; [unrolled: 1-line block ×3, first 2 shown]
	v_lshl_add_u64 v[8:9], v[14:15], 0, v[8:9]
	flat_load_dword v1, v[8:9]
	v_add_u32_e32 v14, 64, v0
	v_cmp_gt_i32_e32 vcc, s14, v14
	s_waitcnt vmcnt(0) lgkmcnt(0)
	v_fmac_f32_e32 v31, v10, v16
	v_fmac_f32_e32 v31, v12, v17
	v_fmac_f32_e32 v31, v13, v18
	s_and_saveexec_b64 s[0:1], vcc
	s_cbranch_execz .LBB205_43
; %bb.38:
	flat_load_dword v15, v[2:3] offset:256
	flat_load_dword v16, v[4:5] offset:256
	flat_load_dword v17, v[6:7] offset:256
	flat_load_dword v14, v[8:9] offset:256
	v_add_u32_e32 v18, 0x80, v0
	v_cmp_gt_i32_e32 vcc, s14, v18
	s_waitcnt vmcnt(0) lgkmcnt(0)
	v_fmac_f32_e32 v32, v10, v15
	v_fmac_f32_e32 v32, v12, v16
	v_fmac_f32_e32 v32, v13, v17
	s_and_saveexec_b64 s[4:5], vcc
	s_cbranch_execz .LBB205_42
; %bb.39:
	flat_load_dword v16, v[2:3] offset:512
	flat_load_dword v17, v[4:5] offset:512
	flat_load_dword v18, v[6:7] offset:512
	flat_load_dword v15, v[8:9] offset:512
	;; [unrolled: 13-line block ×3, first 2 shown]
	s_waitcnt vmcnt(0) lgkmcnt(0)
	v_fmac_f32_e32 v34, v10, v0
	v_fmac_f32_e32 v34, v12, v16
	;; [unrolled: 1-line block ×4, first 2 shown]
.LBB205_41:
	s_or_b64 exec, exec, s[6:7]
	v_fmac_f32_e32 v33, v11, v15
.LBB205_42:
	s_or_b64 exec, exec, s[4:5]
	v_fmac_f32_e32 v32, v11, v14
.LBB205_43:
	s_or_b64 exec, exec, s[0:1]
	v_fmac_f32_e32 v31, v11, v1
.LBB205_44:
	s_or_b64 exec, exec, s[2:3]
.LBB205_45:
	v_lshlrev_b32_e32 v0, 8, v30
	s_movk_i32 s0, 0x100
	v_add_lshl_u32 v0, v0, v29, 2
	v_cmp_gt_u32_e32 vcc, s0, v28
	ds_write2st64_b32 v0, v31, v32 offset1:1
	ds_write2st64_b32 v0, v33, v34 offset0:2 offset1:3
	s_waitcnt lgkmcnt(0)
	s_barrier
	s_waitcnt lgkmcnt(0)
                                        ; implicit-def: $vgpr1
                                        ; implicit-def: $vgpr2_vgpr3
	s_and_saveexec_b64 s[0:1], vcc
	s_cbranch_execz .LBB205_51
; %bb.46:
	s_waitcnt vmcnt(0)
	v_lshlrev_b32_e32 v10, 2, v28
	ds_read2st64_b32 v[0:1], v10 offset1:4
	ds_read2st64_b32 v[2:3], v10 offset0:8 offset1:12
	ds_read2st64_b32 v[4:5], v10 offset0:16 offset1:20
	;; [unrolled: 1-line block ×4, first 2 shown]
	s_waitcnt lgkmcnt(4)
	v_add_f32_e32 v0, v0, v1
	s_waitcnt lgkmcnt(3)
	v_add_f32_e32 v0, v2, v0
	v_add_f32_e32 v0, v3, v0
	s_waitcnt lgkmcnt(2)
	v_add_f32_e32 v0, v4, v0
	;; [unrolled: 3-line block ×3, first 2 shown]
	v_add_f32_e32 v2, v7, v0
	ds_read2st64_b32 v[0:1], v10 offset0:40 offset1:44
	s_waitcnt lgkmcnt(1)
	v_add_f32_e32 v4, v8, v2
	ds_read2st64_b32 v[2:3], v10 offset0:48 offset1:52
	v_add_f32_e32 v6, v9, v4
	ds_read2st64_b32 v[4:5], v10 offset0:56 offset1:60
	s_waitcnt lgkmcnt(2)
	v_add_f32_e32 v0, v0, v6
	v_add_f32_e32 v0, v1, v0
	s_waitcnt lgkmcnt(1)
	v_add_f32_e32 v0, v2, v0
	v_add_f32_e32 v0, v3, v0
	;; [unrolled: 3-line block ×3, first 2 shown]
	v_or_b32_e32 v0, s43, v28
	v_cmp_gt_i32_e32 vcc, s14, v0
	s_mov_b64 s[4:5], s[10:11]
	ds_write_b32 v10, v4
                                        ; implicit-def: $vgpr1
                                        ; implicit-def: $vgpr2_vgpr3
	s_and_saveexec_b64 s[2:3], vcc
	s_cbranch_execz .LBB205_50
; %bb.47:
	v_ashrrev_i32_e32 v2, 31, v0
	v_cmp_eq_f32_e64 s[4:5], s33, 0
	v_mul_f32_e32 v1, s42, v4
	v_mul_lo_u32 v4, v0, s13
	v_mul_lo_u32 v5, v2, s12
	v_mad_u64_u32 v[2:3], s[6:7], v0, s12, 0
	v_add3_u32 v3, v3, v4, v5
	s_and_b64 vcc, exec, s[4:5]
	s_cbranch_vccnz .LBB205_49
; %bb.48:
	v_lshl_add_u64 v[4:5], v[2:3], 2, s[8:9]
	global_load_dword v0, v[4:5], off
	s_waitcnt vmcnt(0)
	v_fmac_f32_e32 v1, s33, v0
.LBB205_49:
	s_or_b64 s[4:5], s[10:11], exec
.LBB205_50:
	s_or_b64 exec, exec, s[2:3]
	s_andn2_b64 s[2:3], s[10:11], exec
	s_and_b64 s[4:5], s[4:5], exec
	s_or_b64 s[10:11], s[2:3], s[4:5]
.LBB205_51:
	s_or_b64 exec, exec, s[0:1]
.LBB205_52:
	s_and_saveexec_b64 s[0:1], s[10:11]
	s_cbranch_execz .LBB205_54
; %bb.53:
	v_lshl_add_u64 v[2:3], v[2:3], 2, s[8:9]
	global_store_dword v[2:3], v1, off
.LBB205_54:
	s_endpgm
	.section	.rodata,"a",@progbits
	.p2align	6, 0x0
	.amdhsa_kernel _ZL20rocblas_gemvn_kernelILi64ELi16ElPKfS1_KPfEviiT3_lPKT2_lT1_lS7_lS8_lS4_lPT4_lS8_li
		.amdhsa_group_segment_fixed_size 16384
		.amdhsa_private_segment_fixed_size 0
		.amdhsa_kernarg_size 400
		.amdhsa_user_sgpr_count 2
		.amdhsa_user_sgpr_dispatch_ptr 0
		.amdhsa_user_sgpr_queue_ptr 0
		.amdhsa_user_sgpr_kernarg_segment_ptr 1
		.amdhsa_user_sgpr_dispatch_id 0
		.amdhsa_user_sgpr_kernarg_preload_length 0
		.amdhsa_user_sgpr_kernarg_preload_offset 0
		.amdhsa_user_sgpr_private_segment_size 0
		.amdhsa_uses_dynamic_stack 0
		.amdhsa_enable_private_segment 0
		.amdhsa_system_sgpr_workgroup_id_x 1
		.amdhsa_system_sgpr_workgroup_id_y 0
		.amdhsa_system_sgpr_workgroup_id_z 1
		.amdhsa_system_sgpr_workgroup_info 0
		.amdhsa_system_vgpr_workitem_id 1
		.amdhsa_next_free_vgpr 55
		.amdhsa_next_free_sgpr 45
		.amdhsa_accum_offset 56
		.amdhsa_reserve_vcc 1
		.amdhsa_float_round_mode_32 0
		.amdhsa_float_round_mode_16_64 0
		.amdhsa_float_denorm_mode_32 3
		.amdhsa_float_denorm_mode_16_64 3
		.amdhsa_dx10_clamp 1
		.amdhsa_ieee_mode 1
		.amdhsa_fp16_overflow 0
		.amdhsa_tg_split 0
		.amdhsa_exception_fp_ieee_invalid_op 0
		.amdhsa_exception_fp_denorm_src 0
		.amdhsa_exception_fp_ieee_div_zero 0
		.amdhsa_exception_fp_ieee_overflow 0
		.amdhsa_exception_fp_ieee_underflow 0
		.amdhsa_exception_fp_ieee_inexact 0
		.amdhsa_exception_int_div_zero 0
	.end_amdhsa_kernel
	.section	.text._ZL20rocblas_gemvn_kernelILi64ELi16ElPKfS1_KPfEviiT3_lPKT2_lT1_lS7_lS8_lS4_lPT4_lS8_li,"axG",@progbits,_ZL20rocblas_gemvn_kernelILi64ELi16ElPKfS1_KPfEviiT3_lPKT2_lT1_lS7_lS8_lS4_lPT4_lS8_li,comdat
.Lfunc_end205:
	.size	_ZL20rocblas_gemvn_kernelILi64ELi16ElPKfS1_KPfEviiT3_lPKT2_lT1_lS7_lS8_lS4_lPT4_lS8_li, .Lfunc_end205-_ZL20rocblas_gemvn_kernelILi64ELi16ElPKfS1_KPfEviiT3_lPKT2_lT1_lS7_lS8_lS4_lPT4_lS8_li
                                        ; -- End function
	.section	.AMDGPU.csdata,"",@progbits
; Kernel info:
; codeLenInByte = 2612
; NumSgprs: 51
; NumVgprs: 55
; NumAgprs: 0
; TotalNumVgprs: 55
; ScratchSize: 0
; MemoryBound: 0
; FloatMode: 240
; IeeeMode: 1
; LDSByteSize: 16384 bytes/workgroup (compile time only)
; SGPRBlocks: 6
; VGPRBlocks: 6
; NumSGPRsForWavesPerEU: 51
; NumVGPRsForWavesPerEU: 55
; AccumOffset: 56
; Occupancy: 8
; WaveLimiterHint : 1
; COMPUTE_PGM_RSRC2:SCRATCH_EN: 0
; COMPUTE_PGM_RSRC2:USER_SGPR: 2
; COMPUTE_PGM_RSRC2:TRAP_HANDLER: 0
; COMPUTE_PGM_RSRC2:TGID_X_EN: 1
; COMPUTE_PGM_RSRC2:TGID_Y_EN: 0
; COMPUTE_PGM_RSRC2:TGID_Z_EN: 1
; COMPUTE_PGM_RSRC2:TIDIG_COMP_CNT: 1
; COMPUTE_PGM_RSRC3_GFX90A:ACCUM_OFFSET: 13
; COMPUTE_PGM_RSRC3_GFX90A:TG_SPLIT: 0
	.section	.text._ZL20rocblas_gemvn_kernelILi64ELi16EiPKffKPfEviiT3_lPKT2_lT1_lS7_lS8_lS4_lPT4_lS8_li,"axG",@progbits,_ZL20rocblas_gemvn_kernelILi64ELi16EiPKffKPfEviiT3_lPKT2_lT1_lS7_lS8_lS4_lPT4_lS8_li,comdat
	.globl	_ZL20rocblas_gemvn_kernelILi64ELi16EiPKffKPfEviiT3_lPKT2_lT1_lS7_lS8_lS4_lPT4_lS8_li ; -- Begin function _ZL20rocblas_gemvn_kernelILi64ELi16EiPKffKPfEviiT3_lPKT2_lT1_lS7_lS8_lS4_lPT4_lS8_li
	.p2align	8
	.type	_ZL20rocblas_gemvn_kernelILi64ELi16EiPKffKPfEviiT3_lPKT2_lT1_lS7_lS8_lS4_lPT4_lS8_li,@function
_ZL20rocblas_gemvn_kernelILi64ELi16EiPKffKPfEviiT3_lPKT2_lT1_lS7_lS8_lS4_lPT4_lS8_li: ; @_ZL20rocblas_gemvn_kernelILi64ELi16EiPKffKPfEviiT3_lPKT2_lT1_lS7_lS8_lS4_lPT4_lS8_li
; %bb.0:
	s_load_dwordx2 s[4:5], s[0:1], 0x9c
	s_mov_b32 s6, s3
	s_waitcnt lgkmcnt(0)
	s_and_b32 s3, s5, 0xffff
	s_lshr_b32 s5, s4, 16
	s_and_b32 s4, s4, 0xffff
	s_mul_i32 s4, s5, s4
	s_mul_i32 s4, s4, s3
	s_cmpk_lg_i32 s4, 0x400
	s_cbranch_scc1 .LBB206_56
; %bb.1:
	s_load_dwordx4 s[8:11], s[0:1], 0x0
	s_waitcnt lgkmcnt(0)
	s_load_dword s11, s[0:1], 0x58
	v_cmp_eq_f32_e64 s[4:5], s10, 0
	s_waitcnt lgkmcnt(0)
	v_cmp_eq_f32_e64 s[12:13], s11, 1.0
	s_and_b64 s[12:13], s[4:5], s[12:13]
	s_and_b64 vcc, exec, s[12:13]
	s_cbranch_vccnz .LBB206_56
; %bb.2:
	v_cmp_neq_f32_e64 s[12:13], s10, 0
	s_mov_b32 s7, 0
	s_and_b64 vcc, exec, s[12:13]
	s_cbranch_vccnz .LBB206_4
; %bb.3:
	s_mov_b64 s[16:17], 0
	s_cbranch_execz .LBB206_5
	s_branch .LBB206_6
.LBB206_4:
                                        ; implicit-def: $sgpr16_sgpr17
.LBB206_5:
	s_load_dwordx4 s[16:19], s[0:1], 0x18
	s_lshl_b64 s[14:15], s[6:7], 3
	s_waitcnt lgkmcnt(0)
	s_add_u32 s14, s16, s14
	s_addc_u32 s15, s17, s15
	s_load_dwordx2 s[14:15], s[14:15], 0x0
	s_lshl_b64 s[16:17], s[18:19], 2
	s_waitcnt lgkmcnt(0)
	s_add_u32 s16, s14, s16
	s_addc_u32 s17, s15, s17
.LBB206_6:
	s_mov_b64 s[14:15], 0
	s_andn2_b64 vcc, exec, s[12:13]
	s_mov_b64 s[18:19], 0
	s_cbranch_vccnz .LBB206_8
; %bb.7:
	s_load_dwordx4 s[20:23], s[0:1], 0x38
	s_lshl_b64 s[12:13], s[6:7], 3
	s_waitcnt lgkmcnt(0)
	s_add_u32 s12, s20, s12
	s_addc_u32 s13, s21, s13
	s_load_dwordx2 s[12:13], s[12:13], 0x0
	s_lshl_b64 s[18:19], s[22:23], 2
	s_waitcnt lgkmcnt(0)
	s_add_u32 s18, s12, s18
	s_addc_u32 s19, s13, s19
.LBB206_8:
	s_load_dwordx4 s[20:23], s[0:1], 0x68
	s_load_dword s30, s[0:1], 0x78
	s_lshl_b64 s[6:7], s[6:7], 3
	v_and_b32_e32 v2, 0x3ff, v0
	v_bfe_u32 v14, v0, 10, 10
	s_waitcnt lgkmcnt(0)
	s_add_u32 s6, s20, s6
	s_addc_u32 s7, s21, s7
	s_load_dwordx2 s[6:7], s[6:7], 0x0
	s_lshl_b64 s[12:13], s[22:23], 2
	v_lshl_add_u32 v3, v14, 6, v2
	s_waitcnt lgkmcnt(0)
	s_add_u32 s12, s6, s12
	s_addc_u32 s13, s7, s13
	s_andn2_b64 vcc, exec, s[4:5]
	s_cbranch_vccnz .LBB206_15
; %bb.9:
	s_movk_i32 s3, 0x100
	v_cmp_gt_u32_e32 vcc, s3, v3
	s_mov_b64 s[4:5], 0
                                        ; implicit-def: $vgpr1
                                        ; implicit-def: $vgpr4_vgpr5
	s_and_saveexec_b64 s[6:7], vcc
	s_cbranch_execz .LBB206_16
; %bb.10:
	v_lshl_or_b32 v0, s2, 8, v3
	v_mov_b32_e32 v1, 0
	s_ashr_i32 s15, s8, 31
	s_mov_b32 s14, s8
	v_cmp_gt_i64_e32 vcc, s[14:15], v[0:1]
	s_mov_b64 s[20:21], 0
                                        ; implicit-def: $vgpr4_vgpr5
	s_and_saveexec_b64 s[14:15], vcc
	s_cbranch_execz .LBB206_14
; %bb.11:
	v_mad_u64_u32 v[4:5], s[22:23], s30, v0, 0
	s_ashr_i32 s3, s30, 31
	v_mov_b32_e32 v6, v5
	v_cmp_eq_f32_e64 s[20:21], s11, 0
	v_mad_u64_u32 v[6:7], s[22:23], s3, v0, v[6:7]
	v_mov_b32_e32 v5, v6
	s_and_b64 vcc, exec, s[20:21]
	s_cbranch_vccnz .LBB206_13
; %bb.12:
	v_lshl_add_u64 v[0:1], v[4:5], 2, s[12:13]
	global_load_dword v0, v[0:1], off
	s_waitcnt vmcnt(0)
	v_mul_f32_e32 v1, s11, v0
.LBB206_13:
	s_mov_b64 s[20:21], exec
.LBB206_14:
	s_or_b64 exec, exec, s[14:15]
	s_and_b64 s[14:15], s[20:21], exec
	s_or_b64 exec, exec, s[6:7]
	s_and_b64 vcc, exec, s[4:5]
	s_cbranch_vccnz .LBB206_17
	s_branch .LBB206_54
.LBB206_15:
                                        ; implicit-def: $vgpr1
                                        ; implicit-def: $vgpr4_vgpr5
	s_cbranch_execnz .LBB206_17
	s_branch .LBB206_54
.LBB206_16:
	s_or_b64 exec, exec, s[6:7]
	s_and_b64 vcc, exec, s[4:5]
	s_cbranch_vccz .LBB206_54
.LBB206_17:
	s_load_dword s33, s[0:1], 0x28
	s_load_dword s34, s[0:1], 0x48
	s_ashr_i32 s0, s9, 31
	s_lshr_b32 s0, s0, 26
	s_add_i32 s35, s9, s0
	s_lshl_b32 s31, s2, 8
	s_andn2_b32 s35, s35, 63
	v_lshlrev_b32_e32 v20, 2, v14
	v_add_u32_e32 v19, s31, v2
	v_cmp_gt_i32_e32 vcc, s35, v20
	v_mov_b32_e32 v15, 0
	v_mov_b32_e32 v16, 0
	;; [unrolled: 1-line block ×4, first 2 shown]
	s_and_saveexec_b64 s[20:21], vcc
	s_cbranch_execz .LBB206_29
; %bb.18:
	v_add_u32_e32 v0, 64, v19
	v_cmp_gt_i32_e64 s[0:1], s8, v0
	v_add_u32_e32 v0, 0x80, v19
	v_cmp_gt_i32_e64 s[2:3], s8, v0
	;; [unrolled: 2-line block ×3, first 2 shown]
	s_waitcnt lgkmcnt(0)
	v_mul_lo_u32 v0, s33, v20
	v_add_u32_e32 v6, 2, v20
	v_add_u32_e32 v7, 3, v20
	v_add3_u32 v21, v0, s33, v2
	v_mad_u64_u32 v[0:1], s[6:7], s33, v6, v[2:3]
	v_mad_u64_u32 v[4:5], s[6:7], s33, v7, v[2:3]
	v_mul_lo_u32 v1, v14, s33
	v_mul_lo_u32 v5, s34, v20
	;; [unrolled: 1-line block ×4, first 2 shown]
	v_cmp_gt_i32_e32 vcc, s8, v19
	s_lshl_b32 s36, s33, 6
	v_lshl_add_u32 v1, v1, 2, v2
	v_add_u32_e32 v5, s34, v5
	s_lshl_b32 s37, s34, 6
	v_mul_lo_u32 v23, s34, v7
	v_lshlrev_b32_e32 v24, 2, v6
	s_mov_b32 s38, 0
	s_mov_b64 s[22:23], 0
	v_mov_b32_e32 v15, 0
	v_mov_b32_e32 v16, 0
	;; [unrolled: 1-line block ×4, first 2 shown]
	s_branch .LBB206_23
.LBB206_19:                             ;   in Loop: Header=BB206_23 Depth=1
	s_or_b64 exec, exec, s[28:29]
	s_waitcnt vmcnt(0) lgkmcnt(0)
	v_fmac_f32_e32 v17, v28, v40
	v_fmac_f32_e32 v17, v27, v39
	;; [unrolled: 1-line block ×4, first 2 shown]
.LBB206_20:                             ;   in Loop: Header=BB206_23 Depth=1
	s_or_b64 exec, exec, s[26:27]
	s_waitcnt vmcnt(0) lgkmcnt(0)
	v_fmac_f32_e32 v16, v28, v36
	v_fmac_f32_e32 v16, v27, v35
	;; [unrolled: 1-line block ×4, first 2 shown]
.LBB206_21:                             ;   in Loop: Header=BB206_23 Depth=1
	s_or_b64 exec, exec, s[24:25]
	s_waitcnt vmcnt(0) lgkmcnt(0)
	v_fmac_f32_e32 v15, v28, v32
	v_fmac_f32_e32 v15, v27, v31
	;; [unrolled: 1-line block ×4, first 2 shown]
.LBB206_22:                             ;   in Loop: Header=BB206_23 Depth=1
	s_or_b64 exec, exec, s[6:7]
	v_add_u32_e32 v20, 64, v20
	s_add_i32 s38, s38, s37
	v_cmp_le_i32_e64 s[6:7], s35, v20
	v_add_u32_e32 v21, s36, v21
	v_add_u32_e32 v0, s36, v0
	;; [unrolled: 1-line block ×3, first 2 shown]
	s_or_b64 s[22:23], s[6:7], s[22:23]
	v_add_u32_e32 v1, s36, v1
	s_andn2_b64 exec, exec, s[22:23]
	s_cbranch_execz .LBB206_28
.LBB206_23:                             ; =>This Inner Loop Header: Depth=1
	s_and_saveexec_b64 s[6:7], vcc
	s_cbranch_execz .LBB206_22
; %bb.24:                               ;   in Loop: Header=BB206_23 Depth=1
	v_add_u32_e32 v6, s38, v24
	v_ashrrev_i32_e32 v7, 31, v6
	v_add_u32_e32 v8, s38, v5
	v_add_u32_e32 v10, s38, v22
	;; [unrolled: 1-line block ×3, first 2 shown]
	v_lshl_add_u64 v[6:7], v[6:7], 2, s[18:19]
	v_ashrrev_i32_e32 v9, 31, v8
	v_ashrrev_i32_e32 v11, 31, v10
	;; [unrolled: 1-line block ×3, first 2 shown]
	v_lshl_add_u64 v[8:9], v[8:9], 2, s[18:19]
	v_lshl_add_u64 v[10:11], v[10:11], 2, s[18:19]
	v_lshl_add_u64 v[12:13], v[12:13], 2, s[18:19]
	flat_load_dword v28, v[6:7]
	flat_load_dword v27, v[8:9]
	;; [unrolled: 1-line block ×4, first 2 shown]
	v_add_u32_e32 v6, s31, v1
	v_ashrrev_i32_e32 v7, 31, v6
	v_add_u32_e32 v8, s31, v21
	v_add_u32_e32 v10, s31, v0
	;; [unrolled: 1-line block ×3, first 2 shown]
	v_lshl_add_u64 v[6:7], v[6:7], 2, s[16:17]
	v_ashrrev_i32_e32 v9, 31, v8
	v_ashrrev_i32_e32 v11, 31, v10
	v_ashrrev_i32_e32 v13, 31, v12
	v_lshl_add_u64 v[8:9], v[8:9], 2, s[16:17]
	v_lshl_add_u64 v[10:11], v[10:11], 2, s[16:17]
	;; [unrolled: 1-line block ×3, first 2 shown]
	flat_load_dword v32, v[6:7]
	flat_load_dword v31, v[8:9]
	;; [unrolled: 1-line block ×4, first 2 shown]
	s_and_saveexec_b64 s[24:25], s[0:1]
	s_cbranch_execz .LBB206_21
; %bb.25:                               ;   in Loop: Header=BB206_23 Depth=1
	flat_load_dword v36, v[6:7] offset:256
	flat_load_dword v35, v[8:9] offset:256
	flat_load_dword v34, v[10:11] offset:256
	flat_load_dword v33, v[12:13] offset:256
	s_and_saveexec_b64 s[26:27], s[2:3]
	s_cbranch_execz .LBB206_20
; %bb.26:                               ;   in Loop: Header=BB206_23 Depth=1
	flat_load_dword v40, v[6:7] offset:512
	flat_load_dword v39, v[8:9] offset:512
	flat_load_dword v38, v[10:11] offset:512
	flat_load_dword v37, v[12:13] offset:512
	;; [unrolled: 7-line block ×3, first 2 shown]
	s_waitcnt vmcnt(0) lgkmcnt(0)
	v_fmac_f32_e32 v18, v28, v41
	v_fmac_f32_e32 v18, v27, v42
	;; [unrolled: 1-line block ×4, first 2 shown]
	s_branch .LBB206_19
.LBB206_28:
	s_or_b64 exec, exec, s[22:23]
.LBB206_29:
	s_or_b64 exec, exec, s[20:21]
	s_sub_i32 s0, s9, s35
	s_cmp_lt_i32 s0, 1
	s_cbranch_scc1 .LBB206_47
; %bb.30:
	v_cmp_gt_i32_e32 vcc, s9, v20
	v_mov_b32_e32 v10, 0
	v_or_b32_e32 v4, 1, v20
	v_mov_b32_e32 v13, 0
	v_mov_b32_e32 v12, 0
	;; [unrolled: 1-line block ×3, first 2 shown]
	s_and_saveexec_b64 s[2:3], vcc
	s_cbranch_execz .LBB206_38
; %bb.31:
	s_waitcnt lgkmcnt(0)
	v_mul_lo_u32 v0, v20, s34
	v_ashrrev_i32_e32 v1, 31, v0
	v_lshl_add_u64 v[0:1], v[0:1], 2, s[18:19]
	flat_load_dword v11, v[0:1]
	v_cmp_gt_i32_e64 s[0:1], s9, v4
	v_mov_b32_e32 v12, 0
	v_mov_b32_e32 v13, 0
	;; [unrolled: 1-line block ×3, first 2 shown]
	s_and_saveexec_b64 s[4:5], s[0:1]
	s_cbranch_execz .LBB206_37
; %bb.32:
	v_mul_lo_u32 v0, v4, s34
	v_ashrrev_i32_e32 v1, 31, v0
	v_lshl_add_u64 v[0:1], v[0:1], 2, s[18:19]
	flat_load_dword v12, v[0:1]
	v_or_b32_e32 v0, 2, v20
	v_cmp_gt_i32_e64 s[0:1], s9, v0
	v_mov_b32_e32 v13, 0
	v_mov_b32_e32 v10, 0
	s_and_saveexec_b64 s[6:7], s[0:1]
	s_cbranch_execz .LBB206_36
; %bb.33:
	v_mul_lo_u32 v0, v0, s34
	v_ashrrev_i32_e32 v1, 31, v0
	v_lshl_add_u64 v[0:1], v[0:1], 2, s[18:19]
	flat_load_dword v13, v[0:1]
	v_or_b32_e32 v0, 3, v20
	v_cmp_gt_i32_e64 s[0:1], s9, v0
	v_mov_b32_e32 v10, 0
	s_and_saveexec_b64 s[20:21], s[0:1]
	s_cbranch_execz .LBB206_35
; %bb.34:
	v_mul_lo_u32 v0, v0, s34
	v_ashrrev_i32_e32 v1, 31, v0
	v_lshl_add_u64 v[0:1], v[0:1], 2, s[18:19]
	flat_load_dword v10, v[0:1]
.LBB206_35:
	s_or_b64 exec, exec, s[20:21]
.LBB206_36:
	s_or_b64 exec, exec, s[6:7]
.LBB206_37:
	s_or_b64 exec, exec, s[4:5]
.LBB206_38:
	s_or_b64 exec, exec, s[2:3]
	v_cmp_gt_i32_e64 s[0:1], s8, v19
	s_and_saveexec_b64 s[2:3], s[0:1]
	s_cbranch_execz .LBB206_46
; %bb.39:
	s_waitcnt lgkmcnt(0)
	v_mul_lo_u32 v0, v20, s33
	v_cndmask_b32_e32 v0, 0, v0, vcc
	v_mul_lo_u32 v5, v4, s33
	v_cmp_gt_i32_e32 vcc, s9, v4
	v_or_b32_e32 v6, 2, v20
	v_mul_lo_u32 v7, v6, s33
	v_cndmask_b32_e32 v4, 0, v5, vcc
	v_cmp_gt_i32_e32 vcc, s9, v6
	v_or_b32_e32 v8, 3, v20
	v_mul_lo_u32 v9, v8, s33
	v_cndmask_b32_e32 v6, 0, v7, vcc
	v_cmp_gt_i32_e32 vcc, s9, v8
	v_add_u32_e32 v0, v0, v19
	v_ashrrev_i32_e32 v1, 31, v0
	v_cndmask_b32_e32 v8, 0, v9, vcc
	v_add_u32_e32 v4, v4, v19
	v_add_u32_e32 v6, v6, v19
	;; [unrolled: 1-line block ×3, first 2 shown]
	v_lshl_add_u64 v[0:1], v[0:1], 2, s[16:17]
	v_ashrrev_i32_e32 v5, 31, v4
	v_ashrrev_i32_e32 v7, 31, v6
	;; [unrolled: 1-line block ×3, first 2 shown]
	v_lshl_add_u64 v[4:5], v[4:5], 2, s[16:17]
	v_lshl_add_u64 v[6:7], v[6:7], 2, s[16:17]
	flat_load_dword v21, v[0:1]
	flat_load_dword v22, v[4:5]
	;; [unrolled: 1-line block ×3, first 2 shown]
	v_lshl_add_u64 v[8:9], v[8:9], 2, s[16:17]
	flat_load_dword v20, v[8:9]
	v_add_u32_e32 v24, 64, v19
	v_cmp_gt_i32_e32 vcc, s8, v24
	s_waitcnt vmcnt(0) lgkmcnt(0)
	v_fmac_f32_e32 v15, v11, v21
	v_fmac_f32_e32 v15, v12, v22
	v_fmac_f32_e32 v15, v13, v23
	s_and_saveexec_b64 s[0:1], vcc
	s_cbranch_execz .LBB206_45
; %bb.40:
	flat_load_dword v22, v[0:1] offset:256
	flat_load_dword v23, v[4:5] offset:256
	flat_load_dword v24, v[6:7] offset:256
	flat_load_dword v21, v[8:9] offset:256
	v_add_u32_e32 v25, 0x80, v19
	v_cmp_gt_i32_e32 vcc, s8, v25
	s_waitcnt vmcnt(0) lgkmcnt(0)
	v_fmac_f32_e32 v16, v11, v22
	v_fmac_f32_e32 v16, v12, v23
	v_fmac_f32_e32 v16, v13, v24
	s_and_saveexec_b64 s[4:5], vcc
	s_cbranch_execz .LBB206_44
; %bb.41:
	flat_load_dword v23, v[0:1] offset:512
	flat_load_dword v24, v[4:5] offset:512
	flat_load_dword v25, v[6:7] offset:512
	flat_load_dword v22, v[8:9] offset:512
	;; [unrolled: 13-line block ×3, first 2 shown]
	s_waitcnt vmcnt(0) lgkmcnt(0)
	v_fmac_f32_e32 v18, v11, v19
	v_fmac_f32_e32 v18, v12, v23
	;; [unrolled: 1-line block ×4, first 2 shown]
.LBB206_43:
	s_or_b64 exec, exec, s[6:7]
	v_fmac_f32_e32 v17, v10, v22
.LBB206_44:
	s_or_b64 exec, exec, s[4:5]
	v_fmac_f32_e32 v16, v10, v21
.LBB206_45:
	s_or_b64 exec, exec, s[0:1]
	v_fmac_f32_e32 v15, v10, v20
.LBB206_46:
	s_or_b64 exec, exec, s[2:3]
.LBB206_47:
	v_lshlrev_b32_e32 v0, 8, v14
	s_movk_i32 s0, 0x100
	v_add_lshl_u32 v0, v0, v2, 2
	v_cmp_gt_u32_e32 vcc, s0, v3
	ds_write2st64_b32 v0, v15, v16 offset1:1
	ds_write2st64_b32 v0, v17, v18 offset0:2 offset1:3
	s_waitcnt lgkmcnt(0)
	s_barrier
	s_waitcnt lgkmcnt(0)
                                        ; implicit-def: $vgpr1
                                        ; implicit-def: $vgpr4_vgpr5
	s_and_saveexec_b64 s[0:1], vcc
	s_cbranch_execz .LBB206_53
; %bb.48:
	v_lshlrev_b32_e32 v2, 2, v3
	ds_read2st64_b32 v[0:1], v2 offset1:4
	ds_read2st64_b32 v[4:5], v2 offset0:8 offset1:12
	ds_read2st64_b32 v[6:7], v2 offset0:16 offset1:20
	ds_read2st64_b32 v[8:9], v2 offset0:24 offset1:28
	s_waitcnt vmcnt(0)
	ds_read2st64_b32 v[10:11], v2 offset0:32 offset1:36
	s_waitcnt lgkmcnt(4)
	v_add_f32_e32 v0, v0, v1
	s_waitcnt lgkmcnt(3)
	v_add_f32_e32 v0, v4, v0
	v_add_f32_e32 v0, v5, v0
	s_waitcnt lgkmcnt(2)
	v_add_f32_e32 v0, v6, v0
	;; [unrolled: 3-line block ×3, first 2 shown]
	v_add_f32_e32 v4, v9, v0
	ds_read2st64_b32 v[0:1], v2 offset0:40 offset1:44
	s_waitcnt lgkmcnt(1)
	v_add_f32_e32 v6, v10, v4
	ds_read2st64_b32 v[4:5], v2 offset0:48 offset1:52
	v_add_f32_e32 v8, v11, v6
	ds_read2st64_b32 v[6:7], v2 offset0:56 offset1:60
	s_waitcnt lgkmcnt(2)
	v_add_f32_e32 v0, v0, v8
	v_add_f32_e32 v0, v1, v0
	s_waitcnt lgkmcnt(1)
	v_add_f32_e32 v0, v4, v0
	v_add_f32_e32 v0, v5, v0
	s_waitcnt lgkmcnt(0)
	v_add_f32_e32 v0, v6, v0
	v_add_f32_e32 v0, v7, v0
	ds_write_b32 v2, v0
	v_or_b32_e32 v2, s31, v3
	v_cmp_gt_i32_e32 vcc, s8, v2
	s_mov_b64 s[4:5], s[14:15]
                                        ; implicit-def: $vgpr1
                                        ; implicit-def: $vgpr4_vgpr5
	s_and_saveexec_b64 s[2:3], vcc
	s_cbranch_execz .LBB206_52
; %bb.49:
	v_cmp_eq_f32_e64 s[4:5], s11, 0
	v_mul_lo_u32 v4, v2, s30
	v_mul_f32_e32 v1, s10, v0
	v_ashrrev_i32_e32 v5, 31, v4
	s_and_b64 vcc, exec, s[4:5]
	s_cbranch_vccnz .LBB206_51
; %bb.50:
	v_lshl_add_u64 v[2:3], v[4:5], 2, s[12:13]
	global_load_dword v0, v[2:3], off
	s_waitcnt vmcnt(0)
	v_fmac_f32_e32 v1, s11, v0
.LBB206_51:
	s_or_b64 s[4:5], s[14:15], exec
.LBB206_52:
	s_or_b64 exec, exec, s[2:3]
	s_andn2_b64 s[2:3], s[14:15], exec
	s_and_b64 s[4:5], s[4:5], exec
	s_or_b64 s[14:15], s[2:3], s[4:5]
.LBB206_53:
	s_or_b64 exec, exec, s[0:1]
.LBB206_54:
	s_and_saveexec_b64 s[0:1], s[14:15]
	s_cbranch_execz .LBB206_56
; %bb.55:
	v_lshl_add_u64 v[2:3], v[4:5], 2, s[12:13]
	global_store_dword v[2:3], v1, off
.LBB206_56:
	s_endpgm
	.section	.rodata,"a",@progbits
	.p2align	6, 0x0
	.amdhsa_kernel _ZL20rocblas_gemvn_kernelILi64ELi16EiPKffKPfEviiT3_lPKT2_lT1_lS7_lS8_lS4_lPT4_lS8_li
		.amdhsa_group_segment_fixed_size 16384
		.amdhsa_private_segment_fixed_size 0
		.amdhsa_kernarg_size 400
		.amdhsa_user_sgpr_count 2
		.amdhsa_user_sgpr_dispatch_ptr 0
		.amdhsa_user_sgpr_queue_ptr 0
		.amdhsa_user_sgpr_kernarg_segment_ptr 1
		.amdhsa_user_sgpr_dispatch_id 0
		.amdhsa_user_sgpr_kernarg_preload_length 0
		.amdhsa_user_sgpr_kernarg_preload_offset 0
		.amdhsa_user_sgpr_private_segment_size 0
		.amdhsa_uses_dynamic_stack 0
		.amdhsa_enable_private_segment 0
		.amdhsa_system_sgpr_workgroup_id_x 1
		.amdhsa_system_sgpr_workgroup_id_y 0
		.amdhsa_system_sgpr_workgroup_id_z 1
		.amdhsa_system_sgpr_workgroup_info 0
		.amdhsa_system_vgpr_workitem_id 1
		.amdhsa_next_free_vgpr 45
		.amdhsa_next_free_sgpr 39
		.amdhsa_accum_offset 48
		.amdhsa_reserve_vcc 1
		.amdhsa_float_round_mode_32 0
		.amdhsa_float_round_mode_16_64 0
		.amdhsa_float_denorm_mode_32 3
		.amdhsa_float_denorm_mode_16_64 3
		.amdhsa_dx10_clamp 1
		.amdhsa_ieee_mode 1
		.amdhsa_fp16_overflow 0
		.amdhsa_tg_split 0
		.amdhsa_exception_fp_ieee_invalid_op 0
		.amdhsa_exception_fp_denorm_src 0
		.amdhsa_exception_fp_ieee_div_zero 0
		.amdhsa_exception_fp_ieee_overflow 0
		.amdhsa_exception_fp_ieee_underflow 0
		.amdhsa_exception_fp_ieee_inexact 0
		.amdhsa_exception_int_div_zero 0
	.end_amdhsa_kernel
	.section	.text._ZL20rocblas_gemvn_kernelILi64ELi16EiPKffKPfEviiT3_lPKT2_lT1_lS7_lS8_lS4_lPT4_lS8_li,"axG",@progbits,_ZL20rocblas_gemvn_kernelILi64ELi16EiPKffKPfEviiT3_lPKT2_lT1_lS7_lS8_lS4_lPT4_lS8_li,comdat
.Lfunc_end206:
	.size	_ZL20rocblas_gemvn_kernelILi64ELi16EiPKffKPfEviiT3_lPKT2_lT1_lS7_lS8_lS4_lPT4_lS8_li, .Lfunc_end206-_ZL20rocblas_gemvn_kernelILi64ELi16EiPKffKPfEviiT3_lPKT2_lT1_lS7_lS8_lS4_lPT4_lS8_li
                                        ; -- End function
	.section	.AMDGPU.csdata,"",@progbits
; Kernel info:
; codeLenInByte = 2280
; NumSgprs: 45
; NumVgprs: 45
; NumAgprs: 0
; TotalNumVgprs: 45
; ScratchSize: 0
; MemoryBound: 0
; FloatMode: 240
; IeeeMode: 1
; LDSByteSize: 16384 bytes/workgroup (compile time only)
; SGPRBlocks: 5
; VGPRBlocks: 5
; NumSGPRsForWavesPerEU: 45
; NumVGPRsForWavesPerEU: 45
; AccumOffset: 48
; Occupancy: 8
; WaveLimiterHint : 1
; COMPUTE_PGM_RSRC2:SCRATCH_EN: 0
; COMPUTE_PGM_RSRC2:USER_SGPR: 2
; COMPUTE_PGM_RSRC2:TRAP_HANDLER: 0
; COMPUTE_PGM_RSRC2:TGID_X_EN: 1
; COMPUTE_PGM_RSRC2:TGID_Y_EN: 0
; COMPUTE_PGM_RSRC2:TGID_Z_EN: 1
; COMPUTE_PGM_RSRC2:TIDIG_COMP_CNT: 1
; COMPUTE_PGM_RSRC3_GFX90A:ACCUM_OFFSET: 11
; COMPUTE_PGM_RSRC3_GFX90A:TG_SPLIT: 0
	.section	.text._ZL20rocblas_gemvn_kernelILi64ELi16ElPKffKPfEviiT3_lPKT2_lT1_lS7_lS8_lS4_lPT4_lS8_li,"axG",@progbits,_ZL20rocblas_gemvn_kernelILi64ELi16ElPKffKPfEviiT3_lPKT2_lT1_lS7_lS8_lS4_lPT4_lS8_li,comdat
	.globl	_ZL20rocblas_gemvn_kernelILi64ELi16ElPKffKPfEviiT3_lPKT2_lT1_lS7_lS8_lS4_lPT4_lS8_li ; -- Begin function _ZL20rocblas_gemvn_kernelILi64ELi16ElPKffKPfEviiT3_lPKT2_lT1_lS7_lS8_lS4_lPT4_lS8_li
	.p2align	8
	.type	_ZL20rocblas_gemvn_kernelILi64ELi16ElPKffKPfEviiT3_lPKT2_lT1_lS7_lS8_lS4_lPT4_lS8_li,@function
_ZL20rocblas_gemvn_kernelILi64ELi16ElPKffKPfEviiT3_lPKT2_lT1_lS7_lS8_lS4_lPT4_lS8_li: ; @_ZL20rocblas_gemvn_kernelILi64ELi16ElPKffKPfEviiT3_lPKT2_lT1_lS7_lS8_lS4_lPT4_lS8_li
; %bb.0:
	s_load_dwordx2 s[4:5], s[0:1], 0x9c
	s_mov_b32 s12, s3
	s_waitcnt lgkmcnt(0)
	s_and_b32 s3, s5, 0xffff
	s_lshr_b32 s5, s4, 16
	s_and_b32 s4, s4, 0xffff
	s_mul_i32 s4, s5, s4
	s_mul_i32 s4, s4, s3
	s_cmpk_lg_i32 s4, 0x400
	s_cbranch_scc1 .LBB207_56
; %bb.1:
	s_load_dwordx4 s[8:11], s[0:1], 0x0
	s_waitcnt lgkmcnt(0)
	s_load_dword s11, s[0:1], 0x58
	v_cmp_eq_f32_e64 s[26:27], s10, 0
	s_waitcnt lgkmcnt(0)
	v_cmp_eq_f32_e64 s[4:5], s11, 1.0
	s_and_b64 s[4:5], s[26:27], s[4:5]
	s_and_b64 vcc, exec, s[4:5]
	s_cbranch_vccnz .LBB207_56
; %bb.2:
	s_load_dwordx4 s[4:7], s[0:1], 0x18
	s_load_dwordx2 s[18:19], s[0:1], 0x28
	v_cmp_neq_f32_e64 s[16:17], s10, 0
	s_mov_b32 s13, 0
	s_and_b64 vcc, exec, s[16:17]
	s_cbranch_vccnz .LBB207_4
; %bb.3:
	s_mov_b64 s[20:21], 0
	s_cbranch_execz .LBB207_5
	s_branch .LBB207_6
.LBB207_4:
                                        ; implicit-def: $sgpr20_sgpr21
.LBB207_5:
	s_lshl_b64 s[14:15], s[12:13], 3
	s_waitcnt lgkmcnt(0)
	s_add_u32 s4, s4, s14
	s_addc_u32 s5, s5, s15
	s_load_dwordx2 s[4:5], s[4:5], 0x0
	s_lshl_b64 s[6:7], s[6:7], 2
	s_waitcnt lgkmcnt(0)
	s_add_u32 s20, s4, s6
	s_addc_u32 s21, s5, s7
.LBB207_6:
	s_waitcnt lgkmcnt(0)
	s_load_dwordx4 s[4:7], s[0:1], 0x38
	s_load_dwordx2 s[22:23], s[0:1], 0x48
	s_mov_b64 s[14:15], 0
	s_andn2_b64 vcc, exec, s[16:17]
	s_mov_b64 s[24:25], 0
	s_cbranch_vccnz .LBB207_8
; %bb.7:
	s_lshl_b64 s[16:17], s[12:13], 3
	s_waitcnt lgkmcnt(0)
	s_add_u32 s4, s4, s16
	s_addc_u32 s5, s5, s17
	s_load_dwordx2 s[4:5], s[4:5], 0x0
	s_lshl_b64 s[6:7], s[6:7], 2
	s_waitcnt lgkmcnt(0)
	s_add_u32 s24, s4, s6
	s_addc_u32 s25, s5, s7
.LBB207_8:
	s_waitcnt lgkmcnt(0)
	s_load_dwordx4 s[4:7], s[0:1], 0x68
	s_load_dwordx2 s[16:17], s[0:1], 0x78
	s_lshl_b64 s[0:1], s[12:13], 3
	v_and_b32_e32 v29, 0x3ff, v0
	v_bfe_u32 v30, v0, 10, 10
	s_waitcnt lgkmcnt(0)
	s_add_u32 s0, s4, s0
	s_addc_u32 s1, s5, s1
	s_load_dwordx2 s[0:1], s[0:1], 0x0
	s_lshl_b64 s[4:5], s[6:7], 2
	v_lshl_add_u32 v28, v30, 6, v29
	s_waitcnt lgkmcnt(0)
	s_add_u32 s12, s0, s4
	s_addc_u32 s13, s1, s5
	s_andn2_b64 vcc, exec, s[26:27]
	s_cbranch_vccnz .LBB207_15
; %bb.9:
	s_movk_i32 s0, 0x100
	v_cmp_gt_u32_e32 vcc, s0, v28
	s_mov_b64 s[0:1], 0
                                        ; implicit-def: $vgpr1
                                        ; implicit-def: $vgpr2_vgpr3
	s_and_saveexec_b64 s[4:5], vcc
	s_cbranch_execz .LBB207_16
; %bb.10:
	v_lshl_or_b32 v0, s2, 8, v28
	v_mov_b32_e32 v1, 0
	s_ashr_i32 s7, s8, 31
	s_mov_b32 s6, s8
	v_cmp_gt_i64_e32 vcc, s[6:7], v[0:1]
                                        ; implicit-def: $vgpr2_vgpr3
	s_and_saveexec_b64 s[6:7], vcc
	s_cbranch_execz .LBB207_14
; %bb.11:
	v_mad_u64_u32 v[2:3], s[26:27], v0, s16, 0
	v_mov_b32_e32 v4, v3
	v_cmp_eq_f32_e64 s[14:15], s11, 0
	v_mad_u64_u32 v[4:5], s[26:27], v0, s17, v[4:5]
	v_mov_b32_e32 v3, v4
	s_and_b64 vcc, exec, s[14:15]
	s_cbranch_vccnz .LBB207_13
; %bb.12:
	v_lshl_add_u64 v[0:1], v[2:3], 2, s[12:13]
	global_load_dword v0, v[0:1], off
	s_waitcnt vmcnt(0)
	v_mul_f32_e32 v1, s11, v0
.LBB207_13:
	s_mov_b64 s[14:15], exec
.LBB207_14:
	s_or_b64 exec, exec, s[6:7]
	s_and_b64 s[14:15], s[14:15], exec
	s_or_b64 exec, exec, s[4:5]
	s_and_b64 vcc, exec, s[0:1]
	s_cbranch_vccnz .LBB207_17
	s_branch .LBB207_54
.LBB207_15:
                                        ; implicit-def: $vgpr1
                                        ; implicit-def: $vgpr2_vgpr3
	s_cbranch_execnz .LBB207_17
	s_branch .LBB207_54
.LBB207_16:
	s_or_b64 exec, exec, s[4:5]
	s_and_b64 vcc, exec, s[0:1]
	s_cbranch_vccz .LBB207_54
.LBB207_17:
	s_ashr_i32 s0, s9, 31
	s_lshr_b32 s0, s0, 26
	s_add_i32 s44, s9, s0
	s_lshl_b32 s33, s2, 8
	s_andn2_b32 s44, s44, 63
	v_lshlrev_b32_e32 v35, 2, v30
	v_add_u32_e32 v0, s33, v29
	v_cmp_gt_i32_e32 vcc, s44, v35
	v_mov_b32_e32 v31, 0
	v_mov_b32_e32 v32, 0
	;; [unrolled: 1-line block ×4, first 2 shown]
	s_and_saveexec_b64 s[26:27], vcc
	s_cbranch_execz .LBB207_29
; %bb.18:
	v_add_u32_e32 v2, 64, v0
	v_cmp_gt_i32_e64 s[0:1], s8, v2
	v_add_u32_e32 v2, 0x80, v0
	v_ashrrev_i32_e32 v1, 31, v0
	v_cmp_gt_i32_e64 s[2:3], s8, v2
	v_add_u32_e32 v2, 0xc0, v0
	v_cmp_gt_i32_e64 s[4:5], s8, v2
	v_lshlrev_b64 v[2:3], 2, v[0:1]
	v_lshlrev_b32_e32 v1, 2, v30
	v_or_b32_e32 v15, 3, v1
	v_mad_u64_u32 v[4:5], s[6:7], s18, v15, 0
	v_mov_b32_e32 v6, v5
	v_mad_u64_u32 v[6:7], s[6:7], s19, v15, v[6:7]
	v_mov_b32_e32 v5, v6
	;; [unrolled: 2-line block ×6, first 2 shown]
	v_mov_b64_e32 v[10:11], s[22:23]
	v_mad_u64_u32 v[10:11], s[6:7], s22, v1, v[10:11]
	v_mov_b32_e32 v12, v11
	v_mad_u64_u32 v[12:13], s[6:7], s23, v1, v[12:13]
	v_mov_b32_e32 v11, v12
	;; [unrolled: 2-line block ×3, first 2 shown]
	v_mad_u64_u32 v[14:15], s[6:7], s23, v15, v[14:15]
	v_or_b32_e32 v21, 2, v1
	v_mov_b32_e32 v13, v14
	v_mad_u64_u32 v[14:15], s[6:7], s18, v21, 0
	v_mov_b32_e32 v16, v15
	v_mad_u64_u32 v[16:17], s[6:7], s19, v21, v[16:17]
	v_mov_b32_e32 v15, v16
	v_mov_b64_e32 v[16:17], s[18:19]
	v_mad_u64_u32 v[16:17], s[6:7], s18, v1, v[16:17]
	v_mov_b32_e32 v18, v17
	v_mad_u64_u32 v[18:19], s[6:7], s19, v1, v[18:19]
	v_mov_b32_e32 v17, v18
	v_mad_u64_u32 v[18:19], s[6:7], s22, v21, 0
	v_mov_b32_e32 v20, v19
	v_mad_u64_u32 v[20:21], s[6:7], s23, v21, v[20:21]
	v_mov_b32_e32 v19, v20
	v_cmp_gt_i32_e32 vcc, s8, v0
	v_lshl_add_u64 v[4:5], v[4:5], 2, s[20:21]
	s_lshl_b64 s[28:29], s[18:19], 8
	v_lshlrev_b64 v[6:7], 4, v[6:7]
	s_lshl_b64 s[30:31], s[22:23], 8
	v_lshl_add_u64 v[8:9], v[8:9], 4, s[20:21]
	v_lshlrev_b64 v[10:11], 2, v[10:11]
	v_lshlrev_b64 v[12:13], 2, v[12:13]
	v_lshl_add_u64 v[14:15], v[14:15], 2, s[20:21]
	v_lshl_add_u64 v[16:17], v[16:17], 2, s[20:21]
	v_lshlrev_b64 v[18:19], 2, v[18:19]
	s_mov_b64 s[34:35], 0
	v_mov_b32_e32 v31, 0
	s_mov_b64 s[36:37], s[24:25]
	v_mov_b32_e32 v32, 0
	v_mov_b32_e32 v33, 0
	;; [unrolled: 1-line block ×3, first 2 shown]
	s_branch .LBB207_23
.LBB207_19:                             ;   in Loop: Header=BB207_23 Depth=1
	s_or_b64 exec, exec, s[42:43]
	s_waitcnt vmcnt(0) lgkmcnt(0)
	v_fmac_f32_e32 v33, v38, v50
	v_fmac_f32_e32 v33, v37, v49
	;; [unrolled: 1-line block ×4, first 2 shown]
.LBB207_20:                             ;   in Loop: Header=BB207_23 Depth=1
	s_or_b64 exec, exec, s[40:41]
	s_waitcnt vmcnt(0) lgkmcnt(0)
	v_fmac_f32_e32 v32, v38, v46
	v_fmac_f32_e32 v32, v37, v45
	;; [unrolled: 1-line block ×4, first 2 shown]
.LBB207_21:                             ;   in Loop: Header=BB207_23 Depth=1
	s_or_b64 exec, exec, s[38:39]
	s_waitcnt vmcnt(0) lgkmcnt(0)
	v_fmac_f32_e32 v31, v38, v39
	v_fmac_f32_e32 v31, v37, v40
	;; [unrolled: 1-line block ×4, first 2 shown]
.LBB207_22:                             ;   in Loop: Header=BB207_23 Depth=1
	s_or_b64 exec, exec, s[6:7]
	v_add_u32_e32 v35, 64, v35
	s_add_u32 s36, s36, s30
	s_addc_u32 s37, s37, s31
	v_cmp_le_i32_e64 s[6:7], s44, v35
	v_lshl_add_u64 v[4:5], v[4:5], 0, s[28:29]
	v_lshl_add_u64 v[8:9], v[8:9], 0, s[28:29]
	;; [unrolled: 1-line block ×3, first 2 shown]
	s_or_b64 s[34:35], s[6:7], s[34:35]
	v_lshl_add_u64 v[16:17], v[16:17], 0, s[28:29]
	s_andn2_b64 exec, exec, s[34:35]
	s_cbranch_execz .LBB207_28
.LBB207_23:                             ; =>This Inner Loop Header: Depth=1
	s_and_saveexec_b64 s[6:7], vcc
	s_cbranch_execz .LBB207_22
; %bb.24:                               ;   in Loop: Header=BB207_23 Depth=1
	v_lshl_add_u64 v[20:21], s[36:37], 0, v[6:7]
	v_lshl_add_u64 v[22:23], s[36:37], 0, v[10:11]
	;; [unrolled: 1-line block ×4, first 2 shown]
	flat_load_dword v38, v[20:21]
	flat_load_dword v37, v[22:23]
	;; [unrolled: 1-line block ×4, first 2 shown]
	v_lshl_add_u64 v[20:21], v[8:9], 0, v[2:3]
	v_lshl_add_u64 v[22:23], v[16:17], 0, v[2:3]
	v_lshl_add_u64 v[24:25], v[14:15], 0, v[2:3]
	v_lshl_add_u64 v[26:27], v[4:5], 0, v[2:3]
	flat_load_dword v39, v[20:21]
	flat_load_dword v40, v[22:23]
	;; [unrolled: 1-line block ×4, first 2 shown]
	s_and_saveexec_b64 s[38:39], s[0:1]
	s_cbranch_execz .LBB207_21
; %bb.25:                               ;   in Loop: Header=BB207_23 Depth=1
	flat_load_dword v46, v[20:21] offset:256
	flat_load_dword v45, v[22:23] offset:256
	flat_load_dword v44, v[24:25] offset:256
	flat_load_dword v43, v[26:27] offset:256
	s_and_saveexec_b64 s[40:41], s[2:3]
	s_cbranch_execz .LBB207_20
; %bb.26:                               ;   in Loop: Header=BB207_23 Depth=1
	flat_load_dword v50, v[20:21] offset:512
	flat_load_dword v49, v[22:23] offset:512
	flat_load_dword v48, v[24:25] offset:512
	flat_load_dword v47, v[26:27] offset:512
	;; [unrolled: 7-line block ×3, first 2 shown]
	s_waitcnt vmcnt(0) lgkmcnt(0)
	v_fmac_f32_e32 v34, v38, v51
	v_fmac_f32_e32 v34, v37, v52
	;; [unrolled: 1-line block ×4, first 2 shown]
	s_branch .LBB207_19
.LBB207_28:
	s_or_b64 exec, exec, s[34:35]
.LBB207_29:
	s_or_b64 exec, exec, s[26:27]
	s_sub_i32 s0, s9, s44
	s_cmp_lt_i32 s0, 1
	s_cbranch_scc1 .LBB207_47
; %bb.30:
	v_cmp_gt_i32_e32 vcc, s9, v35
	v_mov_b32_e32 v11, 0
	v_or_b32_e32 v4, 1, v35
	v_mov_b32_e32 v13, 0
	v_mov_b32_e32 v12, 0
	;; [unrolled: 1-line block ×3, first 2 shown]
	s_and_saveexec_b64 s[2:3], vcc
	s_cbranch_execz .LBB207_38
; %bb.31:
	v_mad_u64_u32 v[2:3], s[0:1], v35, s22, 0
	v_mov_b32_e32 v6, v3
	v_mad_u64_u32 v[6:7], s[0:1], v35, s23, v[6:7]
	v_mov_b32_e32 v3, v6
	v_lshl_add_u64 v[2:3], v[2:3], 2, s[24:25]
	flat_load_dword v10, v[2:3]
	v_cmp_gt_i32_e64 s[0:1], s9, v4
	v_mov_b32_e32 v12, 0
	v_mov_b32_e32 v13, 0
	;; [unrolled: 1-line block ×3, first 2 shown]
	s_and_saveexec_b64 s[4:5], s[0:1]
	s_cbranch_execz .LBB207_37
; %bb.32:
	v_mad_u64_u32 v[2:3], s[0:1], v4, s22, 0
	v_mov_b32_e32 v6, v3
	v_mad_u64_u32 v[6:7], s[0:1], v4, s23, v[6:7]
	v_mov_b32_e32 v3, v6
	v_lshl_add_u64 v[2:3], v[2:3], 2, s[24:25]
	flat_load_dword v12, v[2:3]
	v_or_b32_e32 v1, 2, v35
	v_cmp_gt_i32_e64 s[0:1], s9, v1
	v_mov_b32_e32 v13, 0
	v_mov_b32_e32 v11, 0
	s_and_saveexec_b64 s[6:7], s[0:1]
	s_cbranch_execz .LBB207_36
; %bb.33:
	v_mad_u64_u32 v[2:3], s[0:1], v1, s22, 0
	v_mov_b32_e32 v6, v3
	v_mad_u64_u32 v[6:7], s[0:1], v1, s23, v[6:7]
	v_mov_b32_e32 v3, v6
	v_lshl_add_u64 v[2:3], v[2:3], 2, s[24:25]
	flat_load_dword v13, v[2:3]
	v_or_b32_e32 v1, 3, v35
	v_cmp_gt_i32_e64 s[0:1], s9, v1
	v_mov_b32_e32 v11, 0
	s_and_saveexec_b64 s[26:27], s[0:1]
	s_cbranch_execz .LBB207_35
; %bb.34:
	v_mad_u64_u32 v[2:3], s[0:1], v1, s22, 0
	v_mov_b32_e32 v6, v3
	v_mad_u64_u32 v[6:7], s[0:1], v1, s23, v[6:7]
	v_mov_b32_e32 v3, v6
	v_lshl_add_u64 v[2:3], v[2:3], 2, s[24:25]
	flat_load_dword v11, v[2:3]
.LBB207_35:
	s_or_b64 exec, exec, s[26:27]
.LBB207_36:
	s_or_b64 exec, exec, s[6:7]
.LBB207_37:
	s_or_b64 exec, exec, s[4:5]
.LBB207_38:
	s_or_b64 exec, exec, s[2:3]
	v_cmp_gt_i32_e64 s[0:1], s8, v0
	s_and_saveexec_b64 s[2:3], s[0:1]
	s_cbranch_execz .LBB207_46
; %bb.39:
	v_mad_u64_u32 v[2:3], s[0:1], v35, s18, 0
	v_mov_b32_e32 v6, v3
	v_mad_u64_u32 v[6:7], s[0:1], v35, s19, v[6:7]
	v_ashrrev_i32_e32 v1, 31, v0
	v_cndmask_b32_e32 v3, 0, v6, vcc
	v_mad_u64_u32 v[6:7], s[0:1], v4, s18, 0
	v_cndmask_b32_e32 v2, 0, v2, vcc
	v_lshlrev_b64 v[8:9], 2, v[0:1]
	v_mov_b32_e32 v14, v7
	v_cmp_gt_i32_e32 vcc, s9, v4
	v_or_b32_e32 v1, 2, v35
	v_mad_u64_u32 v[14:15], s[0:1], v4, s19, v[14:15]
	v_cndmask_b32_e32 v4, 0, v6, vcc
	v_mad_u64_u32 v[6:7], s[0:1], v1, s18, 0
	v_cndmask_b32_e32 v5, 0, v14, vcc
	v_mov_b32_e32 v14, v7
	v_mad_u64_u32 v[14:15], s[0:1], v1, s19, v[14:15]
	v_cmp_gt_i32_e32 vcc, s9, v1
	v_or_b32_e32 v1, 3, v35
	v_lshl_add_u64 v[2:3], v[2:3], 2, s[20:21]
	v_cndmask_b32_e32 v7, 0, v14, vcc
	v_mad_u64_u32 v[14:15], s[0:1], v1, s18, 0
	v_mov_b32_e32 v16, v15
	v_cndmask_b32_e32 v6, 0, v6, vcc
	v_mad_u64_u32 v[16:17], s[0:1], v1, s19, v[16:17]
	v_cmp_gt_i32_e32 vcc, s9, v1
	v_lshl_add_u64 v[2:3], v[2:3], 0, v[8:9]
	v_lshl_add_u64 v[4:5], v[4:5], 2, s[20:21]
	v_cndmask_b32_e32 v14, 0, v14, vcc
	v_cndmask_b32_e32 v15, 0, v16, vcc
	v_lshl_add_u64 v[6:7], v[6:7], 2, s[20:21]
	v_lshl_add_u64 v[14:15], v[14:15], 2, s[20:21]
	;; [unrolled: 1-line block ×4, first 2 shown]
	flat_load_dword v16, v[2:3]
	flat_load_dword v17, v[4:5]
	;; [unrolled: 1-line block ×3, first 2 shown]
	v_lshl_add_u64 v[8:9], v[14:15], 0, v[8:9]
	flat_load_dword v1, v[8:9]
	v_add_u32_e32 v14, 64, v0
	v_cmp_gt_i32_e32 vcc, s8, v14
	s_waitcnt vmcnt(0) lgkmcnt(0)
	v_fmac_f32_e32 v31, v10, v16
	v_fmac_f32_e32 v31, v12, v17
	v_fmac_f32_e32 v31, v13, v18
	s_and_saveexec_b64 s[0:1], vcc
	s_cbranch_execz .LBB207_45
; %bb.40:
	flat_load_dword v15, v[2:3] offset:256
	flat_load_dword v16, v[4:5] offset:256
	flat_load_dword v17, v[6:7] offset:256
	flat_load_dword v14, v[8:9] offset:256
	v_add_u32_e32 v18, 0x80, v0
	v_cmp_gt_i32_e32 vcc, s8, v18
	s_waitcnt vmcnt(0) lgkmcnt(0)
	v_fmac_f32_e32 v32, v10, v15
	v_fmac_f32_e32 v32, v12, v16
	v_fmac_f32_e32 v32, v13, v17
	s_and_saveexec_b64 s[4:5], vcc
	s_cbranch_execz .LBB207_44
; %bb.41:
	flat_load_dword v16, v[2:3] offset:512
	flat_load_dword v17, v[4:5] offset:512
	flat_load_dword v18, v[6:7] offset:512
	flat_load_dword v15, v[8:9] offset:512
	;; [unrolled: 13-line block ×3, first 2 shown]
	s_waitcnt vmcnt(0) lgkmcnt(0)
	v_fmac_f32_e32 v34, v10, v0
	v_fmac_f32_e32 v34, v12, v16
	;; [unrolled: 1-line block ×4, first 2 shown]
.LBB207_43:
	s_or_b64 exec, exec, s[6:7]
	v_fmac_f32_e32 v33, v11, v15
.LBB207_44:
	s_or_b64 exec, exec, s[4:5]
	v_fmac_f32_e32 v32, v11, v14
.LBB207_45:
	s_or_b64 exec, exec, s[0:1]
	v_fmac_f32_e32 v31, v11, v1
.LBB207_46:
	s_or_b64 exec, exec, s[2:3]
.LBB207_47:
	v_lshlrev_b32_e32 v0, 8, v30
	s_movk_i32 s0, 0x100
	v_add_lshl_u32 v0, v0, v29, 2
	v_cmp_gt_u32_e32 vcc, s0, v28
	ds_write2st64_b32 v0, v31, v32 offset1:1
	ds_write2st64_b32 v0, v33, v34 offset0:2 offset1:3
	s_waitcnt lgkmcnt(0)
	s_barrier
	s_waitcnt lgkmcnt(0)
                                        ; implicit-def: $vgpr1
                                        ; implicit-def: $vgpr2_vgpr3
	s_and_saveexec_b64 s[0:1], vcc
	s_cbranch_execz .LBB207_53
; %bb.48:
	s_waitcnt vmcnt(0)
	v_lshlrev_b32_e32 v10, 2, v28
	ds_read2st64_b32 v[0:1], v10 offset1:4
	ds_read2st64_b32 v[2:3], v10 offset0:8 offset1:12
	ds_read2st64_b32 v[4:5], v10 offset0:16 offset1:20
	;; [unrolled: 1-line block ×4, first 2 shown]
	s_waitcnt lgkmcnt(4)
	v_add_f32_e32 v0, v0, v1
	s_waitcnt lgkmcnt(3)
	v_add_f32_e32 v0, v2, v0
	v_add_f32_e32 v0, v3, v0
	s_waitcnt lgkmcnt(2)
	v_add_f32_e32 v0, v4, v0
	;; [unrolled: 3-line block ×3, first 2 shown]
	v_add_f32_e32 v2, v7, v0
	ds_read2st64_b32 v[0:1], v10 offset0:40 offset1:44
	s_waitcnt lgkmcnt(1)
	v_add_f32_e32 v4, v8, v2
	ds_read2st64_b32 v[2:3], v10 offset0:48 offset1:52
	v_add_f32_e32 v6, v9, v4
	ds_read2st64_b32 v[4:5], v10 offset0:56 offset1:60
	s_waitcnt lgkmcnt(2)
	v_add_f32_e32 v0, v0, v6
	v_add_f32_e32 v0, v1, v0
	s_waitcnt lgkmcnt(1)
	v_add_f32_e32 v0, v2, v0
	v_add_f32_e32 v0, v3, v0
	;; [unrolled: 3-line block ×3, first 2 shown]
	v_or_b32_e32 v0, s33, v28
	v_cmp_gt_i32_e32 vcc, s8, v0
	s_mov_b64 s[4:5], s[14:15]
	ds_write_b32 v10, v4
                                        ; implicit-def: $vgpr1
                                        ; implicit-def: $vgpr2_vgpr3
	s_and_saveexec_b64 s[2:3], vcc
	s_cbranch_execz .LBB207_52
; %bb.49:
	v_ashrrev_i32_e32 v2, 31, v0
	v_cmp_eq_f32_e64 s[4:5], s11, 0
	v_mul_f32_e32 v1, s10, v4
	v_mul_lo_u32 v4, v0, s17
	v_mul_lo_u32 v5, v2, s16
	v_mad_u64_u32 v[2:3], s[6:7], v0, s16, 0
	v_add3_u32 v3, v3, v4, v5
	s_and_b64 vcc, exec, s[4:5]
	s_cbranch_vccnz .LBB207_51
; %bb.50:
	v_lshl_add_u64 v[4:5], v[2:3], 2, s[12:13]
	global_load_dword v0, v[4:5], off
	s_waitcnt vmcnt(0)
	v_fmac_f32_e32 v1, s11, v0
.LBB207_51:
	s_or_b64 s[4:5], s[14:15], exec
.LBB207_52:
	s_or_b64 exec, exec, s[2:3]
	s_andn2_b64 s[2:3], s[14:15], exec
	s_and_b64 s[4:5], s[4:5], exec
	s_or_b64 s[14:15], s[2:3], s[4:5]
.LBB207_53:
	s_or_b64 exec, exec, s[0:1]
.LBB207_54:
	s_and_saveexec_b64 s[0:1], s[14:15]
	s_cbranch_execz .LBB207_56
; %bb.55:
	v_lshl_add_u64 v[2:3], v[2:3], 2, s[12:13]
	global_store_dword v[2:3], v1, off
.LBB207_56:
	s_endpgm
	.section	.rodata,"a",@progbits
	.p2align	6, 0x0
	.amdhsa_kernel _ZL20rocblas_gemvn_kernelILi64ELi16ElPKffKPfEviiT3_lPKT2_lT1_lS7_lS8_lS4_lPT4_lS8_li
		.amdhsa_group_segment_fixed_size 16384
		.amdhsa_private_segment_fixed_size 0
		.amdhsa_kernarg_size 400
		.amdhsa_user_sgpr_count 2
		.amdhsa_user_sgpr_dispatch_ptr 0
		.amdhsa_user_sgpr_queue_ptr 0
		.amdhsa_user_sgpr_kernarg_segment_ptr 1
		.amdhsa_user_sgpr_dispatch_id 0
		.amdhsa_user_sgpr_kernarg_preload_length 0
		.amdhsa_user_sgpr_kernarg_preload_offset 0
		.amdhsa_user_sgpr_private_segment_size 0
		.amdhsa_uses_dynamic_stack 0
		.amdhsa_enable_private_segment 0
		.amdhsa_system_sgpr_workgroup_id_x 1
		.amdhsa_system_sgpr_workgroup_id_y 0
		.amdhsa_system_sgpr_workgroup_id_z 1
		.amdhsa_system_sgpr_workgroup_info 0
		.amdhsa_system_vgpr_workitem_id 1
		.amdhsa_next_free_vgpr 55
		.amdhsa_next_free_sgpr 45
		.amdhsa_accum_offset 56
		.amdhsa_reserve_vcc 1
		.amdhsa_float_round_mode_32 0
		.amdhsa_float_round_mode_16_64 0
		.amdhsa_float_denorm_mode_32 3
		.amdhsa_float_denorm_mode_16_64 3
		.amdhsa_dx10_clamp 1
		.amdhsa_ieee_mode 1
		.amdhsa_fp16_overflow 0
		.amdhsa_tg_split 0
		.amdhsa_exception_fp_ieee_invalid_op 0
		.amdhsa_exception_fp_denorm_src 0
		.amdhsa_exception_fp_ieee_div_zero 0
		.amdhsa_exception_fp_ieee_overflow 0
		.amdhsa_exception_fp_ieee_underflow 0
		.amdhsa_exception_fp_ieee_inexact 0
		.amdhsa_exception_int_div_zero 0
	.end_amdhsa_kernel
	.section	.text._ZL20rocblas_gemvn_kernelILi64ELi16ElPKffKPfEviiT3_lPKT2_lT1_lS7_lS8_lS4_lPT4_lS8_li,"axG",@progbits,_ZL20rocblas_gemvn_kernelILi64ELi16ElPKffKPfEviiT3_lPKT2_lT1_lS7_lS8_lS4_lPT4_lS8_li,comdat
.Lfunc_end207:
	.size	_ZL20rocblas_gemvn_kernelILi64ELi16ElPKffKPfEviiT3_lPKT2_lT1_lS7_lS8_lS4_lPT4_lS8_li, .Lfunc_end207-_ZL20rocblas_gemvn_kernelILi64ELi16ElPKffKPfEviiT3_lPKT2_lT1_lS7_lS8_lS4_lPT4_lS8_li
                                        ; -- End function
	.section	.AMDGPU.csdata,"",@progbits
; Kernel info:
; codeLenInByte = 2564
; NumSgprs: 51
; NumVgprs: 55
; NumAgprs: 0
; TotalNumVgprs: 55
; ScratchSize: 0
; MemoryBound: 0
; FloatMode: 240
; IeeeMode: 1
; LDSByteSize: 16384 bytes/workgroup (compile time only)
; SGPRBlocks: 6
; VGPRBlocks: 6
; NumSGPRsForWavesPerEU: 51
; NumVGPRsForWavesPerEU: 55
; AccumOffset: 56
; Occupancy: 8
; WaveLimiterHint : 1
; COMPUTE_PGM_RSRC2:SCRATCH_EN: 0
; COMPUTE_PGM_RSRC2:USER_SGPR: 2
; COMPUTE_PGM_RSRC2:TRAP_HANDLER: 0
; COMPUTE_PGM_RSRC2:TGID_X_EN: 1
; COMPUTE_PGM_RSRC2:TGID_Y_EN: 0
; COMPUTE_PGM_RSRC2:TGID_Z_EN: 1
; COMPUTE_PGM_RSRC2:TIDIG_COMP_CNT: 1
; COMPUTE_PGM_RSRC3_GFX90A:ACCUM_OFFSET: 13
; COMPUTE_PGM_RSRC3_GFX90A:TG_SPLIT: 0
	.section	.text._ZL22rocblas_gemvtsm_kernelILb0ELi256EPKfS1_KPfEviiT2_lPKT1_lilS7_lilS4_lPT3_lil,"axG",@progbits,_ZL22rocblas_gemvtsm_kernelILb0ELi256EPKfS1_KPfEviiT2_lPKT1_lilS7_lilS4_lPT3_lil,comdat
	.globl	_ZL22rocblas_gemvtsm_kernelILb0ELi256EPKfS1_KPfEviiT2_lPKT1_lilS7_lilS4_lPT3_lil ; -- Begin function _ZL22rocblas_gemvtsm_kernelILb0ELi256EPKfS1_KPfEviiT2_lPKT1_lilS7_lilS4_lPT3_lil
	.p2align	8
	.type	_ZL22rocblas_gemvtsm_kernelILb0ELi256EPKfS1_KPfEviiT2_lPKT1_lilS7_lilS4_lPT3_lil,@function
_ZL22rocblas_gemvtsm_kernelILb0ELi256EPKfS1_KPfEviiT2_lPKT1_lilS7_lilS4_lPT3_lil: ; @_ZL22rocblas_gemvtsm_kernelILb0ELi256EPKfS1_KPfEviiT2_lPKT1_lilS7_lilS4_lPT3_lil
; %bb.0:
	s_load_dwordx8 s[12:19], s[0:1], 0x8
	s_load_dwordx8 s[4:11], s[0:1], 0x58
	s_waitcnt lgkmcnt(0)
	s_mul_i32 s3, s2, s15
	s_mul_hi_u32 s15, s2, s14
	s_add_i32 s15, s15, s3
	s_mul_i32 s14, s2, s14
	s_lshl_b64 s[14:15], s[14:15], 2
	s_add_u32 s12, s12, s14
	s_mul_i32 s3, s2, s7
	s_mul_hi_u32 s7, s2, s6
	s_addc_u32 s13, s13, s15
	s_add_i32 s7, s7, s3
	s_mul_i32 s6, s2, s6
	s_lshl_b64 s[6:7], s[6:7], 2
	s_add_u32 s4, s4, s6
	s_addc_u32 s5, s5, s7
	s_load_dword s23, s[12:13], 0x0
	s_load_dword s22, s[4:5], 0x0
	s_waitcnt lgkmcnt(0)
	v_cmp_eq_f32_e64 s[20:21], s23, 0
	v_cmp_eq_f32_e64 s[4:5], s22, 1.0
	s_and_b64 s[4:5], s[20:21], s[4:5]
	s_and_b64 vcc, exec, s[4:5]
	s_cbranch_vccnz .LBB208_38
; %bb.1:
	s_mov_b32 s3, 0
	v_cmp_neq_f32_e64 s[12:13], s23, 0
	s_mov_b64 s[6:7], 0
	s_and_b64 vcc, exec, s[20:21]
	s_mov_b64 s[4:5], 0
	s_cbranch_vccnz .LBB208_3
; %bb.2:
	s_lshl_b64 s[4:5], s[2:3], 3
	s_add_u32 s4, s16, s4
	s_addc_u32 s5, s17, s5
	s_load_dwordx2 s[4:5], s[4:5], 0x0
	s_lshl_b64 s[14:15], s[18:19], 2
	s_waitcnt lgkmcnt(0)
	s_add_u32 s4, s4, s14
	s_addc_u32 s5, s5, s15
.LBB208_3:
	s_andn2_b64 vcc, exec, s[12:13]
	s_cbranch_vccnz .LBB208_5
; %bb.4:
	s_load_dwordx4 s[12:15], s[0:1], 0x38
	s_lshl_b64 s[6:7], s[2:3], 3
	s_waitcnt lgkmcnt(0)
	s_add_u32 s6, s12, s6
	s_addc_u32 s7, s13, s7
	s_load_dwordx2 s[6:7], s[6:7], 0x0
	s_lshl_b64 s[12:13], s[14:15], 2
	s_waitcnt lgkmcnt(0)
	s_add_u32 s6, s6, s12
	s_addc_u32 s7, s7, s13
.LBB208_5:
	s_lshl_b64 s[2:3], s[2:3], 3
	s_add_u32 s2, s8, s2
	s_addc_u32 s3, s9, s3
	s_load_dwordx2 s[12:13], s[0:1], 0x0
	s_load_dword s14, s[0:1], 0x78
	s_load_dwordx2 s[8:9], s[2:3], 0x0
	s_andn2_b64 vcc, exec, s[20:21]
	s_mov_b64 s[2:3], -1
	s_cbranch_vccnz .LBB208_20
; %bb.6:
	s_waitcnt lgkmcnt(0)
	s_cmp_gt_i32 s13, 0
	s_cselect_b64 s[16:17], -1, 0
	v_cmp_neq_f32_e64 s[2:3], s22, 0
	v_cndmask_b32_e64 v1, 0, 1, s[16:17]
	s_and_b64 vcc, exec, s[2:3]
	v_cmp_ne_u32_e64 s[2:3], 1, v1
	s_cbranch_vccnz .LBB208_13
; %bb.7:
	s_and_b64 vcc, exec, s[2:3]
	s_cbranch_vccnz .LBB208_12
; %bb.8:
	v_mad_i64_i32 v[2:3], s[16:17], s14, v0, 0
	s_ashr_i32 s15, s14, 31
	s_lshl_b64 s[16:17], s[10:11], 2
	s_add_u32 s16, s8, s16
	s_addc_u32 s17, s9, s17
	v_lshl_add_u64 v[2:3], v[2:3], 2, s[16:17]
	s_lshl_b64 s[16:17], s[14:15], 10
	s_mov_b32 s15, 0
	v_mov_b32_e32 v1, 0
	s_branch .LBB208_10
.LBB208_9:                              ;   in Loop: Header=BB208_10 Depth=1
	s_or_b64 exec, exec, s[18:19]
	s_addk_i32 s15, 0x100
	s_cmp_ge_i32 s15, s13
	v_lshl_add_u64 v[2:3], v[2:3], 0, s[16:17]
	s_cbranch_scc1 .LBB208_12
.LBB208_10:                             ; =>This Inner Loop Header: Depth=1
	v_add_u32_e32 v4, s15, v0
	v_cmp_gt_i32_e32 vcc, s13, v4
	s_and_saveexec_b64 s[18:19], vcc
	s_cbranch_execz .LBB208_9
; %bb.11:                               ;   in Loop: Header=BB208_10 Depth=1
	global_store_dword v[2:3], v1, off
	s_branch .LBB208_9
.LBB208_12:
	s_cbranch_execz .LBB208_14
	s_branch .LBB208_19
.LBB208_13:
.LBB208_14:
	s_and_b64 vcc, exec, s[2:3]
	s_cbranch_vccnz .LBB208_19
; %bb.15:
	v_mad_i64_i32 v[2:3], s[2:3], s14, v0, 0
	s_ashr_i32 s15, s14, 31
	s_lshl_b64 s[2:3], s[10:11], 2
	s_add_u32 s2, s8, s2
	s_addc_u32 s3, s9, s3
	v_lshl_add_u64 v[2:3], v[2:3], 2, s[2:3]
	s_lshl_b64 s[2:3], s[14:15], 10
	s_mov_b32 s15, 0
	s_branch .LBB208_17
.LBB208_16:                             ;   in Loop: Header=BB208_17 Depth=1
	s_or_b64 exec, exec, s[16:17]
	s_addk_i32 s15, 0x100
	s_cmp_ge_i32 s15, s13
	v_lshl_add_u64 v[2:3], v[2:3], 0, s[2:3]
	s_cbranch_scc1 .LBB208_19
.LBB208_17:                             ; =>This Inner Loop Header: Depth=1
	v_add_u32_e32 v1, s15, v0
	v_cmp_gt_i32_e32 vcc, s13, v1
	s_and_saveexec_b64 s[16:17], vcc
	s_cbranch_execz .LBB208_16
; %bb.18:                               ;   in Loop: Header=BB208_17 Depth=1
	global_load_dword v1, v[2:3], off
	s_waitcnt vmcnt(0)
	v_mul_f32_e32 v1, s22, v1
	global_store_dword v[2:3], v1, off
	s_branch .LBB208_16
.LBB208_19:
	s_mov_b64 s[2:3], 0
.LBB208_20:
	s_andn2_b64 vcc, exec, s[2:3]
	s_cbranch_vccnz .LBB208_38
; %bb.21:
	s_waitcnt lgkmcnt(0)
	v_cmp_gt_i32_e32 vcc, s12, v0
	s_and_saveexec_b64 s[2:3], vcc
	s_cbranch_execz .LBB208_23
; %bb.22:
	s_load_dword s15, s[0:1], 0x48
	s_waitcnt lgkmcnt(0)
	v_mad_i64_i32 v[2:3], s[16:17], s15, v0, 0
	v_lshl_add_u64 v[2:3], v[2:3], 2, s[6:7]
	flat_load_dword v1, v[2:3]
	v_lshlrev_b32_e32 v2, 2, v0
	s_waitcnt vmcnt(0) lgkmcnt(0)
	v_mul_f32_e32 v1, s23, v1
	ds_write_b32 v2, v1
.LBB208_23:
	s_or_b64 exec, exec, s[2:3]
	s_cmp_lt_i32 s13, 1
	s_waitcnt lgkmcnt(0)
	s_barrier
	s_cbranch_scc1 .LBB208_38
; %bb.24:
	s_load_dword s0, s[0:1], 0x28
	s_lshl_b64 s[2:3], s[10:11], 2
	s_add_u32 s8, s8, s2
	s_addc_u32 s9, s9, s3
	s_ashr_i32 s15, s14, 31
	s_waitcnt lgkmcnt(0)
	s_ashr_i32 s1, s0, 31
	s_cmp_gt_i32 s12, 0
	s_cselect_b64 s[2:3], -1, 0
	s_and_b32 s20, s12, 7
	s_cmp_gt_u32 s12, 7
	s_cselect_b64 s[6:7], -1, 0
	s_and_b32 s12, s12, 0x7ffffff8
	s_cmp_lg_u32 s20, 0
	v_mad_i64_i32 v[2:3], s[16:17], s0, v0, 0
	s_cselect_b64 s[18:19], -1, 0
	s_lshl_b64 s[16:17], s[0:1], 10
	v_cmp_neq_f32_e64 s[0:1], s22, 0
	v_lshl_add_u64 v[2:3], v[2:3], 2, s[4:5]
	s_mov_b32 s11, 0
	v_cndmask_b32_e64 v1, 0, 1, s[0:1]
	v_cmp_ne_u32_e64 s[0:1], 1, v1
	v_cndmask_b32_e64 v1, 0, 1, s[2:3]
	v_cmp_ne_u32_e64 s[2:3], 1, v1
	;; [unrolled: 2-line block ×4, first 2 shown]
	s_mov_b32 s21, 0
	s_branch .LBB208_27
.LBB208_25:                             ;   in Loop: Header=BB208_27 Depth=1
	global_store_dword v[4:5], v1, off
.LBB208_26:                             ;   in Loop: Header=BB208_27 Depth=1
	s_or_b64 exec, exec, s[18:19]
	s_addk_i32 s21, 0x100
	s_cmp_ge_i32 s21, s13
	v_lshl_add_u64 v[2:3], v[2:3], 0, s[16:17]
	s_cbranch_scc1 .LBB208_38
.LBB208_27:                             ; =>This Loop Header: Depth=1
                                        ;     Child Loop BB208_33 Depth 2
                                        ;     Child Loop BB208_37 Depth 2
	v_add_u32_e32 v1, s21, v0
	v_cmp_gt_i32_e32 vcc, s13, v1
	s_and_saveexec_b64 s[18:19], vcc
	s_cbranch_execz .LBB208_26
; %bb.28:                               ;   in Loop: Header=BB208_27 Depth=1
	v_mad_u64_u32 v[4:5], s[24:25], v1, s14, 0
	v_mov_b32_e32 v6, v5
	v_mad_u64_u32 v[6:7], s[24:25], v1, s15, v[6:7]
	v_mov_b32_e32 v5, v6
	s_and_b64 vcc, exec, s[0:1]
	v_lshl_add_u64 v[4:5], v[4:5], 2, s[8:9]
	s_cbranch_vccnz .LBB208_30
; %bb.29:                               ;   in Loop: Header=BB208_27 Depth=1
	global_load_dword v1, v[4:5], off
	s_waitcnt vmcnt(0)
	v_mul_f32_e32 v1, s22, v1
	s_and_b64 vcc, exec, s[2:3]
	s_cbranch_vccz .LBB208_31
	s_branch .LBB208_25
.LBB208_30:                             ;   in Loop: Header=BB208_27 Depth=1
	v_mov_b32_e32 v1, 0
	s_and_b64 vcc, exec, s[2:3]
	s_cbranch_vccnz .LBB208_25
.LBB208_31:                             ;   in Loop: Header=BB208_27 Depth=1
	s_mov_b32 s10, 0
	s_and_b64 vcc, exec, s[4:5]
	s_cbranch_vccnz .LBB208_35
; %bb.32:                               ;   in Loop: Header=BB208_27 Depth=1
	s_mov_b32 s23, 0
	v_mov_b64_e32 v[6:7], v[2:3]
.LBB208_33:                             ;   Parent Loop BB208_27 Depth=1
                                        ; =>  This Inner Loop Header: Depth=2
	flat_load_dwordx4 v[8:11], v[6:7]
	flat_load_dwordx4 v[12:15], v[6:7] offset:16
	v_mov_b32_e32 v20, s10
	ds_read_b128 v[16:19], v20
	ds_read_b128 v[20:23], v20 offset:16
	s_add_i32 s23, s23, 8
	s_add_i32 s10, s10, 32
	v_lshl_add_u64 v[6:7], v[6:7], 0, 32
	s_cmp_eq_u32 s12, s23
	s_waitcnt vmcnt(0) lgkmcnt(0)
	v_fmac_f32_e32 v1, v16, v8
	v_fmac_f32_e32 v1, v17, v9
	v_fmac_f32_e32 v1, v18, v10
	v_fmac_f32_e32 v1, v19, v11
	v_fmac_f32_e32 v1, v20, v12
	v_fmac_f32_e32 v1, v21, v13
	v_fmac_f32_e32 v1, v22, v14
	v_fmac_f32_e32 v1, v23, v15
	s_cbranch_scc0 .LBB208_33
; %bb.34:                               ;   in Loop: Header=BB208_27 Depth=1
	s_mov_b32 s10, s12
.LBB208_35:                             ;   in Loop: Header=BB208_27 Depth=1
	s_and_b64 vcc, exec, s[6:7]
	s_cbranch_vccnz .LBB208_25
; %bb.36:                               ;   in Loop: Header=BB208_27 Depth=1
	s_lshl_b32 s23, s10, 2
	v_lshl_add_u64 v[6:7], s[10:11], 2, v[2:3]
	s_mov_b32 s10, s20
.LBB208_37:                             ;   Parent Loop BB208_27 Depth=1
                                        ; =>  This Inner Loop Header: Depth=2
	flat_load_dword v8, v[6:7]
	v_mov_b32_e32 v9, s23
	ds_read_b32 v9, v9
	s_add_i32 s23, s23, 4
	s_add_i32 s10, s10, -1
	v_lshl_add_u64 v[6:7], v[6:7], 0, 4
	s_cmp_lg_u32 s10, 0
	s_waitcnt vmcnt(0) lgkmcnt(0)
	v_fmac_f32_e32 v1, v9, v8
	s_cbranch_scc1 .LBB208_37
	s_branch .LBB208_25
.LBB208_38:
	s_endpgm
	.section	.rodata,"a",@progbits
	.p2align	6, 0x0
	.amdhsa_kernel _ZL22rocblas_gemvtsm_kernelILb0ELi256EPKfS1_KPfEviiT2_lPKT1_lilS7_lilS4_lPT3_lil
		.amdhsa_group_segment_fixed_size 256
		.amdhsa_private_segment_fixed_size 0
		.amdhsa_kernarg_size 136
		.amdhsa_user_sgpr_count 2
		.amdhsa_user_sgpr_dispatch_ptr 0
		.amdhsa_user_sgpr_queue_ptr 0
		.amdhsa_user_sgpr_kernarg_segment_ptr 1
		.amdhsa_user_sgpr_dispatch_id 0
		.amdhsa_user_sgpr_kernarg_preload_length 0
		.amdhsa_user_sgpr_kernarg_preload_offset 0
		.amdhsa_user_sgpr_private_segment_size 0
		.amdhsa_uses_dynamic_stack 0
		.amdhsa_enable_private_segment 0
		.amdhsa_system_sgpr_workgroup_id_x 1
		.amdhsa_system_sgpr_workgroup_id_y 0
		.amdhsa_system_sgpr_workgroup_id_z 0
		.amdhsa_system_sgpr_workgroup_info 0
		.amdhsa_system_vgpr_workitem_id 0
		.amdhsa_next_free_vgpr 24
		.amdhsa_next_free_sgpr 26
		.amdhsa_accum_offset 24
		.amdhsa_reserve_vcc 1
		.amdhsa_float_round_mode_32 0
		.amdhsa_float_round_mode_16_64 0
		.amdhsa_float_denorm_mode_32 3
		.amdhsa_float_denorm_mode_16_64 3
		.amdhsa_dx10_clamp 1
		.amdhsa_ieee_mode 1
		.amdhsa_fp16_overflow 0
		.amdhsa_tg_split 0
		.amdhsa_exception_fp_ieee_invalid_op 0
		.amdhsa_exception_fp_denorm_src 0
		.amdhsa_exception_fp_ieee_div_zero 0
		.amdhsa_exception_fp_ieee_overflow 0
		.amdhsa_exception_fp_ieee_underflow 0
		.amdhsa_exception_fp_ieee_inexact 0
		.amdhsa_exception_int_div_zero 0
	.end_amdhsa_kernel
	.section	.text._ZL22rocblas_gemvtsm_kernelILb0ELi256EPKfS1_KPfEviiT2_lPKT1_lilS7_lilS4_lPT3_lil,"axG",@progbits,_ZL22rocblas_gemvtsm_kernelILb0ELi256EPKfS1_KPfEviiT2_lPKT1_lilS7_lilS4_lPT3_lil,comdat
.Lfunc_end208:
	.size	_ZL22rocblas_gemvtsm_kernelILb0ELi256EPKfS1_KPfEviiT2_lPKT1_lilS7_lilS4_lPT3_lil, .Lfunc_end208-_ZL22rocblas_gemvtsm_kernelILb0ELi256EPKfS1_KPfEviiT2_lPKT1_lilS7_lilS4_lPT3_lil
                                        ; -- End function
	.section	.AMDGPU.csdata,"",@progbits
; Kernel info:
; codeLenInByte = 1180
; NumSgprs: 32
; NumVgprs: 24
; NumAgprs: 0
; TotalNumVgprs: 24
; ScratchSize: 0
; MemoryBound: 0
; FloatMode: 240
; IeeeMode: 1
; LDSByteSize: 256 bytes/workgroup (compile time only)
; SGPRBlocks: 3
; VGPRBlocks: 2
; NumSGPRsForWavesPerEU: 32
; NumVGPRsForWavesPerEU: 24
; AccumOffset: 24
; Occupancy: 8
; WaveLimiterHint : 1
; COMPUTE_PGM_RSRC2:SCRATCH_EN: 0
; COMPUTE_PGM_RSRC2:USER_SGPR: 2
; COMPUTE_PGM_RSRC2:TRAP_HANDLER: 0
; COMPUTE_PGM_RSRC2:TGID_X_EN: 1
; COMPUTE_PGM_RSRC2:TGID_Y_EN: 0
; COMPUTE_PGM_RSRC2:TGID_Z_EN: 0
; COMPUTE_PGM_RSRC2:TIDIG_COMP_CNT: 0
; COMPUTE_PGM_RSRC3_GFX90A:ACCUM_OFFSET: 5
; COMPUTE_PGM_RSRC3_GFX90A:TG_SPLIT: 0
	.section	.text._ZL22rocblas_gemvtsm_kernelILb0ELi256EPKffKPfEviiT2_lPKT1_lilS7_lilS4_lPT3_lil,"axG",@progbits,_ZL22rocblas_gemvtsm_kernelILb0ELi256EPKffKPfEviiT2_lPKT1_lilS7_lilS4_lPT3_lil,comdat
	.globl	_ZL22rocblas_gemvtsm_kernelILb0ELi256EPKffKPfEviiT2_lPKT1_lilS7_lilS4_lPT3_lil ; -- Begin function _ZL22rocblas_gemvtsm_kernelILb0ELi256EPKffKPfEviiT2_lPKT1_lilS7_lilS4_lPT3_lil
	.p2align	8
	.type	_ZL22rocblas_gemvtsm_kernelILb0ELi256EPKffKPfEviiT2_lPKT1_lilS7_lilS4_lPT3_lil,@function
_ZL22rocblas_gemvtsm_kernelILb0ELi256EPKffKPfEviiT2_lPKT1_lilS7_lilS4_lPT3_lil: ; @_ZL22rocblas_gemvtsm_kernelILb0ELi256EPKffKPfEviiT2_lPKT1_lilS7_lilS4_lPT3_lil
; %bb.0:
	s_load_dwordx4 s[8:11], s[0:1], 0x0
	s_load_dword s22, s[0:1], 0x58
	s_waitcnt lgkmcnt(0)
	v_cmp_eq_f32_e64 s[18:19], s10, 0
	v_cmp_eq_f32_e64 s[4:5], s22, 1.0
	s_and_b64 s[4:5], s[18:19], s[4:5]
	s_and_b64 vcc, exec, s[4:5]
	s_cbranch_vccnz .LBB209_41
; %bb.1:
	v_cmp_neq_f32_e64 s[4:5], s10, 0
	s_mov_b32 s3, 0
	s_and_b64 vcc, exec, s[4:5]
	s_cbranch_vccnz .LBB209_3
; %bb.2:
	s_mov_b64 s[14:15], 0
	s_cbranch_execz .LBB209_4
	s_branch .LBB209_5
.LBB209_3:
                                        ; implicit-def: $sgpr14_sgpr15
.LBB209_4:
	s_load_dwordx4 s[12:15], s[0:1], 0x18
	s_lshl_b64 s[6:7], s[2:3], 3
	s_waitcnt lgkmcnt(0)
	s_add_u32 s6, s12, s6
	s_addc_u32 s7, s13, s7
	s_load_dwordx2 s[6:7], s[6:7], 0x0
	s_lshl_b64 s[12:13], s[14:15], 2
	s_waitcnt lgkmcnt(0)
	s_add_u32 s14, s6, s12
	s_addc_u32 s15, s7, s13
.LBB209_5:
	s_andn2_b64 vcc, exec, s[4:5]
	s_cbranch_vccnz .LBB209_7
; %bb.6:
	s_load_dwordx4 s[4:7], s[0:1], 0x38
	s_lshl_b64 s[12:13], s[2:3], 3
	s_waitcnt lgkmcnt(0)
	s_add_u32 s4, s4, s12
	s_addc_u32 s5, s5, s13
	s_load_dwordx2 s[4:5], s[4:5], 0x0
	s_lshl_b64 s[6:7], s[6:7], 2
	s_waitcnt lgkmcnt(0)
	s_add_u32 s16, s4, s6
	s_addc_u32 s17, s5, s7
	s_branch .LBB209_8
.LBB209_7:
	s_mov_b64 s[16:17], 0
.LBB209_8:
	s_load_dwordx4 s[4:7], s[0:1], 0x68
	s_load_dword s12, s[0:1], 0x78
	s_lshl_b64 s[2:3], s[2:3], 3
	s_waitcnt lgkmcnt(0)
	s_add_u32 s2, s4, s2
	s_addc_u32 s3, s5, s3
	s_load_dwordx2 s[4:5], s[2:3], 0x0
	s_andn2_b64 vcc, exec, s[18:19]
	s_mov_b64 s[2:3], -1
	s_cbranch_vccnz .LBB209_23
; %bb.9:
	s_cmp_gt_i32 s9, 0
	s_cselect_b64 s[18:19], -1, 0
	v_cmp_neq_f32_e64 s[2:3], s22, 0
	v_cndmask_b32_e64 v1, 0, 1, s[18:19]
	s_and_b64 vcc, exec, s[2:3]
	v_cmp_ne_u32_e64 s[2:3], 1, v1
	s_cbranch_vccnz .LBB209_16
; %bb.10:
	s_and_b64 vcc, exec, s[2:3]
	s_cbranch_vccnz .LBB209_15
; %bb.11:
	v_mad_i64_i32 v[2:3], s[18:19], s12, v0, 0
	s_ashr_i32 s13, s12, 31
	s_lshl_b64 s[18:19], s[6:7], 2
	s_waitcnt lgkmcnt(0)
	s_add_u32 s18, s4, s18
	s_addc_u32 s19, s5, s19
	v_lshl_add_u64 v[2:3], v[2:3], 2, s[18:19]
	s_lshl_b64 s[18:19], s[12:13], 10
	s_mov_b32 s11, 0
	v_mov_b32_e32 v1, 0
	s_branch .LBB209_13
.LBB209_12:                             ;   in Loop: Header=BB209_13 Depth=1
	s_or_b64 exec, exec, s[20:21]
	s_addk_i32 s11, 0x100
	s_cmp_ge_i32 s11, s9
	v_lshl_add_u64 v[2:3], v[2:3], 0, s[18:19]
	s_cbranch_scc1 .LBB209_15
.LBB209_13:                             ; =>This Inner Loop Header: Depth=1
	v_add_u32_e32 v4, s11, v0
	v_cmp_gt_i32_e32 vcc, s9, v4
	s_and_saveexec_b64 s[20:21], vcc
	s_cbranch_execz .LBB209_12
; %bb.14:                               ;   in Loop: Header=BB209_13 Depth=1
	global_store_dword v[2:3], v1, off
	s_branch .LBB209_12
.LBB209_15:
	s_cbranch_execz .LBB209_17
	s_branch .LBB209_22
.LBB209_16:
.LBB209_17:
	s_and_b64 vcc, exec, s[2:3]
	s_cbranch_vccnz .LBB209_22
; %bb.18:
	v_mad_i64_i32 v[2:3], s[2:3], s12, v0, 0
	s_ashr_i32 s13, s12, 31
	s_lshl_b64 s[2:3], s[6:7], 2
	s_waitcnt lgkmcnt(0)
	s_add_u32 s2, s4, s2
	s_addc_u32 s3, s5, s3
	v_lshl_add_u64 v[2:3], v[2:3], 2, s[2:3]
	s_lshl_b64 s[2:3], s[12:13], 10
	s_mov_b32 s11, 0
	s_branch .LBB209_20
.LBB209_19:                             ;   in Loop: Header=BB209_20 Depth=1
	s_or_b64 exec, exec, s[18:19]
	s_addk_i32 s11, 0x100
	s_cmp_ge_i32 s11, s9
	v_lshl_add_u64 v[2:3], v[2:3], 0, s[2:3]
	s_cbranch_scc1 .LBB209_22
.LBB209_20:                             ; =>This Inner Loop Header: Depth=1
	v_add_u32_e32 v1, s11, v0
	v_cmp_gt_i32_e32 vcc, s9, v1
	s_and_saveexec_b64 s[18:19], vcc
	s_cbranch_execz .LBB209_19
; %bb.21:                               ;   in Loop: Header=BB209_20 Depth=1
	global_load_dword v1, v[2:3], off
	s_waitcnt vmcnt(0)
	v_mul_f32_e32 v1, s22, v1
	global_store_dword v[2:3], v1, off
	s_branch .LBB209_19
.LBB209_22:
	s_mov_b64 s[2:3], 0
.LBB209_23:
	s_andn2_b64 vcc, exec, s[2:3]
	s_cbranch_vccnz .LBB209_41
; %bb.24:
	v_cmp_gt_i32_e32 vcc, s8, v0
	s_and_saveexec_b64 s[2:3], vcc
	s_cbranch_execz .LBB209_26
; %bb.25:
	s_load_dword s11, s[0:1], 0x48
	s_waitcnt lgkmcnt(0)
	v_mad_i64_i32 v[2:3], s[18:19], s11, v0, 0
	v_lshl_add_u64 v[2:3], v[2:3], 2, s[16:17]
	flat_load_dword v1, v[2:3]
	v_lshlrev_b32_e32 v2, 2, v0
	s_waitcnt vmcnt(0) lgkmcnt(0)
	v_mul_f32_e32 v1, s10, v1
	ds_write_b32 v2, v1
.LBB209_26:
	s_or_b64 exec, exec, s[2:3]
	s_cmp_lt_i32 s9, 1
	s_waitcnt lgkmcnt(0)
	s_barrier
	s_cbranch_scc1 .LBB209_41
; %bb.27:
	s_load_dword s0, s[0:1], 0x28
	s_lshl_b64 s[2:3], s[6:7], 2
	s_add_u32 s10, s4, s2
	s_addc_u32 s11, s5, s3
	s_ashr_i32 s13, s12, 31
	s_waitcnt lgkmcnt(0)
	s_ashr_i32 s1, s0, 31
	s_cmp_gt_i32 s8, 0
	s_cselect_b64 s[2:3], -1, 0
	s_and_b32 s20, s8, 7
	s_cmp_gt_u32 s8, 7
	s_cselect_b64 s[4:5], -1, 0
	s_and_b32 s8, s8, 0x7ffffff8
	s_cmp_lg_u32 s20, 0
	v_mad_i64_i32 v[2:3], s[18:19], s0, v0, 0
	s_cselect_b64 s[6:7], -1, 0
	v_lshl_add_u64 v[2:3], v[2:3], 2, s[14:15]
	s_lshl_b64 s[14:15], s[0:1], 10
	v_cmp_neq_f32_e64 s[0:1], s22, 0
	s_mov_b32 s17, 0
	s_mov_b32 s21, 0
	v_cndmask_b32_e64 v1, 0, 1, s[0:1]
	v_cmp_ne_u32_e64 s[0:1], 1, v1
	v_cndmask_b32_e64 v1, 0, 1, s[2:3]
	v_cmp_ne_u32_e64 s[2:3], 1, v1
	;; [unrolled: 2-line block ×4, first 2 shown]
	s_branch .LBB209_30
.LBB209_28:                             ;   in Loop: Header=BB209_30 Depth=1
	global_store_dword v[4:5], v1, off
.LBB209_29:                             ;   in Loop: Header=BB209_30 Depth=1
	s_or_b64 exec, exec, s[18:19]
	s_addk_i32 s21, 0x100
	s_cmp_ge_i32 s21, s9
	v_lshl_add_u64 v[2:3], v[2:3], 0, s[14:15]
	s_cbranch_scc1 .LBB209_41
.LBB209_30:                             ; =>This Loop Header: Depth=1
                                        ;     Child Loop BB209_36 Depth 2
                                        ;     Child Loop BB209_40 Depth 2
	v_add_u32_e32 v1, s21, v0
	v_cmp_gt_i32_e32 vcc, s9, v1
	s_and_saveexec_b64 s[18:19], vcc
	s_cbranch_execz .LBB209_29
; %bb.31:                               ;   in Loop: Header=BB209_30 Depth=1
	v_mad_u64_u32 v[4:5], s[24:25], v1, s12, 0
	v_mov_b32_e32 v6, v5
	v_mad_u64_u32 v[6:7], s[24:25], v1, s13, v[6:7]
	v_mov_b32_e32 v5, v6
	s_and_b64 vcc, exec, s[0:1]
	v_lshl_add_u64 v[4:5], v[4:5], 2, s[10:11]
	s_cbranch_vccnz .LBB209_33
; %bb.32:                               ;   in Loop: Header=BB209_30 Depth=1
	global_load_dword v1, v[4:5], off
	s_waitcnt vmcnt(0)
	v_mul_f32_e32 v1, s22, v1
	s_and_b64 vcc, exec, s[2:3]
	s_cbranch_vccz .LBB209_34
	s_branch .LBB209_28
.LBB209_33:                             ;   in Loop: Header=BB209_30 Depth=1
	v_mov_b32_e32 v1, 0
	s_and_b64 vcc, exec, s[2:3]
	s_cbranch_vccnz .LBB209_28
.LBB209_34:                             ;   in Loop: Header=BB209_30 Depth=1
	s_mov_b32 s16, 0
	s_and_b64 vcc, exec, s[4:5]
	s_cbranch_vccnz .LBB209_38
; %bb.35:                               ;   in Loop: Header=BB209_30 Depth=1
	s_mov_b32 s23, 0
	v_mov_b64_e32 v[6:7], v[2:3]
.LBB209_36:                             ;   Parent Loop BB209_30 Depth=1
                                        ; =>  This Inner Loop Header: Depth=2
	flat_load_dwordx4 v[8:11], v[6:7]
	flat_load_dwordx4 v[12:15], v[6:7] offset:16
	v_mov_b32_e32 v20, s16
	ds_read_b128 v[16:19], v20
	ds_read_b128 v[20:23], v20 offset:16
	s_add_i32 s23, s23, 8
	s_add_i32 s16, s16, 32
	v_lshl_add_u64 v[6:7], v[6:7], 0, 32
	s_cmp_eq_u32 s8, s23
	s_waitcnt vmcnt(0) lgkmcnt(0)
	v_fmac_f32_e32 v1, v16, v8
	v_fmac_f32_e32 v1, v17, v9
	;; [unrolled: 1-line block ×8, first 2 shown]
	s_cbranch_scc0 .LBB209_36
; %bb.37:                               ;   in Loop: Header=BB209_30 Depth=1
	s_mov_b32 s16, s8
.LBB209_38:                             ;   in Loop: Header=BB209_30 Depth=1
	s_and_b64 vcc, exec, s[6:7]
	s_cbranch_vccnz .LBB209_28
; %bb.39:                               ;   in Loop: Header=BB209_30 Depth=1
	s_lshl_b32 s23, s16, 2
	v_lshl_add_u64 v[6:7], s[16:17], 2, v[2:3]
	s_mov_b32 s16, s20
.LBB209_40:                             ;   Parent Loop BB209_30 Depth=1
                                        ; =>  This Inner Loop Header: Depth=2
	flat_load_dword v8, v[6:7]
	v_mov_b32_e32 v9, s23
	ds_read_b32 v9, v9
	s_add_i32 s23, s23, 4
	s_add_i32 s16, s16, -1
	v_lshl_add_u64 v[6:7], v[6:7], 0, 4
	s_cmp_lg_u32 s16, 0
	s_waitcnt vmcnt(0) lgkmcnt(0)
	v_fmac_f32_e32 v1, v9, v8
	s_cbranch_scc1 .LBB209_40
	s_branch .LBB209_28
.LBB209_41:
	s_endpgm
	.section	.rodata,"a",@progbits
	.p2align	6, 0x0
	.amdhsa_kernel _ZL22rocblas_gemvtsm_kernelILb0ELi256EPKffKPfEviiT2_lPKT1_lilS7_lilS4_lPT3_lil
		.amdhsa_group_segment_fixed_size 256
		.amdhsa_private_segment_fixed_size 0
		.amdhsa_kernarg_size 136
		.amdhsa_user_sgpr_count 2
		.amdhsa_user_sgpr_dispatch_ptr 0
		.amdhsa_user_sgpr_queue_ptr 0
		.amdhsa_user_sgpr_kernarg_segment_ptr 1
		.amdhsa_user_sgpr_dispatch_id 0
		.amdhsa_user_sgpr_kernarg_preload_length 0
		.amdhsa_user_sgpr_kernarg_preload_offset 0
		.amdhsa_user_sgpr_private_segment_size 0
		.amdhsa_uses_dynamic_stack 0
		.amdhsa_enable_private_segment 0
		.amdhsa_system_sgpr_workgroup_id_x 1
		.amdhsa_system_sgpr_workgroup_id_y 0
		.amdhsa_system_sgpr_workgroup_id_z 0
		.amdhsa_system_sgpr_workgroup_info 0
		.amdhsa_system_vgpr_workitem_id 0
		.amdhsa_next_free_vgpr 24
		.amdhsa_next_free_sgpr 26
		.amdhsa_accum_offset 24
		.amdhsa_reserve_vcc 1
		.amdhsa_float_round_mode_32 0
		.amdhsa_float_round_mode_16_64 0
		.amdhsa_float_denorm_mode_32 3
		.amdhsa_float_denorm_mode_16_64 3
		.amdhsa_dx10_clamp 1
		.amdhsa_ieee_mode 1
		.amdhsa_fp16_overflow 0
		.amdhsa_tg_split 0
		.amdhsa_exception_fp_ieee_invalid_op 0
		.amdhsa_exception_fp_denorm_src 0
		.amdhsa_exception_fp_ieee_div_zero 0
		.amdhsa_exception_fp_ieee_overflow 0
		.amdhsa_exception_fp_ieee_underflow 0
		.amdhsa_exception_fp_ieee_inexact 0
		.amdhsa_exception_int_div_zero 0
	.end_amdhsa_kernel
	.section	.text._ZL22rocblas_gemvtsm_kernelILb0ELi256EPKffKPfEviiT2_lPKT1_lilS7_lilS4_lPT3_lil,"axG",@progbits,_ZL22rocblas_gemvtsm_kernelILb0ELi256EPKffKPfEviiT2_lPKT1_lilS7_lilS4_lPT3_lil,comdat
.Lfunc_end209:
	.size	_ZL22rocblas_gemvtsm_kernelILb0ELi256EPKffKPfEviiT2_lPKT1_lilS7_lilS4_lPT3_lil, .Lfunc_end209-_ZL22rocblas_gemvtsm_kernelILb0ELi256EPKffKPfEviiT2_lPKT1_lilS7_lilS4_lPT3_lil
                                        ; -- End function
	.section	.AMDGPU.csdata,"",@progbits
; Kernel info:
; codeLenInByte = 1132
; NumSgprs: 32
; NumVgprs: 24
; NumAgprs: 0
; TotalNumVgprs: 24
; ScratchSize: 0
; MemoryBound: 0
; FloatMode: 240
; IeeeMode: 1
; LDSByteSize: 256 bytes/workgroup (compile time only)
; SGPRBlocks: 3
; VGPRBlocks: 2
; NumSGPRsForWavesPerEU: 32
; NumVGPRsForWavesPerEU: 24
; AccumOffset: 24
; Occupancy: 8
; WaveLimiterHint : 1
; COMPUTE_PGM_RSRC2:SCRATCH_EN: 0
; COMPUTE_PGM_RSRC2:USER_SGPR: 2
; COMPUTE_PGM_RSRC2:TRAP_HANDLER: 0
; COMPUTE_PGM_RSRC2:TGID_X_EN: 1
; COMPUTE_PGM_RSRC2:TGID_Y_EN: 0
; COMPUTE_PGM_RSRC2:TGID_Z_EN: 0
; COMPUTE_PGM_RSRC2:TIDIG_COMP_CNT: 0
; COMPUTE_PGM_RSRC3_GFX90A:ACCUM_OFFSET: 5
; COMPUTE_PGM_RSRC3_GFX90A:TG_SPLIT: 0
	.section	.text._ZL23rocblas_gemvt_sn_kernelILb0ELi256ELi4EiPKfS1_fEviiT4_lPKT3_lilS5_lilPT5_i,"axG",@progbits,_ZL23rocblas_gemvt_sn_kernelILb0ELi256ELi4EiPKfS1_fEviiT4_lPKT3_lilS5_lilPT5_i,comdat
	.globl	_ZL23rocblas_gemvt_sn_kernelILb0ELi256ELi4EiPKfS1_fEviiT4_lPKT3_lilS5_lilPT5_i ; -- Begin function _ZL23rocblas_gemvt_sn_kernelILb0ELi256ELi4EiPKfS1_fEviiT4_lPKT3_lilS5_lilPT5_i
	.p2align	8
	.type	_ZL23rocblas_gemvt_sn_kernelILb0ELi256ELi4EiPKfS1_fEviiT4_lPKT3_lilS5_lilPT5_i,@function
_ZL23rocblas_gemvt_sn_kernelILb0ELi256ELi4EiPKfS1_fEviiT4_lPKT3_lilS5_lilPT5_i: ; @_ZL23rocblas_gemvt_sn_kernelILb0ELi256ELi4EiPKfS1_fEviiT4_lPKT3_lilS5_lilPT5_i
; %bb.0:
	s_load_dwordx8 s[4:11], s[0:1], 0x8
	s_mov_b32 s12, s3
	s_mov_b32 s13, 0
	s_mov_b64 s[22:23], 0
	s_waitcnt lgkmcnt(0)
	s_mul_i32 s3, s3, s7
	s_mul_hi_u32 s7, s12, s6
	s_add_i32 s7, s7, s3
	s_mul_i32 s6, s12, s6
	s_lshl_b64 s[6:7], s[6:7], 2
	s_add_u32 s4, s4, s6
	s_addc_u32 s5, s5, s7
	s_load_dword s33, s[4:5], 0x0
	s_mov_b64 s[4:5], 0
	s_waitcnt lgkmcnt(0)
	v_cmp_eq_f32_e64 s[14:15], s33, 0
	v_cmp_neq_f32_e64 s[6:7], s33, 0
	s_and_b64 vcc, exec, s[14:15]
	s_cbranch_vccnz .LBB210_2
; %bb.1:
	s_lshl_b64 s[4:5], s[12:13], 3
	s_add_u32 s4, s8, s4
	s_addc_u32 s5, s9, s5
	s_load_dwordx2 s[4:5], s[4:5], 0x0
	s_lshl_b64 s[8:9], s[10:11], 2
	s_waitcnt lgkmcnt(0)
	s_add_u32 s4, s4, s8
	s_addc_u32 s5, s5, s9
.LBB210_2:
	s_andn2_b64 vcc, exec, s[6:7]
	s_cbranch_vccnz .LBB210_4
; %bb.3:
	s_load_dwordx4 s[8:11], s[0:1], 0x38
	s_lshl_b64 s[6:7], s[12:13], 3
	s_waitcnt lgkmcnt(0)
	s_add_u32 s6, s8, s6
	s_addc_u32 s7, s9, s7
	s_load_dwordx2 s[6:7], s[6:7], 0x0
	s_lshl_b64 s[8:9], s[10:11], 2
	s_waitcnt lgkmcnt(0)
	s_add_u32 s22, s6, s8
	s_addc_u32 s23, s7, s9
.LBB210_4:
	s_load_dwordx2 s[24:25], s[0:1], 0x0
	s_load_dwordx2 s[6:7], s[0:1], 0x58
	s_load_dword s26, s[0:1], 0x68
	s_mov_b32 s27, 0
	s_waitcnt lgkmcnt(0)
	s_ashr_i32 s16, s25, 31
	s_mul_hi_u32 s3, s25, s12
	s_mul_i32 s8, s16, s12
	s_add_i32 s11, s3, s8
	s_mul_i32 s10, s25, s12
	s_mul_i32 s3, s11, s26
	s_mul_hi_u32 s8, s10, s26
	s_add_i32 s9, s8, s3
	s_mul_i32 s8, s10, s26
	s_lshl_b64 s[8:9], s[8:9], 2
	s_add_u32 s49, s6, s8
	s_addc_u32 s50, s7, s9
	s_andn2_b64 vcc, exec, s[14:15]
	s_mov_b64 s[8:9], -1
	s_cbranch_vccnz .LBB210_14
; %bb.5:
	s_cmp_gt_i32 s25, 0
	v_cmp_eq_u32_e32 vcc, 0, v0
	s_cselect_b64 s[8:9], -1, 0
	s_and_b64 s[12:13], vcc, s[8:9]
	s_and_saveexec_b64 s[8:9], s[12:13]
	s_cbranch_execz .LBB210_13
; %bb.6:
	s_cmp_gt_u32 s25, 1
	s_cselect_b64 s[12:13], -1, 0
	s_cmp_eq_u32 s26, 1
	s_cselect_b64 s[18:19], -1, 0
	s_mov_b32 s3, 0
	s_and_b64 s[12:13], s[12:13], s[18:19]
	s_mov_b64 s[14:15], -1
	s_andn2_b64 vcc, exec, s[12:13]
	s_mov_b32 s12, s3
	s_cbranch_vccnz .LBB210_10
; %bb.7:
	s_lshl_b64 s[12:13], s[2:3], 2
	s_add_u32 s14, s49, s12
	s_addc_u32 s15, s50, s13
	s_and_b32 s12, s25, 0x7ffffffe
	v_mov_b32_e32 v2, 0
	v_mov_b32_e32 v3, v2
	s_mov_b32 s13, s12
.LBB210_8:                              ; =>This Inner Loop Header: Depth=1
	global_store_dwordx2 v2, v[2:3], s[14:15]
	s_add_u32 s14, s14, 8
	s_addc_u32 s15, s15, 0
	s_add_i32 s13, s13, -2
	s_cmp_lg_u32 s13, 0
	s_cbranch_scc1 .LBB210_8
; %bb.9:
	s_cmp_lg_u32 s12, s25
	s_cselect_b64 s[14:15], -1, 0
.LBB210_10:
	s_and_b64 vcc, exec, s[14:15]
	s_cbranch_vccz .LBB210_13
; %bb.11:
	s_mov_b32 s13, 0
	s_sub_i32 s14, s25, s12
	s_lshl_b64 s[10:11], s[10:11], 2
	s_lshl_b64 s[12:13], s[12:13], 2
	s_add_u32 s10, s10, s12
	s_addc_u32 s11, s11, s13
	s_mul_i32 s11, s11, s26
	s_mul_hi_u32 s12, s10, s26
	s_add_i32 s12, s12, s11
	s_mul_i32 s13, s10, s26
	s_lshl_b64 s[10:11], s[2:3], 2
	s_add_u32 s3, s13, s10
	s_addc_u32 s10, s12, s11
	s_add_u32 s6, s6, s3
	s_addc_u32 s7, s7, s10
	s_lshl_b64 s[10:11], s[26:27], 2
	v_mov_b32_e32 v1, 0
.LBB210_12:                             ; =>This Inner Loop Header: Depth=1
	s_add_i32 s14, s14, -1
	global_store_dword v1, v1, s[6:7]
	s_add_u32 s6, s6, s10
	s_addc_u32 s7, s7, s11
	s_cmp_eq_u32 s14, 0
	s_cbranch_scc0 .LBB210_12
.LBB210_13:
	s_or_b64 exec, exec, s[8:9]
	s_mov_b64 s[8:9], 0
.LBB210_14:
	s_andn2_b64 vcc, exec, s[8:9]
	s_cbranch_vccnz .LBB210_88
; %bb.15:
	s_load_dword s28, s[0:1], 0x28
	s_load_dword s27, s[0:1], 0x48
	s_lshl_b32 s0, s2, 10
	v_lshl_or_b32 v2, v0, 2, s0
	s_lshr_b32 s0, s16, 30
	s_add_i32 s0, s25, s0
	s_and_b32 s3, s0, -4
	s_ashr_i32 s0, s24, 31
	s_lshr_b32 s0, s0, 30
	s_add_i32 s0, s24, s0
	s_and_b32 s0, s0, -4
	v_ashrrev_i32_e32 v3, 31, v2
	s_sub_i32 s48, s24, s0
	v_lshl_add_u64 v[6:7], v[2:3], 2, s[4:5]
	s_cmp_lt_i32 s3, 1
	v_add_u32_e32 v25, 4, v2
	v_add_u32_e32 v26, s48, v2
	v_and_b32_e32 v1, 63, v0
	v_cmp_gt_u32_e64 s[0:1], 64, v0
	v_mbcnt_lo_u32_b32 v24, -1, 0
	v_cmp_gt_u32_e64 s[4:5], 4, v0
	v_lshrrev_b32_e32 v9, 4, v0
	v_cmp_eq_u32_e64 s[6:7], 0, v0
	s_waitcnt lgkmcnt(0)
	v_mul_lo_u32 v8, v2, s27
	s_cbranch_scc1 .LBB210_63
; %bb.16:
	v_mbcnt_hi_u32_b32 v3, -1, v24
	v_and_b32_e32 v4, 63, v3
	v_cmp_gt_u32_e32 vcc, 32, v4
	v_mul_lo_u32 v10, v2, s27
	v_add_u32_e32 v2, s27, v10
	v_cndmask_b32_e64 v5, 0, 1, vcc
	v_lshlrev_b32_e32 v5, 5, v5
	v_cmp_gt_u32_e32 vcc, 48, v4
	v_add_lshl_u32 v27, v5, v3, 2
	s_mov_b32 s31, 0
	v_cndmask_b32_e64 v5, 0, 1, vcc
	v_lshlrev_b32_e32 v5, 4, v5
	v_cmp_gt_u32_e32 vcc, 56, v4
	v_add_lshl_u32 v28, v5, v3, 2
	s_cmp_gt_i32 s48, 0
	v_cndmask_b32_e64 v5, 0, 1, vcc
	v_lshlrev_b32_e32 v5, 3, v5
	v_cmp_gt_u32_e32 vcc, 60, v4
	v_add_lshl_u32 v29, v5, v3, 2
	s_cselect_b64 s[34:35], -1, 0
	v_cndmask_b32_e64 v5, 0, 1, vcc
	v_lshlrev_b32_e32 v5, 2, v5
	v_cmp_gt_u32_e32 vcc, 62, v4
	v_add_lshl_u32 v30, v5, v3, 2
	v_ashrrev_i32_e32 v11, 31, v10
	v_cndmask_b32_e64 v5, 0, 1, vcc
	v_lshlrev_b32_e32 v5, 1, v5
	v_cmp_ne_u32_e32 vcc, 63, v4
	v_add_lshl_u32 v31, v5, v3, 2
	s_mov_b32 s29, s31
	v_addc_co_u32_e32 v3, vcc, 0, v3, vcc
	v_lshlrev_b32_e32 v32, 2, v3
	v_ashrrev_i32_e32 v3, 31, v2
	v_lshl_add_u64 v[14:15], v[2:3], 2, s[22:23]
	v_add_u32_e32 v2, s27, v2
	v_ashrrev_i32_e32 v3, 31, v2
	v_lshl_add_u64 v[16:17], v[2:3], 2, s[22:23]
	v_add_u32_e32 v2, s27, v2
	v_ashrrev_i32_e32 v3, 31, v2
	s_lshl_b32 s30, s28, 1
	v_cmp_ge_i32_e64 s[8:9], s24, v25
	v_cmp_ge_i32_e64 s[10:11], s24, v26
	v_cmp_eq_u32_e64 s[12:13], 0, v1
	v_lshlrev_b32_e32 v33, 2, v1
	v_and_b32_e32 v34, 12, v9
	v_lshl_add_u64 v[12:13], v[10:11], 2, s[22:23]
	v_lshl_add_u64 v[18:19], v[2:3], 2, s[22:23]
	s_lshl_b32 s51, s28, 2
	s_mul_i32 s52, s28, 3
	s_mov_b32 s53, s31
	v_mov_b32_e32 v11, 0
	s_mov_b32 s36, s31
	s_mov_b64 s[38:39], s[30:31]
	s_mov_b64 s[40:41], s[28:29]
	s_mov_b32 s29, 0
                                        ; implicit-def: $vgpr2_vgpr3_vgpr4_vgpr5
	s_branch .LBB210_18
.LBB210_17:                             ;   in Loop: Header=BB210_18 Depth=1
	s_or_b64 exec, exec, s[14:15]
	s_add_i32 s29, s29, 4
	s_add_u32 s40, s40, s51
	s_addc_u32 s41, s41, 0
	s_add_u32 s38, s38, s51
	s_addc_u32 s39, s39, 0
	;; [unrolled: 2-line block ×3, first 2 shown]
	s_add_i32 s36, s36, s51
	s_cmp_ge_i32 s29, s3
	s_cbranch_scc1 .LBB210_64
.LBB210_18:                             ; =>This Loop Header: Depth=1
                                        ;     Child Loop BB210_49 Depth 2
                                        ;     Child Loop BB210_52 Depth 2
                                        ; implicit-def: $vgpr21
                                        ; implicit-def: $vgpr35
                                        ; implicit-def: $vgpr36
	s_and_saveexec_b64 s[14:15], s[8:9]
	s_xor_b64 s[14:15], exec, s[14:15]
	s_cbranch_execnz .LBB210_45
; %bb.19:                               ;   in Loop: Header=BB210_18 Depth=1
	s_andn2_saveexec_b64 s[42:43], s[14:15]
	s_cbranch_execnz .LBB210_46
.LBB210_20:                             ;   in Loop: Header=BB210_18 Depth=1
	s_or_b64 exec, exec, s[42:43]
	s_and_saveexec_b64 s[14:15], s[0:1]
	s_cbranch_execz .LBB210_22
.LBB210_21:                             ;   in Loop: Header=BB210_18 Depth=1
	ds_write_b32 v33, v11
.LBB210_22:                             ;   in Loop: Header=BB210_18 Depth=1
	s_or_b64 exec, exec, s[14:15]
	ds_bpermute_b32 v22, v27, v36
	s_waitcnt lgkmcnt(0)
	s_barrier
	v_add_f32_e32 v22, v36, v22
	ds_bpermute_b32 v23, v28, v22
	s_waitcnt lgkmcnt(0)
	v_add_f32_e32 v22, v22, v23
	ds_bpermute_b32 v23, v29, v22
	s_waitcnt lgkmcnt(0)
	;; [unrolled: 3-line block ×4, first 2 shown]
	v_add_f32_e32 v22, v22, v23
	ds_bpermute_b32 v23, v32, v22
	s_and_saveexec_b64 s[14:15], s[12:13]
	s_cbranch_execz .LBB210_24
; %bb.23:                               ;   in Loop: Header=BB210_18 Depth=1
	s_waitcnt lgkmcnt(0)
	v_add_f32_e32 v22, v22, v23
	ds_write_b32 v34, v22
.LBB210_24:                             ;   in Loop: Header=BB210_18 Depth=1
	s_or_b64 exec, exec, s[14:15]
	v_mov_b32_e32 v22, 0
	s_waitcnt lgkmcnt(0)
	s_barrier
	s_and_saveexec_b64 s[14:15], s[4:5]
	s_cbranch_execnz .LBB210_54
; %bb.25:                               ;   in Loop: Header=BB210_18 Depth=1
	s_or_b64 exec, exec, s[14:15]
	s_and_saveexec_b64 s[14:15], s[0:1]
	s_cbranch_execnz .LBB210_55
.LBB210_26:                             ;   in Loop: Header=BB210_18 Depth=1
	s_or_b64 exec, exec, s[14:15]
	s_and_saveexec_b64 s[14:15], s[0:1]
	s_cbranch_execz .LBB210_28
.LBB210_27:                             ;   in Loop: Header=BB210_18 Depth=1
	ds_write_b32 v33, v11
.LBB210_28:                             ;   in Loop: Header=BB210_18 Depth=1
	s_or_b64 exec, exec, s[14:15]
	ds_bpermute_b32 v23, v27, v35
	s_waitcnt lgkmcnt(0)
	s_barrier
	v_add_f32_e32 v23, v35, v23
	ds_bpermute_b32 v35, v28, v23
	s_waitcnt lgkmcnt(0)
	v_add_f32_e32 v23, v23, v35
	ds_bpermute_b32 v35, v29, v23
	s_waitcnt lgkmcnt(0)
	;; [unrolled: 3-line block ×4, first 2 shown]
	v_add_f32_e32 v23, v23, v35
	ds_bpermute_b32 v35, v32, v23
	s_and_saveexec_b64 s[14:15], s[12:13]
	s_cbranch_execz .LBB210_30
; %bb.29:                               ;   in Loop: Header=BB210_18 Depth=1
	s_waitcnt lgkmcnt(0)
	v_add_f32_e32 v23, v23, v35
	ds_write_b32 v34, v23
.LBB210_30:                             ;   in Loop: Header=BB210_18 Depth=1
	s_or_b64 exec, exec, s[14:15]
	v_mov_b32_e32 v23, 0
	s_waitcnt lgkmcnt(0)
	s_barrier
	s_and_saveexec_b64 s[14:15], s[4:5]
	s_cbranch_execnz .LBB210_56
; %bb.31:                               ;   in Loop: Header=BB210_18 Depth=1
	s_or_b64 exec, exec, s[14:15]
	s_and_saveexec_b64 s[14:15], s[0:1]
	s_cbranch_execnz .LBB210_57
.LBB210_32:                             ;   in Loop: Header=BB210_18 Depth=1
	s_or_b64 exec, exec, s[14:15]
	s_and_saveexec_b64 s[14:15], s[0:1]
	s_cbranch_execz .LBB210_34
.LBB210_33:                             ;   in Loop: Header=BB210_18 Depth=1
	ds_write_b32 v33, v11
.LBB210_34:                             ;   in Loop: Header=BB210_18 Depth=1
	s_or_b64 exec, exec, s[14:15]
	ds_bpermute_b32 v35, v27, v20
	s_waitcnt lgkmcnt(0)
	s_barrier
	v_add_f32_e32 v20, v20, v35
	ds_bpermute_b32 v35, v28, v20
	s_waitcnt lgkmcnt(0)
	v_add_f32_e32 v20, v20, v35
	ds_bpermute_b32 v35, v29, v20
	s_waitcnt lgkmcnt(0)
	;; [unrolled: 3-line block ×4, first 2 shown]
	v_add_f32_e32 v20, v20, v35
	ds_bpermute_b32 v35, v32, v20
	s_and_saveexec_b64 s[14:15], s[12:13]
	s_cbranch_execz .LBB210_36
; %bb.35:                               ;   in Loop: Header=BB210_18 Depth=1
	s_waitcnt lgkmcnt(0)
	v_add_f32_e32 v20, v20, v35
	ds_write_b32 v34, v20
.LBB210_36:                             ;   in Loop: Header=BB210_18 Depth=1
	s_or_b64 exec, exec, s[14:15]
	v_mov_b32_e32 v20, 0
	s_waitcnt lgkmcnt(0)
	s_barrier
	s_and_saveexec_b64 s[14:15], s[4:5]
	s_cbranch_execnz .LBB210_58
; %bb.37:                               ;   in Loop: Header=BB210_18 Depth=1
	s_or_b64 exec, exec, s[14:15]
	s_and_saveexec_b64 s[14:15], s[0:1]
	s_cbranch_execnz .LBB210_59
.LBB210_38:                             ;   in Loop: Header=BB210_18 Depth=1
	s_or_b64 exec, exec, s[14:15]
	s_and_saveexec_b64 s[14:15], s[0:1]
	s_cbranch_execz .LBB210_40
.LBB210_39:                             ;   in Loop: Header=BB210_18 Depth=1
	ds_write_b32 v33, v11
.LBB210_40:                             ;   in Loop: Header=BB210_18 Depth=1
	s_or_b64 exec, exec, s[14:15]
	ds_bpermute_b32 v35, v27, v21
	s_waitcnt lgkmcnt(0)
	s_barrier
	v_add_f32_e32 v21, v21, v35
	ds_bpermute_b32 v35, v28, v21
	s_waitcnt lgkmcnt(0)
	v_add_f32_e32 v21, v21, v35
	ds_bpermute_b32 v35, v29, v21
	s_waitcnt lgkmcnt(0)
	;; [unrolled: 3-line block ×4, first 2 shown]
	v_add_f32_e32 v21, v21, v35
	ds_bpermute_b32 v35, v32, v21
	s_and_saveexec_b64 s[14:15], s[12:13]
	s_cbranch_execz .LBB210_42
; %bb.41:                               ;   in Loop: Header=BB210_18 Depth=1
	s_waitcnt lgkmcnt(0)
	v_add_f32_e32 v21, v21, v35
	ds_write_b32 v34, v21
.LBB210_42:                             ;   in Loop: Header=BB210_18 Depth=1
	s_or_b64 exec, exec, s[14:15]
	v_mov_b32_e32 v21, 0
	s_waitcnt lgkmcnt(0)
	s_barrier
	s_and_saveexec_b64 s[14:15], s[4:5]
	s_cbranch_execnz .LBB210_60
; %bb.43:                               ;   in Loop: Header=BB210_18 Depth=1
	s_or_b64 exec, exec, s[14:15]
	s_and_saveexec_b64 s[14:15], s[0:1]
	s_cbranch_execnz .LBB210_61
.LBB210_44:                             ;   in Loop: Header=BB210_18 Depth=1
	s_or_b64 exec, exec, s[14:15]
	s_and_saveexec_b64 s[14:15], s[6:7]
	s_cbranch_execz .LBB210_17
	s_branch .LBB210_62
.LBB210_45:                             ;   in Loop: Header=BB210_18 Depth=1
	s_mul_i32 s16, s29, s28
	s_ashr_i32 s17, s16, 31
	s_waitcnt lgkmcnt(0)
	v_lshl_add_u64 v[20:21], s[16:17], 2, v[6:7]
	s_add_i32 s16, s16, s28
	s_ashr_i32 s17, s16, 31
	v_lshl_add_u64 v[36:37], s[16:17], 2, v[6:7]
	s_add_i32 s16, s16, s28
	s_ashr_i32 s17, s16, 31
	flat_load_dword v2, v[12:13]
	flat_load_dword v3, v[14:15]
	;; [unrolled: 1-line block ×4, first 2 shown]
	v_lshl_add_u64 v[40:41], s[16:17], 2, v[6:7]
	flat_load_dwordx4 v[20:23], v[20:21]
	s_add_i32 s16, s16, s28
	flat_load_dwordx4 v[36:39], v[36:37]
	s_ashr_i32 s17, s16, 31
	v_lshl_add_u64 v[44:45], s[16:17], 2, v[6:7]
	flat_load_dwordx4 v[40:43], v[40:41]
	s_waitcnt vmcnt(0) lgkmcnt(0)
	v_pk_mul_f32 v[20:21], v[2:3], v[20:21]
	flat_load_dwordx4 v[44:47], v[44:45]
	v_add_f32_e32 v35, 0, v20
	v_pk_mul_f32 v[22:23], v[4:5], v[22:23]
	v_add_f32_e32 v21, v35, v21
	v_pk_mul_f32 v[36:37], v[2:3], v[36:37]
	v_add_f32_e32 v21, v21, v22
	v_mul_f32_e32 v20, v2, v40
	v_add_f32_e32 v35, 0, v36
	v_add_f32_e32 v36, v21, v23
	v_mul_f32_e32 v40, v3, v41
	v_pk_mul_f32 v[38:39], v[4:5], v[38:39]
	v_mul_f32_e32 v42, v4, v42
	v_mul_f32_e32 v48, v5, v43
	v_add_f32_e32 v35, v35, v37
	v_add_f32_e32 v22, v35, v38
	;; [unrolled: 1-line block ×3, first 2 shown]
	s_waitcnt vmcnt(0) lgkmcnt(0)
	v_pk_mul_f32 v[44:45], v[2:3], v[44:45]
	s_nop 0
	v_mov_b32_e32 v21, v44
	v_pk_mul_f32 v[46:47], v[4:5], v[46:47]
	v_mov_b32_e32 v41, v45
	v_pk_add_f32 v[20:21], v[20:21], 0 op_sel_hi:[1,0]
	v_mov_b32_e32 v43, v46
	v_pk_add_f32 v[20:21], v[20:21], v[40:41]
	v_mov_b32_e32 v49, v47
	v_pk_add_f32 v[20:21], v[20:21], v[42:43]
	s_nop 0
	v_pk_add_f32 v[20:21], v[20:21], v[48:49]
	s_andn2_saveexec_b64 s[42:43], s[14:15]
	s_cbranch_execz .LBB210_20
.LBB210_46:                             ;   in Loop: Header=BB210_18 Depth=1
	s_waitcnt lgkmcnt(0)
	v_mov_b32_e32 v21, 0
	v_mov_b32_e32 v20, 0
	;; [unrolled: 1-line block ×4, first 2 shown]
	s_and_saveexec_b64 s[44:45], s[10:11]
	s_cbranch_execz .LBB210_53
; %bb.47:                               ;   in Loop: Header=BB210_18 Depth=1
	v_cndmask_b32_e64 v20, 0, 1, s[34:35]
	v_cmp_ne_u32_e64 s[14:15], 1, v20
	s_andn2_b64 vcc, exec, s[34:35]
	s_cbranch_vccnz .LBB210_50
; %bb.48:                               ;   in Loop: Header=BB210_18 Depth=1
	s_mov_b64 s[46:47], 0
	v_mov_b32_e32 v20, v10
.LBB210_49:                             ;   Parent Loop BB210_18 Depth=1
                                        ; =>  This Inner Loop Header: Depth=2
	v_ashrrev_i32_e32 v21, 31, v20
	v_lshl_add_u64 v[22:23], v[20:21], 2, s[22:23]
	flat_load_dword v21, v[22:23]
	s_cmp_eq_u32 s46, 3
	s_cselect_b64 vcc, -1, 0
	s_cmp_eq_u32 s46, 2
	s_cselect_b64 s[16:17], -1, 0
	s_cmp_eq_u32 s46, 1
	s_cselect_b64 s[18:19], -1, 0
	;; [unrolled: 2-line block ×3, first 2 shown]
	s_add_u32 s46, s46, 1
	s_addc_u32 s47, s47, 0
	v_add_u32_e32 v20, s27, v20
	s_cmp_eq_u32 s48, s46
	s_waitcnt vmcnt(0) lgkmcnt(0)
	v_cndmask_b32_e32 v5, v5, v21, vcc
	v_cndmask_b32_e64 v4, v4, v21, s[16:17]
	v_cndmask_b32_e64 v3, v3, v21, s[18:19]
	;; [unrolled: 1-line block ×3, first 2 shown]
	s_cbranch_scc0 .LBB210_49
.LBB210_50:                             ;   in Loop: Header=BB210_18 Depth=1
	s_and_b64 vcc, exec, s[14:15]
	v_mov_b32_e32 v21, 0
	v_mov_b32_e32 v20, 0
	;; [unrolled: 1-line block ×4, first 2 shown]
	s_cbranch_vccnz .LBB210_53
; %bb.51:                               ;   in Loop: Header=BB210_18 Depth=1
	s_ashr_i32 s37, s36, 31
	v_mov_b32_e32 v36, 0
	v_lshl_add_u64 v[22:23], s[36:37], 2, v[6:7]
	s_mov_b64 s[14:15], 0
	v_mov_b32_e32 v35, 0
	v_mov_b32_e32 v20, 0
	;; [unrolled: 1-line block ×3, first 2 shown]
.LBB210_52:                             ;   Parent Loop BB210_18 Depth=1
                                        ; =>  This Inner Loop Header: Depth=2
	s_cmp_eq_u32 s14, 1
	s_cselect_b64 vcc, -1, 0
	s_cmp_eq_u32 s14, 2
	v_cndmask_b32_e32 v38, v2, v3, vcc
	s_cselect_b64 vcc, -1, 0
	s_cmp_eq_u32 s14, 3
	v_cndmask_b32_e32 v44, v38, v4, vcc
	s_cselect_b64 vcc, -1, 0
	s_add_i32 s16, s40, s14
	s_add_i32 s18, s38, s14
	;; [unrolled: 1-line block ×3, first 2 shown]
	s_ashr_i32 s17, s16, 31
	s_ashr_i32 s19, s18, 31
	;; [unrolled: 1-line block ×3, first 2 shown]
	v_lshl_add_u64 v[38:39], s[16:17], 2, v[6:7]
	flat_load_dword v37, v[22:23]
	v_lshl_add_u64 v[40:41], s[18:19], 2, v[6:7]
	v_lshl_add_u64 v[42:43], s[20:21], 2, v[6:7]
	flat_load_dword v38, v[38:39]
	s_nop 0
	flat_load_dword v39, v[40:41]
	flat_load_dword v45, v[42:43]
	s_add_u32 s14, s14, 1
	v_cndmask_b32_e32 v40, v44, v5, vcc
	s_addc_u32 s15, s15, 0
	v_lshl_add_u64 v[22:23], v[22:23], 0, 4
	s_cmp_lg_u32 s48, s14
	s_waitcnt vmcnt(0) lgkmcnt(0)
	v_fmac_f32_e32 v36, v40, v37
	v_fmac_f32_e32 v35, v40, v38
	v_fmac_f32_e32 v20, v40, v39
	v_fmac_f32_e32 v21, v40, v45
	s_cbranch_scc1 .LBB210_52
.LBB210_53:                             ;   in Loop: Header=BB210_18 Depth=1
	s_or_b64 exec, exec, s[44:45]
	s_or_b64 exec, exec, s[42:43]
	s_and_saveexec_b64 s[14:15], s[0:1]
	s_cbranch_execnz .LBB210_21
	s_branch .LBB210_22
.LBB210_54:                             ;   in Loop: Header=BB210_18 Depth=1
	ds_read_b32 v22, v33
	s_or_b64 exec, exec, s[14:15]
	s_and_saveexec_b64 s[14:15], s[0:1]
	s_cbranch_execz .LBB210_26
.LBB210_55:                             ;   in Loop: Header=BB210_18 Depth=1
	s_waitcnt lgkmcnt(0)
	ds_bpermute_b32 v23, v31, v22
	s_waitcnt lgkmcnt(0)
	v_add_f32_e32 v22, v22, v23
	ds_bpermute_b32 v23, v32, v22
	s_waitcnt lgkmcnt(0)
	v_add_f32_e32 v22, v22, v23
	s_or_b64 exec, exec, s[14:15]
	s_and_saveexec_b64 s[14:15], s[0:1]
	s_cbranch_execnz .LBB210_27
	s_branch .LBB210_28
.LBB210_56:                             ;   in Loop: Header=BB210_18 Depth=1
	ds_read_b32 v23, v33
	s_or_b64 exec, exec, s[14:15]
	s_and_saveexec_b64 s[14:15], s[0:1]
	s_cbranch_execz .LBB210_32
.LBB210_57:                             ;   in Loop: Header=BB210_18 Depth=1
	s_waitcnt lgkmcnt(0)
	ds_bpermute_b32 v35, v31, v23
	s_waitcnt lgkmcnt(0)
	v_add_f32_e32 v23, v23, v35
	ds_bpermute_b32 v35, v32, v23
	s_waitcnt lgkmcnt(0)
	v_add_f32_e32 v23, v23, v35
	s_or_b64 exec, exec, s[14:15]
	s_and_saveexec_b64 s[14:15], s[0:1]
	s_cbranch_execnz .LBB210_33
	s_branch .LBB210_34
.LBB210_58:                             ;   in Loop: Header=BB210_18 Depth=1
	ds_read_b32 v20, v33
	s_or_b64 exec, exec, s[14:15]
	s_and_saveexec_b64 s[14:15], s[0:1]
	s_cbranch_execz .LBB210_38
.LBB210_59:                             ;   in Loop: Header=BB210_18 Depth=1
	s_waitcnt lgkmcnt(0)
	ds_bpermute_b32 v35, v31, v20
	s_waitcnt lgkmcnt(0)
	v_add_f32_e32 v20, v20, v35
	ds_bpermute_b32 v35, v32, v20
	s_waitcnt lgkmcnt(0)
	v_add_f32_e32 v20, v20, v35
	s_or_b64 exec, exec, s[14:15]
	s_and_saveexec_b64 s[14:15], s[0:1]
	s_cbranch_execnz .LBB210_39
	s_branch .LBB210_40
.LBB210_60:                             ;   in Loop: Header=BB210_18 Depth=1
	ds_read_b32 v21, v33
	s_or_b64 exec, exec, s[14:15]
	s_and_saveexec_b64 s[14:15], s[0:1]
	s_cbranch_execz .LBB210_44
.LBB210_61:                             ;   in Loop: Header=BB210_18 Depth=1
	s_waitcnt lgkmcnt(0)
	ds_bpermute_b32 v35, v31, v21
	s_waitcnt lgkmcnt(0)
	v_add_f32_e32 v21, v21, v35
	ds_bpermute_b32 v35, v32, v21
	s_waitcnt lgkmcnt(0)
	v_add_f32_e32 v21, v21, v35
	s_or_b64 exec, exec, s[14:15]
	s_and_saveexec_b64 s[14:15], s[6:7]
	s_cbranch_execz .LBB210_17
.LBB210_62:                             ;   in Loop: Header=BB210_18 Depth=1
	s_mul_i32 s16, s29, s26
	s_add_i32 s30, s16, s2
	s_lshl_b64 s[16:17], s[30:31], 2
	s_add_u32 s16, s49, s16
	v_mul_f32_e32 v22, s33, v22
	s_addc_u32 s17, s50, s17
	s_add_i32 s30, s30, s26
	global_store_dword v11, v22, s[16:17]
	s_lshl_b64 s[16:17], s[30:31], 2
	s_add_u32 s16, s49, s16
	v_mul_f32_e32 v22, s33, v23
	s_addc_u32 s17, s50, s17
	s_add_i32 s30, s30, s26
	global_store_dword v11, v22, s[16:17]
	;; [unrolled: 6-line block ×3, first 2 shown]
	s_lshl_b64 s[16:17], s[30:31], 2
	s_add_u32 s16, s49, s16
	s_waitcnt lgkmcnt(0)
	v_mul_f32_e32 v20, s33, v21
	s_addc_u32 s17, s50, s17
	global_store_dword v11, v20, s[16:17]
	s_branch .LBB210_17
.LBB210_63:
	s_mov_b32 s29, 0
                                        ; implicit-def: $vgpr2_vgpr3_vgpr4_vgpr5
.LBB210_64:
	s_cmp_ge_i32 s29, s25
	s_cbranch_scc1 .LBB210_88
; %bb.65:
	v_mbcnt_hi_u32_b32 v10, -1, v24
	v_and_b32_e32 v11, 63, v10
	v_cmp_gt_u32_e32 vcc, 32, v11
	v_add_u32_e32 v14, s27, v8
	v_add_u32_e32 v16, s27, v14
	v_cndmask_b32_e64 v12, 0, 1, vcc
	v_lshlrev_b32_e32 v12, 5, v12
	v_cmp_gt_u32_e32 vcc, 48, v11
	s_waitcnt lgkmcnt(0)
	v_add_lshl_u32 v21, v12, v10, 2
	s_mov_b32 s3, 0
	v_cndmask_b32_e64 v12, 0, 1, vcc
	v_lshlrev_b32_e32 v12, 4, v12
	v_cmp_gt_u32_e32 vcc, 56, v11
	v_add_lshl_u32 v22, v12, v10, 2
	s_cmp_gt_i32 s48, 0
	v_cndmask_b32_e64 v12, 0, 1, vcc
	v_lshlrev_b32_e32 v12, 3, v12
	v_cmp_gt_u32_e32 vcc, 60, v11
	v_add_lshl_u32 v23, v12, v10, 2
	v_ashrrev_i32_e32 v15, 31, v14
	v_cndmask_b32_e64 v12, 0, 1, vcc
	v_lshlrev_b32_e32 v12, 2, v12
	v_cmp_gt_u32_e32 vcc, 62, v11
	v_add_lshl_u32 v24, v12, v10, 2
	v_ashrrev_i32_e32 v17, 31, v16
	v_cndmask_b32_e64 v12, 0, 1, vcc
	v_lshlrev_b32_e32 v12, 1, v12
	v_cmp_ge_i32_e64 s[0:1], s24, v25
	s_cselect_b64 s[30:31], -1, 0
	v_add_lshl_u32 v25, v12, v10, 2
	v_cmp_ne_u32_e32 vcc, 63, v11
	s_lshl_b64 s[14:15], s[2:3], 2
	v_lshl_add_u64 v[12:13], v[14:15], 2, s[22:23]
	v_lshl_add_u64 v[14:15], v[16:17], 2, s[22:23]
	v_add_u32_e32 v16, s27, v16
	v_lshlrev_b32_e32 v20, 2, v1
	v_addc_co_u32_e32 v10, vcc, 0, v10, vcc
	v_cmp_eq_u32_e64 s[8:9], 0, v1
	v_and_b32_e32 v1, 12, v9
	s_add_u32 s2, s49, s14
	v_ashrrev_i32_e32 v9, 31, v8
	v_ashrrev_i32_e32 v17, 31, v16
	v_cmp_ge_i32_e64 s[4:5], s24, v26
	v_cmp_gt_u32_e64 s[6:7], 64, v0
	v_lshlrev_b32_e32 v26, 2, v10
	v_cmp_gt_u32_e64 s[10:11], 4, v0
	v_cmp_eq_u32_e64 s[12:13], 0, v0
	s_addc_u32 s24, s50, s15
	v_lshl_add_u64 v[10:11], v[8:9], 2, s[22:23]
	v_lshl_add_u64 v[16:17], v[16:17], 2, s[22:23]
	s_mul_i32 s34, s29, s28
	v_mov_b32_e32 v9, 0
	s_branch .LBB210_67
.LBB210_66:                             ;   in Loop: Header=BB210_67 Depth=1
	s_or_b64 exec, exec, s[14:15]
	s_add_i32 s29, s29, 1
	s_add_i32 s34, s34, s28
	s_cmp_ge_i32 s29, s25
	s_cbranch_scc1 .LBB210_88
.LBB210_67:                             ; =>This Loop Header: Depth=1
                                        ;     Child Loop BB210_80 Depth 2
                                        ;     Child Loop BB210_83 Depth 2
	s_waitcnt lgkmcnt(0)
	v_mov_b32_e32 v0, s3
	s_and_saveexec_b64 s[14:15], s[0:1]
	s_xor_b64 s[14:15], exec, s[14:15]
	s_cbranch_execnz .LBB210_76
; %bb.68:                               ;   in Loop: Header=BB210_67 Depth=1
	s_andn2_saveexec_b64 s[36:37], s[14:15]
	s_cbranch_execnz .LBB210_77
.LBB210_69:                             ;   in Loop: Header=BB210_67 Depth=1
	s_or_b64 exec, exec, s[36:37]
	s_and_saveexec_b64 s[14:15], s[6:7]
	s_cbranch_execz .LBB210_71
.LBB210_70:                             ;   in Loop: Header=BB210_67 Depth=1
	ds_write_b32 v20, v9
.LBB210_71:                             ;   in Loop: Header=BB210_67 Depth=1
	s_or_b64 exec, exec, s[14:15]
	ds_bpermute_b32 v18, v21, v0
	s_waitcnt lgkmcnt(0)
	s_barrier
	v_add_f32_e32 v0, v0, v18
	ds_bpermute_b32 v18, v22, v0
	s_waitcnt lgkmcnt(0)
	v_add_f32_e32 v0, v0, v18
	ds_bpermute_b32 v18, v23, v0
	s_waitcnt lgkmcnt(0)
	;; [unrolled: 3-line block ×4, first 2 shown]
	v_add_f32_e32 v0, v0, v18
	ds_bpermute_b32 v18, v26, v0
	s_and_saveexec_b64 s[14:15], s[8:9]
	s_cbranch_execz .LBB210_73
; %bb.72:                               ;   in Loop: Header=BB210_67 Depth=1
	s_waitcnt lgkmcnt(0)
	v_add_f32_e32 v0, v0, v18
	ds_write_b32 v1, v0
.LBB210_73:                             ;   in Loop: Header=BB210_67 Depth=1
	s_or_b64 exec, exec, s[14:15]
	v_mov_b32_e32 v0, 0
	s_waitcnt lgkmcnt(0)
	s_barrier
	s_and_saveexec_b64 s[14:15], s[10:11]
	s_cbranch_execnz .LBB210_85
; %bb.74:                               ;   in Loop: Header=BB210_67 Depth=1
	s_or_b64 exec, exec, s[14:15]
	s_and_saveexec_b64 s[14:15], s[6:7]
	s_cbranch_execnz .LBB210_86
.LBB210_75:                             ;   in Loop: Header=BB210_67 Depth=1
	s_or_b64 exec, exec, s[14:15]
	s_and_saveexec_b64 s[14:15], s[12:13]
	s_cbranch_execz .LBB210_66
	s_branch .LBB210_87
.LBB210_76:                             ;   in Loop: Header=BB210_67 Depth=1
	s_mul_i32 s16, s29, s28
	s_ashr_i32 s17, s16, 31
	v_lshl_add_u64 v[18:19], s[16:17], 2, v[6:7]
	flat_load_dwordx4 v[28:31], v[18:19]
	flat_load_dword v2, v[10:11]
	flat_load_dword v3, v[12:13]
	;; [unrolled: 1-line block ×4, first 2 shown]
	s_waitcnt vmcnt(0) lgkmcnt(0)
	v_pk_mul_f32 v[18:19], v[2:3], v[28:29]
	s_nop 0
	v_add_f32_e32 v0, 0, v18
	v_add_f32_e32 v0, v0, v19
	v_pk_mul_f32 v[18:19], v[4:5], v[30:31]
	s_nop 0
	v_add_f32_e32 v0, v0, v18
	v_add_f32_e32 v0, v0, v19
	s_andn2_saveexec_b64 s[36:37], s[14:15]
	s_cbranch_execz .LBB210_69
.LBB210_77:                             ;   in Loop: Header=BB210_67 Depth=1
	s_and_saveexec_b64 s[38:39], s[4:5]
	s_cbranch_execz .LBB210_84
; %bb.78:                               ;   in Loop: Header=BB210_67 Depth=1
	v_cndmask_b32_e64 v18, 0, 1, s[30:31]
	v_cmp_ne_u32_e64 s[14:15], 1, v18
	s_andn2_b64 vcc, exec, s[30:31]
	s_cbranch_vccnz .LBB210_81
; %bb.79:                               ;   in Loop: Header=BB210_67 Depth=1
	s_mov_b64 s[40:41], 0
	v_mov_b32_e32 v18, v8
.LBB210_80:                             ;   Parent Loop BB210_67 Depth=1
                                        ; =>  This Inner Loop Header: Depth=2
	v_ashrrev_i32_e32 v19, 31, v18
	v_lshl_add_u64 v[28:29], v[18:19], 2, s[22:23]
	flat_load_dword v19, v[28:29]
	s_cmp_eq_u32 s40, 3
	s_cselect_b64 vcc, -1, 0
	s_cmp_eq_u32 s40, 2
	s_cselect_b64 s[16:17], -1, 0
	s_cmp_eq_u32 s40, 1
	s_cselect_b64 s[18:19], -1, 0
	;; [unrolled: 2-line block ×3, first 2 shown]
	s_add_u32 s40, s40, 1
	s_addc_u32 s41, s41, 0
	v_add_u32_e32 v18, s27, v18
	s_cmp_eq_u32 s48, s40
	s_waitcnt vmcnt(0) lgkmcnt(0)
	v_cndmask_b32_e32 v5, v5, v19, vcc
	v_cndmask_b32_e64 v4, v4, v19, s[16:17]
	v_cndmask_b32_e64 v3, v3, v19, s[18:19]
	;; [unrolled: 1-line block ×3, first 2 shown]
	s_cbranch_scc0 .LBB210_80
.LBB210_81:                             ;   in Loop: Header=BB210_67 Depth=1
	s_and_b64 vcc, exec, s[14:15]
	s_cbranch_vccnz .LBB210_84
; %bb.82:                               ;   in Loop: Header=BB210_67 Depth=1
	s_ashr_i32 s35, s34, 31
	v_lshl_add_u64 v[18:19], s[34:35], 2, v[6:7]
	s_mov_b64 s[14:15], 0
.LBB210_83:                             ;   Parent Loop BB210_67 Depth=1
                                        ; =>  This Inner Loop Header: Depth=2
	flat_load_dword v27, v[18:19]
	s_cmp_eq_u32 s14, 1
	s_cselect_b64 vcc, -1, 0
	s_cmp_eq_u32 s14, 2
	v_cndmask_b32_e32 v28, v2, v3, vcc
	s_cselect_b64 vcc, -1, 0
	s_cmp_eq_u32 s14, 3
	v_cndmask_b32_e32 v28, v28, v4, vcc
	s_cselect_b64 vcc, -1, 0
	s_add_u32 s14, s14, 1
	v_cndmask_b32_e32 v28, v28, v5, vcc
	s_addc_u32 s15, s15, 0
	v_lshl_add_u64 v[18:19], v[18:19], 0, 4
	s_cmp_lg_u32 s48, s14
	s_waitcnt vmcnt(0) lgkmcnt(0)
	v_fmac_f32_e32 v0, v28, v27
	s_cbranch_scc1 .LBB210_83
.LBB210_84:                             ;   in Loop: Header=BB210_67 Depth=1
	s_or_b64 exec, exec, s[38:39]
	s_or_b64 exec, exec, s[36:37]
	s_and_saveexec_b64 s[14:15], s[6:7]
	s_cbranch_execnz .LBB210_70
	s_branch .LBB210_71
.LBB210_85:                             ;   in Loop: Header=BB210_67 Depth=1
	ds_read_b32 v0, v20
	s_or_b64 exec, exec, s[14:15]
	s_and_saveexec_b64 s[14:15], s[6:7]
	s_cbranch_execz .LBB210_75
.LBB210_86:                             ;   in Loop: Header=BB210_67 Depth=1
	s_waitcnt lgkmcnt(0)
	ds_bpermute_b32 v18, v25, v0
	s_waitcnt lgkmcnt(0)
	v_add_f32_e32 v0, v0, v18
	ds_bpermute_b32 v18, v26, v0
	s_waitcnt lgkmcnt(0)
	v_add_f32_e32 v0, v0, v18
	s_or_b64 exec, exec, s[14:15]
	s_and_saveexec_b64 s[14:15], s[12:13]
	s_cbranch_execz .LBB210_66
.LBB210_87:                             ;   in Loop: Header=BB210_67 Depth=1
	s_mul_hi_u32 s17, s29, s26
	s_mul_i32 s16, s29, s26
	s_lshl_b64 s[16:17], s[16:17], 2
	s_add_u32 s16, s2, s16
	s_waitcnt lgkmcnt(0)
	v_mul_f32_e32 v0, s33, v0
	s_addc_u32 s17, s24, s17
	global_store_dword v9, v0, s[16:17]
	s_branch .LBB210_66
.LBB210_88:
	s_endpgm
	.section	.rodata,"a",@progbits
	.p2align	6, 0x0
	.amdhsa_kernel _ZL23rocblas_gemvt_sn_kernelILb0ELi256ELi4EiPKfS1_fEviiT4_lPKT3_lilS5_lilPT5_i
		.amdhsa_group_segment_fixed_size 256
		.amdhsa_private_segment_fixed_size 0
		.amdhsa_kernarg_size 360
		.amdhsa_user_sgpr_count 2
		.amdhsa_user_sgpr_dispatch_ptr 0
		.amdhsa_user_sgpr_queue_ptr 0
		.amdhsa_user_sgpr_kernarg_segment_ptr 1
		.amdhsa_user_sgpr_dispatch_id 0
		.amdhsa_user_sgpr_kernarg_preload_length 0
		.amdhsa_user_sgpr_kernarg_preload_offset 0
		.amdhsa_user_sgpr_private_segment_size 0
		.amdhsa_uses_dynamic_stack 0
		.amdhsa_enable_private_segment 0
		.amdhsa_system_sgpr_workgroup_id_x 1
		.amdhsa_system_sgpr_workgroup_id_y 0
		.amdhsa_system_sgpr_workgroup_id_z 1
		.amdhsa_system_sgpr_workgroup_info 0
		.amdhsa_system_vgpr_workitem_id 0
		.amdhsa_next_free_vgpr 50
		.amdhsa_next_free_sgpr 54
		.amdhsa_accum_offset 52
		.amdhsa_reserve_vcc 1
		.amdhsa_float_round_mode_32 0
		.amdhsa_float_round_mode_16_64 0
		.amdhsa_float_denorm_mode_32 3
		.amdhsa_float_denorm_mode_16_64 3
		.amdhsa_dx10_clamp 1
		.amdhsa_ieee_mode 1
		.amdhsa_fp16_overflow 0
		.amdhsa_tg_split 0
		.amdhsa_exception_fp_ieee_invalid_op 0
		.amdhsa_exception_fp_denorm_src 0
		.amdhsa_exception_fp_ieee_div_zero 0
		.amdhsa_exception_fp_ieee_overflow 0
		.amdhsa_exception_fp_ieee_underflow 0
		.amdhsa_exception_fp_ieee_inexact 0
		.amdhsa_exception_int_div_zero 0
	.end_amdhsa_kernel
	.section	.text._ZL23rocblas_gemvt_sn_kernelILb0ELi256ELi4EiPKfS1_fEviiT4_lPKT3_lilS5_lilPT5_i,"axG",@progbits,_ZL23rocblas_gemvt_sn_kernelILb0ELi256ELi4EiPKfS1_fEviiT4_lPKT3_lilS5_lilPT5_i,comdat
.Lfunc_end210:
	.size	_ZL23rocblas_gemvt_sn_kernelILb0ELi256ELi4EiPKfS1_fEviiT4_lPKT3_lilS5_lilPT5_i, .Lfunc_end210-_ZL23rocblas_gemvt_sn_kernelILb0ELi256ELi4EiPKfS1_fEviiT4_lPKT3_lilS5_lilPT5_i
                                        ; -- End function
	.section	.AMDGPU.csdata,"",@progbits
; Kernel info:
; codeLenInByte = 3900
; NumSgprs: 60
; NumVgprs: 50
; NumAgprs: 0
; TotalNumVgprs: 50
; ScratchSize: 0
; MemoryBound: 0
; FloatMode: 240
; IeeeMode: 1
; LDSByteSize: 256 bytes/workgroup (compile time only)
; SGPRBlocks: 7
; VGPRBlocks: 6
; NumSGPRsForWavesPerEU: 60
; NumVGPRsForWavesPerEU: 50
; AccumOffset: 52
; Occupancy: 8
; WaveLimiterHint : 0
; COMPUTE_PGM_RSRC2:SCRATCH_EN: 0
; COMPUTE_PGM_RSRC2:USER_SGPR: 2
; COMPUTE_PGM_RSRC2:TRAP_HANDLER: 0
; COMPUTE_PGM_RSRC2:TGID_X_EN: 1
; COMPUTE_PGM_RSRC2:TGID_Y_EN: 0
; COMPUTE_PGM_RSRC2:TGID_Z_EN: 1
; COMPUTE_PGM_RSRC2:TIDIG_COMP_CNT: 0
; COMPUTE_PGM_RSRC3_GFX90A:ACCUM_OFFSET: 12
; COMPUTE_PGM_RSRC3_GFX90A:TG_SPLIT: 0
	.section	.text._ZL23rocblas_gemvt_sn_kernelILb0ELi256ELi4ElPKfS1_fEviiT4_lPKT3_lilS5_lilPT5_i,"axG",@progbits,_ZL23rocblas_gemvt_sn_kernelILb0ELi256ELi4ElPKfS1_fEviiT4_lPKT3_lilS5_lilPT5_i,comdat
	.globl	_ZL23rocblas_gemvt_sn_kernelILb0ELi256ELi4ElPKfS1_fEviiT4_lPKT3_lilS5_lilPT5_i ; -- Begin function _ZL23rocblas_gemvt_sn_kernelILb0ELi256ELi4ElPKfS1_fEviiT4_lPKT3_lilS5_lilPT5_i
	.p2align	8
	.type	_ZL23rocblas_gemvt_sn_kernelILb0ELi256ELi4ElPKfS1_fEviiT4_lPKT3_lilS5_lilPT5_i,@function
_ZL23rocblas_gemvt_sn_kernelILb0ELi256ELi4ElPKfS1_fEviiT4_lPKT3_lilS5_lilPT5_i: ; @_ZL23rocblas_gemvt_sn_kernelILb0ELi256ELi4ElPKfS1_fEviiT4_lPKT3_lilS5_lilPT5_i
; %bb.0:
	s_load_dwordx8 s[4:11], s[0:1], 0x8
	s_mov_b32 s12, s3
	s_mov_b32 s13, 0
	s_mov_b64 s[30:31], 0
	s_mov_b64 s[28:29], 0
	s_waitcnt lgkmcnt(0)
	s_mul_i32 s3, s3, s7
	s_mul_hi_u32 s7, s12, s6
	s_add_i32 s7, s7, s3
	s_mul_i32 s6, s12, s6
	s_lshl_b64 s[6:7], s[6:7], 2
	s_add_u32 s4, s4, s6
	s_addc_u32 s5, s5, s7
	s_load_dword s33, s[4:5], 0x0
	s_waitcnt lgkmcnt(0)
	v_cmp_eq_f32_e64 s[6:7], s33, 0
	v_cmp_neq_f32_e64 s[4:5], s33, 0
	s_and_b64 vcc, exec, s[6:7]
	s_cbranch_vccnz .LBB211_2
; %bb.1:
	s_lshl_b64 s[14:15], s[12:13], 3
	s_add_u32 s8, s8, s14
	s_addc_u32 s9, s9, s15
	s_load_dwordx2 s[8:9], s[8:9], 0x0
	s_lshl_b64 s[10:11], s[10:11], 2
	s_waitcnt lgkmcnt(0)
	s_add_u32 s28, s8, s10
	s_addc_u32 s29, s9, s11
.LBB211_2:
	s_andn2_b64 vcc, exec, s[4:5]
	s_cbranch_vccnz .LBB211_4
; %bb.3:
	s_load_dwordx4 s[8:11], s[0:1], 0x38
	s_lshl_b64 s[4:5], s[12:13], 3
	s_waitcnt lgkmcnt(0)
	s_add_u32 s4, s8, s4
	s_addc_u32 s5, s9, s5
	s_load_dwordx2 s[4:5], s[4:5], 0x0
	s_lshl_b64 s[8:9], s[10:11], 2
	s_waitcnt lgkmcnt(0)
	s_add_u32 s30, s4, s8
	s_addc_u32 s31, s5, s9
.LBB211_4:
	s_load_dwordx2 s[22:23], s[0:1], 0x0
	s_load_dwordx2 s[4:5], s[0:1], 0x58
	s_load_dword s24, s[0:1], 0x68
	s_mov_b32 s25, 0
	s_waitcnt lgkmcnt(0)
	s_ashr_i32 s14, s23, 31
	s_mul_hi_u32 s3, s23, s12
	s_mul_i32 s8, s14, s12
	s_add_i32 s9, s3, s8
	s_mul_i32 s8, s23, s12
	s_mul_i32 s3, s9, s24
	s_mul_hi_u32 s10, s8, s24
	s_add_i32 s11, s10, s3
	s_mul_i32 s10, s8, s24
	s_lshl_b64 s[10:11], s[10:11], 2
	s_add_u32 s54, s4, s10
	s_addc_u32 s55, s5, s11
	s_andn2_b64 vcc, exec, s[6:7]
	s_mov_b64 s[6:7], -1
	s_cbranch_vccnz .LBB211_14
; %bb.5:
	s_cmp_gt_i32 s23, 0
	v_cmp_eq_u32_e32 vcc, 0, v0
	s_cselect_b64 s[6:7], -1, 0
	s_and_b64 s[10:11], vcc, s[6:7]
	s_and_saveexec_b64 s[6:7], s[10:11]
	s_cbranch_execz .LBB211_13
; %bb.6:
	s_cmp_gt_u32 s23, 1
	s_cselect_b64 s[10:11], -1, 0
	s_cmp_eq_u32 s24, 1
	s_cselect_b64 s[16:17], -1, 0
	s_mov_b32 s3, 0
	s_and_b64 s[10:11], s[10:11], s[16:17]
	s_mov_b64 s[12:13], -1
	s_andn2_b64 vcc, exec, s[10:11]
	s_mov_b32 s10, s3
	s_cbranch_vccnz .LBB211_10
; %bb.7:
	s_lshl_b64 s[10:11], s[2:3], 2
	s_add_u32 s12, s54, s10
	s_addc_u32 s13, s55, s11
	s_and_b32 s10, s23, 0x7ffffffe
	v_mov_b32_e32 v2, 0
	v_mov_b32_e32 v3, v2
	s_mov_b32 s11, s10
.LBB211_8:                              ; =>This Inner Loop Header: Depth=1
	global_store_dwordx2 v2, v[2:3], s[12:13]
	s_add_u32 s12, s12, 8
	s_addc_u32 s13, s13, 0
	s_add_i32 s11, s11, -2
	s_cmp_lg_u32 s11, 0
	s_cbranch_scc1 .LBB211_8
; %bb.9:
	s_cmp_lg_u32 s10, s23
	s_cselect_b64 s[12:13], -1, 0
.LBB211_10:
	s_and_b64 vcc, exec, s[12:13]
	s_cbranch_vccz .LBB211_13
; %bb.11:
	s_mov_b32 s11, 0
	s_sub_i32 s12, s23, s10
	s_lshl_b64 s[8:9], s[8:9], 2
	s_lshl_b64 s[10:11], s[10:11], 2
	s_add_u32 s8, s8, s10
	s_addc_u32 s9, s9, s11
	s_mul_i32 s9, s9, s24
	s_mul_hi_u32 s10, s8, s24
	s_add_i32 s10, s10, s9
	s_mul_i32 s11, s8, s24
	s_lshl_b64 s[8:9], s[2:3], 2
	s_add_u32 s3, s11, s8
	s_addc_u32 s8, s10, s9
	s_add_u32 s4, s4, s3
	s_addc_u32 s5, s5, s8
	s_lshl_b64 s[8:9], s[24:25], 2
	v_mov_b32_e32 v1, 0
.LBB211_12:                             ; =>This Inner Loop Header: Depth=1
	s_add_i32 s12, s12, -1
	global_store_dword v1, v1, s[4:5]
	s_add_u32 s4, s4, s8
	s_addc_u32 s5, s5, s9
	s_cmp_eq_u32 s12, 0
	s_cbranch_scc0 .LBB211_12
.LBB211_13:
	s_or_b64 exec, exec, s[6:7]
	s_mov_b64 s[6:7], 0
.LBB211_14:
	s_andn2_b64 vcc, exec, s[6:7]
	s_cbranch_vccnz .LBB211_88
; %bb.15:
	s_load_dword s26, s[0:1], 0x28
	s_load_dword s34, s[0:1], 0x48
	s_lshl_b32 s0, s2, 10
	v_lshl_or_b32 v8, v0, 2, s0
	s_lshr_b32 s0, s14, 30
	s_add_i32 s0, s23, s0
	s_and_b32 s56, s0, -4
	s_ashr_i32 s0, s22, 31
	s_lshr_b32 s0, s0, 30
	s_add_i32 s0, s22, s0
	s_and_b32 s0, s0, -4
	s_waitcnt lgkmcnt(0)
	s_ashr_i32 s27, s26, 31
	s_ashr_i32 s35, s34, 31
	v_ashrrev_i32_e32 v9, 31, v8
	s_sub_i32 s25, s22, s0
	v_lshl_add_u64 v[6:7], v[8:9], 2, s[28:29]
	s_cmp_lt_i32 s56, 1
	v_add_u32_e32 v29, 4, v8
	v_add_u32_e32 v30, s25, v8
	v_and_b32_e32 v26, 63, v0
	v_cmp_gt_u32_e64 s[0:1], 64, v0
	v_mbcnt_lo_u32_b32 v28, -1, 0
	v_cmp_gt_u32_e64 s[4:5], 4, v0
	v_lshrrev_b32_e32 v27, 4, v0
	v_cmp_eq_u32_e64 s[6:7], 0, v0
	v_or_b32_e32 v25, 1, v8
	v_or_b32_e32 v24, 2, v8
	;; [unrolled: 1-line block ×3, first 2 shown]
	s_cbranch_scc1 .LBB211_63
; %bb.16:
	v_mbcnt_hi_u32_b32 v2, -1, v28
	v_and_b32_e32 v3, 63, v2
	v_cmp_gt_u32_e32 vcc, 32, v3
	s_mov_b32 s3, 0
	s_cmp_gt_i32 s25, 0
	v_cndmask_b32_e64 v4, 0, 1, vcc
	v_lshlrev_b32_e32 v4, 5, v4
	v_cmp_gt_u32_e32 vcc, 48, v3
	v_add_lshl_u32 v31, v4, v2, 2
	s_cselect_b64 s[36:37], -1, 0
	v_cndmask_b32_e64 v4, 0, 1, vcc
	v_lshlrev_b32_e32 v4, 4, v4
	v_cmp_gt_u32_e32 vcc, 56, v3
	v_add_lshl_u32 v32, v4, v2, 2
	s_lshl_b64 s[14:15], s[2:3], 2
	v_cndmask_b32_e64 v4, 0, 1, vcc
	v_lshlrev_b32_e32 v4, 3, v4
	v_cmp_gt_u32_e32 vcc, 60, v3
	v_add_lshl_u32 v33, v4, v2, 2
	s_add_u32 s57, s54, s14
	v_cndmask_b32_e64 v4, 0, 1, vcc
	v_lshlrev_b32_e32 v4, 2, v4
	v_cmp_gt_u32_e32 vcc, 62, v3
	v_add_lshl_u32 v34, v4, v2, 2
	s_addc_u32 s58, s55, s15
	v_cndmask_b32_e64 v4, 0, 1, vcc
	v_lshlrev_b32_e32 v4, 1, v4
	v_cmp_ne_u32_e32 vcc, 63, v3
	v_add_lshl_u32 v35, v4, v2, 2
	v_cmp_ge_i32_e64 s[8:9], s22, v29
	v_addc_co_u32_e32 v2, vcc, 0, v2, vcc
	v_lshlrev_b32_e32 v36, 2, v2
	v_mad_i64_i32 v[2:3], s[14:15], s34, v8, 0
	v_lshl_add_u64 v[10:11], v[2:3], 2, s[30:31]
	v_mad_i64_i32 v[2:3], s[14:15], s34, v25, 0
	v_lshl_add_u64 v[12:13], v[2:3], 2, s[30:31]
	;; [unrolled: 2-line block ×3, first 2 shown]
	v_mad_i64_i32 v[2:3], s[14:15], s34, v1, 0
	v_cmp_ge_i32_e64 s[10:11], s22, v30
	v_cmp_eq_u32_e64 s[12:13], 0, v26
	v_lshlrev_b32_e32 v37, 2, v26
	v_and_b32_e32 v38, 12, v27
	v_lshl_add_u64 v[16:17], v[2:3], 2, s[30:31]
	s_lshl_b64 s[38:39], s[34:35], 2
	s_mul_hi_i32 s41, s26, 12
	s_mul_i32 s40, s26, 12
	s_lshl_b64 s[42:43], s[26:27], 4
	s_lshl_b64 s[44:45], s[26:27], 3
	;; [unrolled: 1-line block ×3, first 2 shown]
	v_mov_b32_e32 v39, 0
	v_mov_b64_e32 v[18:19], v[6:7]
                                        ; implicit-def: $vgpr2_vgpr3_vgpr4_vgpr5
	s_branch .LBB211_18
.LBB211_17:                             ;   in Loop: Header=BB211_18 Depth=1
	s_or_b64 exec, exec, s[14:15]
	s_add_i32 s3, s3, 4
	s_cmp_ge_i32 s3, s56
	v_lshl_add_u64 v[18:19], v[18:19], 0, s[42:43]
	s_cbranch_scc1 .LBB211_64
.LBB211_18:                             ; =>This Loop Header: Depth=1
                                        ;     Child Loop BB211_49 Depth 2
                                        ;     Child Loop BB211_52 Depth 2
                                        ; implicit-def: $vgpr21
                                        ; implicit-def: $vgpr40
                                        ; implicit-def: $vgpr41
	s_and_saveexec_b64 s[14:15], s[8:9]
	s_xor_b64 s[14:15], exec, s[14:15]
	s_cbranch_execnz .LBB211_45
; %bb.19:                               ;   in Loop: Header=BB211_18 Depth=1
	s_andn2_saveexec_b64 s[48:49], s[14:15]
	s_cbranch_execnz .LBB211_46
.LBB211_20:                             ;   in Loop: Header=BB211_18 Depth=1
	s_or_b64 exec, exec, s[48:49]
	s_and_saveexec_b64 s[14:15], s[0:1]
	s_cbranch_execz .LBB211_22
.LBB211_21:                             ;   in Loop: Header=BB211_18 Depth=1
	ds_write_b32 v37, v39
.LBB211_22:                             ;   in Loop: Header=BB211_18 Depth=1
	s_or_b64 exec, exec, s[14:15]
	ds_bpermute_b32 v22, v31, v41
	s_waitcnt lgkmcnt(0)
	s_barrier
	v_add_f32_e32 v22, v41, v22
	ds_bpermute_b32 v23, v32, v22
	s_waitcnt lgkmcnt(0)
	v_add_f32_e32 v22, v22, v23
	ds_bpermute_b32 v23, v33, v22
	s_waitcnt lgkmcnt(0)
	;; [unrolled: 3-line block ×4, first 2 shown]
	v_add_f32_e32 v22, v22, v23
	ds_bpermute_b32 v23, v36, v22
	s_and_saveexec_b64 s[14:15], s[12:13]
	s_cbranch_execz .LBB211_24
; %bb.23:                               ;   in Loop: Header=BB211_18 Depth=1
	s_waitcnt lgkmcnt(0)
	v_add_f32_e32 v22, v22, v23
	ds_write_b32 v38, v22
.LBB211_24:                             ;   in Loop: Header=BB211_18 Depth=1
	s_or_b64 exec, exec, s[14:15]
	v_mov_b32_e32 v22, 0
	s_waitcnt lgkmcnt(0)
	s_barrier
	s_and_saveexec_b64 s[14:15], s[4:5]
	s_cbranch_execnz .LBB211_54
; %bb.25:                               ;   in Loop: Header=BB211_18 Depth=1
	s_or_b64 exec, exec, s[14:15]
	s_and_saveexec_b64 s[14:15], s[0:1]
	s_cbranch_execnz .LBB211_55
.LBB211_26:                             ;   in Loop: Header=BB211_18 Depth=1
	s_or_b64 exec, exec, s[14:15]
	s_and_saveexec_b64 s[14:15], s[0:1]
	s_cbranch_execz .LBB211_28
.LBB211_27:                             ;   in Loop: Header=BB211_18 Depth=1
	ds_write_b32 v37, v39
.LBB211_28:                             ;   in Loop: Header=BB211_18 Depth=1
	s_or_b64 exec, exec, s[14:15]
	ds_bpermute_b32 v23, v31, v40
	s_waitcnt lgkmcnt(0)
	s_barrier
	v_add_f32_e32 v23, v40, v23
	ds_bpermute_b32 v40, v32, v23
	s_waitcnt lgkmcnt(0)
	v_add_f32_e32 v23, v23, v40
	ds_bpermute_b32 v40, v33, v23
	s_waitcnt lgkmcnt(0)
	;; [unrolled: 3-line block ×4, first 2 shown]
	v_add_f32_e32 v23, v23, v40
	ds_bpermute_b32 v40, v36, v23
	s_and_saveexec_b64 s[14:15], s[12:13]
	s_cbranch_execz .LBB211_30
; %bb.29:                               ;   in Loop: Header=BB211_18 Depth=1
	s_waitcnt lgkmcnt(0)
	v_add_f32_e32 v23, v23, v40
	ds_write_b32 v38, v23
.LBB211_30:                             ;   in Loop: Header=BB211_18 Depth=1
	s_or_b64 exec, exec, s[14:15]
	v_mov_b32_e32 v23, 0
	s_waitcnt lgkmcnt(0)
	s_barrier
	s_and_saveexec_b64 s[14:15], s[4:5]
	s_cbranch_execnz .LBB211_56
; %bb.31:                               ;   in Loop: Header=BB211_18 Depth=1
	s_or_b64 exec, exec, s[14:15]
	s_and_saveexec_b64 s[14:15], s[0:1]
	s_cbranch_execnz .LBB211_57
.LBB211_32:                             ;   in Loop: Header=BB211_18 Depth=1
	s_or_b64 exec, exec, s[14:15]
	s_and_saveexec_b64 s[14:15], s[0:1]
	s_cbranch_execz .LBB211_34
.LBB211_33:                             ;   in Loop: Header=BB211_18 Depth=1
	ds_write_b32 v37, v39
.LBB211_34:                             ;   in Loop: Header=BB211_18 Depth=1
	s_or_b64 exec, exec, s[14:15]
	ds_bpermute_b32 v40, v31, v20
	s_waitcnt lgkmcnt(0)
	s_barrier
	v_add_f32_e32 v20, v20, v40
	ds_bpermute_b32 v40, v32, v20
	s_waitcnt lgkmcnt(0)
	v_add_f32_e32 v20, v20, v40
	ds_bpermute_b32 v40, v33, v20
	s_waitcnt lgkmcnt(0)
	;; [unrolled: 3-line block ×4, first 2 shown]
	v_add_f32_e32 v20, v20, v40
	ds_bpermute_b32 v40, v36, v20
	s_and_saveexec_b64 s[14:15], s[12:13]
	s_cbranch_execz .LBB211_36
; %bb.35:                               ;   in Loop: Header=BB211_18 Depth=1
	s_waitcnt lgkmcnt(0)
	v_add_f32_e32 v20, v20, v40
	ds_write_b32 v38, v20
.LBB211_36:                             ;   in Loop: Header=BB211_18 Depth=1
	s_or_b64 exec, exec, s[14:15]
	v_mov_b32_e32 v20, 0
	s_waitcnt lgkmcnt(0)
	s_barrier
	s_and_saveexec_b64 s[14:15], s[4:5]
	s_cbranch_execnz .LBB211_58
; %bb.37:                               ;   in Loop: Header=BB211_18 Depth=1
	s_or_b64 exec, exec, s[14:15]
	s_and_saveexec_b64 s[14:15], s[0:1]
	s_cbranch_execnz .LBB211_59
.LBB211_38:                             ;   in Loop: Header=BB211_18 Depth=1
	s_or_b64 exec, exec, s[14:15]
	s_and_saveexec_b64 s[14:15], s[0:1]
	s_cbranch_execz .LBB211_40
.LBB211_39:                             ;   in Loop: Header=BB211_18 Depth=1
	ds_write_b32 v37, v39
.LBB211_40:                             ;   in Loop: Header=BB211_18 Depth=1
	s_or_b64 exec, exec, s[14:15]
	ds_bpermute_b32 v40, v31, v21
	s_waitcnt lgkmcnt(0)
	s_barrier
	v_add_f32_e32 v21, v21, v40
	ds_bpermute_b32 v40, v32, v21
	s_waitcnt lgkmcnt(0)
	v_add_f32_e32 v21, v21, v40
	ds_bpermute_b32 v40, v33, v21
	s_waitcnt lgkmcnt(0)
	;; [unrolled: 3-line block ×4, first 2 shown]
	v_add_f32_e32 v21, v21, v40
	ds_bpermute_b32 v40, v36, v21
	s_and_saveexec_b64 s[14:15], s[12:13]
	s_cbranch_execz .LBB211_42
; %bb.41:                               ;   in Loop: Header=BB211_18 Depth=1
	s_waitcnt lgkmcnt(0)
	v_add_f32_e32 v21, v21, v40
	ds_write_b32 v38, v21
.LBB211_42:                             ;   in Loop: Header=BB211_18 Depth=1
	s_or_b64 exec, exec, s[14:15]
	v_mov_b32_e32 v21, 0
	s_waitcnt lgkmcnt(0)
	s_barrier
	s_and_saveexec_b64 s[14:15], s[4:5]
	s_cbranch_execnz .LBB211_60
; %bb.43:                               ;   in Loop: Header=BB211_18 Depth=1
	s_or_b64 exec, exec, s[14:15]
	s_and_saveexec_b64 s[14:15], s[0:1]
	s_cbranch_execnz .LBB211_61
.LBB211_44:                             ;   in Loop: Header=BB211_18 Depth=1
	s_or_b64 exec, exec, s[14:15]
	s_and_saveexec_b64 s[14:15], s[6:7]
	s_cbranch_execz .LBB211_17
	s_branch .LBB211_62
.LBB211_45:                             ;   in Loop: Header=BB211_18 Depth=1
	s_mul_i32 s16, s3, s27
	s_mul_hi_u32 s17, s3, s26
	s_add_i32 s17, s17, s16
	s_mul_i32 s16, s3, s26
	v_lshl_add_u64 v[40:41], s[16:17], 2, v[6:7]
	s_or_b32 s16, s3, 1
	s_mul_i32 s17, s16, s27
	s_mul_hi_u32 s18, s16, s26
	s_add_i32 s17, s18, s17
	s_mul_i32 s16, s16, s26
	v_lshl_add_u64 v[44:45], s[16:17], 2, v[6:7]
	s_or_b32 s16, s3, 2
	s_mul_i32 s17, s16, s27
	s_mul_hi_u32 s18, s16, s26
	s_add_i32 s17, s18, s17
	s_mul_i32 s16, s16, s26
	s_waitcnt lgkmcnt(0)
	v_lshl_add_u64 v[20:21], s[16:17], 2, v[6:7]
	s_or_b32 s16, s3, 3
	s_mul_i32 s17, s16, s27
	s_mul_hi_u32 s18, s16, s26
	s_add_i32 s17, s18, s17
	s_mul_i32 s16, s16, s26
	v_lshl_add_u64 v[48:49], s[16:17], 2, v[6:7]
	flat_load_dword v3, v[12:13]
	flat_load_dword v4, v[14:15]
	;; [unrolled: 1-line block ×4, first 2 shown]
	s_nop 0
	flat_load_dwordx4 v[20:23], v[20:21]
	s_nop 0
	flat_load_dwordx4 v[40:43], v[40:41]
	s_waitcnt vmcnt(0) lgkmcnt(0)
	v_mul_f32_e32 v20, v2, v20
	flat_load_dwordx4 v[44:47], v[44:45]
	v_pk_mul_f32 v[40:41], v[2:3], v[40:41]
	flat_load_dwordx4 v[48:51], v[48:49]
	v_add_f32_e32 v40, 0, v40
	v_mul_f32_e32 v52, v3, v21
	v_pk_mul_f32 v[42:43], v[4:5], v[42:43]
	v_add_f32_e32 v40, v40, v41
	v_mul_f32_e32 v22, v4, v22
	v_mul_f32_e32 v54, v5, v23
	v_add_f32_e32 v40, v40, v42
	s_waitcnt vmcnt(0) lgkmcnt(0)
	v_pk_mul_f32 v[44:45], v[2:3], v[44:45]
	s_nop 0
	v_add_f32_e32 v41, 0, v44
	v_pk_mul_f32 v[48:49], v[2:3], v[48:49]
	v_pk_mul_f32 v[50:51], v[4:5], v[50:51]
	v_mov_b32_e32 v21, v48
	v_mov_b32_e32 v53, v49
	v_pk_add_f32 v[20:21], v[20:21], 0 op_sel_hi:[1,0]
	v_pk_mul_f32 v[46:47], v[4:5], v[46:47]
	v_mov_b32_e32 v23, v50
	v_add_f32_e32 v44, v41, v45
	v_pk_add_f32 v[20:21], v[20:21], v[52:53]
	v_add_f32_e32 v41, v40, v43
	v_add_f32_e32 v40, v44, v46
	v_pk_add_f32 v[20:21], v[20:21], v[22:23]
	v_mov_b32_e32 v55, v51
	v_add_f32_e32 v40, v40, v47
	v_pk_add_f32 v[20:21], v[20:21], v[54:55]
	s_andn2_saveexec_b64 s[48:49], s[14:15]
	s_cbranch_execz .LBB211_20
.LBB211_46:                             ;   in Loop: Header=BB211_18 Depth=1
	s_waitcnt lgkmcnt(0)
	v_mov_b32_e32 v21, 0
	v_mov_b32_e32 v20, 0
	v_mov_b32_e32 v40, 0
	v_mov_b32_e32 v41, 0
	s_and_saveexec_b64 s[50:51], s[10:11]
	s_cbranch_execz .LBB211_53
; %bb.47:                               ;   in Loop: Header=BB211_18 Depth=1
	v_cndmask_b32_e64 v20, 0, 1, s[36:37]
	v_cmp_ne_u32_e64 s[14:15], 1, v20
	s_andn2_b64 vcc, exec, s[36:37]
	s_cbranch_vccnz .LBB211_50
; %bb.48:                               ;   in Loop: Header=BB211_18 Depth=1
	s_mov_b64 s[52:53], 0
	v_mov_b64_e32 v[20:21], v[10:11]
.LBB211_49:                             ;   Parent Loop BB211_18 Depth=1
                                        ; =>  This Inner Loop Header: Depth=2
	flat_load_dword v22, v[20:21]
	s_cmp_eq_u32 s52, 3
	s_cselect_b64 vcc, -1, 0
	s_cmp_eq_u32 s52, 2
	s_cselect_b64 s[16:17], -1, 0
	s_cmp_eq_u32 s52, 1
	s_cselect_b64 s[18:19], -1, 0
	s_cmp_eq_u32 s52, 0
	s_cselect_b64 s[20:21], -1, 0
	s_add_u32 s52, s52, 1
	s_addc_u32 s53, s53, 0
	v_lshl_add_u64 v[20:21], v[20:21], 0, s[38:39]
	s_cmp_eq_u32 s25, s52
	s_waitcnt vmcnt(0) lgkmcnt(0)
	v_cndmask_b32_e32 v5, v5, v22, vcc
	v_cndmask_b32_e64 v4, v4, v22, s[16:17]
	v_cndmask_b32_e64 v3, v3, v22, s[18:19]
	;; [unrolled: 1-line block ×3, first 2 shown]
	s_cbranch_scc0 .LBB211_49
.LBB211_50:                             ;   in Loop: Header=BB211_18 Depth=1
	s_and_b64 vcc, exec, s[14:15]
	v_mov_b32_e32 v21, 0
	v_mov_b32_e32 v20, 0
	v_mov_b32_e32 v40, 0
	v_mov_b32_e32 v41, 0
	s_cbranch_vccnz .LBB211_53
; %bb.51:                               ;   in Loop: Header=BB211_18 Depth=1
	v_mov_b32_e32 v41, 0
	s_mov_b64 s[14:15], 0
	v_mov_b64_e32 v[22:23], v[18:19]
	v_mov_b32_e32 v40, 0
	v_mov_b32_e32 v20, 0
	;; [unrolled: 1-line block ×3, first 2 shown]
.LBB211_52:                             ;   Parent Loop BB211_18 Depth=1
                                        ; =>  This Inner Loop Header: Depth=2
	v_lshl_add_u64 v[42:43], v[22:23], 0, s[46:47]
	v_lshl_add_u64 v[44:45], v[22:23], 0, s[44:45]
	flat_load_dword v48, v[22:23]
	v_lshl_add_u64 v[46:47], v[22:23], 0, s[40:41]
	flat_load_dword v42, v[42:43]
	s_nop 0
	flat_load_dword v43, v[44:45]
	s_nop 0
	flat_load_dword v44, v[46:47]
	s_cmp_eq_u32 s14, 1
	s_cselect_b64 vcc, -1, 0
	s_cmp_eq_u32 s14, 2
	v_cndmask_b32_e32 v45, v2, v3, vcc
	s_cselect_b64 vcc, -1, 0
	s_cmp_eq_u32 s14, 3
	v_cndmask_b32_e32 v45, v45, v4, vcc
	s_cselect_b64 vcc, -1, 0
	s_add_u32 s14, s14, 1
	v_cndmask_b32_e32 v45, v45, v5, vcc
	s_addc_u32 s15, s15, 0
	v_lshl_add_u64 v[22:23], v[22:23], 0, 4
	s_cmp_lg_u32 s25, s14
	s_waitcnt vmcnt(0) lgkmcnt(0)
	v_fmac_f32_e32 v40, v45, v42
	v_fmac_f32_e32 v41, v45, v48
	;; [unrolled: 1-line block ×4, first 2 shown]
	s_cbranch_scc1 .LBB211_52
.LBB211_53:                             ;   in Loop: Header=BB211_18 Depth=1
	s_or_b64 exec, exec, s[50:51]
	s_or_b64 exec, exec, s[48:49]
	s_and_saveexec_b64 s[14:15], s[0:1]
	s_cbranch_execnz .LBB211_21
	s_branch .LBB211_22
.LBB211_54:                             ;   in Loop: Header=BB211_18 Depth=1
	ds_read_b32 v22, v37
	s_or_b64 exec, exec, s[14:15]
	s_and_saveexec_b64 s[14:15], s[0:1]
	s_cbranch_execz .LBB211_26
.LBB211_55:                             ;   in Loop: Header=BB211_18 Depth=1
	s_waitcnt lgkmcnt(0)
	ds_bpermute_b32 v23, v35, v22
	s_waitcnt lgkmcnt(0)
	v_add_f32_e32 v22, v22, v23
	ds_bpermute_b32 v23, v36, v22
	s_waitcnt lgkmcnt(0)
	v_add_f32_e32 v22, v22, v23
	s_or_b64 exec, exec, s[14:15]
	s_and_saveexec_b64 s[14:15], s[0:1]
	s_cbranch_execnz .LBB211_27
	s_branch .LBB211_28
.LBB211_56:                             ;   in Loop: Header=BB211_18 Depth=1
	ds_read_b32 v23, v37
	s_or_b64 exec, exec, s[14:15]
	s_and_saveexec_b64 s[14:15], s[0:1]
	s_cbranch_execz .LBB211_32
.LBB211_57:                             ;   in Loop: Header=BB211_18 Depth=1
	s_waitcnt lgkmcnt(0)
	ds_bpermute_b32 v40, v35, v23
	s_waitcnt lgkmcnt(0)
	v_add_f32_e32 v23, v23, v40
	ds_bpermute_b32 v40, v36, v23
	s_waitcnt lgkmcnt(0)
	v_add_f32_e32 v23, v23, v40
	s_or_b64 exec, exec, s[14:15]
	s_and_saveexec_b64 s[14:15], s[0:1]
	s_cbranch_execnz .LBB211_33
	s_branch .LBB211_34
.LBB211_58:                             ;   in Loop: Header=BB211_18 Depth=1
	ds_read_b32 v20, v37
	s_or_b64 exec, exec, s[14:15]
	s_and_saveexec_b64 s[14:15], s[0:1]
	s_cbranch_execz .LBB211_38
.LBB211_59:                             ;   in Loop: Header=BB211_18 Depth=1
	s_waitcnt lgkmcnt(0)
	ds_bpermute_b32 v40, v35, v20
	s_waitcnt lgkmcnt(0)
	v_add_f32_e32 v20, v20, v40
	ds_bpermute_b32 v40, v36, v20
	s_waitcnt lgkmcnt(0)
	v_add_f32_e32 v20, v20, v40
	s_or_b64 exec, exec, s[14:15]
	s_and_saveexec_b64 s[14:15], s[0:1]
	s_cbranch_execnz .LBB211_39
	s_branch .LBB211_40
.LBB211_60:                             ;   in Loop: Header=BB211_18 Depth=1
	ds_read_b32 v21, v37
	s_or_b64 exec, exec, s[14:15]
	s_and_saveexec_b64 s[14:15], s[0:1]
	s_cbranch_execz .LBB211_44
.LBB211_61:                             ;   in Loop: Header=BB211_18 Depth=1
	s_waitcnt lgkmcnt(0)
	ds_bpermute_b32 v40, v35, v21
	s_waitcnt lgkmcnt(0)
	v_add_f32_e32 v21, v21, v40
	ds_bpermute_b32 v40, v36, v21
	s_waitcnt lgkmcnt(0)
	v_add_f32_e32 v21, v21, v40
	s_or_b64 exec, exec, s[14:15]
	s_and_saveexec_b64 s[14:15], s[6:7]
	s_cbranch_execz .LBB211_17
.LBB211_62:                             ;   in Loop: Header=BB211_18 Depth=1
	s_mul_hi_u32 s17, s3, s24
	s_mul_i32 s16, s3, s24
	s_lshl_b64 s[16:17], s[16:17], 2
	s_add_u32 s16, s57, s16
	v_mul_f32_e32 v22, s33, v22
	s_addc_u32 s17, s58, s17
	global_store_dword v39, v22, s[16:17]
	s_or_b32 s16, s3, 1
	s_mul_hi_u32 s17, s16, s24
	s_mul_i32 s16, s16, s24
	s_lshl_b64 s[16:17], s[16:17], 2
	s_add_u32 s16, s57, s16
	v_mul_f32_e32 v22, s33, v23
	s_addc_u32 s17, s58, s17
	global_store_dword v39, v22, s[16:17]
	s_or_b32 s16, s3, 2
	;; [unrolled: 8-line block ×3, first 2 shown]
	s_mul_hi_u32 s17, s16, s24
	s_mul_i32 s16, s16, s24
	s_lshl_b64 s[16:17], s[16:17], 2
	s_add_u32 s16, s57, s16
	s_waitcnt lgkmcnt(0)
	v_mul_f32_e32 v20, s33, v21
	s_addc_u32 s17, s58, s17
	global_store_dword v39, v20, s[16:17]
	s_branch .LBB211_17
.LBB211_63:
	s_mov_b32 s3, 0
                                        ; implicit-def: $vgpr2_vgpr3_vgpr4_vgpr5
.LBB211_64:
	s_cmp_ge_i32 s3, s23
	s_cbranch_scc1 .LBB211_88
; %bb.65:
	v_mbcnt_hi_u32_b32 v10, -1, v28
	v_and_b32_e32 v11, 63, v10
	v_cmp_gt_u32_e32 vcc, 32, v11
	s_mov_b32 s37, 0
	s_cmp_gt_i32 s25, 0
	v_cndmask_b32_e64 v12, 0, 1, vcc
	v_lshlrev_b32_e32 v12, 5, v12
	v_cmp_gt_u32_e32 vcc, 48, v11
	s_waitcnt lgkmcnt(0)
	v_add_lshl_u32 v21, v12, v10, 2
	s_mov_b32 s36, s2
	v_cndmask_b32_e64 v12, 0, 1, vcc
	v_lshlrev_b32_e32 v12, 4, v12
	v_cmp_gt_u32_e32 vcc, 56, v11
	v_add_lshl_u32 v22, v12, v10, 2
	s_cselect_b64 s[38:39], -1, 0
	v_cndmask_b32_e64 v12, 0, 1, vcc
	v_lshlrev_b32_e32 v12, 3, v12
	v_cmp_gt_u32_e32 vcc, 60, v11
	v_add_lshl_u32 v23, v12, v10, 2
	s_lshl_b64 s[14:15], s[36:37], 2
	v_cndmask_b32_e64 v12, 0, 1, vcc
	v_lshlrev_b32_e32 v12, 2, v12
	v_cmp_gt_u32_e32 vcc, 62, v11
	v_add_lshl_u32 v28, v12, v10, 2
	v_cmp_ge_i32_e64 s[0:1], s22, v29
	v_cndmask_b32_e64 v12, 0, 1, vcc
	v_lshlrev_b32_e32 v12, 1, v12
	v_cmp_ne_u32_e32 vcc, 63, v11
	v_add_lshl_u32 v29, v12, v10, 2
	s_add_u32 s2, s54, s14
	v_addc_co_u32_e32 v10, vcc, 0, v10, vcc
	v_cmp_ge_i32_e64 s[4:5], s22, v30
	v_cmp_gt_u32_e64 s[6:7], 64, v0
	v_lshlrev_b32_e32 v30, 2, v10
	v_cmp_gt_u32_e64 s[10:11], 4, v0
	v_cmp_eq_u32_e64 s[12:13], 0, v0
	s_addc_u32 s22, s55, s15
	v_mad_i64_i32 v[10:11], s[14:15], s34, v8, 0
	v_mad_i64_i32 v[12:13], s[14:15], s34, v25, 0
	;; [unrolled: 1-line block ×4, first 2 shown]
	s_mul_i32 s14, s27, s3
	s_mul_hi_u32 s15, s26, s3
	s_add_i32 s15, s15, s14
	s_mul_i32 s14, s26, s3
	v_lshl_add_u64 v[10:11], v[10:11], 2, s[30:31]
	v_lshl_add_u64 v[12:13], v[12:13], 2, s[30:31]
	;; [unrolled: 1-line block ×4, first 2 shown]
	s_lshl_b64 s[30:31], s[34:35], 2
	s_lshl_b64 s[14:15], s[14:15], 2
	s_add_u32 s14, s28, s14
	s_addc_u32 s15, s29, s15
	v_lshlrev_b32_e32 v20, 2, v26
	v_cmp_eq_u32_e64 s[8:9], 0, v26
	v_and_b32_e32 v26, 12, v27
	v_lshl_add_u64 v[8:9], v[8:9], 2, s[14:15]
	s_lshl_b64 s[28:29], s[26:27], 2
	v_mov_b32_e32 v1, 0
	s_branch .LBB211_67
.LBB211_66:                             ;   in Loop: Header=BB211_67 Depth=1
	s_or_b64 exec, exec, s[14:15]
	s_add_i32 s3, s3, 1
	s_cmp_ge_i32 s3, s23
	v_lshl_add_u64 v[8:9], v[8:9], 0, s[28:29]
	s_cbranch_scc1 .LBB211_88
.LBB211_67:                             ; =>This Loop Header: Depth=1
                                        ;     Child Loop BB211_80 Depth 2
                                        ;     Child Loop BB211_83 Depth 2
	s_waitcnt lgkmcnt(0)
	v_mov_b32_e32 v0, s37
	s_and_saveexec_b64 s[14:15], s[0:1]
	s_xor_b64 s[14:15], exec, s[14:15]
	s_cbranch_execnz .LBB211_76
; %bb.68:                               ;   in Loop: Header=BB211_67 Depth=1
	s_andn2_saveexec_b64 s[34:35], s[14:15]
	s_cbranch_execnz .LBB211_77
.LBB211_69:                             ;   in Loop: Header=BB211_67 Depth=1
	s_or_b64 exec, exec, s[34:35]
	s_and_saveexec_b64 s[14:15], s[6:7]
	s_cbranch_execz .LBB211_71
.LBB211_70:                             ;   in Loop: Header=BB211_67 Depth=1
	ds_write_b32 v20, v1
.LBB211_71:                             ;   in Loop: Header=BB211_67 Depth=1
	s_or_b64 exec, exec, s[14:15]
	ds_bpermute_b32 v18, v21, v0
	s_waitcnt lgkmcnt(0)
	s_barrier
	v_add_f32_e32 v0, v0, v18
	ds_bpermute_b32 v18, v22, v0
	s_waitcnt lgkmcnt(0)
	v_add_f32_e32 v0, v0, v18
	ds_bpermute_b32 v18, v23, v0
	s_waitcnt lgkmcnt(0)
	;; [unrolled: 3-line block ×4, first 2 shown]
	v_add_f32_e32 v0, v0, v18
	ds_bpermute_b32 v18, v30, v0
	s_and_saveexec_b64 s[14:15], s[8:9]
	s_cbranch_execz .LBB211_73
; %bb.72:                               ;   in Loop: Header=BB211_67 Depth=1
	s_waitcnt lgkmcnt(0)
	v_add_f32_e32 v0, v0, v18
	ds_write_b32 v26, v0
.LBB211_73:                             ;   in Loop: Header=BB211_67 Depth=1
	s_or_b64 exec, exec, s[14:15]
	v_mov_b32_e32 v0, 0
	s_waitcnt lgkmcnt(0)
	s_barrier
	s_and_saveexec_b64 s[14:15], s[10:11]
	s_cbranch_execnz .LBB211_85
; %bb.74:                               ;   in Loop: Header=BB211_67 Depth=1
	s_or_b64 exec, exec, s[14:15]
	s_and_saveexec_b64 s[14:15], s[6:7]
	s_cbranch_execnz .LBB211_86
.LBB211_75:                             ;   in Loop: Header=BB211_67 Depth=1
	s_or_b64 exec, exec, s[14:15]
	s_and_saveexec_b64 s[14:15], s[12:13]
	s_cbranch_execz .LBB211_66
	s_branch .LBB211_87
.LBB211_76:                             ;   in Loop: Header=BB211_67 Depth=1
	flat_load_dword v2, v[10:11]
	s_mul_i32 s16, s3, s27
	s_mul_hi_u32 s17, s3, s26
	s_add_i32 s17, s17, s16
	s_mul_i32 s16, s3, s26
	v_lshl_add_u64 v[18:19], s[16:17], 2, v[6:7]
	flat_load_dwordx4 v[32:35], v[18:19]
	flat_load_dword v3, v[12:13]
	flat_load_dword v4, v[14:15]
	;; [unrolled: 1-line block ×3, first 2 shown]
	s_waitcnt vmcnt(0) lgkmcnt(0)
	v_fma_f32 v0, v2, v32, 0
	v_fmac_f32_e32 v0, v3, v33
	v_fmac_f32_e32 v0, v4, v34
	;; [unrolled: 1-line block ×3, first 2 shown]
	s_andn2_saveexec_b64 s[34:35], s[14:15]
	s_cbranch_execz .LBB211_69
.LBB211_77:                             ;   in Loop: Header=BB211_67 Depth=1
	s_and_saveexec_b64 s[40:41], s[4:5]
	s_cbranch_execz .LBB211_84
; %bb.78:                               ;   in Loop: Header=BB211_67 Depth=1
	v_cndmask_b32_e64 v18, 0, 1, s[38:39]
	v_cmp_ne_u32_e64 s[14:15], 1, v18
	s_andn2_b64 vcc, exec, s[38:39]
	s_cbranch_vccnz .LBB211_81
; %bb.79:                               ;   in Loop: Header=BB211_67 Depth=1
	s_mov_b64 s[42:43], 0
	v_mov_b64_e32 v[18:19], v[10:11]
.LBB211_80:                             ;   Parent Loop BB211_67 Depth=1
                                        ; =>  This Inner Loop Header: Depth=2
	flat_load_dword v24, v[18:19]
	s_cmp_eq_u32 s42, 3
	s_cselect_b64 vcc, -1, 0
	s_cmp_eq_u32 s42, 2
	s_cselect_b64 s[16:17], -1, 0
	s_cmp_eq_u32 s42, 1
	s_cselect_b64 s[18:19], -1, 0
	;; [unrolled: 2-line block ×3, first 2 shown]
	s_add_u32 s42, s42, 1
	s_addc_u32 s43, s43, 0
	v_lshl_add_u64 v[18:19], v[18:19], 0, s[30:31]
	s_cmp_eq_u32 s25, s42
	s_waitcnt vmcnt(0) lgkmcnt(0)
	v_cndmask_b32_e32 v5, v5, v24, vcc
	v_cndmask_b32_e64 v4, v4, v24, s[16:17]
	v_cndmask_b32_e64 v3, v3, v24, s[18:19]
	v_cndmask_b32_e64 v2, v2, v24, s[20:21]
	s_cbranch_scc0 .LBB211_80
.LBB211_81:                             ;   in Loop: Header=BB211_67 Depth=1
	s_and_b64 vcc, exec, s[14:15]
	s_cbranch_vccnz .LBB211_84
; %bb.82:                               ;   in Loop: Header=BB211_67 Depth=1
	s_mov_b64 s[14:15], 0
	v_mov_b64_e32 v[18:19], v[8:9]
.LBB211_83:                             ;   Parent Loop BB211_67 Depth=1
                                        ; =>  This Inner Loop Header: Depth=2
	flat_load_dword v24, v[18:19]
	s_cmp_eq_u32 s14, 1
	s_cselect_b64 vcc, -1, 0
	s_cmp_eq_u32 s14, 2
	v_cndmask_b32_e32 v25, v2, v3, vcc
	s_cselect_b64 vcc, -1, 0
	s_cmp_eq_u32 s14, 3
	v_cndmask_b32_e32 v25, v25, v4, vcc
	s_cselect_b64 vcc, -1, 0
	s_add_u32 s14, s14, 1
	v_cndmask_b32_e32 v25, v25, v5, vcc
	s_addc_u32 s15, s15, 0
	v_lshl_add_u64 v[18:19], v[18:19], 0, 4
	s_cmp_lg_u32 s25, s14
	s_waitcnt vmcnt(0) lgkmcnt(0)
	v_fmac_f32_e32 v0, v25, v24
	s_cbranch_scc1 .LBB211_83
.LBB211_84:                             ;   in Loop: Header=BB211_67 Depth=1
	s_or_b64 exec, exec, s[40:41]
	s_or_b64 exec, exec, s[34:35]
	s_and_saveexec_b64 s[14:15], s[6:7]
	s_cbranch_execnz .LBB211_70
	s_branch .LBB211_71
.LBB211_85:                             ;   in Loop: Header=BB211_67 Depth=1
	ds_read_b32 v0, v20
	s_or_b64 exec, exec, s[14:15]
	s_and_saveexec_b64 s[14:15], s[6:7]
	s_cbranch_execz .LBB211_75
.LBB211_86:                             ;   in Loop: Header=BB211_67 Depth=1
	s_waitcnt lgkmcnt(0)
	ds_bpermute_b32 v18, v29, v0
	s_waitcnt lgkmcnt(0)
	v_add_f32_e32 v0, v0, v18
	ds_bpermute_b32 v18, v30, v0
	s_waitcnt lgkmcnt(0)
	v_add_f32_e32 v0, v0, v18
	s_or_b64 exec, exec, s[14:15]
	s_and_saveexec_b64 s[14:15], s[12:13]
	s_cbranch_execz .LBB211_66
.LBB211_87:                             ;   in Loop: Header=BB211_67 Depth=1
	s_mul_hi_u32 s17, s3, s24
	s_mul_i32 s16, s3, s24
	s_lshl_b64 s[16:17], s[16:17], 2
	s_add_u32 s16, s2, s16
	s_waitcnt lgkmcnt(0)
	v_mul_f32_e32 v0, s33, v0
	s_addc_u32 s17, s22, s17
	global_store_dword v1, v0, s[16:17]
	s_branch .LBB211_66
.LBB211_88:
	s_endpgm
	.section	.rodata,"a",@progbits
	.p2align	6, 0x0
	.amdhsa_kernel _ZL23rocblas_gemvt_sn_kernelILb0ELi256ELi4ElPKfS1_fEviiT4_lPKT3_lilS5_lilPT5_i
		.amdhsa_group_segment_fixed_size 256
		.amdhsa_private_segment_fixed_size 0
		.amdhsa_kernarg_size 360
		.amdhsa_user_sgpr_count 2
		.amdhsa_user_sgpr_dispatch_ptr 0
		.amdhsa_user_sgpr_queue_ptr 0
		.amdhsa_user_sgpr_kernarg_segment_ptr 1
		.amdhsa_user_sgpr_dispatch_id 0
		.amdhsa_user_sgpr_kernarg_preload_length 0
		.amdhsa_user_sgpr_kernarg_preload_offset 0
		.amdhsa_user_sgpr_private_segment_size 0
		.amdhsa_uses_dynamic_stack 0
		.amdhsa_enable_private_segment 0
		.amdhsa_system_sgpr_workgroup_id_x 1
		.amdhsa_system_sgpr_workgroup_id_y 0
		.amdhsa_system_sgpr_workgroup_id_z 1
		.amdhsa_system_sgpr_workgroup_info 0
		.amdhsa_system_vgpr_workitem_id 0
		.amdhsa_next_free_vgpr 56
		.amdhsa_next_free_sgpr 59
		.amdhsa_accum_offset 56
		.amdhsa_reserve_vcc 1
		.amdhsa_float_round_mode_32 0
		.amdhsa_float_round_mode_16_64 0
		.amdhsa_float_denorm_mode_32 3
		.amdhsa_float_denorm_mode_16_64 3
		.amdhsa_dx10_clamp 1
		.amdhsa_ieee_mode 1
		.amdhsa_fp16_overflow 0
		.amdhsa_tg_split 0
		.amdhsa_exception_fp_ieee_invalid_op 0
		.amdhsa_exception_fp_denorm_src 0
		.amdhsa_exception_fp_ieee_div_zero 0
		.amdhsa_exception_fp_ieee_overflow 0
		.amdhsa_exception_fp_ieee_underflow 0
		.amdhsa_exception_fp_ieee_inexact 0
		.amdhsa_exception_int_div_zero 0
	.end_amdhsa_kernel
	.section	.text._ZL23rocblas_gemvt_sn_kernelILb0ELi256ELi4ElPKfS1_fEviiT4_lPKT3_lilS5_lilPT5_i,"axG",@progbits,_ZL23rocblas_gemvt_sn_kernelILb0ELi256ELi4ElPKfS1_fEviiT4_lPKT3_lilS5_lilPT5_i,comdat
.Lfunc_end211:
	.size	_ZL23rocblas_gemvt_sn_kernelILb0ELi256ELi4ElPKfS1_fEviiT4_lPKT3_lilS5_lilPT5_i, .Lfunc_end211-_ZL23rocblas_gemvt_sn_kernelILb0ELi256ELi4ElPKfS1_fEviiT4_lPKT3_lilS5_lilPT5_i
                                        ; -- End function
	.section	.AMDGPU.csdata,"",@progbits
; Kernel info:
; codeLenInByte = 3952
; NumSgprs: 65
; NumVgprs: 56
; NumAgprs: 0
; TotalNumVgprs: 56
; ScratchSize: 0
; MemoryBound: 0
; FloatMode: 240
; IeeeMode: 1
; LDSByteSize: 256 bytes/workgroup (compile time only)
; SGPRBlocks: 8
; VGPRBlocks: 6
; NumSGPRsForWavesPerEU: 65
; NumVGPRsForWavesPerEU: 56
; AccumOffset: 56
; Occupancy: 8
; WaveLimiterHint : 0
; COMPUTE_PGM_RSRC2:SCRATCH_EN: 0
; COMPUTE_PGM_RSRC2:USER_SGPR: 2
; COMPUTE_PGM_RSRC2:TRAP_HANDLER: 0
; COMPUTE_PGM_RSRC2:TGID_X_EN: 1
; COMPUTE_PGM_RSRC2:TGID_Y_EN: 0
; COMPUTE_PGM_RSRC2:TGID_Z_EN: 1
; COMPUTE_PGM_RSRC2:TIDIG_COMP_CNT: 0
; COMPUTE_PGM_RSRC3_GFX90A:ACCUM_OFFSET: 13
; COMPUTE_PGM_RSRC3_GFX90A:TG_SPLIT: 0
	.section	.text._ZL23rocblas_gemvt_sn_kernelILb0ELi256ELi4EiPKfffEviiT4_lPKT3_lilS5_lilPT5_i,"axG",@progbits,_ZL23rocblas_gemvt_sn_kernelILb0ELi256ELi4EiPKfffEviiT4_lPKT3_lilS5_lilPT5_i,comdat
	.globl	_ZL23rocblas_gemvt_sn_kernelILb0ELi256ELi4EiPKfffEviiT4_lPKT3_lilS5_lilPT5_i ; -- Begin function _ZL23rocblas_gemvt_sn_kernelILb0ELi256ELi4EiPKfffEviiT4_lPKT3_lilS5_lilPT5_i
	.p2align	8
	.type	_ZL23rocblas_gemvt_sn_kernelILb0ELi256ELi4EiPKfffEviiT4_lPKT3_lilS5_lilPT5_i,@function
_ZL23rocblas_gemvt_sn_kernelILb0ELi256ELi4EiPKfffEviiT4_lPKT3_lilS5_lilPT5_i: ; @_ZL23rocblas_gemvt_sn_kernelILb0ELi256ELi4EiPKfffEviiT4_lPKT3_lilS5_lilPT5_i
; %bb.0:
	s_load_dwordx4 s[24:27], s[0:1], 0x0
	s_mov_b32 s10, s3
	s_mov_b32 s11, 0
	s_waitcnt lgkmcnt(0)
	v_cmp_neq_f32_e64 s[6:7], s26, 0
	v_cmp_eq_f32_e64 s[8:9], s26, 0
	s_and_b64 vcc, exec, s[6:7]
	s_cbranch_vccnz .LBB212_2
; %bb.1:
	s_mov_b64 s[4:5], 0
	s_cbranch_execz .LBB212_3
	s_branch .LBB212_4
.LBB212_2:
                                        ; implicit-def: $sgpr4_sgpr5
.LBB212_3:
	s_load_dwordx4 s[12:15], s[0:1], 0x18
	s_lshl_b64 s[4:5], s[10:11], 3
	s_waitcnt lgkmcnt(0)
	s_add_u32 s4, s12, s4
	s_addc_u32 s5, s13, s5
	s_load_dwordx2 s[4:5], s[4:5], 0x0
	s_lshl_b64 s[12:13], s[14:15], 2
	s_waitcnt lgkmcnt(0)
	s_add_u32 s4, s4, s12
	s_addc_u32 s5, s5, s13
.LBB212_4:
	s_andn2_b64 vcc, exec, s[6:7]
	s_cbranch_vccnz .LBB212_6
; %bb.5:
	s_load_dwordx4 s[12:15], s[0:1], 0x38
	s_lshl_b64 s[6:7], s[10:11], 3
	s_waitcnt lgkmcnt(0)
	s_add_u32 s6, s12, s6
	s_addc_u32 s7, s13, s7
	s_load_dwordx2 s[6:7], s[6:7], 0x0
	s_lshl_b64 s[12:13], s[14:15], 2
	s_waitcnt lgkmcnt(0)
	s_add_u32 s22, s6, s12
	s_addc_u32 s23, s7, s13
	s_branch .LBB212_7
.LBB212_6:
	s_mov_b64 s[22:23], 0
.LBB212_7:
	s_load_dwordx2 s[6:7], s[0:1], 0x58
	s_load_dword s28, s[0:1], 0x68
	s_ashr_i32 s16, s25, 31
	s_mul_hi_u32 s3, s10, s25
	s_mul_i32 s12, s10, s16
	s_add_i32 s3, s3, s12
	s_mul_i32 s11, s11, s25
	s_add_i32 s11, s3, s11
	s_mul_i32 s10, s10, s25
	s_waitcnt lgkmcnt(0)
	s_mul_i32 s3, s11, s28
	s_mul_hi_u32 s12, s10, s28
	s_add_i32 s13, s12, s3
	s_mul_i32 s12, s10, s28
	s_lshl_b64 s[12:13], s[12:13], 2
	s_add_u32 s33, s6, s12
	s_mov_b32 s29, 0
	s_addc_u32 s50, s7, s13
	s_andn2_b64 vcc, exec, s[8:9]
	s_mov_b64 s[8:9], -1
	s_cbranch_vccnz .LBB212_17
; %bb.8:
	s_cmp_gt_i32 s25, 0
	v_cmp_eq_u32_e32 vcc, 0, v0
	s_cselect_b64 s[8:9], -1, 0
	s_and_b64 s[12:13], vcc, s[8:9]
	s_and_saveexec_b64 s[8:9], s[12:13]
	s_cbranch_execz .LBB212_16
; %bb.9:
	s_cmp_gt_u32 s25, 1
	s_cselect_b64 s[12:13], -1, 0
	s_cmp_eq_u32 s28, 1
	s_cselect_b64 s[18:19], -1, 0
	s_mov_b32 s3, 0
	s_and_b64 s[12:13], s[12:13], s[18:19]
	s_mov_b64 s[14:15], -1
	s_andn2_b64 vcc, exec, s[12:13]
	s_mov_b32 s12, s3
	s_cbranch_vccnz .LBB212_13
; %bb.10:
	s_lshl_b64 s[12:13], s[2:3], 2
	s_add_u32 s14, s33, s12
	s_addc_u32 s15, s50, s13
	s_and_b32 s12, s25, 0x7ffffffe
	v_mov_b32_e32 v2, 0
	v_mov_b32_e32 v3, v2
	s_mov_b32 s13, s12
.LBB212_11:                             ; =>This Inner Loop Header: Depth=1
	global_store_dwordx2 v2, v[2:3], s[14:15]
	s_add_u32 s14, s14, 8
	s_addc_u32 s15, s15, 0
	s_add_i32 s13, s13, -2
	s_cmp_lg_u32 s13, 0
	s_cbranch_scc1 .LBB212_11
; %bb.12:
	s_cmp_lg_u32 s12, s25
	s_cselect_b64 s[14:15], -1, 0
.LBB212_13:
	s_and_b64 vcc, exec, s[14:15]
	s_cbranch_vccz .LBB212_16
; %bb.14:
	s_mov_b32 s13, 0
	s_sub_i32 s14, s25, s12
	s_lshl_b64 s[10:11], s[10:11], 2
	s_lshl_b64 s[12:13], s[12:13], 2
	s_add_u32 s10, s10, s12
	s_addc_u32 s11, s11, s13
	s_mul_i32 s11, s11, s28
	s_mul_hi_u32 s12, s10, s28
	s_add_i32 s12, s12, s11
	s_mul_i32 s13, s10, s28
	s_lshl_b64 s[10:11], s[2:3], 2
	s_add_u32 s3, s13, s10
	s_addc_u32 s10, s12, s11
	s_add_u32 s6, s6, s3
	s_addc_u32 s7, s7, s10
	s_lshl_b64 s[10:11], s[28:29], 2
	v_mov_b32_e32 v1, 0
.LBB212_15:                             ; =>This Inner Loop Header: Depth=1
	s_add_i32 s14, s14, -1
	global_store_dword v1, v1, s[6:7]
	s_add_u32 s6, s6, s10
	s_addc_u32 s7, s7, s11
	s_cmp_eq_u32 s14, 0
	s_cbranch_scc0 .LBB212_15
.LBB212_16:
	s_or_b64 exec, exec, s[8:9]
	s_mov_b64 s[8:9], 0
.LBB212_17:
	s_andn2_b64 vcc, exec, s[8:9]
	s_cbranch_vccnz .LBB212_91
; %bb.18:
	s_load_dword s30, s[0:1], 0x28
	s_load_dword s27, s[0:1], 0x48
	s_lshl_b32 s0, s2, 10
	v_lshl_or_b32 v2, v0, 2, s0
	s_lshr_b32 s0, s16, 30
	s_add_i32 s0, s25, s0
	s_and_b32 s3, s0, -4
	s_ashr_i32 s0, s24, 31
	s_lshr_b32 s0, s0, 30
	s_add_i32 s0, s24, s0
	s_and_b32 s0, s0, -4
	v_ashrrev_i32_e32 v3, 31, v2
	s_sub_i32 s29, s24, s0
	v_lshl_add_u64 v[6:7], v[2:3], 2, s[4:5]
	s_cmp_lt_i32 s3, 1
	v_add_u32_e32 v25, 4, v2
	v_add_u32_e32 v26, s29, v2
	v_and_b32_e32 v1, 63, v0
	v_cmp_gt_u32_e64 s[0:1], 64, v0
	v_mbcnt_lo_u32_b32 v24, -1, 0
	v_cmp_gt_u32_e64 s[4:5], 4, v0
	v_lshrrev_b32_e32 v9, 4, v0
	v_cmp_eq_u32_e64 s[6:7], 0, v0
	s_waitcnt lgkmcnt(0)
	v_mul_lo_u32 v8, v2, s27
	s_cbranch_scc1 .LBB212_66
; %bb.19:
	v_mbcnt_hi_u32_b32 v3, -1, v24
	v_and_b32_e32 v4, 63, v3
	v_cmp_gt_u32_e32 vcc, 32, v4
	v_mul_lo_u32 v10, v2, s27
	v_add_u32_e32 v2, s27, v10
	v_cndmask_b32_e64 v5, 0, 1, vcc
	v_lshlrev_b32_e32 v5, 5, v5
	v_cmp_gt_u32_e32 vcc, 48, v4
	v_add_lshl_u32 v27, v5, v3, 2
	s_mov_b32 s35, 0
	v_cndmask_b32_e64 v5, 0, 1, vcc
	v_lshlrev_b32_e32 v5, 4, v5
	v_cmp_gt_u32_e32 vcc, 56, v4
	v_add_lshl_u32 v28, v5, v3, 2
	s_cmp_gt_i32 s29, 0
	v_cndmask_b32_e64 v5, 0, 1, vcc
	v_lshlrev_b32_e32 v5, 3, v5
	v_cmp_gt_u32_e32 vcc, 60, v4
	v_add_lshl_u32 v29, v5, v3, 2
	s_cselect_b64 s[36:37], -1, 0
	v_cndmask_b32_e64 v5, 0, 1, vcc
	v_lshlrev_b32_e32 v5, 2, v5
	v_cmp_gt_u32_e32 vcc, 62, v4
	v_add_lshl_u32 v30, v5, v3, 2
	v_ashrrev_i32_e32 v11, 31, v10
	v_cndmask_b32_e64 v5, 0, 1, vcc
	v_lshlrev_b32_e32 v5, 1, v5
	v_cmp_ne_u32_e32 vcc, 63, v4
	v_add_lshl_u32 v31, v5, v3, 2
	s_mov_b32 s31, s35
	v_addc_co_u32_e32 v3, vcc, 0, v3, vcc
	v_lshlrev_b32_e32 v32, 2, v3
	v_ashrrev_i32_e32 v3, 31, v2
	v_lshl_add_u64 v[14:15], v[2:3], 2, s[22:23]
	v_add_u32_e32 v2, s27, v2
	v_ashrrev_i32_e32 v3, 31, v2
	v_lshl_add_u64 v[16:17], v[2:3], 2, s[22:23]
	v_add_u32_e32 v2, s27, v2
	v_ashrrev_i32_e32 v3, 31, v2
	s_lshl_b32 s34, s30, 1
	v_cmp_ge_i32_e64 s[8:9], s24, v25
	v_cmp_ge_i32_e64 s[10:11], s24, v26
	v_cmp_eq_u32_e64 s[12:13], 0, v1
	v_lshlrev_b32_e32 v33, 2, v1
	v_and_b32_e32 v34, 12, v9
	v_lshl_add_u64 v[12:13], v[10:11], 2, s[22:23]
	v_lshl_add_u64 v[18:19], v[2:3], 2, s[22:23]
	s_lshl_b32 s51, s30, 2
	s_mul_i32 s52, s30, 3
	s_mov_b32 s53, s35
	v_mov_b32_e32 v11, 0
	s_mov_b32 s38, s35
	s_mov_b64 s[40:41], s[34:35]
	s_mov_b64 s[42:43], s[30:31]
	s_mov_b32 s31, 0
                                        ; implicit-def: $vgpr2_vgpr3_vgpr4_vgpr5
	s_branch .LBB212_21
.LBB212_20:                             ;   in Loop: Header=BB212_21 Depth=1
	s_or_b64 exec, exec, s[14:15]
	s_add_i32 s31, s31, 4
	s_add_u32 s42, s42, s51
	s_addc_u32 s43, s43, 0
	s_add_u32 s40, s40, s51
	s_addc_u32 s41, s41, 0
	;; [unrolled: 2-line block ×3, first 2 shown]
	s_add_i32 s38, s38, s51
	s_cmp_ge_i32 s31, s3
	s_cbranch_scc1 .LBB212_67
.LBB212_21:                             ; =>This Loop Header: Depth=1
                                        ;     Child Loop BB212_52 Depth 2
                                        ;     Child Loop BB212_55 Depth 2
                                        ; implicit-def: $vgpr21
                                        ; implicit-def: $vgpr35
                                        ; implicit-def: $vgpr36
	s_and_saveexec_b64 s[14:15], s[8:9]
	s_xor_b64 s[14:15], exec, s[14:15]
	s_cbranch_execnz .LBB212_48
; %bb.22:                               ;   in Loop: Header=BB212_21 Depth=1
	s_andn2_saveexec_b64 s[44:45], s[14:15]
	s_cbranch_execnz .LBB212_49
.LBB212_23:                             ;   in Loop: Header=BB212_21 Depth=1
	s_or_b64 exec, exec, s[44:45]
	s_and_saveexec_b64 s[14:15], s[0:1]
	s_cbranch_execz .LBB212_25
.LBB212_24:                             ;   in Loop: Header=BB212_21 Depth=1
	ds_write_b32 v33, v11
.LBB212_25:                             ;   in Loop: Header=BB212_21 Depth=1
	s_or_b64 exec, exec, s[14:15]
	ds_bpermute_b32 v22, v27, v36
	s_waitcnt lgkmcnt(0)
	s_barrier
	v_add_f32_e32 v22, v36, v22
	ds_bpermute_b32 v23, v28, v22
	s_waitcnt lgkmcnt(0)
	v_add_f32_e32 v22, v22, v23
	ds_bpermute_b32 v23, v29, v22
	s_waitcnt lgkmcnt(0)
	;; [unrolled: 3-line block ×4, first 2 shown]
	v_add_f32_e32 v22, v22, v23
	ds_bpermute_b32 v23, v32, v22
	s_and_saveexec_b64 s[14:15], s[12:13]
	s_cbranch_execz .LBB212_27
; %bb.26:                               ;   in Loop: Header=BB212_21 Depth=1
	s_waitcnt lgkmcnt(0)
	v_add_f32_e32 v22, v22, v23
	ds_write_b32 v34, v22
.LBB212_27:                             ;   in Loop: Header=BB212_21 Depth=1
	s_or_b64 exec, exec, s[14:15]
	v_mov_b32_e32 v22, 0
	s_waitcnt lgkmcnt(0)
	s_barrier
	s_and_saveexec_b64 s[14:15], s[4:5]
	s_cbranch_execnz .LBB212_57
; %bb.28:                               ;   in Loop: Header=BB212_21 Depth=1
	s_or_b64 exec, exec, s[14:15]
	s_and_saveexec_b64 s[14:15], s[0:1]
	s_cbranch_execnz .LBB212_58
.LBB212_29:                             ;   in Loop: Header=BB212_21 Depth=1
	s_or_b64 exec, exec, s[14:15]
	s_and_saveexec_b64 s[14:15], s[0:1]
	s_cbranch_execz .LBB212_31
.LBB212_30:                             ;   in Loop: Header=BB212_21 Depth=1
	ds_write_b32 v33, v11
.LBB212_31:                             ;   in Loop: Header=BB212_21 Depth=1
	s_or_b64 exec, exec, s[14:15]
	ds_bpermute_b32 v23, v27, v35
	s_waitcnt lgkmcnt(0)
	s_barrier
	v_add_f32_e32 v23, v35, v23
	ds_bpermute_b32 v35, v28, v23
	s_waitcnt lgkmcnt(0)
	v_add_f32_e32 v23, v23, v35
	ds_bpermute_b32 v35, v29, v23
	s_waitcnt lgkmcnt(0)
	;; [unrolled: 3-line block ×4, first 2 shown]
	v_add_f32_e32 v23, v23, v35
	ds_bpermute_b32 v35, v32, v23
	s_and_saveexec_b64 s[14:15], s[12:13]
	s_cbranch_execz .LBB212_33
; %bb.32:                               ;   in Loop: Header=BB212_21 Depth=1
	s_waitcnt lgkmcnt(0)
	v_add_f32_e32 v23, v23, v35
	ds_write_b32 v34, v23
.LBB212_33:                             ;   in Loop: Header=BB212_21 Depth=1
	s_or_b64 exec, exec, s[14:15]
	v_mov_b32_e32 v23, 0
	s_waitcnt lgkmcnt(0)
	s_barrier
	s_and_saveexec_b64 s[14:15], s[4:5]
	s_cbranch_execnz .LBB212_59
; %bb.34:                               ;   in Loop: Header=BB212_21 Depth=1
	s_or_b64 exec, exec, s[14:15]
	s_and_saveexec_b64 s[14:15], s[0:1]
	s_cbranch_execnz .LBB212_60
.LBB212_35:                             ;   in Loop: Header=BB212_21 Depth=1
	s_or_b64 exec, exec, s[14:15]
	s_and_saveexec_b64 s[14:15], s[0:1]
	s_cbranch_execz .LBB212_37
.LBB212_36:                             ;   in Loop: Header=BB212_21 Depth=1
	ds_write_b32 v33, v11
.LBB212_37:                             ;   in Loop: Header=BB212_21 Depth=1
	s_or_b64 exec, exec, s[14:15]
	ds_bpermute_b32 v35, v27, v20
	s_waitcnt lgkmcnt(0)
	s_barrier
	v_add_f32_e32 v20, v20, v35
	ds_bpermute_b32 v35, v28, v20
	s_waitcnt lgkmcnt(0)
	v_add_f32_e32 v20, v20, v35
	ds_bpermute_b32 v35, v29, v20
	s_waitcnt lgkmcnt(0)
	;; [unrolled: 3-line block ×4, first 2 shown]
	v_add_f32_e32 v20, v20, v35
	ds_bpermute_b32 v35, v32, v20
	s_and_saveexec_b64 s[14:15], s[12:13]
	s_cbranch_execz .LBB212_39
; %bb.38:                               ;   in Loop: Header=BB212_21 Depth=1
	s_waitcnt lgkmcnt(0)
	v_add_f32_e32 v20, v20, v35
	ds_write_b32 v34, v20
.LBB212_39:                             ;   in Loop: Header=BB212_21 Depth=1
	s_or_b64 exec, exec, s[14:15]
	v_mov_b32_e32 v20, 0
	s_waitcnt lgkmcnt(0)
	s_barrier
	s_and_saveexec_b64 s[14:15], s[4:5]
	s_cbranch_execnz .LBB212_61
; %bb.40:                               ;   in Loop: Header=BB212_21 Depth=1
	s_or_b64 exec, exec, s[14:15]
	s_and_saveexec_b64 s[14:15], s[0:1]
	s_cbranch_execnz .LBB212_62
.LBB212_41:                             ;   in Loop: Header=BB212_21 Depth=1
	s_or_b64 exec, exec, s[14:15]
	s_and_saveexec_b64 s[14:15], s[0:1]
	s_cbranch_execz .LBB212_43
.LBB212_42:                             ;   in Loop: Header=BB212_21 Depth=1
	ds_write_b32 v33, v11
.LBB212_43:                             ;   in Loop: Header=BB212_21 Depth=1
	s_or_b64 exec, exec, s[14:15]
	ds_bpermute_b32 v35, v27, v21
	s_waitcnt lgkmcnt(0)
	s_barrier
	v_add_f32_e32 v21, v21, v35
	ds_bpermute_b32 v35, v28, v21
	s_waitcnt lgkmcnt(0)
	v_add_f32_e32 v21, v21, v35
	ds_bpermute_b32 v35, v29, v21
	s_waitcnt lgkmcnt(0)
	v_add_f32_e32 v21, v21, v35
	ds_bpermute_b32 v35, v30, v21
	s_waitcnt lgkmcnt(0)
	v_add_f32_e32 v21, v21, v35
	ds_bpermute_b32 v35, v31, v21
	s_waitcnt lgkmcnt(0)
	v_add_f32_e32 v21, v21, v35
	ds_bpermute_b32 v35, v32, v21
	s_and_saveexec_b64 s[14:15], s[12:13]
	s_cbranch_execz .LBB212_45
; %bb.44:                               ;   in Loop: Header=BB212_21 Depth=1
	s_waitcnt lgkmcnt(0)
	v_add_f32_e32 v21, v21, v35
	ds_write_b32 v34, v21
.LBB212_45:                             ;   in Loop: Header=BB212_21 Depth=1
	s_or_b64 exec, exec, s[14:15]
	v_mov_b32_e32 v21, 0
	s_waitcnt lgkmcnt(0)
	s_barrier
	s_and_saveexec_b64 s[14:15], s[4:5]
	s_cbranch_execnz .LBB212_63
; %bb.46:                               ;   in Loop: Header=BB212_21 Depth=1
	s_or_b64 exec, exec, s[14:15]
	s_and_saveexec_b64 s[14:15], s[0:1]
	s_cbranch_execnz .LBB212_64
.LBB212_47:                             ;   in Loop: Header=BB212_21 Depth=1
	s_or_b64 exec, exec, s[14:15]
	s_and_saveexec_b64 s[14:15], s[6:7]
	s_cbranch_execz .LBB212_20
	s_branch .LBB212_65
.LBB212_48:                             ;   in Loop: Header=BB212_21 Depth=1
	s_mul_i32 s16, s31, s30
	s_ashr_i32 s17, s16, 31
	s_waitcnt lgkmcnt(0)
	v_lshl_add_u64 v[20:21], s[16:17], 2, v[6:7]
	s_add_i32 s16, s16, s30
	s_ashr_i32 s17, s16, 31
	v_lshl_add_u64 v[36:37], s[16:17], 2, v[6:7]
	s_add_i32 s16, s16, s30
	s_ashr_i32 s17, s16, 31
	flat_load_dword v2, v[12:13]
	flat_load_dword v3, v[14:15]
	;; [unrolled: 1-line block ×4, first 2 shown]
	v_lshl_add_u64 v[40:41], s[16:17], 2, v[6:7]
	flat_load_dwordx4 v[20:23], v[20:21]
	s_add_i32 s16, s16, s30
	flat_load_dwordx4 v[36:39], v[36:37]
	s_ashr_i32 s17, s16, 31
	v_lshl_add_u64 v[44:45], s[16:17], 2, v[6:7]
	flat_load_dwordx4 v[40:43], v[40:41]
	s_waitcnt vmcnt(0) lgkmcnt(0)
	v_pk_mul_f32 v[20:21], v[2:3], v[20:21]
	flat_load_dwordx4 v[44:47], v[44:45]
	v_add_f32_e32 v35, 0, v20
	v_pk_mul_f32 v[22:23], v[4:5], v[22:23]
	v_add_f32_e32 v21, v35, v21
	v_pk_mul_f32 v[36:37], v[2:3], v[36:37]
	v_add_f32_e32 v21, v21, v22
	v_mul_f32_e32 v20, v2, v40
	v_add_f32_e32 v35, 0, v36
	v_add_f32_e32 v36, v21, v23
	v_mul_f32_e32 v40, v3, v41
	v_pk_mul_f32 v[38:39], v[4:5], v[38:39]
	v_mul_f32_e32 v42, v4, v42
	v_mul_f32_e32 v48, v5, v43
	v_add_f32_e32 v35, v35, v37
	v_add_f32_e32 v22, v35, v38
	;; [unrolled: 1-line block ×3, first 2 shown]
	s_waitcnt vmcnt(0) lgkmcnt(0)
	v_pk_mul_f32 v[44:45], v[2:3], v[44:45]
	s_nop 0
	v_mov_b32_e32 v21, v44
	v_pk_mul_f32 v[46:47], v[4:5], v[46:47]
	v_mov_b32_e32 v41, v45
	v_pk_add_f32 v[20:21], v[20:21], 0 op_sel_hi:[1,0]
	v_mov_b32_e32 v43, v46
	v_pk_add_f32 v[20:21], v[20:21], v[40:41]
	v_mov_b32_e32 v49, v47
	v_pk_add_f32 v[20:21], v[20:21], v[42:43]
	s_nop 0
	v_pk_add_f32 v[20:21], v[20:21], v[48:49]
	s_andn2_saveexec_b64 s[44:45], s[14:15]
	s_cbranch_execz .LBB212_23
.LBB212_49:                             ;   in Loop: Header=BB212_21 Depth=1
	s_waitcnt lgkmcnt(0)
	v_mov_b32_e32 v21, 0
	v_mov_b32_e32 v20, 0
	;; [unrolled: 1-line block ×4, first 2 shown]
	s_and_saveexec_b64 s[46:47], s[10:11]
	s_cbranch_execz .LBB212_56
; %bb.50:                               ;   in Loop: Header=BB212_21 Depth=1
	v_cndmask_b32_e64 v20, 0, 1, s[36:37]
	v_cmp_ne_u32_e64 s[14:15], 1, v20
	s_andn2_b64 vcc, exec, s[36:37]
	s_cbranch_vccnz .LBB212_53
; %bb.51:                               ;   in Loop: Header=BB212_21 Depth=1
	s_mov_b64 s[48:49], 0
	v_mov_b32_e32 v20, v10
.LBB212_52:                             ;   Parent Loop BB212_21 Depth=1
                                        ; =>  This Inner Loop Header: Depth=2
	v_ashrrev_i32_e32 v21, 31, v20
	v_lshl_add_u64 v[22:23], v[20:21], 2, s[22:23]
	flat_load_dword v21, v[22:23]
	s_cmp_eq_u32 s48, 3
	s_cselect_b64 vcc, -1, 0
	s_cmp_eq_u32 s48, 2
	s_cselect_b64 s[16:17], -1, 0
	s_cmp_eq_u32 s48, 1
	s_cselect_b64 s[18:19], -1, 0
	;; [unrolled: 2-line block ×3, first 2 shown]
	s_add_u32 s48, s48, 1
	s_addc_u32 s49, s49, 0
	v_add_u32_e32 v20, s27, v20
	s_cmp_eq_u32 s29, s48
	s_waitcnt vmcnt(0) lgkmcnt(0)
	v_cndmask_b32_e32 v5, v5, v21, vcc
	v_cndmask_b32_e64 v4, v4, v21, s[16:17]
	v_cndmask_b32_e64 v3, v3, v21, s[18:19]
	;; [unrolled: 1-line block ×3, first 2 shown]
	s_cbranch_scc0 .LBB212_52
.LBB212_53:                             ;   in Loop: Header=BB212_21 Depth=1
	s_and_b64 vcc, exec, s[14:15]
	v_mov_b32_e32 v21, 0
	v_mov_b32_e32 v20, 0
	;; [unrolled: 1-line block ×4, first 2 shown]
	s_cbranch_vccnz .LBB212_56
; %bb.54:                               ;   in Loop: Header=BB212_21 Depth=1
	s_ashr_i32 s39, s38, 31
	v_mov_b32_e32 v36, 0
	v_lshl_add_u64 v[22:23], s[38:39], 2, v[6:7]
	s_mov_b64 s[14:15], 0
	v_mov_b32_e32 v35, 0
	v_mov_b32_e32 v20, 0
	v_mov_b32_e32 v21, v36
.LBB212_55:                             ;   Parent Loop BB212_21 Depth=1
                                        ; =>  This Inner Loop Header: Depth=2
	s_cmp_eq_u32 s14, 1
	s_cselect_b64 vcc, -1, 0
	s_cmp_eq_u32 s14, 2
	v_cndmask_b32_e32 v38, v2, v3, vcc
	s_cselect_b64 vcc, -1, 0
	s_cmp_eq_u32 s14, 3
	v_cndmask_b32_e32 v44, v38, v4, vcc
	s_cselect_b64 vcc, -1, 0
	s_add_i32 s16, s42, s14
	s_add_i32 s18, s40, s14
	;; [unrolled: 1-line block ×3, first 2 shown]
	s_ashr_i32 s17, s16, 31
	s_ashr_i32 s19, s18, 31
	;; [unrolled: 1-line block ×3, first 2 shown]
	v_lshl_add_u64 v[38:39], s[16:17], 2, v[6:7]
	flat_load_dword v37, v[22:23]
	v_lshl_add_u64 v[40:41], s[18:19], 2, v[6:7]
	v_lshl_add_u64 v[42:43], s[20:21], 2, v[6:7]
	flat_load_dword v38, v[38:39]
	s_nop 0
	flat_load_dword v39, v[40:41]
	flat_load_dword v45, v[42:43]
	s_add_u32 s14, s14, 1
	v_cndmask_b32_e32 v40, v44, v5, vcc
	s_addc_u32 s15, s15, 0
	v_lshl_add_u64 v[22:23], v[22:23], 0, 4
	s_cmp_lg_u32 s29, s14
	s_waitcnt vmcnt(0) lgkmcnt(0)
	v_fmac_f32_e32 v36, v40, v37
	v_fmac_f32_e32 v35, v40, v38
	;; [unrolled: 1-line block ×4, first 2 shown]
	s_cbranch_scc1 .LBB212_55
.LBB212_56:                             ;   in Loop: Header=BB212_21 Depth=1
	s_or_b64 exec, exec, s[46:47]
	s_or_b64 exec, exec, s[44:45]
	s_and_saveexec_b64 s[14:15], s[0:1]
	s_cbranch_execnz .LBB212_24
	s_branch .LBB212_25
.LBB212_57:                             ;   in Loop: Header=BB212_21 Depth=1
	ds_read_b32 v22, v33
	s_or_b64 exec, exec, s[14:15]
	s_and_saveexec_b64 s[14:15], s[0:1]
	s_cbranch_execz .LBB212_29
.LBB212_58:                             ;   in Loop: Header=BB212_21 Depth=1
	s_waitcnt lgkmcnt(0)
	ds_bpermute_b32 v23, v31, v22
	s_waitcnt lgkmcnt(0)
	v_add_f32_e32 v22, v22, v23
	ds_bpermute_b32 v23, v32, v22
	s_waitcnt lgkmcnt(0)
	v_add_f32_e32 v22, v22, v23
	s_or_b64 exec, exec, s[14:15]
	s_and_saveexec_b64 s[14:15], s[0:1]
	s_cbranch_execnz .LBB212_30
	s_branch .LBB212_31
.LBB212_59:                             ;   in Loop: Header=BB212_21 Depth=1
	ds_read_b32 v23, v33
	s_or_b64 exec, exec, s[14:15]
	s_and_saveexec_b64 s[14:15], s[0:1]
	s_cbranch_execz .LBB212_35
.LBB212_60:                             ;   in Loop: Header=BB212_21 Depth=1
	s_waitcnt lgkmcnt(0)
	ds_bpermute_b32 v35, v31, v23
	s_waitcnt lgkmcnt(0)
	v_add_f32_e32 v23, v23, v35
	ds_bpermute_b32 v35, v32, v23
	s_waitcnt lgkmcnt(0)
	v_add_f32_e32 v23, v23, v35
	s_or_b64 exec, exec, s[14:15]
	s_and_saveexec_b64 s[14:15], s[0:1]
	s_cbranch_execnz .LBB212_36
	s_branch .LBB212_37
.LBB212_61:                             ;   in Loop: Header=BB212_21 Depth=1
	ds_read_b32 v20, v33
	s_or_b64 exec, exec, s[14:15]
	s_and_saveexec_b64 s[14:15], s[0:1]
	s_cbranch_execz .LBB212_41
.LBB212_62:                             ;   in Loop: Header=BB212_21 Depth=1
	s_waitcnt lgkmcnt(0)
	ds_bpermute_b32 v35, v31, v20
	s_waitcnt lgkmcnt(0)
	v_add_f32_e32 v20, v20, v35
	ds_bpermute_b32 v35, v32, v20
	s_waitcnt lgkmcnt(0)
	v_add_f32_e32 v20, v20, v35
	s_or_b64 exec, exec, s[14:15]
	s_and_saveexec_b64 s[14:15], s[0:1]
	s_cbranch_execnz .LBB212_42
	s_branch .LBB212_43
.LBB212_63:                             ;   in Loop: Header=BB212_21 Depth=1
	ds_read_b32 v21, v33
	s_or_b64 exec, exec, s[14:15]
	s_and_saveexec_b64 s[14:15], s[0:1]
	s_cbranch_execz .LBB212_47
.LBB212_64:                             ;   in Loop: Header=BB212_21 Depth=1
	s_waitcnt lgkmcnt(0)
	ds_bpermute_b32 v35, v31, v21
	s_waitcnt lgkmcnt(0)
	v_add_f32_e32 v21, v21, v35
	ds_bpermute_b32 v35, v32, v21
	s_waitcnt lgkmcnt(0)
	v_add_f32_e32 v21, v21, v35
	s_or_b64 exec, exec, s[14:15]
	s_and_saveexec_b64 s[14:15], s[6:7]
	s_cbranch_execz .LBB212_20
.LBB212_65:                             ;   in Loop: Header=BB212_21 Depth=1
	s_mul_i32 s16, s31, s28
	s_add_i32 s34, s16, s2
	s_lshl_b64 s[16:17], s[34:35], 2
	s_add_u32 s16, s33, s16
	v_mul_f32_e32 v22, s26, v22
	s_addc_u32 s17, s50, s17
	s_add_i32 s34, s34, s28
	global_store_dword v11, v22, s[16:17]
	s_lshl_b64 s[16:17], s[34:35], 2
	s_add_u32 s16, s33, s16
	v_mul_f32_e32 v22, s26, v23
	s_addc_u32 s17, s50, s17
	s_add_i32 s34, s34, s28
	global_store_dword v11, v22, s[16:17]
	;; [unrolled: 6-line block ×3, first 2 shown]
	s_lshl_b64 s[16:17], s[34:35], 2
	s_add_u32 s16, s33, s16
	s_waitcnt lgkmcnt(0)
	v_mul_f32_e32 v20, s26, v21
	s_addc_u32 s17, s50, s17
	global_store_dword v11, v20, s[16:17]
	s_branch .LBB212_20
.LBB212_66:
	s_mov_b32 s31, 0
                                        ; implicit-def: $vgpr2_vgpr3_vgpr4_vgpr5
.LBB212_67:
	s_cmp_ge_i32 s31, s25
	s_cbranch_scc1 .LBB212_91
; %bb.68:
	v_mbcnt_hi_u32_b32 v10, -1, v24
	v_and_b32_e32 v11, 63, v10
	v_cmp_gt_u32_e32 vcc, 32, v11
	v_add_u32_e32 v14, s27, v8
	v_add_u32_e32 v16, s27, v14
	v_cndmask_b32_e64 v12, 0, 1, vcc
	v_lshlrev_b32_e32 v12, 5, v12
	v_cmp_gt_u32_e32 vcc, 48, v11
	s_waitcnt lgkmcnt(0)
	v_add_lshl_u32 v21, v12, v10, 2
	s_mov_b32 s3, 0
	v_cndmask_b32_e64 v12, 0, 1, vcc
	v_lshlrev_b32_e32 v12, 4, v12
	v_cmp_gt_u32_e32 vcc, 56, v11
	v_add_lshl_u32 v22, v12, v10, 2
	s_cmp_gt_i32 s29, 0
	v_cndmask_b32_e64 v12, 0, 1, vcc
	v_lshlrev_b32_e32 v12, 3, v12
	v_cmp_gt_u32_e32 vcc, 60, v11
	v_add_lshl_u32 v23, v12, v10, 2
	v_ashrrev_i32_e32 v15, 31, v14
	v_cndmask_b32_e64 v12, 0, 1, vcc
	v_lshlrev_b32_e32 v12, 2, v12
	v_cmp_gt_u32_e32 vcc, 62, v11
	v_add_lshl_u32 v24, v12, v10, 2
	v_ashrrev_i32_e32 v17, 31, v16
	v_cndmask_b32_e64 v12, 0, 1, vcc
	v_lshlrev_b32_e32 v12, 1, v12
	v_cmp_ge_i32_e64 s[0:1], s24, v25
	s_cselect_b64 s[34:35], -1, 0
	v_add_lshl_u32 v25, v12, v10, 2
	v_cmp_ne_u32_e32 vcc, 63, v11
	s_lshl_b64 s[14:15], s[2:3], 2
	v_lshl_add_u64 v[12:13], v[14:15], 2, s[22:23]
	v_lshl_add_u64 v[14:15], v[16:17], 2, s[22:23]
	v_add_u32_e32 v16, s27, v16
	v_lshlrev_b32_e32 v20, 2, v1
	v_addc_co_u32_e32 v10, vcc, 0, v10, vcc
	v_cmp_eq_u32_e64 s[8:9], 0, v1
	v_and_b32_e32 v1, 12, v9
	s_add_u32 s2, s33, s14
	v_ashrrev_i32_e32 v9, 31, v8
	v_ashrrev_i32_e32 v17, 31, v16
	v_cmp_ge_i32_e64 s[4:5], s24, v26
	v_cmp_gt_u32_e64 s[6:7], 64, v0
	v_lshlrev_b32_e32 v26, 2, v10
	v_cmp_gt_u32_e64 s[10:11], 4, v0
	v_cmp_eq_u32_e64 s[12:13], 0, v0
	s_addc_u32 s24, s50, s15
	v_lshl_add_u64 v[10:11], v[8:9], 2, s[22:23]
	v_lshl_add_u64 v[16:17], v[16:17], 2, s[22:23]
	s_mul_i32 s36, s31, s30
	v_mov_b32_e32 v9, 0
	s_branch .LBB212_70
.LBB212_69:                             ;   in Loop: Header=BB212_70 Depth=1
	s_or_b64 exec, exec, s[14:15]
	s_add_i32 s31, s31, 1
	s_add_i32 s36, s36, s30
	s_cmp_ge_i32 s31, s25
	s_cbranch_scc1 .LBB212_91
.LBB212_70:                             ; =>This Loop Header: Depth=1
                                        ;     Child Loop BB212_83 Depth 2
                                        ;     Child Loop BB212_86 Depth 2
	s_waitcnt lgkmcnt(0)
	v_mov_b32_e32 v0, s3
	s_and_saveexec_b64 s[14:15], s[0:1]
	s_xor_b64 s[14:15], exec, s[14:15]
	s_cbranch_execnz .LBB212_79
; %bb.71:                               ;   in Loop: Header=BB212_70 Depth=1
	s_andn2_saveexec_b64 s[38:39], s[14:15]
	s_cbranch_execnz .LBB212_80
.LBB212_72:                             ;   in Loop: Header=BB212_70 Depth=1
	s_or_b64 exec, exec, s[38:39]
	s_and_saveexec_b64 s[14:15], s[6:7]
	s_cbranch_execz .LBB212_74
.LBB212_73:                             ;   in Loop: Header=BB212_70 Depth=1
	ds_write_b32 v20, v9
.LBB212_74:                             ;   in Loop: Header=BB212_70 Depth=1
	s_or_b64 exec, exec, s[14:15]
	ds_bpermute_b32 v18, v21, v0
	s_waitcnt lgkmcnt(0)
	s_barrier
	v_add_f32_e32 v0, v0, v18
	ds_bpermute_b32 v18, v22, v0
	s_waitcnt lgkmcnt(0)
	v_add_f32_e32 v0, v0, v18
	ds_bpermute_b32 v18, v23, v0
	s_waitcnt lgkmcnt(0)
	;; [unrolled: 3-line block ×4, first 2 shown]
	v_add_f32_e32 v0, v0, v18
	ds_bpermute_b32 v18, v26, v0
	s_and_saveexec_b64 s[14:15], s[8:9]
	s_cbranch_execz .LBB212_76
; %bb.75:                               ;   in Loop: Header=BB212_70 Depth=1
	s_waitcnt lgkmcnt(0)
	v_add_f32_e32 v0, v0, v18
	ds_write_b32 v1, v0
.LBB212_76:                             ;   in Loop: Header=BB212_70 Depth=1
	s_or_b64 exec, exec, s[14:15]
	v_mov_b32_e32 v0, 0
	s_waitcnt lgkmcnt(0)
	s_barrier
	s_and_saveexec_b64 s[14:15], s[10:11]
	s_cbranch_execnz .LBB212_88
; %bb.77:                               ;   in Loop: Header=BB212_70 Depth=1
	s_or_b64 exec, exec, s[14:15]
	s_and_saveexec_b64 s[14:15], s[6:7]
	s_cbranch_execnz .LBB212_89
.LBB212_78:                             ;   in Loop: Header=BB212_70 Depth=1
	s_or_b64 exec, exec, s[14:15]
	s_and_saveexec_b64 s[14:15], s[12:13]
	s_cbranch_execz .LBB212_69
	s_branch .LBB212_90
.LBB212_79:                             ;   in Loop: Header=BB212_70 Depth=1
	s_mul_i32 s16, s31, s30
	s_ashr_i32 s17, s16, 31
	v_lshl_add_u64 v[18:19], s[16:17], 2, v[6:7]
	flat_load_dwordx4 v[28:31], v[18:19]
	flat_load_dword v2, v[10:11]
	flat_load_dword v3, v[12:13]
	;; [unrolled: 1-line block ×4, first 2 shown]
	s_waitcnt vmcnt(0) lgkmcnt(0)
	v_pk_mul_f32 v[18:19], v[2:3], v[28:29]
	s_nop 0
	v_add_f32_e32 v0, 0, v18
	v_add_f32_e32 v0, v0, v19
	v_pk_mul_f32 v[18:19], v[4:5], v[30:31]
	s_nop 0
	v_add_f32_e32 v0, v0, v18
	v_add_f32_e32 v0, v0, v19
	s_andn2_saveexec_b64 s[38:39], s[14:15]
	s_cbranch_execz .LBB212_72
.LBB212_80:                             ;   in Loop: Header=BB212_70 Depth=1
	s_and_saveexec_b64 s[40:41], s[4:5]
	s_cbranch_execz .LBB212_87
; %bb.81:                               ;   in Loop: Header=BB212_70 Depth=1
	v_cndmask_b32_e64 v18, 0, 1, s[34:35]
	v_cmp_ne_u32_e64 s[14:15], 1, v18
	s_andn2_b64 vcc, exec, s[34:35]
	s_cbranch_vccnz .LBB212_84
; %bb.82:                               ;   in Loop: Header=BB212_70 Depth=1
	s_mov_b64 s[42:43], 0
	v_mov_b32_e32 v18, v8
.LBB212_83:                             ;   Parent Loop BB212_70 Depth=1
                                        ; =>  This Inner Loop Header: Depth=2
	v_ashrrev_i32_e32 v19, 31, v18
	v_lshl_add_u64 v[28:29], v[18:19], 2, s[22:23]
	flat_load_dword v19, v[28:29]
	s_cmp_eq_u32 s42, 3
	s_cselect_b64 vcc, -1, 0
	s_cmp_eq_u32 s42, 2
	s_cselect_b64 s[16:17], -1, 0
	s_cmp_eq_u32 s42, 1
	s_cselect_b64 s[18:19], -1, 0
	;; [unrolled: 2-line block ×3, first 2 shown]
	s_add_u32 s42, s42, 1
	s_addc_u32 s43, s43, 0
	v_add_u32_e32 v18, s27, v18
	s_cmp_eq_u32 s29, s42
	s_waitcnt vmcnt(0) lgkmcnt(0)
	v_cndmask_b32_e32 v5, v5, v19, vcc
	v_cndmask_b32_e64 v4, v4, v19, s[16:17]
	v_cndmask_b32_e64 v3, v3, v19, s[18:19]
	;; [unrolled: 1-line block ×3, first 2 shown]
	s_cbranch_scc0 .LBB212_83
.LBB212_84:                             ;   in Loop: Header=BB212_70 Depth=1
	s_and_b64 vcc, exec, s[14:15]
	s_cbranch_vccnz .LBB212_87
; %bb.85:                               ;   in Loop: Header=BB212_70 Depth=1
	s_ashr_i32 s37, s36, 31
	v_lshl_add_u64 v[18:19], s[36:37], 2, v[6:7]
	s_mov_b64 s[14:15], 0
.LBB212_86:                             ;   Parent Loop BB212_70 Depth=1
                                        ; =>  This Inner Loop Header: Depth=2
	flat_load_dword v27, v[18:19]
	s_cmp_eq_u32 s14, 1
	s_cselect_b64 vcc, -1, 0
	s_cmp_eq_u32 s14, 2
	v_cndmask_b32_e32 v28, v2, v3, vcc
	s_cselect_b64 vcc, -1, 0
	s_cmp_eq_u32 s14, 3
	v_cndmask_b32_e32 v28, v28, v4, vcc
	s_cselect_b64 vcc, -1, 0
	s_add_u32 s14, s14, 1
	v_cndmask_b32_e32 v28, v28, v5, vcc
	s_addc_u32 s15, s15, 0
	v_lshl_add_u64 v[18:19], v[18:19], 0, 4
	s_cmp_lg_u32 s29, s14
	s_waitcnt vmcnt(0) lgkmcnt(0)
	v_fmac_f32_e32 v0, v28, v27
	s_cbranch_scc1 .LBB212_86
.LBB212_87:                             ;   in Loop: Header=BB212_70 Depth=1
	s_or_b64 exec, exec, s[40:41]
	s_or_b64 exec, exec, s[38:39]
	s_and_saveexec_b64 s[14:15], s[6:7]
	s_cbranch_execnz .LBB212_73
	s_branch .LBB212_74
.LBB212_88:                             ;   in Loop: Header=BB212_70 Depth=1
	ds_read_b32 v0, v20
	s_or_b64 exec, exec, s[14:15]
	s_and_saveexec_b64 s[14:15], s[6:7]
	s_cbranch_execz .LBB212_78
.LBB212_89:                             ;   in Loop: Header=BB212_70 Depth=1
	s_waitcnt lgkmcnt(0)
	ds_bpermute_b32 v18, v25, v0
	s_waitcnt lgkmcnt(0)
	v_add_f32_e32 v0, v0, v18
	ds_bpermute_b32 v18, v26, v0
	s_waitcnt lgkmcnt(0)
	v_add_f32_e32 v0, v0, v18
	s_or_b64 exec, exec, s[14:15]
	s_and_saveexec_b64 s[14:15], s[12:13]
	s_cbranch_execz .LBB212_69
.LBB212_90:                             ;   in Loop: Header=BB212_70 Depth=1
	s_mul_hi_u32 s17, s31, s28
	s_mul_i32 s16, s31, s28
	s_lshl_b64 s[16:17], s[16:17], 2
	s_add_u32 s16, s2, s16
	s_waitcnt lgkmcnt(0)
	v_mul_f32_e32 v0, s26, v0
	s_addc_u32 s17, s24, s17
	global_store_dword v9, v0, s[16:17]
	s_branch .LBB212_69
.LBB212_91:
	s_endpgm
	.section	.rodata,"a",@progbits
	.p2align	6, 0x0
	.amdhsa_kernel _ZL23rocblas_gemvt_sn_kernelILb0ELi256ELi4EiPKfffEviiT4_lPKT3_lilS5_lilPT5_i
		.amdhsa_group_segment_fixed_size 256
		.amdhsa_private_segment_fixed_size 0
		.amdhsa_kernarg_size 360
		.amdhsa_user_sgpr_count 2
		.amdhsa_user_sgpr_dispatch_ptr 0
		.amdhsa_user_sgpr_queue_ptr 0
		.amdhsa_user_sgpr_kernarg_segment_ptr 1
		.amdhsa_user_sgpr_dispatch_id 0
		.amdhsa_user_sgpr_kernarg_preload_length 0
		.amdhsa_user_sgpr_kernarg_preload_offset 0
		.amdhsa_user_sgpr_private_segment_size 0
		.amdhsa_uses_dynamic_stack 0
		.amdhsa_enable_private_segment 0
		.amdhsa_system_sgpr_workgroup_id_x 1
		.amdhsa_system_sgpr_workgroup_id_y 0
		.amdhsa_system_sgpr_workgroup_id_z 1
		.amdhsa_system_sgpr_workgroup_info 0
		.amdhsa_system_vgpr_workitem_id 0
		.amdhsa_next_free_vgpr 50
		.amdhsa_next_free_sgpr 54
		.amdhsa_accum_offset 52
		.amdhsa_reserve_vcc 1
		.amdhsa_float_round_mode_32 0
		.amdhsa_float_round_mode_16_64 0
		.amdhsa_float_denorm_mode_32 3
		.amdhsa_float_denorm_mode_16_64 3
		.amdhsa_dx10_clamp 1
		.amdhsa_ieee_mode 1
		.amdhsa_fp16_overflow 0
		.amdhsa_tg_split 0
		.amdhsa_exception_fp_ieee_invalid_op 0
		.amdhsa_exception_fp_denorm_src 0
		.amdhsa_exception_fp_ieee_div_zero 0
		.amdhsa_exception_fp_ieee_overflow 0
		.amdhsa_exception_fp_ieee_underflow 0
		.amdhsa_exception_fp_ieee_inexact 0
		.amdhsa_exception_int_div_zero 0
	.end_amdhsa_kernel
	.section	.text._ZL23rocblas_gemvt_sn_kernelILb0ELi256ELi4EiPKfffEviiT4_lPKT3_lilS5_lilPT5_i,"axG",@progbits,_ZL23rocblas_gemvt_sn_kernelILb0ELi256ELi4EiPKfffEviiT4_lPKT3_lilS5_lilPT5_i,comdat
.Lfunc_end212:
	.size	_ZL23rocblas_gemvt_sn_kernelILb0ELi256ELi4EiPKfffEviiT4_lPKT3_lilS5_lilPT5_i, .Lfunc_end212-_ZL23rocblas_gemvt_sn_kernelILb0ELi256ELi4EiPKfffEviiT4_lPKT3_lilS5_lilPT5_i
                                        ; -- End function
	.section	.AMDGPU.csdata,"",@progbits
; Kernel info:
; codeLenInByte = 3884
; NumSgprs: 60
; NumVgprs: 50
; NumAgprs: 0
; TotalNumVgprs: 50
; ScratchSize: 0
; MemoryBound: 0
; FloatMode: 240
; IeeeMode: 1
; LDSByteSize: 256 bytes/workgroup (compile time only)
; SGPRBlocks: 7
; VGPRBlocks: 6
; NumSGPRsForWavesPerEU: 60
; NumVGPRsForWavesPerEU: 50
; AccumOffset: 52
; Occupancy: 8
; WaveLimiterHint : 0
; COMPUTE_PGM_RSRC2:SCRATCH_EN: 0
; COMPUTE_PGM_RSRC2:USER_SGPR: 2
; COMPUTE_PGM_RSRC2:TRAP_HANDLER: 0
; COMPUTE_PGM_RSRC2:TGID_X_EN: 1
; COMPUTE_PGM_RSRC2:TGID_Y_EN: 0
; COMPUTE_PGM_RSRC2:TGID_Z_EN: 1
; COMPUTE_PGM_RSRC2:TIDIG_COMP_CNT: 0
; COMPUTE_PGM_RSRC3_GFX90A:ACCUM_OFFSET: 12
; COMPUTE_PGM_RSRC3_GFX90A:TG_SPLIT: 0
	.section	.text._ZL23rocblas_gemvt_sn_kernelILb0ELi256ELi4ElPKfffEviiT4_lPKT3_lilS5_lilPT5_i,"axG",@progbits,_ZL23rocblas_gemvt_sn_kernelILb0ELi256ELi4ElPKfffEviiT4_lPKT3_lilS5_lilPT5_i,comdat
	.globl	_ZL23rocblas_gemvt_sn_kernelILb0ELi256ELi4ElPKfffEviiT4_lPKT3_lilS5_lilPT5_i ; -- Begin function _ZL23rocblas_gemvt_sn_kernelILb0ELi256ELi4ElPKfffEviiT4_lPKT3_lilS5_lilPT5_i
	.p2align	8
	.type	_ZL23rocblas_gemvt_sn_kernelILb0ELi256ELi4ElPKfffEviiT4_lPKT3_lilS5_lilPT5_i,@function
_ZL23rocblas_gemvt_sn_kernelILb0ELi256ELi4ElPKfffEviiT4_lPKT3_lilS5_lilPT5_i: ; @_ZL23rocblas_gemvt_sn_kernelILb0ELi256ELi4ElPKfffEviiT4_lPKT3_lilS5_lilPT5_i
; %bb.0:
	s_load_dwordx4 s[24:27], s[0:1], 0x0
	s_mov_b32 s8, s3
	s_mov_b32 s9, 0
	s_waitcnt lgkmcnt(0)
	v_cmp_neq_f32_e64 s[4:5], s26, 0
	v_cmp_eq_f32_e64 s[6:7], s26, 0
	s_and_b64 vcc, exec, s[4:5]
	s_cbranch_vccnz .LBB213_2
; %bb.1:
	s_mov_b64 s[30:31], 0
	s_cbranch_execz .LBB213_3
	s_branch .LBB213_4
.LBB213_2:
                                        ; implicit-def: $sgpr30_sgpr31
.LBB213_3:
	s_load_dwordx4 s[12:15], s[0:1], 0x18
	s_lshl_b64 s[10:11], s[8:9], 3
	s_waitcnt lgkmcnt(0)
	s_add_u32 s10, s12, s10
	s_addc_u32 s11, s13, s11
	s_load_dwordx2 s[10:11], s[10:11], 0x0
	s_lshl_b64 s[12:13], s[14:15], 2
	s_waitcnt lgkmcnt(0)
	s_add_u32 s30, s10, s12
	s_addc_u32 s31, s11, s13
.LBB213_4:
	s_andn2_b64 vcc, exec, s[4:5]
	s_cbranch_vccnz .LBB213_6
; %bb.5:
	s_load_dwordx4 s[12:15], s[0:1], 0x38
	s_lshl_b64 s[4:5], s[8:9], 3
	s_waitcnt lgkmcnt(0)
	s_add_u32 s4, s12, s4
	s_addc_u32 s5, s13, s5
	s_load_dwordx2 s[4:5], s[4:5], 0x0
	s_lshl_b64 s[10:11], s[14:15], 2
	s_waitcnt lgkmcnt(0)
	s_add_u32 s34, s4, s10
	s_addc_u32 s35, s5, s11
	s_branch .LBB213_7
.LBB213_6:
	s_mov_b64 s[34:35], 0
.LBB213_7:
	s_load_dwordx2 s[4:5], s[0:1], 0x58
	s_load_dword s22, s[0:1], 0x68
	s_ashr_i32 s14, s25, 31
	s_mul_hi_u32 s3, s8, s25
	s_mul_i32 s10, s8, s14
	s_add_i32 s3, s3, s10
	s_mul_i32 s9, s9, s25
	s_add_i32 s9, s3, s9
	s_mul_i32 s8, s8, s25
	s_waitcnt lgkmcnt(0)
	s_mul_i32 s3, s9, s22
	s_mul_hi_u32 s10, s8, s22
	s_add_i32 s11, s10, s3
	s_mul_i32 s10, s8, s22
	s_lshl_b64 s[10:11], s[10:11], 2
	s_add_u32 s27, s4, s10
	s_mov_b32 s23, 0
	s_addc_u32 s33, s5, s11
	s_andn2_b64 vcc, exec, s[6:7]
	s_mov_b64 s[6:7], -1
	s_cbranch_vccnz .LBB213_17
; %bb.8:
	s_cmp_gt_i32 s25, 0
	v_cmp_eq_u32_e32 vcc, 0, v0
	s_cselect_b64 s[6:7], -1, 0
	s_and_b64 s[10:11], vcc, s[6:7]
	s_and_saveexec_b64 s[6:7], s[10:11]
	s_cbranch_execz .LBB213_16
; %bb.9:
	s_cmp_gt_u32 s25, 1
	s_cselect_b64 s[10:11], -1, 0
	s_cmp_eq_u32 s22, 1
	s_cselect_b64 s[16:17], -1, 0
	s_mov_b32 s3, 0
	s_and_b64 s[10:11], s[10:11], s[16:17]
	s_mov_b64 s[12:13], -1
	s_andn2_b64 vcc, exec, s[10:11]
	s_mov_b32 s10, s3
	s_cbranch_vccnz .LBB213_13
; %bb.10:
	s_lshl_b64 s[10:11], s[2:3], 2
	s_add_u32 s12, s27, s10
	s_addc_u32 s13, s33, s11
	s_and_b32 s10, s25, 0x7ffffffe
	v_mov_b32_e32 v2, 0
	v_mov_b32_e32 v3, v2
	s_mov_b32 s11, s10
.LBB213_11:                             ; =>This Inner Loop Header: Depth=1
	global_store_dwordx2 v2, v[2:3], s[12:13]
	s_add_u32 s12, s12, 8
	s_addc_u32 s13, s13, 0
	s_add_i32 s11, s11, -2
	s_cmp_lg_u32 s11, 0
	s_cbranch_scc1 .LBB213_11
; %bb.12:
	s_cmp_lg_u32 s10, s25
	s_cselect_b64 s[12:13], -1, 0
.LBB213_13:
	s_and_b64 vcc, exec, s[12:13]
	s_cbranch_vccz .LBB213_16
; %bb.14:
	s_mov_b32 s11, 0
	s_sub_i32 s12, s25, s10
	s_lshl_b64 s[8:9], s[8:9], 2
	s_lshl_b64 s[10:11], s[10:11], 2
	s_add_u32 s8, s8, s10
	s_addc_u32 s9, s9, s11
	s_mul_i32 s9, s9, s22
	s_mul_hi_u32 s10, s8, s22
	s_add_i32 s10, s10, s9
	s_mul_i32 s11, s8, s22
	s_lshl_b64 s[8:9], s[2:3], 2
	s_add_u32 s3, s11, s8
	s_addc_u32 s8, s10, s9
	s_add_u32 s4, s4, s3
	s_addc_u32 s5, s5, s8
	s_lshl_b64 s[8:9], s[22:23], 2
	v_mov_b32_e32 v1, 0
.LBB213_15:                             ; =>This Inner Loop Header: Depth=1
	s_add_i32 s12, s12, -1
	global_store_dword v1, v1, s[4:5]
	s_add_u32 s4, s4, s8
	s_addc_u32 s5, s5, s9
	s_cmp_eq_u32 s12, 0
	s_cbranch_scc0 .LBB213_15
.LBB213_16:
	s_or_b64 exec, exec, s[6:7]
	s_mov_b64 s[6:7], 0
.LBB213_17:
	s_andn2_b64 vcc, exec, s[6:7]
	s_cbranch_vccnz .LBB213_91
; %bb.18:
	s_load_dword s28, s[0:1], 0x28
	s_load_dword s36, s[0:1], 0x48
	s_lshl_b32 s0, s2, 10
	v_lshl_or_b32 v8, v0, 2, s0
	s_lshr_b32 s0, s14, 30
	s_add_i32 s0, s25, s0
	s_and_b32 s56, s0, -4
	s_ashr_i32 s0, s24, 31
	s_lshr_b32 s0, s0, 30
	s_add_i32 s0, s24, s0
	s_and_b32 s0, s0, -4
	s_waitcnt lgkmcnt(0)
	s_ashr_i32 s29, s28, 31
	s_ashr_i32 s37, s36, 31
	v_ashrrev_i32_e32 v9, 31, v8
	s_sub_i32 s23, s24, s0
	v_lshl_add_u64 v[6:7], v[8:9], 2, s[30:31]
	s_cmp_lt_i32 s56, 1
	v_add_u32_e32 v29, 4, v8
	v_add_u32_e32 v30, s23, v8
	v_and_b32_e32 v26, 63, v0
	v_cmp_gt_u32_e64 s[0:1], 64, v0
	v_mbcnt_lo_u32_b32 v28, -1, 0
	v_cmp_gt_u32_e64 s[4:5], 4, v0
	v_lshrrev_b32_e32 v27, 4, v0
	v_cmp_eq_u32_e64 s[6:7], 0, v0
	v_or_b32_e32 v25, 1, v8
	v_or_b32_e32 v24, 2, v8
	v_or_b32_e32 v1, 3, v8
	s_cbranch_scc1 .LBB213_66
; %bb.19:
	v_mbcnt_hi_u32_b32 v2, -1, v28
	v_and_b32_e32 v3, 63, v2
	v_cmp_gt_u32_e32 vcc, 32, v3
	s_mov_b32 s3, 0
	s_cmp_gt_i32 s23, 0
	v_cndmask_b32_e64 v4, 0, 1, vcc
	v_lshlrev_b32_e32 v4, 5, v4
	v_cmp_gt_u32_e32 vcc, 48, v3
	v_add_lshl_u32 v31, v4, v2, 2
	s_cselect_b64 s[38:39], -1, 0
	v_cndmask_b32_e64 v4, 0, 1, vcc
	v_lshlrev_b32_e32 v4, 4, v4
	v_cmp_gt_u32_e32 vcc, 56, v3
	v_add_lshl_u32 v32, v4, v2, 2
	s_lshl_b64 s[14:15], s[2:3], 2
	v_cndmask_b32_e64 v4, 0, 1, vcc
	v_lshlrev_b32_e32 v4, 3, v4
	v_cmp_gt_u32_e32 vcc, 60, v3
	v_add_lshl_u32 v33, v4, v2, 2
	s_add_u32 s57, s27, s14
	v_cndmask_b32_e64 v4, 0, 1, vcc
	v_lshlrev_b32_e32 v4, 2, v4
	v_cmp_gt_u32_e32 vcc, 62, v3
	v_add_lshl_u32 v34, v4, v2, 2
	s_addc_u32 s58, s33, s15
	v_cndmask_b32_e64 v4, 0, 1, vcc
	v_lshlrev_b32_e32 v4, 1, v4
	v_cmp_ne_u32_e32 vcc, 63, v3
	v_add_lshl_u32 v35, v4, v2, 2
	v_cmp_ge_i32_e64 s[8:9], s24, v29
	v_addc_co_u32_e32 v2, vcc, 0, v2, vcc
	v_lshlrev_b32_e32 v36, 2, v2
	v_mad_i64_i32 v[2:3], s[14:15], s36, v8, 0
	v_lshl_add_u64 v[10:11], v[2:3], 2, s[34:35]
	v_mad_i64_i32 v[2:3], s[14:15], s36, v25, 0
	v_lshl_add_u64 v[12:13], v[2:3], 2, s[34:35]
	;; [unrolled: 2-line block ×3, first 2 shown]
	v_mad_i64_i32 v[2:3], s[14:15], s36, v1, 0
	v_cmp_ge_i32_e64 s[10:11], s24, v30
	v_cmp_eq_u32_e64 s[12:13], 0, v26
	v_lshlrev_b32_e32 v37, 2, v26
	v_and_b32_e32 v38, 12, v27
	v_lshl_add_u64 v[16:17], v[2:3], 2, s[34:35]
	s_lshl_b64 s[40:41], s[36:37], 2
	s_mul_hi_i32 s43, s28, 12
	s_mul_i32 s42, s28, 12
	s_lshl_b64 s[44:45], s[28:29], 4
	s_lshl_b64 s[46:47], s[28:29], 3
	;; [unrolled: 1-line block ×3, first 2 shown]
	v_mov_b32_e32 v39, 0
	v_mov_b64_e32 v[18:19], v[6:7]
                                        ; implicit-def: $vgpr2_vgpr3_vgpr4_vgpr5
	s_branch .LBB213_21
.LBB213_20:                             ;   in Loop: Header=BB213_21 Depth=1
	s_or_b64 exec, exec, s[14:15]
	s_add_i32 s3, s3, 4
	s_cmp_ge_i32 s3, s56
	v_lshl_add_u64 v[18:19], v[18:19], 0, s[44:45]
	s_cbranch_scc1 .LBB213_67
.LBB213_21:                             ; =>This Loop Header: Depth=1
                                        ;     Child Loop BB213_52 Depth 2
                                        ;     Child Loop BB213_55 Depth 2
                                        ; implicit-def: $vgpr21
                                        ; implicit-def: $vgpr40
                                        ; implicit-def: $vgpr41
	s_and_saveexec_b64 s[14:15], s[8:9]
	s_xor_b64 s[14:15], exec, s[14:15]
	s_cbranch_execnz .LBB213_48
; %bb.22:                               ;   in Loop: Header=BB213_21 Depth=1
	s_andn2_saveexec_b64 s[50:51], s[14:15]
	s_cbranch_execnz .LBB213_49
.LBB213_23:                             ;   in Loop: Header=BB213_21 Depth=1
	s_or_b64 exec, exec, s[50:51]
	s_and_saveexec_b64 s[14:15], s[0:1]
	s_cbranch_execz .LBB213_25
.LBB213_24:                             ;   in Loop: Header=BB213_21 Depth=1
	ds_write_b32 v37, v39
.LBB213_25:                             ;   in Loop: Header=BB213_21 Depth=1
	s_or_b64 exec, exec, s[14:15]
	ds_bpermute_b32 v22, v31, v41
	s_waitcnt lgkmcnt(0)
	s_barrier
	v_add_f32_e32 v22, v41, v22
	ds_bpermute_b32 v23, v32, v22
	s_waitcnt lgkmcnt(0)
	v_add_f32_e32 v22, v22, v23
	ds_bpermute_b32 v23, v33, v22
	s_waitcnt lgkmcnt(0)
	;; [unrolled: 3-line block ×4, first 2 shown]
	v_add_f32_e32 v22, v22, v23
	ds_bpermute_b32 v23, v36, v22
	s_and_saveexec_b64 s[14:15], s[12:13]
	s_cbranch_execz .LBB213_27
; %bb.26:                               ;   in Loop: Header=BB213_21 Depth=1
	s_waitcnt lgkmcnt(0)
	v_add_f32_e32 v22, v22, v23
	ds_write_b32 v38, v22
.LBB213_27:                             ;   in Loop: Header=BB213_21 Depth=1
	s_or_b64 exec, exec, s[14:15]
	v_mov_b32_e32 v22, 0
	s_waitcnt lgkmcnt(0)
	s_barrier
	s_and_saveexec_b64 s[14:15], s[4:5]
	s_cbranch_execnz .LBB213_57
; %bb.28:                               ;   in Loop: Header=BB213_21 Depth=1
	s_or_b64 exec, exec, s[14:15]
	s_and_saveexec_b64 s[14:15], s[0:1]
	s_cbranch_execnz .LBB213_58
.LBB213_29:                             ;   in Loop: Header=BB213_21 Depth=1
	s_or_b64 exec, exec, s[14:15]
	s_and_saveexec_b64 s[14:15], s[0:1]
	s_cbranch_execz .LBB213_31
.LBB213_30:                             ;   in Loop: Header=BB213_21 Depth=1
	ds_write_b32 v37, v39
.LBB213_31:                             ;   in Loop: Header=BB213_21 Depth=1
	s_or_b64 exec, exec, s[14:15]
	ds_bpermute_b32 v23, v31, v40
	s_waitcnt lgkmcnt(0)
	s_barrier
	v_add_f32_e32 v23, v40, v23
	ds_bpermute_b32 v40, v32, v23
	s_waitcnt lgkmcnt(0)
	v_add_f32_e32 v23, v23, v40
	ds_bpermute_b32 v40, v33, v23
	s_waitcnt lgkmcnt(0)
	;; [unrolled: 3-line block ×4, first 2 shown]
	v_add_f32_e32 v23, v23, v40
	ds_bpermute_b32 v40, v36, v23
	s_and_saveexec_b64 s[14:15], s[12:13]
	s_cbranch_execz .LBB213_33
; %bb.32:                               ;   in Loop: Header=BB213_21 Depth=1
	s_waitcnt lgkmcnt(0)
	v_add_f32_e32 v23, v23, v40
	ds_write_b32 v38, v23
.LBB213_33:                             ;   in Loop: Header=BB213_21 Depth=1
	s_or_b64 exec, exec, s[14:15]
	v_mov_b32_e32 v23, 0
	s_waitcnt lgkmcnt(0)
	s_barrier
	s_and_saveexec_b64 s[14:15], s[4:5]
	s_cbranch_execnz .LBB213_59
; %bb.34:                               ;   in Loop: Header=BB213_21 Depth=1
	s_or_b64 exec, exec, s[14:15]
	s_and_saveexec_b64 s[14:15], s[0:1]
	s_cbranch_execnz .LBB213_60
.LBB213_35:                             ;   in Loop: Header=BB213_21 Depth=1
	s_or_b64 exec, exec, s[14:15]
	s_and_saveexec_b64 s[14:15], s[0:1]
	s_cbranch_execz .LBB213_37
.LBB213_36:                             ;   in Loop: Header=BB213_21 Depth=1
	ds_write_b32 v37, v39
.LBB213_37:                             ;   in Loop: Header=BB213_21 Depth=1
	s_or_b64 exec, exec, s[14:15]
	ds_bpermute_b32 v40, v31, v20
	s_waitcnt lgkmcnt(0)
	s_barrier
	v_add_f32_e32 v20, v20, v40
	ds_bpermute_b32 v40, v32, v20
	s_waitcnt lgkmcnt(0)
	v_add_f32_e32 v20, v20, v40
	ds_bpermute_b32 v40, v33, v20
	s_waitcnt lgkmcnt(0)
	;; [unrolled: 3-line block ×4, first 2 shown]
	v_add_f32_e32 v20, v20, v40
	ds_bpermute_b32 v40, v36, v20
	s_and_saveexec_b64 s[14:15], s[12:13]
	s_cbranch_execz .LBB213_39
; %bb.38:                               ;   in Loop: Header=BB213_21 Depth=1
	s_waitcnt lgkmcnt(0)
	v_add_f32_e32 v20, v20, v40
	ds_write_b32 v38, v20
.LBB213_39:                             ;   in Loop: Header=BB213_21 Depth=1
	s_or_b64 exec, exec, s[14:15]
	v_mov_b32_e32 v20, 0
	s_waitcnt lgkmcnt(0)
	s_barrier
	s_and_saveexec_b64 s[14:15], s[4:5]
	s_cbranch_execnz .LBB213_61
; %bb.40:                               ;   in Loop: Header=BB213_21 Depth=1
	s_or_b64 exec, exec, s[14:15]
	s_and_saveexec_b64 s[14:15], s[0:1]
	s_cbranch_execnz .LBB213_62
.LBB213_41:                             ;   in Loop: Header=BB213_21 Depth=1
	s_or_b64 exec, exec, s[14:15]
	s_and_saveexec_b64 s[14:15], s[0:1]
	s_cbranch_execz .LBB213_43
.LBB213_42:                             ;   in Loop: Header=BB213_21 Depth=1
	ds_write_b32 v37, v39
.LBB213_43:                             ;   in Loop: Header=BB213_21 Depth=1
	s_or_b64 exec, exec, s[14:15]
	ds_bpermute_b32 v40, v31, v21
	s_waitcnt lgkmcnt(0)
	s_barrier
	v_add_f32_e32 v21, v21, v40
	ds_bpermute_b32 v40, v32, v21
	s_waitcnt lgkmcnt(0)
	v_add_f32_e32 v21, v21, v40
	ds_bpermute_b32 v40, v33, v21
	s_waitcnt lgkmcnt(0)
	;; [unrolled: 3-line block ×4, first 2 shown]
	v_add_f32_e32 v21, v21, v40
	ds_bpermute_b32 v40, v36, v21
	s_and_saveexec_b64 s[14:15], s[12:13]
	s_cbranch_execz .LBB213_45
; %bb.44:                               ;   in Loop: Header=BB213_21 Depth=1
	s_waitcnt lgkmcnt(0)
	v_add_f32_e32 v21, v21, v40
	ds_write_b32 v38, v21
.LBB213_45:                             ;   in Loop: Header=BB213_21 Depth=1
	s_or_b64 exec, exec, s[14:15]
	v_mov_b32_e32 v21, 0
	s_waitcnt lgkmcnt(0)
	s_barrier
	s_and_saveexec_b64 s[14:15], s[4:5]
	s_cbranch_execnz .LBB213_63
; %bb.46:                               ;   in Loop: Header=BB213_21 Depth=1
	s_or_b64 exec, exec, s[14:15]
	s_and_saveexec_b64 s[14:15], s[0:1]
	s_cbranch_execnz .LBB213_64
.LBB213_47:                             ;   in Loop: Header=BB213_21 Depth=1
	s_or_b64 exec, exec, s[14:15]
	s_and_saveexec_b64 s[14:15], s[6:7]
	s_cbranch_execz .LBB213_20
	s_branch .LBB213_65
.LBB213_48:                             ;   in Loop: Header=BB213_21 Depth=1
	s_mul_i32 s16, s3, s29
	s_mul_hi_u32 s17, s3, s28
	s_add_i32 s17, s17, s16
	s_mul_i32 s16, s3, s28
	v_lshl_add_u64 v[40:41], s[16:17], 2, v[6:7]
	s_or_b32 s16, s3, 1
	s_mul_i32 s17, s16, s29
	s_mul_hi_u32 s18, s16, s28
	s_add_i32 s17, s18, s17
	s_mul_i32 s16, s16, s28
	v_lshl_add_u64 v[44:45], s[16:17], 2, v[6:7]
	s_or_b32 s16, s3, 2
	s_mul_i32 s17, s16, s29
	s_mul_hi_u32 s18, s16, s28
	s_add_i32 s17, s18, s17
	s_mul_i32 s16, s16, s28
	s_waitcnt lgkmcnt(0)
	v_lshl_add_u64 v[20:21], s[16:17], 2, v[6:7]
	s_or_b32 s16, s3, 3
	s_mul_i32 s17, s16, s29
	s_mul_hi_u32 s18, s16, s28
	s_add_i32 s17, s18, s17
	s_mul_i32 s16, s16, s28
	v_lshl_add_u64 v[48:49], s[16:17], 2, v[6:7]
	flat_load_dword v3, v[12:13]
	flat_load_dword v4, v[14:15]
	;; [unrolled: 1-line block ×4, first 2 shown]
	s_nop 0
	flat_load_dwordx4 v[20:23], v[20:21]
	s_nop 0
	flat_load_dwordx4 v[40:43], v[40:41]
	s_waitcnt vmcnt(0) lgkmcnt(0)
	v_mul_f32_e32 v20, v2, v20
	flat_load_dwordx4 v[44:47], v[44:45]
	v_pk_mul_f32 v[40:41], v[2:3], v[40:41]
	flat_load_dwordx4 v[48:51], v[48:49]
	v_add_f32_e32 v40, 0, v40
	v_mul_f32_e32 v52, v3, v21
	v_pk_mul_f32 v[42:43], v[4:5], v[42:43]
	v_add_f32_e32 v40, v40, v41
	v_mul_f32_e32 v22, v4, v22
	v_mul_f32_e32 v54, v5, v23
	v_add_f32_e32 v40, v40, v42
	s_waitcnt vmcnt(0) lgkmcnt(0)
	v_pk_mul_f32 v[44:45], v[2:3], v[44:45]
	s_nop 0
	v_add_f32_e32 v41, 0, v44
	v_pk_mul_f32 v[48:49], v[2:3], v[48:49]
	v_pk_mul_f32 v[50:51], v[4:5], v[50:51]
	v_mov_b32_e32 v21, v48
	v_mov_b32_e32 v53, v49
	v_pk_add_f32 v[20:21], v[20:21], 0 op_sel_hi:[1,0]
	v_pk_mul_f32 v[46:47], v[4:5], v[46:47]
	v_mov_b32_e32 v23, v50
	v_add_f32_e32 v44, v41, v45
	v_pk_add_f32 v[20:21], v[20:21], v[52:53]
	v_add_f32_e32 v41, v40, v43
	v_add_f32_e32 v40, v44, v46
	v_pk_add_f32 v[20:21], v[20:21], v[22:23]
	v_mov_b32_e32 v55, v51
	v_add_f32_e32 v40, v40, v47
	v_pk_add_f32 v[20:21], v[20:21], v[54:55]
	s_andn2_saveexec_b64 s[50:51], s[14:15]
	s_cbranch_execz .LBB213_23
.LBB213_49:                             ;   in Loop: Header=BB213_21 Depth=1
	s_waitcnt lgkmcnt(0)
	v_mov_b32_e32 v21, 0
	v_mov_b32_e32 v20, 0
	;; [unrolled: 1-line block ×4, first 2 shown]
	s_and_saveexec_b64 s[52:53], s[10:11]
	s_cbranch_execz .LBB213_56
; %bb.50:                               ;   in Loop: Header=BB213_21 Depth=1
	v_cndmask_b32_e64 v20, 0, 1, s[38:39]
	v_cmp_ne_u32_e64 s[14:15], 1, v20
	s_andn2_b64 vcc, exec, s[38:39]
	s_cbranch_vccnz .LBB213_53
; %bb.51:                               ;   in Loop: Header=BB213_21 Depth=1
	s_mov_b64 s[54:55], 0
	v_mov_b64_e32 v[20:21], v[10:11]
.LBB213_52:                             ;   Parent Loop BB213_21 Depth=1
                                        ; =>  This Inner Loop Header: Depth=2
	flat_load_dword v22, v[20:21]
	s_cmp_eq_u32 s54, 3
	s_cselect_b64 vcc, -1, 0
	s_cmp_eq_u32 s54, 2
	s_cselect_b64 s[16:17], -1, 0
	s_cmp_eq_u32 s54, 1
	s_cselect_b64 s[18:19], -1, 0
	;; [unrolled: 2-line block ×3, first 2 shown]
	s_add_u32 s54, s54, 1
	s_addc_u32 s55, s55, 0
	v_lshl_add_u64 v[20:21], v[20:21], 0, s[40:41]
	s_cmp_eq_u32 s23, s54
	s_waitcnt vmcnt(0) lgkmcnt(0)
	v_cndmask_b32_e32 v5, v5, v22, vcc
	v_cndmask_b32_e64 v4, v4, v22, s[16:17]
	v_cndmask_b32_e64 v3, v3, v22, s[18:19]
	;; [unrolled: 1-line block ×3, first 2 shown]
	s_cbranch_scc0 .LBB213_52
.LBB213_53:                             ;   in Loop: Header=BB213_21 Depth=1
	s_and_b64 vcc, exec, s[14:15]
	v_mov_b32_e32 v21, 0
	v_mov_b32_e32 v20, 0
	;; [unrolled: 1-line block ×4, first 2 shown]
	s_cbranch_vccnz .LBB213_56
; %bb.54:                               ;   in Loop: Header=BB213_21 Depth=1
	v_mov_b32_e32 v41, 0
	s_mov_b64 s[14:15], 0
	v_mov_b64_e32 v[22:23], v[18:19]
	v_mov_b32_e32 v40, 0
	v_mov_b32_e32 v20, 0
	;; [unrolled: 1-line block ×3, first 2 shown]
.LBB213_55:                             ;   Parent Loop BB213_21 Depth=1
                                        ; =>  This Inner Loop Header: Depth=2
	v_lshl_add_u64 v[42:43], v[22:23], 0, s[48:49]
	v_lshl_add_u64 v[44:45], v[22:23], 0, s[46:47]
	flat_load_dword v48, v[22:23]
	v_lshl_add_u64 v[46:47], v[22:23], 0, s[42:43]
	flat_load_dword v42, v[42:43]
	s_nop 0
	flat_load_dword v43, v[44:45]
	s_nop 0
	flat_load_dword v44, v[46:47]
	s_cmp_eq_u32 s14, 1
	s_cselect_b64 vcc, -1, 0
	s_cmp_eq_u32 s14, 2
	v_cndmask_b32_e32 v45, v2, v3, vcc
	s_cselect_b64 vcc, -1, 0
	s_cmp_eq_u32 s14, 3
	v_cndmask_b32_e32 v45, v45, v4, vcc
	s_cselect_b64 vcc, -1, 0
	s_add_u32 s14, s14, 1
	v_cndmask_b32_e32 v45, v45, v5, vcc
	s_addc_u32 s15, s15, 0
	v_lshl_add_u64 v[22:23], v[22:23], 0, 4
	s_cmp_lg_u32 s23, s14
	s_waitcnt vmcnt(0) lgkmcnt(0)
	v_fmac_f32_e32 v40, v45, v42
	v_fmac_f32_e32 v41, v45, v48
	;; [unrolled: 1-line block ×4, first 2 shown]
	s_cbranch_scc1 .LBB213_55
.LBB213_56:                             ;   in Loop: Header=BB213_21 Depth=1
	s_or_b64 exec, exec, s[52:53]
	s_or_b64 exec, exec, s[50:51]
	s_and_saveexec_b64 s[14:15], s[0:1]
	s_cbranch_execnz .LBB213_24
	s_branch .LBB213_25
.LBB213_57:                             ;   in Loop: Header=BB213_21 Depth=1
	ds_read_b32 v22, v37
	s_or_b64 exec, exec, s[14:15]
	s_and_saveexec_b64 s[14:15], s[0:1]
	s_cbranch_execz .LBB213_29
.LBB213_58:                             ;   in Loop: Header=BB213_21 Depth=1
	s_waitcnt lgkmcnt(0)
	ds_bpermute_b32 v23, v35, v22
	s_waitcnt lgkmcnt(0)
	v_add_f32_e32 v22, v22, v23
	ds_bpermute_b32 v23, v36, v22
	s_waitcnt lgkmcnt(0)
	v_add_f32_e32 v22, v22, v23
	s_or_b64 exec, exec, s[14:15]
	s_and_saveexec_b64 s[14:15], s[0:1]
	s_cbranch_execnz .LBB213_30
	s_branch .LBB213_31
.LBB213_59:                             ;   in Loop: Header=BB213_21 Depth=1
	ds_read_b32 v23, v37
	s_or_b64 exec, exec, s[14:15]
	s_and_saveexec_b64 s[14:15], s[0:1]
	s_cbranch_execz .LBB213_35
.LBB213_60:                             ;   in Loop: Header=BB213_21 Depth=1
	s_waitcnt lgkmcnt(0)
	ds_bpermute_b32 v40, v35, v23
	s_waitcnt lgkmcnt(0)
	v_add_f32_e32 v23, v23, v40
	ds_bpermute_b32 v40, v36, v23
	s_waitcnt lgkmcnt(0)
	v_add_f32_e32 v23, v23, v40
	s_or_b64 exec, exec, s[14:15]
	s_and_saveexec_b64 s[14:15], s[0:1]
	s_cbranch_execnz .LBB213_36
	s_branch .LBB213_37
.LBB213_61:                             ;   in Loop: Header=BB213_21 Depth=1
	ds_read_b32 v20, v37
	s_or_b64 exec, exec, s[14:15]
	s_and_saveexec_b64 s[14:15], s[0:1]
	s_cbranch_execz .LBB213_41
.LBB213_62:                             ;   in Loop: Header=BB213_21 Depth=1
	s_waitcnt lgkmcnt(0)
	ds_bpermute_b32 v40, v35, v20
	s_waitcnt lgkmcnt(0)
	v_add_f32_e32 v20, v20, v40
	ds_bpermute_b32 v40, v36, v20
	s_waitcnt lgkmcnt(0)
	v_add_f32_e32 v20, v20, v40
	s_or_b64 exec, exec, s[14:15]
	s_and_saveexec_b64 s[14:15], s[0:1]
	s_cbranch_execnz .LBB213_42
	s_branch .LBB213_43
.LBB213_63:                             ;   in Loop: Header=BB213_21 Depth=1
	ds_read_b32 v21, v37
	s_or_b64 exec, exec, s[14:15]
	s_and_saveexec_b64 s[14:15], s[0:1]
	s_cbranch_execz .LBB213_47
.LBB213_64:                             ;   in Loop: Header=BB213_21 Depth=1
	s_waitcnt lgkmcnt(0)
	ds_bpermute_b32 v40, v35, v21
	s_waitcnt lgkmcnt(0)
	v_add_f32_e32 v21, v21, v40
	ds_bpermute_b32 v40, v36, v21
	s_waitcnt lgkmcnt(0)
	v_add_f32_e32 v21, v21, v40
	s_or_b64 exec, exec, s[14:15]
	s_and_saveexec_b64 s[14:15], s[6:7]
	s_cbranch_execz .LBB213_20
.LBB213_65:                             ;   in Loop: Header=BB213_21 Depth=1
	s_mul_hi_u32 s17, s3, s22
	s_mul_i32 s16, s3, s22
	s_lshl_b64 s[16:17], s[16:17], 2
	s_add_u32 s16, s57, s16
	v_mul_f32_e32 v22, s26, v22
	s_addc_u32 s17, s58, s17
	global_store_dword v39, v22, s[16:17]
	s_or_b32 s16, s3, 1
	s_mul_hi_u32 s17, s16, s22
	s_mul_i32 s16, s16, s22
	s_lshl_b64 s[16:17], s[16:17], 2
	s_add_u32 s16, s57, s16
	v_mul_f32_e32 v22, s26, v23
	s_addc_u32 s17, s58, s17
	global_store_dword v39, v22, s[16:17]
	s_or_b32 s16, s3, 2
	;; [unrolled: 8-line block ×3, first 2 shown]
	s_mul_hi_u32 s17, s16, s22
	s_mul_i32 s16, s16, s22
	s_lshl_b64 s[16:17], s[16:17], 2
	s_add_u32 s16, s57, s16
	s_waitcnt lgkmcnt(0)
	v_mul_f32_e32 v20, s26, v21
	s_addc_u32 s17, s58, s17
	global_store_dword v39, v20, s[16:17]
	s_branch .LBB213_20
.LBB213_66:
	s_mov_b32 s3, 0
                                        ; implicit-def: $vgpr2_vgpr3_vgpr4_vgpr5
.LBB213_67:
	s_cmp_ge_i32 s3, s25
	s_cbranch_scc1 .LBB213_91
; %bb.68:
	v_mbcnt_hi_u32_b32 v10, -1, v28
	v_and_b32_e32 v11, 63, v10
	v_cmp_gt_u32_e32 vcc, 32, v11
	s_mov_b32 s39, 0
	s_cmp_gt_i32 s23, 0
	v_cndmask_b32_e64 v12, 0, 1, vcc
	v_lshlrev_b32_e32 v12, 5, v12
	v_cmp_gt_u32_e32 vcc, 48, v11
	s_waitcnt lgkmcnt(0)
	v_add_lshl_u32 v21, v12, v10, 2
	s_mov_b32 s38, s2
	v_cndmask_b32_e64 v12, 0, 1, vcc
	v_lshlrev_b32_e32 v12, 4, v12
	v_cmp_gt_u32_e32 vcc, 56, v11
	v_add_lshl_u32 v22, v12, v10, 2
	s_cselect_b64 s[40:41], -1, 0
	v_cndmask_b32_e64 v12, 0, 1, vcc
	v_lshlrev_b32_e32 v12, 3, v12
	v_cmp_gt_u32_e32 vcc, 60, v11
	v_add_lshl_u32 v23, v12, v10, 2
	s_lshl_b64 s[14:15], s[38:39], 2
	v_cndmask_b32_e64 v12, 0, 1, vcc
	v_lshlrev_b32_e32 v12, 2, v12
	v_cmp_gt_u32_e32 vcc, 62, v11
	v_add_lshl_u32 v28, v12, v10, 2
	v_cmp_ge_i32_e64 s[0:1], s24, v29
	v_cndmask_b32_e64 v12, 0, 1, vcc
	v_lshlrev_b32_e32 v12, 1, v12
	v_cmp_ne_u32_e32 vcc, 63, v11
	v_add_lshl_u32 v29, v12, v10, 2
	s_add_u32 s2, s27, s14
	v_addc_co_u32_e32 v10, vcc, 0, v10, vcc
	v_cmp_ge_i32_e64 s[4:5], s24, v30
	v_cmp_gt_u32_e64 s[6:7], 64, v0
	v_lshlrev_b32_e32 v30, 2, v10
	v_cmp_gt_u32_e64 s[10:11], 4, v0
	v_cmp_eq_u32_e64 s[12:13], 0, v0
	s_addc_u32 s24, s33, s15
	v_mad_i64_i32 v[10:11], s[14:15], s36, v8, 0
	v_mad_i64_i32 v[12:13], s[14:15], s36, v25, 0
	;; [unrolled: 1-line block ×4, first 2 shown]
	s_mul_i32 s14, s29, s3
	s_mul_hi_u32 s15, s28, s3
	s_add_i32 s15, s15, s14
	s_mul_i32 s14, s28, s3
	v_lshl_add_u64 v[10:11], v[10:11], 2, s[34:35]
	v_lshl_add_u64 v[12:13], v[12:13], 2, s[34:35]
	;; [unrolled: 1-line block ×4, first 2 shown]
	s_lshl_b64 s[34:35], s[36:37], 2
	s_lshl_b64 s[14:15], s[14:15], 2
	s_add_u32 s14, s30, s14
	s_addc_u32 s15, s31, s15
	v_lshlrev_b32_e32 v20, 2, v26
	v_cmp_eq_u32_e64 s[8:9], 0, v26
	v_and_b32_e32 v26, 12, v27
	v_lshl_add_u64 v[8:9], v[8:9], 2, s[14:15]
	s_lshl_b64 s[30:31], s[28:29], 2
	v_mov_b32_e32 v1, 0
	s_branch .LBB213_70
.LBB213_69:                             ;   in Loop: Header=BB213_70 Depth=1
	s_or_b64 exec, exec, s[14:15]
	s_add_i32 s3, s3, 1
	s_cmp_ge_i32 s3, s25
	v_lshl_add_u64 v[8:9], v[8:9], 0, s[30:31]
	s_cbranch_scc1 .LBB213_91
.LBB213_70:                             ; =>This Loop Header: Depth=1
                                        ;     Child Loop BB213_83 Depth 2
                                        ;     Child Loop BB213_86 Depth 2
	s_waitcnt lgkmcnt(0)
	v_mov_b32_e32 v0, s39
	s_and_saveexec_b64 s[14:15], s[0:1]
	s_xor_b64 s[14:15], exec, s[14:15]
	s_cbranch_execnz .LBB213_79
; %bb.71:                               ;   in Loop: Header=BB213_70 Depth=1
	s_andn2_saveexec_b64 s[36:37], s[14:15]
	s_cbranch_execnz .LBB213_80
.LBB213_72:                             ;   in Loop: Header=BB213_70 Depth=1
	s_or_b64 exec, exec, s[36:37]
	s_and_saveexec_b64 s[14:15], s[6:7]
	s_cbranch_execz .LBB213_74
.LBB213_73:                             ;   in Loop: Header=BB213_70 Depth=1
	ds_write_b32 v20, v1
.LBB213_74:                             ;   in Loop: Header=BB213_70 Depth=1
	s_or_b64 exec, exec, s[14:15]
	ds_bpermute_b32 v18, v21, v0
	s_waitcnt lgkmcnt(0)
	s_barrier
	v_add_f32_e32 v0, v0, v18
	ds_bpermute_b32 v18, v22, v0
	s_waitcnt lgkmcnt(0)
	v_add_f32_e32 v0, v0, v18
	ds_bpermute_b32 v18, v23, v0
	s_waitcnt lgkmcnt(0)
	;; [unrolled: 3-line block ×4, first 2 shown]
	v_add_f32_e32 v0, v0, v18
	ds_bpermute_b32 v18, v30, v0
	s_and_saveexec_b64 s[14:15], s[8:9]
	s_cbranch_execz .LBB213_76
; %bb.75:                               ;   in Loop: Header=BB213_70 Depth=1
	s_waitcnt lgkmcnt(0)
	v_add_f32_e32 v0, v0, v18
	ds_write_b32 v26, v0
.LBB213_76:                             ;   in Loop: Header=BB213_70 Depth=1
	s_or_b64 exec, exec, s[14:15]
	v_mov_b32_e32 v0, 0
	s_waitcnt lgkmcnt(0)
	s_barrier
	s_and_saveexec_b64 s[14:15], s[10:11]
	s_cbranch_execnz .LBB213_88
; %bb.77:                               ;   in Loop: Header=BB213_70 Depth=1
	s_or_b64 exec, exec, s[14:15]
	s_and_saveexec_b64 s[14:15], s[6:7]
	s_cbranch_execnz .LBB213_89
.LBB213_78:                             ;   in Loop: Header=BB213_70 Depth=1
	s_or_b64 exec, exec, s[14:15]
	s_and_saveexec_b64 s[14:15], s[12:13]
	s_cbranch_execz .LBB213_69
	s_branch .LBB213_90
.LBB213_79:                             ;   in Loop: Header=BB213_70 Depth=1
	flat_load_dword v2, v[10:11]
	s_mul_i32 s16, s3, s29
	s_mul_hi_u32 s17, s3, s28
	s_add_i32 s17, s17, s16
	s_mul_i32 s16, s3, s28
	v_lshl_add_u64 v[18:19], s[16:17], 2, v[6:7]
	flat_load_dwordx4 v[32:35], v[18:19]
	flat_load_dword v3, v[12:13]
	flat_load_dword v4, v[14:15]
	;; [unrolled: 1-line block ×3, first 2 shown]
	s_waitcnt vmcnt(0) lgkmcnt(0)
	v_fma_f32 v0, v2, v32, 0
	v_fmac_f32_e32 v0, v3, v33
	v_fmac_f32_e32 v0, v4, v34
	;; [unrolled: 1-line block ×3, first 2 shown]
	s_andn2_saveexec_b64 s[36:37], s[14:15]
	s_cbranch_execz .LBB213_72
.LBB213_80:                             ;   in Loop: Header=BB213_70 Depth=1
	s_and_saveexec_b64 s[42:43], s[4:5]
	s_cbranch_execz .LBB213_87
; %bb.81:                               ;   in Loop: Header=BB213_70 Depth=1
	v_cndmask_b32_e64 v18, 0, 1, s[40:41]
	v_cmp_ne_u32_e64 s[14:15], 1, v18
	s_andn2_b64 vcc, exec, s[40:41]
	s_cbranch_vccnz .LBB213_84
; %bb.82:                               ;   in Loop: Header=BB213_70 Depth=1
	s_mov_b64 s[44:45], 0
	v_mov_b64_e32 v[18:19], v[10:11]
.LBB213_83:                             ;   Parent Loop BB213_70 Depth=1
                                        ; =>  This Inner Loop Header: Depth=2
	flat_load_dword v24, v[18:19]
	s_cmp_eq_u32 s44, 3
	s_cselect_b64 vcc, -1, 0
	s_cmp_eq_u32 s44, 2
	s_cselect_b64 s[16:17], -1, 0
	s_cmp_eq_u32 s44, 1
	s_cselect_b64 s[18:19], -1, 0
	;; [unrolled: 2-line block ×3, first 2 shown]
	s_add_u32 s44, s44, 1
	s_addc_u32 s45, s45, 0
	v_lshl_add_u64 v[18:19], v[18:19], 0, s[34:35]
	s_cmp_eq_u32 s23, s44
	s_waitcnt vmcnt(0) lgkmcnt(0)
	v_cndmask_b32_e32 v5, v5, v24, vcc
	v_cndmask_b32_e64 v4, v4, v24, s[16:17]
	v_cndmask_b32_e64 v3, v3, v24, s[18:19]
	;; [unrolled: 1-line block ×3, first 2 shown]
	s_cbranch_scc0 .LBB213_83
.LBB213_84:                             ;   in Loop: Header=BB213_70 Depth=1
	s_and_b64 vcc, exec, s[14:15]
	s_cbranch_vccnz .LBB213_87
; %bb.85:                               ;   in Loop: Header=BB213_70 Depth=1
	s_mov_b64 s[14:15], 0
	v_mov_b64_e32 v[18:19], v[8:9]
.LBB213_86:                             ;   Parent Loop BB213_70 Depth=1
                                        ; =>  This Inner Loop Header: Depth=2
	flat_load_dword v24, v[18:19]
	s_cmp_eq_u32 s14, 1
	s_cselect_b64 vcc, -1, 0
	s_cmp_eq_u32 s14, 2
	v_cndmask_b32_e32 v25, v2, v3, vcc
	s_cselect_b64 vcc, -1, 0
	s_cmp_eq_u32 s14, 3
	v_cndmask_b32_e32 v25, v25, v4, vcc
	s_cselect_b64 vcc, -1, 0
	s_add_u32 s14, s14, 1
	v_cndmask_b32_e32 v25, v25, v5, vcc
	s_addc_u32 s15, s15, 0
	v_lshl_add_u64 v[18:19], v[18:19], 0, 4
	s_cmp_lg_u32 s23, s14
	s_waitcnt vmcnt(0) lgkmcnt(0)
	v_fmac_f32_e32 v0, v25, v24
	s_cbranch_scc1 .LBB213_86
.LBB213_87:                             ;   in Loop: Header=BB213_70 Depth=1
	s_or_b64 exec, exec, s[42:43]
	s_or_b64 exec, exec, s[36:37]
	s_and_saveexec_b64 s[14:15], s[6:7]
	s_cbranch_execnz .LBB213_73
	s_branch .LBB213_74
.LBB213_88:                             ;   in Loop: Header=BB213_70 Depth=1
	ds_read_b32 v0, v20
	s_or_b64 exec, exec, s[14:15]
	s_and_saveexec_b64 s[14:15], s[6:7]
	s_cbranch_execz .LBB213_78
.LBB213_89:                             ;   in Loop: Header=BB213_70 Depth=1
	s_waitcnt lgkmcnt(0)
	ds_bpermute_b32 v18, v29, v0
	s_waitcnt lgkmcnt(0)
	v_add_f32_e32 v0, v0, v18
	ds_bpermute_b32 v18, v30, v0
	s_waitcnt lgkmcnt(0)
	v_add_f32_e32 v0, v0, v18
	s_or_b64 exec, exec, s[14:15]
	s_and_saveexec_b64 s[14:15], s[12:13]
	s_cbranch_execz .LBB213_69
.LBB213_90:                             ;   in Loop: Header=BB213_70 Depth=1
	s_mul_hi_u32 s17, s3, s22
	s_mul_i32 s16, s3, s22
	s_lshl_b64 s[16:17], s[16:17], 2
	s_add_u32 s16, s2, s16
	s_waitcnt lgkmcnt(0)
	v_mul_f32_e32 v0, s26, v0
	s_addc_u32 s17, s24, s17
	global_store_dword v1, v0, s[16:17]
	s_branch .LBB213_69
.LBB213_91:
	s_endpgm
	.section	.rodata,"a",@progbits
	.p2align	6, 0x0
	.amdhsa_kernel _ZL23rocblas_gemvt_sn_kernelILb0ELi256ELi4ElPKfffEviiT4_lPKT3_lilS5_lilPT5_i
		.amdhsa_group_segment_fixed_size 256
		.amdhsa_private_segment_fixed_size 0
		.amdhsa_kernarg_size 360
		.amdhsa_user_sgpr_count 2
		.amdhsa_user_sgpr_dispatch_ptr 0
		.amdhsa_user_sgpr_queue_ptr 0
		.amdhsa_user_sgpr_kernarg_segment_ptr 1
		.amdhsa_user_sgpr_dispatch_id 0
		.amdhsa_user_sgpr_kernarg_preload_length 0
		.amdhsa_user_sgpr_kernarg_preload_offset 0
		.amdhsa_user_sgpr_private_segment_size 0
		.amdhsa_uses_dynamic_stack 0
		.amdhsa_enable_private_segment 0
		.amdhsa_system_sgpr_workgroup_id_x 1
		.amdhsa_system_sgpr_workgroup_id_y 0
		.amdhsa_system_sgpr_workgroup_id_z 1
		.amdhsa_system_sgpr_workgroup_info 0
		.amdhsa_system_vgpr_workitem_id 0
		.amdhsa_next_free_vgpr 56
		.amdhsa_next_free_sgpr 59
		.amdhsa_accum_offset 56
		.amdhsa_reserve_vcc 1
		.amdhsa_float_round_mode_32 0
		.amdhsa_float_round_mode_16_64 0
		.amdhsa_float_denorm_mode_32 3
		.amdhsa_float_denorm_mode_16_64 3
		.amdhsa_dx10_clamp 1
		.amdhsa_ieee_mode 1
		.amdhsa_fp16_overflow 0
		.amdhsa_tg_split 0
		.amdhsa_exception_fp_ieee_invalid_op 0
		.amdhsa_exception_fp_denorm_src 0
		.amdhsa_exception_fp_ieee_div_zero 0
		.amdhsa_exception_fp_ieee_overflow 0
		.amdhsa_exception_fp_ieee_underflow 0
		.amdhsa_exception_fp_ieee_inexact 0
		.amdhsa_exception_int_div_zero 0
	.end_amdhsa_kernel
	.section	.text._ZL23rocblas_gemvt_sn_kernelILb0ELi256ELi4ElPKfffEviiT4_lPKT3_lilS5_lilPT5_i,"axG",@progbits,_ZL23rocblas_gemvt_sn_kernelILb0ELi256ELi4ElPKfffEviiT4_lPKT3_lilS5_lilPT5_i,comdat
.Lfunc_end213:
	.size	_ZL23rocblas_gemvt_sn_kernelILb0ELi256ELi4ElPKfffEviiT4_lPKT3_lilS5_lilPT5_i, .Lfunc_end213-_ZL23rocblas_gemvt_sn_kernelILb0ELi256ELi4ElPKfffEviiT4_lPKT3_lilS5_lilPT5_i
                                        ; -- End function
	.section	.AMDGPU.csdata,"",@progbits
; Kernel info:
; codeLenInByte = 3936
; NumSgprs: 65
; NumVgprs: 56
; NumAgprs: 0
; TotalNumVgprs: 56
; ScratchSize: 0
; MemoryBound: 0
; FloatMode: 240
; IeeeMode: 1
; LDSByteSize: 256 bytes/workgroup (compile time only)
; SGPRBlocks: 8
; VGPRBlocks: 6
; NumSGPRsForWavesPerEU: 65
; NumVGPRsForWavesPerEU: 56
; AccumOffset: 56
; Occupancy: 8
; WaveLimiterHint : 0
; COMPUTE_PGM_RSRC2:SCRATCH_EN: 0
; COMPUTE_PGM_RSRC2:USER_SGPR: 2
; COMPUTE_PGM_RSRC2:TRAP_HANDLER: 0
; COMPUTE_PGM_RSRC2:TGID_X_EN: 1
; COMPUTE_PGM_RSRC2:TGID_Y_EN: 0
; COMPUTE_PGM_RSRC2:TGID_Z_EN: 1
; COMPUTE_PGM_RSRC2:TIDIG_COMP_CNT: 0
; COMPUTE_PGM_RSRC3_GFX90A:ACCUM_OFFSET: 13
; COMPUTE_PGM_RSRC3_GFX90A:TG_SPLIT: 0
	.section	.text._ZL36rocblas_gemvt_double_buffered_kernelILb0ELi128ELi8ELi8EPKfS1_KPfEviiT4_lPKT3_lilS7_lilPT5_lili,"axG",@progbits,_ZL36rocblas_gemvt_double_buffered_kernelILb0ELi128ELi8ELi8EPKfS1_KPfEviiT4_lPKT3_lilS7_lilPT5_lili,comdat
	.globl	_ZL36rocblas_gemvt_double_buffered_kernelILb0ELi128ELi8ELi8EPKfS1_KPfEviiT4_lPKT3_lilS7_lilPT5_lili ; -- Begin function _ZL36rocblas_gemvt_double_buffered_kernelILb0ELi128ELi8ELi8EPKfS1_KPfEviiT4_lPKT3_lilS7_lilPT5_lili
	.p2align	8
	.type	_ZL36rocblas_gemvt_double_buffered_kernelILb0ELi128ELi8ELi8EPKfS1_KPfEviiT4_lPKT3_lilS7_lilPT5_lili,@function
_ZL36rocblas_gemvt_double_buffered_kernelILb0ELi128ELi8ELi8EPKfS1_KPfEviiT4_lPKT3_lilS7_lilPT5_lili: ; @_ZL36rocblas_gemvt_double_buffered_kernelILb0ELi128ELi8ELi8EPKfS1_KPfEviiT4_lPKT3_lilS7_lilPT5_lili
; %bb.0:
	s_load_dwordx8 s[8:15], s[0:1], 0x8
	s_waitcnt lgkmcnt(0)
	s_mul_i32 s5, s4, s11
	s_mul_hi_u32 s6, s4, s10
	s_add_i32 s7, s6, s5
	s_mul_i32 s6, s4, s10
	s_lshl_b64 s[6:7], s[6:7], 2
	s_add_u32 s6, s8, s6
	s_addc_u32 s7, s9, s7
	s_load_dword s22, s[6:7], 0x0
	s_waitcnt lgkmcnt(0)
	v_cmp_eq_f32_e64 s[6:7], s22, 0
	s_and_b64 vcc, exec, s[6:7]
	s_cbranch_vccnz .LBB214_10
; %bb.1:
	s_load_dword s5, s[0:1], 0x84
	s_load_dword s6, s[0:1], 0x0
	s_waitcnt lgkmcnt(0)
	v_cvt_f32_u32_e32 v1, s5
	s_ashr_i32 s7, s6, 31
	s_lshr_b32 s7, s7, 25
	s_sub_i32 s8, 0, s5
	v_rcp_iflag_f32_e32 v1, v1
	s_add_i32 s6, s6, s7
	s_ashr_i32 s6, s6, 7
	v_mul_f32_e32 v1, 0x4f7ffffe, v1
	v_cvt_u32_f32_e32 v1, v1
	s_nop 0
	v_readfirstlane_b32 s7, v1
	s_mul_i32 s8, s8, s7
	s_mul_hi_u32 s8, s7, s8
	s_add_i32 s7, s7, s8
	s_mul_hi_u32 s7, s6, s7
	s_mul_i32 s8, s7, s5
	s_sub_i32 s8, s6, s8
	s_add_i32 s9, s7, 1
	s_sub_i32 s10, s8, s5
	s_cmp_ge_u32 s8, s5
	s_cselect_b32 s7, s9, s7
	s_cselect_b32 s8, s10, s8
	s_add_i32 s9, s7, 1
	s_cmp_ge_u32 s8, s5
	s_cselect_b32 s25, s9, s7
	s_mul_i32 s5, s25, s5
	s_sub_i32 s24, s6, s5
	s_cmp_lt_u32 s3, s24
	s_cselect_b64 s[6:7], -1, 0
	s_cmp_lg_u64 s[6:7], 0
	s_addc_u32 s23, s25, 0
	s_cmp_eq_u32 s23, 0
	s_cbranch_scc1 .LBB214_10
; %bb.2:
	s_load_dwordx4 s[8:11], s[0:1], 0x58
	s_mov_b32 s5, 0
	s_lshl_b64 s[16:17], s[4:5], 3
	v_and_b32_e32 v26, 0x3ff, v0
	v_bfe_u32 v27, v0, 10, 10
	s_waitcnt lgkmcnt(0)
	s_add_u32 s6, s8, s16
	s_addc_u32 s7, s9, s17
	s_load_dwordx2 s[6:7], s[6:7], 0x0
	s_lshl_b32 s8, s2, 7
	v_lshl_add_u32 v4, v27, 7, v26
	v_and_b32_e32 v0, 63, v26
	s_ashr_i32 s9, s8, 31
	v_lshrrev_b32_e32 v28, 3, v4
	v_and_b32_e32 v29, 0x7ff8, v28
	s_cmp_lt_i32 s23, 1
	v_mov_b32_e32 v36, 0
	v_lshlrev_b32_e32 v2, 2, v0
	v_mov_b32_e32 v39, 0
	v_mov_b32_e32 v41, 0
	;; [unrolled: 1-line block ×7, first 2 shown]
	s_cbranch_scc1 .LBB214_8
; %bb.3:
	s_load_dword s20, s[0:1], 0x28
	s_load_dwordx4 s[28:31], s[0:1], 0x38
	s_load_dword s18, s[0:1], 0x48
	s_mul_i32 s25, s25, s3
	v_cvt_f64_i32_e32 v[10:11], s3
	s_waitcnt lgkmcnt(0)
	s_ashr_i32 s21, s20, 31
	s_add_u32 s12, s12, s16
	s_addc_u32 s13, s13, s17
	s_load_dwordx2 s[12:13], s[12:13], 0x0
	s_add_u32 s16, s28, s16
	s_addc_u32 s17, s29, s17
	v_cvt_f64_u32_e32 v[12:13], s24
	s_load_dwordx2 s[16:17], s[16:17], 0x0
	v_cvt_f64_u32_e32 v[8:9], s25
	v_min_f64 v[10:11], v[10:11], v[12:13]
	v_add_f64 v[8:9], v[10:11], v[8:9]
	s_ashr_i32 s19, s18, 31
	s_lshl_b64 s[14:15], s[14:15], 2
	v_cvt_i32_f64_e32 v3, v[8:9]
	s_waitcnt lgkmcnt(0)
	s_add_u32 s14, s12, s14
	v_lshlrev_b32_e32 v8, 7, v3
	s_addc_u32 s15, s13, s15
	s_lshl_b64 s[12:13], s[30:31], 2
	v_ashrrev_i32_e32 v9, 31, v8
	s_add_u32 s12, s16, s12
	s_mul_hi_i32 s3, s20, s8
	s_mul_i32 s2, s20, s8
	v_lshlrev_b64 v[20:21], 2, v[8:9]
	v_mov_b32_e32 v1, 0
	s_addc_u32 s13, s17, s13
	s_lshl_b64 s[2:3], s[2:3], 2
	v_lshl_add_u64 v[18:19], s[14:15], 0, v[20:21]
	v_mad_i64_i32 v[6:7], s[26:27], s20, v29, v[0:1]
	v_lshl_add_u64 v[8:9], v[18:19], 0, s[2:3]
	v_lshl_add_u64 v[6:7], v[6:7], 2, v[8:9]
	s_lshl_b64 s[2:3], s[20:21], 2
	v_lshl_add_u64 v[8:9], v[6:7], 0, s[2:3]
	global_load_dword v30, v[6:7], off
	global_load_dword v31, v[8:9], off
	v_lshl_add_u64 v[6:7], v[8:9], 0, s[2:3]
	global_load_dword v32, v[6:7], off
	v_lshl_add_u64 v[6:7], v[6:7], 0, s[2:3]
	;; [unrolled: 2-line block ×6, first 2 shown]
	global_load_dword v38, v[6:7], off
	v_lshrrev_b32_e32 v4, 1, v4
	v_and_b32_e32 v4, 0x1ffe0, v4
	v_mov_b32_e32 v5, v1
	v_lshl_add_u64 v[22:23], s[8:9], 2, v[4:5]
	v_lshl_add_u64 v[4:5], v[22:23], 0, 4
	v_mad_u64_u32 v[6:7], s[16:17], v4, s20, v[18:19]
	v_mul_lo_u32 v4, v4, s21
	v_mul_lo_u32 v5, v5, s20
	v_add3_u32 v7, v5, v7, v4
	s_mov_b64 s[16:17], 0x200
	v_lshl_add_u64 v[4:5], v[6:7], 0, s[16:17]
	v_lshl_add_u64 v[6:7], v[22:23], 0, 8
	v_mad_u64_u32 v[8:9], s[24:25], v6, s20, v[18:19]
	v_mul_lo_u32 v6, v6, s21
	v_mul_lo_u32 v7, v7, s20
	v_add3_u32 v9, v7, v9, v6
	v_lshl_add_u64 v[6:7], v[8:9], 0, s[16:17]
	v_lshl_add_u64 v[8:9], v[22:23], 0, 12
	v_mad_u64_u32 v[10:11], s[24:25], v8, s20, v[18:19]
	v_mul_lo_u32 v8, v8, s21
	v_mul_lo_u32 v9, v9, s20
	v_add3_u32 v11, v9, v11, v8
	v_lshl_add_u64 v[8:9], v[10:11], 0, s[16:17]
	v_lshl_add_u64 v[10:11], v[22:23], 0, 16
	v_mad_u64_u32 v[12:13], s[24:25], v10, s20, v[18:19]
	v_mul_lo_u32 v10, v10, s21
	v_mul_lo_u32 v11, v11, s20
	v_add3_u32 v13, v11, v13, v10
	v_lshl_add_u64 v[10:11], v[12:13], 0, s[16:17]
	v_lshl_add_u64 v[12:13], v[22:23], 0, 20
	v_mad_u64_u32 v[14:15], s[24:25], v12, s20, v[18:19]
	v_mul_lo_u32 v12, v12, s21
	v_mul_lo_u32 v13, v13, s20
	v_add3_u32 v15, v13, v15, v12
	v_lshl_add_u64 v[12:13], v[14:15], 0, s[16:17]
	v_lshl_add_u64 v[14:15], v[22:23], 0, 24
	v_mad_u64_u32 v[16:17], s[24:25], v14, s20, v[18:19]
	v_mul_lo_u32 v14, v14, s21
	v_mul_lo_u32 v15, v15, s20
	v_add3_u32 v17, v15, v17, v14
	v_lshl_add_u64 v[14:15], v[16:17], 0, s[16:17]
	v_lshl_add_u64 v[16:17], v[22:23], 0, 28
	v_mad_u64_u32 v[24:25], s[24:25], v16, s20, v[18:19]
	v_mul_lo_u32 v16, v16, s21
	v_mul_lo_u32 v17, v17, s20
	v_mad_u64_u32 v[18:19], s[24:25], v22, s20, v[18:19]
	v_mul_lo_u32 v22, v22, s21
	v_mul_lo_u32 v23, v23, s20
	v_add3_u32 v25, v17, v25, v16
	v_add3_u32 v19, v23, v19, v22
	v_or_b32_e32 v22, v20, v2
	v_lshl_add_u64 v[16:17], v[24:25], 0, s[16:17]
	v_mul_lo_u32 v24, v21, s18
	v_mul_lo_u32 v23, v22, s19
	v_mad_u64_u32 v[20:21], s[20:21], v22, s18, 0
	v_or_b32_e32 v22, 0x100, v22
	s_lshl_b64 s[14:15], s[18:19], 9
	v_add3_u32 v21, v21, v23, v24
	v_mul_lo_u32 v25, v22, s19
	v_mad_u64_u32 v[22:23], s[18:19], v22, s18, 0
	s_add_i32 s4, s23, -1
	v_mov_b32_e32 v3, v1
	v_add3_u32 v23, v23, v25, v24
	s_mov_b64 s[18:19], 0x100
	v_mov_b32_e32 v44, v1
	v_mov_b32_e32 v42, v1
	v_mov_b32_e32 v43, v1
	v_mov_b32_e32 v40, v1
	v_mov_b32_e32 v41, v1
	v_mov_b32_e32 v39, v1
	v_mov_b32_e32 v36, v1
	s_waitcnt vmcnt(7)
	v_mov_b32_e32 v45, v30
	s_waitcnt vmcnt(6)
	v_mov_b32_e32 v46, v31
	;; [unrolled: 2-line block ×8, first 2 shown]
.LBB214_4:                              ; =>This Inner Loop Header: Depth=1
	v_lshl_add_u64 v[24:25], v[18:19], 0, v[2:3]
	v_lshl_add_u64 v[54:55], v[24:25], 0, s[18:19]
	;; [unrolled: 1-line block ×6, first 2 shown]
	global_load_dword v53, v[24:25], off offset:256
	global_load_dword v54, v[56:57], off
	global_load_dword v55, v[58:59], off
                                        ; kill: killed $vgpr56_vgpr57
                                        ; kill: killed $vgpr58_vgpr59
	s_nop 0
	global_load_dword v56, v[60:61], off
	global_load_dword v57, v[62:63], off
	v_lshl_add_u64 v[60:61], v[62:63], 0, s[2:3]
	global_load_dword v58, v[60:61], off
	v_lshl_add_u64 v[60:61], v[60:61], 0, s[2:3]
	;; [unrolled: 2-line block ×3, first 2 shown]
	v_lshl_add_u64 v[62:63], s[12:13], 0, v[20:21]
	global_load_dword v60, v[60:61], off
	s_cmp_lg_u32 s4, s5
	global_load_dword v61, v[62:63], off
	s_cbranch_scc0 .LBB214_6
; %bb.5:                                ;   in Loop: Header=BB214_4 Depth=1
	global_load_dword v45, v[24:25], off offset:512
	v_lshl_add_u64 v[24:25], v[4:5], 0, v[2:3]
	global_load_dword v46, v[24:25], off
	v_lshl_add_u64 v[24:25], v[6:7], 0, v[2:3]
	global_load_dword v47, v[24:25], off
	;; [unrolled: 2-line block ×7, first 2 shown]
.LBB214_6:                              ;   in Loop: Header=BB214_4 Depth=1
	v_lshl_add_u64 v[24:25], s[12:13], 0, v[22:23]
	global_load_dword v24, v[24:25], off
	s_add_i32 s5, s5, 1
	s_add_u32 s12, s12, s14
	s_waitcnt vmcnt(1)
	v_fmac_f32_e32 v1, v30, v61
	v_fmac_f32_e32 v44, v31, v61
	;; [unrolled: 1-line block ×8, first 2 shown]
	s_addc_u32 s13, s13, s15
	v_lshl_add_u64 v[4:5], v[4:5], 0, s[16:17]
	v_lshl_add_u64 v[6:7], v[6:7], 0, s[16:17]
	;; [unrolled: 1-line block ×7, first 2 shown]
	s_cmp_ge_i32 s5, s23
	v_lshl_add_u64 v[18:19], v[18:19], 0, s[16:17]
	s_waitcnt vmcnt(0)
	v_fmac_f32_e32 v1, v53, v24
	v_fmac_f32_e32 v44, v54, v24
	;; [unrolled: 1-line block ×8, first 2 shown]
	s_cbranch_scc1 .LBB214_8
; %bb.7:                                ;   in Loop: Header=BB214_4 Depth=1
	v_mov_b32_e32 v30, v45
	v_mov_b32_e32 v31, v46
	;; [unrolled: 1-line block ×8, first 2 shown]
	s_branch .LBB214_4
.LBB214_8:
	v_lshl_or_b32 v3, v29, 8, v2
	ds_write2st64_b32 v3, v1, v44 offset1:1
	ds_write2st64_b32 v3, v42, v43 offset0:2 offset1:3
	ds_write2st64_b32 v3, v40, v41 offset0:4 offset1:5
	ds_write_b32 v3, v39 offset:1536
	v_lshlrev_b32_e32 v1, 8, v28
	s_movk_i32 s2, 0x700
	v_or3_b32 v1, v1, v2, s2
	v_cmp_eq_u32_e32 vcc, 0, v27
	ds_write_b32 v1, v36
	s_waitcnt lgkmcnt(0)
	s_barrier
	s_and_saveexec_b64 s[2:3], vcc
	s_cbranch_execz .LBB214_10
; %bb.9:
	v_lshlrev_b32_e32 v1, 6, v26
	v_add_u32_e32 v3, 1, v26
	v_add_u32_e32 v4, 2, v26
	;; [unrolled: 1-line block ×7, first 2 shown]
	v_or_b32_e32 v0, v0, v1
	v_and_or_b32 v3, v3, 63, v1
	v_and_or_b32 v4, v4, 63, v1
	v_and_or_b32 v5, v5, 63, v1
	v_and_or_b32 v6, v6, 63, v1
	v_and_or_b32 v7, v7, 63, v1
	v_and_or_b32 v8, v8, 63, v1
	v_and_or_b32 v9, v9, 63, v1
	v_lshlrev_b32_e32 v2, 2, v0
	v_lshlrev_b32_e32 v3, 2, v3
	v_lshlrev_b32_e32 v4, 2, v4
	v_lshlrev_b32_e32 v5, 2, v5
	v_lshlrev_b32_e32 v6, 2, v6
	v_lshlrev_b32_e32 v7, 2, v7
	v_lshlrev_b32_e32 v8, 2, v8
	v_lshlrev_b32_e32 v9, 2, v9
	ds_read_b32 v2, v2
	ds_read_b32 v3, v3
	ds_read_b32 v4, v4
	ds_read_b32 v5, v5
	ds_read_b32 v6, v6
	ds_read_b32 v7, v7
	ds_read_b32 v8, v8
	ds_read_b32 v9, v9
	s_waitcnt lgkmcnt(7)
	v_add_f32_e32 v2, 0, v2
	s_waitcnt lgkmcnt(6)
	v_add_f32_e32 v2, v2, v3
	s_waitcnt lgkmcnt(5)
	v_add_f32_e32 v2, v2, v4
	s_waitcnt lgkmcnt(4)
	v_add_f32_e32 v2, v2, v5
	s_waitcnt lgkmcnt(3)
	v_add_f32_e32 v2, v2, v6
	s_waitcnt lgkmcnt(2)
	v_add_f32_e32 v2, v2, v7
	s_waitcnt lgkmcnt(1)
	v_add_f32_e32 v2, v2, v8
	s_waitcnt lgkmcnt(0)
	v_add_f32_e32 v2, v2, v9
	v_add_u32_e32 v3, 8, v26
	v_add_u32_e32 v4, 9, v26
	v_add_u32_e32 v5, 10, v26
	v_add_u32_e32 v6, 11, v26
	v_add_u32_e32 v7, 12, v26
	v_add_u32_e32 v8, 13, v26
	v_add_u32_e32 v9, 14, v26
	v_add_u32_e32 v10, 15, v26
	v_and_or_b32 v3, v3, 63, v1
	v_and_or_b32 v4, v4, 63, v1
	v_and_or_b32 v5, v5, 63, v1
	v_and_or_b32 v6, v6, 63, v1
	v_and_or_b32 v7, v7, 63, v1
	v_and_or_b32 v8, v8, 63, v1
	v_and_or_b32 v9, v9, 63, v1
	v_and_or_b32 v10, v10, 63, v1
	v_lshlrev_b32_e32 v3, 2, v3
	v_lshlrev_b32_e32 v4, 2, v4
	v_lshlrev_b32_e32 v5, 2, v5
	v_lshlrev_b32_e32 v6, 2, v6
	v_lshlrev_b32_e32 v7, 2, v7
	v_lshlrev_b32_e32 v8, 2, v8
	v_lshlrev_b32_e32 v9, 2, v9
	v_lshlrev_b32_e32 v10, 2, v10
	ds_read_b32 v3, v3
	ds_read_b32 v4, v4
	ds_read_b32 v5, v5
	ds_read_b32 v6, v6
	ds_read_b32 v7, v7
	ds_read_b32 v8, v8
	ds_read_b32 v9, v9
	ds_read_b32 v10, v10
	s_waitcnt lgkmcnt(7)
	v_add_f32_e32 v2, v2, v3
	s_waitcnt lgkmcnt(6)
	v_add_f32_e32 v2, v2, v4
	s_waitcnt lgkmcnt(5)
	v_add_f32_e32 v2, v2, v5
	s_waitcnt lgkmcnt(4)
	v_add_f32_e32 v2, v2, v6
	s_waitcnt lgkmcnt(3)
	v_add_f32_e32 v2, v2, v7
	s_waitcnt lgkmcnt(2)
	v_add_f32_e32 v2, v2, v8
	s_waitcnt lgkmcnt(1)
	v_add_f32_e32 v2, v2, v9
	s_waitcnt lgkmcnt(0)
	v_add_f32_e32 v2, v2, v10
	v_add_u32_e32 v3, 16, v26
	v_add_u32_e32 v4, 17, v26
	v_add_u32_e32 v5, 18, v26
	v_add_u32_e32 v6, 19, v26
	v_add_u32_e32 v7, 20, v26
	v_add_u32_e32 v8, 21, v26
	v_add_u32_e32 v9, 22, v26
	v_add_u32_e32 v10, 23, v26
	v_and_or_b32 v3, v3, 63, v1
	;; [unrolled: 48-line block ×3, first 2 shown]
	v_and_or_b32 v4, v4, 63, v1
	v_and_or_b32 v5, v5, 63, v1
	;; [unrolled: 1-line block ×7, first 2 shown]
	v_lshlrev_b32_e32 v3, 2, v3
	v_lshlrev_b32_e32 v4, 2, v4
	v_lshlrev_b32_e32 v5, 2, v5
	v_lshlrev_b32_e32 v6, 2, v6
	v_lshlrev_b32_e32 v7, 2, v7
	v_lshlrev_b32_e32 v8, 2, v8
	v_lshlrev_b32_e32 v9, 2, v9
	v_lshlrev_b32_e32 v10, 2, v10
	ds_read_b32 v3, v3
	ds_read_b32 v4, v4
	;; [unrolled: 1-line block ×8, first 2 shown]
	s_waitcnt lgkmcnt(7)
	v_add_f32_e32 v2, v2, v3
	s_waitcnt lgkmcnt(6)
	v_add_f32_e32 v2, v2, v4
	;; [unrolled: 2-line block ×7, first 2 shown]
	v_add_u32_e32 v3, 33, v26
	v_add_u32_e32 v4, 34, v26
	;; [unrolled: 1-line block ×7, first 2 shown]
	v_xor_b32_e32 v0, 32, v0
	v_and_or_b32 v3, v3, 63, v1
	v_and_or_b32 v4, v4, 63, v1
	;; [unrolled: 1-line block ×7, first 2 shown]
	v_lshlrev_b32_e32 v0, 2, v0
	v_lshlrev_b32_e32 v3, 2, v3
	v_lshlrev_b32_e32 v4, 2, v4
	v_lshlrev_b32_e32 v5, 2, v5
	v_lshlrev_b32_e32 v6, 2, v6
	v_lshlrev_b32_e32 v7, 2, v7
	v_lshlrev_b32_e32 v8, 2, v8
	v_lshlrev_b32_e32 v9, 2, v9
	s_waitcnt lgkmcnt(0)
	v_add_f32_e32 v2, v2, v10
	ds_read_b32 v0, v0
	ds_read_b32 v3, v3
	;; [unrolled: 1-line block ×8, first 2 shown]
	s_waitcnt lgkmcnt(7)
	v_add_f32_e32 v0, v2, v0
	s_waitcnt lgkmcnt(6)
	v_add_f32_e32 v0, v0, v3
	;; [unrolled: 2-line block ×8, first 2 shown]
	v_add_u32_e32 v2, 40, v26
	v_add_u32_e32 v3, 41, v26
	;; [unrolled: 1-line block ×8, first 2 shown]
	v_and_or_b32 v2, v2, 63, v1
	v_and_or_b32 v3, v3, 63, v1
	;; [unrolled: 1-line block ×8, first 2 shown]
	v_lshlrev_b32_e32 v2, 2, v2
	v_lshlrev_b32_e32 v3, 2, v3
	;; [unrolled: 1-line block ×8, first 2 shown]
	ds_read_b32 v2, v2
	ds_read_b32 v3, v3
	;; [unrolled: 1-line block ×8, first 2 shown]
	s_waitcnt lgkmcnt(7)
	v_add_f32_e32 v0, v0, v2
	s_waitcnt lgkmcnt(6)
	v_add_f32_e32 v0, v0, v3
	;; [unrolled: 2-line block ×8, first 2 shown]
	v_add_u32_e32 v2, 48, v26
	v_add_u32_e32 v3, 49, v26
	;; [unrolled: 1-line block ×8, first 2 shown]
	v_and_or_b32 v2, v2, 63, v1
	v_and_or_b32 v3, v3, 63, v1
	;; [unrolled: 1-line block ×8, first 2 shown]
	v_lshlrev_b32_e32 v2, 2, v2
	v_lshlrev_b32_e32 v3, 2, v3
	;; [unrolled: 1-line block ×8, first 2 shown]
	ds_read_b32 v2, v2
	ds_read_b32 v3, v3
	;; [unrolled: 1-line block ×8, first 2 shown]
	s_waitcnt lgkmcnt(7)
	v_add_f32_e32 v0, v0, v2
	s_waitcnt lgkmcnt(6)
	v_add_f32_e32 v0, v0, v3
	s_waitcnt lgkmcnt(5)
	v_add_f32_e32 v0, v0, v4
	s_waitcnt lgkmcnt(4)
	v_add_f32_e32 v0, v0, v5
	s_waitcnt lgkmcnt(3)
	v_add_f32_e32 v0, v0, v6
	s_waitcnt lgkmcnt(2)
	v_add_f32_e32 v0, v0, v7
	s_waitcnt lgkmcnt(1)
	v_add_f32_e32 v0, v0, v8
	s_waitcnt lgkmcnt(0)
	v_add_f32_e32 v0, v0, v9
	v_add_u32_e32 v2, 56, v26
	v_add_u32_e32 v3, 57, v26
	;; [unrolled: 1-line block ×7, first 2 shown]
	v_add_u32_e32 v9, -1, v26
	v_and_or_b32 v2, v2, 63, v1
	v_and_or_b32 v3, v3, 63, v1
	v_and_or_b32 v4, v4, 63, v1
	v_and_or_b32 v5, v5, 63, v1
	v_and_or_b32 v6, v6, 63, v1
	v_and_or_b32 v7, v7, 63, v1
	v_and_or_b32 v8, v8, 63, v1
	v_and_or_b32 v1, v9, 63, v1
	s_load_dword s2, s[0:1], 0x68
	v_lshlrev_b32_e32 v2, 2, v2
	v_lshlrev_b32_e32 v3, 2, v3
	;; [unrolled: 1-line block ×8, first 2 shown]
	ds_read_b32 v2, v2
	ds_read_b32 v3, v3
	;; [unrolled: 1-line block ×8, first 2 shown]
	s_waitcnt lgkmcnt(0)
	v_add_f32_e32 v0, v0, v2
	v_add_f32_e32 v0, v0, v3
	s_lshl_b64 s[0:1], s[10:11], 2
	v_add_f32_e32 v0, v0, v4
	s_add_u32 s3, s6, s0
	v_add_f32_e32 v0, v0, v5
	s_addc_u32 s4, s7, s1
	s_mul_hi_i32 s1, s2, s8
	s_mul_i32 s0, s2, s8
	v_add_f32_e32 v0, v0, v6
	s_lshl_b64 s[0:1], s[0:1], 2
	v_add_f32_e32 v0, v0, v7
	s_add_u32 s0, s3, s0
	v_add_f32_e32 v0, v0, v8
	s_addc_u32 s1, s4, s1
	v_add_f32_e32 v2, v0, v1
	v_mad_i64_i32 v[0:1], s[2:3], s2, v26, 0
	v_lshl_add_u64 v[0:1], v[0:1], 2, s[0:1]
	v_mul_f32_e32 v2, s22, v2
	global_atomic_add_f32 v[0:1], v2, off
.LBB214_10:
	s_endpgm
	.section	.rodata,"a",@progbits
	.p2align	6, 0x0
	.amdhsa_kernel _ZL36rocblas_gemvt_double_buffered_kernelILb0ELi128ELi8ELi8EPKfS1_KPfEviiT4_lPKT3_lilS7_lilPT5_lili
		.amdhsa_group_segment_fixed_size 32768
		.amdhsa_private_segment_fixed_size 0
		.amdhsa_kernarg_size 384
		.amdhsa_user_sgpr_count 2
		.amdhsa_user_sgpr_dispatch_ptr 0
		.amdhsa_user_sgpr_queue_ptr 0
		.amdhsa_user_sgpr_kernarg_segment_ptr 1
		.amdhsa_user_sgpr_dispatch_id 0
		.amdhsa_user_sgpr_kernarg_preload_length 0
		.amdhsa_user_sgpr_kernarg_preload_offset 0
		.amdhsa_user_sgpr_private_segment_size 0
		.amdhsa_uses_dynamic_stack 0
		.amdhsa_enable_private_segment 0
		.amdhsa_system_sgpr_workgroup_id_x 1
		.amdhsa_system_sgpr_workgroup_id_y 1
		.amdhsa_system_sgpr_workgroup_id_z 1
		.amdhsa_system_sgpr_workgroup_info 0
		.amdhsa_system_vgpr_workitem_id 1
		.amdhsa_next_free_vgpr 64
		.amdhsa_next_free_sgpr 32
		.amdhsa_accum_offset 64
		.amdhsa_reserve_vcc 1
		.amdhsa_float_round_mode_32 0
		.amdhsa_float_round_mode_16_64 0
		.amdhsa_float_denorm_mode_32 3
		.amdhsa_float_denorm_mode_16_64 3
		.amdhsa_dx10_clamp 1
		.amdhsa_ieee_mode 1
		.amdhsa_fp16_overflow 0
		.amdhsa_tg_split 0
		.amdhsa_exception_fp_ieee_invalid_op 0
		.amdhsa_exception_fp_denorm_src 0
		.amdhsa_exception_fp_ieee_div_zero 0
		.amdhsa_exception_fp_ieee_overflow 0
		.amdhsa_exception_fp_ieee_underflow 0
		.amdhsa_exception_fp_ieee_inexact 0
		.amdhsa_exception_int_div_zero 0
	.end_amdhsa_kernel
	.section	.text._ZL36rocblas_gemvt_double_buffered_kernelILb0ELi128ELi8ELi8EPKfS1_KPfEviiT4_lPKT3_lilS7_lilPT5_lili,"axG",@progbits,_ZL36rocblas_gemvt_double_buffered_kernelILb0ELi128ELi8ELi8EPKfS1_KPfEviiT4_lPKT3_lilS7_lilPT5_lili,comdat
.Lfunc_end214:
	.size	_ZL36rocblas_gemvt_double_buffered_kernelILb0ELi128ELi8ELi8EPKfS1_KPfEviiT4_lPKT3_lilS7_lilPT5_lili, .Lfunc_end214-_ZL36rocblas_gemvt_double_buffered_kernelILb0ELi128ELi8ELi8EPKfS1_KPfEviiT4_lPKT3_lilS7_lilPT5_lili
                                        ; -- End function
	.section	.AMDGPU.csdata,"",@progbits
; Kernel info:
; codeLenInByte = 3908
; NumSgprs: 38
; NumVgprs: 64
; NumAgprs: 0
; TotalNumVgprs: 64
; ScratchSize: 0
; MemoryBound: 0
; FloatMode: 240
; IeeeMode: 1
; LDSByteSize: 32768 bytes/workgroup (compile time only)
; SGPRBlocks: 4
; VGPRBlocks: 7
; NumSGPRsForWavesPerEU: 38
; NumVGPRsForWavesPerEU: 64
; AccumOffset: 64
; Occupancy: 8
; WaveLimiterHint : 1
; COMPUTE_PGM_RSRC2:SCRATCH_EN: 0
; COMPUTE_PGM_RSRC2:USER_SGPR: 2
; COMPUTE_PGM_RSRC2:TRAP_HANDLER: 0
; COMPUTE_PGM_RSRC2:TGID_X_EN: 1
; COMPUTE_PGM_RSRC2:TGID_Y_EN: 1
; COMPUTE_PGM_RSRC2:TGID_Z_EN: 1
; COMPUTE_PGM_RSRC2:TIDIG_COMP_CNT: 1
; COMPUTE_PGM_RSRC3_GFX90A:ACCUM_OFFSET: 15
; COMPUTE_PGM_RSRC3_GFX90A:TG_SPLIT: 0
	.section	.text._ZL36rocblas_gemvt_double_buffered_kernelILb0ELi128ELi8ELi8EPKffKPfEviiT4_lPKT3_lilS7_lilPT5_lili,"axG",@progbits,_ZL36rocblas_gemvt_double_buffered_kernelILb0ELi128ELi8ELi8EPKffKPfEviiT4_lPKT3_lilS7_lilPT5_lili,comdat
	.globl	_ZL36rocblas_gemvt_double_buffered_kernelILb0ELi128ELi8ELi8EPKffKPfEviiT4_lPKT3_lilS7_lilPT5_lili ; -- Begin function _ZL36rocblas_gemvt_double_buffered_kernelILb0ELi128ELi8ELi8EPKffKPfEviiT4_lPKT3_lilS7_lilPT5_lili
	.p2align	8
	.type	_ZL36rocblas_gemvt_double_buffered_kernelILb0ELi128ELi8ELi8EPKffKPfEviiT4_lPKT3_lilS7_lilPT5_lili,@function
_ZL36rocblas_gemvt_double_buffered_kernelILb0ELi128ELi8ELi8EPKffKPfEviiT4_lPKT3_lilS7_lilPT5_lili: ; @_ZL36rocblas_gemvt_double_buffered_kernelILb0ELi128ELi8ELi8EPKffKPfEviiT4_lPKT3_lilS7_lilPT5_lili
; %bb.0:
	s_load_dword s22, s[0:1], 0x8
	s_waitcnt lgkmcnt(0)
	v_cmp_eq_f32_e64 s[6:7], s22, 0
	s_and_b64 vcc, exec, s[6:7]
	s_cbranch_vccnz .LBB215_10
; %bb.1:
	s_load_dword s5, s[0:1], 0x84
	s_load_dword s6, s[0:1], 0x0
	s_waitcnt lgkmcnt(0)
	v_cvt_f32_u32_e32 v1, s5
	s_ashr_i32 s7, s6, 31
	s_lshr_b32 s7, s7, 25
	s_sub_i32 s8, 0, s5
	v_rcp_iflag_f32_e32 v1, v1
	s_add_i32 s6, s6, s7
	s_ashr_i32 s6, s6, 7
	v_mul_f32_e32 v1, 0x4f7ffffe, v1
	v_cvt_u32_f32_e32 v1, v1
	s_nop 0
	v_readfirstlane_b32 s7, v1
	s_mul_i32 s8, s8, s7
	s_mul_hi_u32 s8, s7, s8
	s_add_i32 s7, s7, s8
	s_mul_hi_u32 s7, s6, s7
	s_mul_i32 s8, s7, s5
	s_sub_i32 s8, s6, s8
	s_add_i32 s9, s7, 1
	s_sub_i32 s10, s8, s5
	s_cmp_ge_u32 s8, s5
	s_cselect_b32 s7, s9, s7
	s_cselect_b32 s8, s10, s8
	s_add_i32 s9, s7, 1
	s_cmp_ge_u32 s8, s5
	s_cselect_b32 s15, s9, s7
	s_mul_i32 s5, s15, s5
	s_sub_i32 s14, s6, s5
	s_cmp_lt_u32 s3, s14
	s_cselect_b64 s[6:7], -1, 0
	s_cmp_lg_u64 s[6:7], 0
	s_addc_u32 s23, s15, 0
	s_cmp_eq_u32 s23, 0
	s_cbranch_scc1 .LBB215_10
; %bb.2:
	s_load_dwordx4 s[8:11], s[0:1], 0x58
	s_mov_b32 s5, 0
	s_lshl_b64 s[12:13], s[4:5], 3
	v_and_b32_e32 v26, 0x3ff, v0
	v_bfe_u32 v27, v0, 10, 10
	s_waitcnt lgkmcnt(0)
	s_add_u32 s6, s8, s12
	s_addc_u32 s7, s9, s13
	s_load_dwordx2 s[6:7], s[6:7], 0x0
	s_lshl_b32 s8, s2, 7
	v_lshl_add_u32 v4, v27, 7, v26
	v_and_b32_e32 v0, 63, v26
	s_ashr_i32 s9, s8, 31
	v_lshrrev_b32_e32 v28, 3, v4
	v_and_b32_e32 v29, 0x7ff8, v28
	s_cmp_lt_i32 s23, 1
	v_mov_b32_e32 v36, 0
	v_lshlrev_b32_e32 v2, 2, v0
	v_mov_b32_e32 v39, 0
	v_mov_b32_e32 v41, 0
	;; [unrolled: 1-line block ×7, first 2 shown]
	s_cbranch_scc1 .LBB215_8
; %bb.3:
	s_load_dword s20, s[0:1], 0x28
	s_load_dwordx4 s[24:27], s[0:1], 0x18
	s_load_dwordx4 s[28:31], s[0:1], 0x38
	s_load_dword s18, s[0:1], 0x48
	s_mul_i32 s15, s15, s3
	s_waitcnt lgkmcnt(0)
	s_ashr_i32 s21, s20, 31
	s_add_u32 s16, s24, s12
	s_addc_u32 s17, s25, s13
	s_load_dwordx2 s[16:17], s[16:17], 0x0
	s_add_u32 s12, s28, s12
	s_addc_u32 s13, s29, s13
	v_cvt_f64_i32_e32 v[10:11], s3
	v_cvt_f64_u32_e32 v[12:13], s14
	s_load_dwordx2 s[12:13], s[12:13], 0x0
	v_mov_b32_e32 v1, 0
	v_cvt_f64_u32_e32 v[8:9], s15
	v_min_f64 v[10:11], v[10:11], v[12:13]
	v_mad_i64_i32 v[6:7], s[24:25], s20, v29, v[0:1]
	v_add_f64 v[8:9], v[10:11], v[8:9]
	s_ashr_i32 s19, s18, 31
	s_lshl_b64 s[24:25], s[26:27], 2
	v_cvt_i32_f64_e32 v3, v[8:9]
	s_waitcnt lgkmcnt(0)
	s_add_u32 s16, s16, s24
	v_lshlrev_b32_e32 v8, 7, v3
	s_addc_u32 s17, s17, s25
	s_lshl_b64 s[24:25], s[30:31], 2
	v_ashrrev_i32_e32 v9, 31, v8
	s_add_u32 s12, s12, s24
	s_mul_hi_i32 s3, s20, s8
	s_mul_i32 s2, s20, s8
	v_lshlrev_b64 v[20:21], 2, v[8:9]
	s_addc_u32 s13, s13, s25
	s_lshl_b64 s[2:3], s[2:3], 2
	v_lshl_add_u64 v[18:19], s[16:17], 0, v[20:21]
	v_lshl_add_u64 v[8:9], v[18:19], 0, s[2:3]
	;; [unrolled: 1-line block ×3, first 2 shown]
	s_lshl_b64 s[2:3], s[20:21], 2
	v_lshl_add_u64 v[8:9], v[6:7], 0, s[2:3]
	global_load_dword v30, v[6:7], off
	global_load_dword v31, v[8:9], off
	v_lshl_add_u64 v[6:7], v[8:9], 0, s[2:3]
	global_load_dword v32, v[6:7], off
	v_lshl_add_u64 v[6:7], v[6:7], 0, s[2:3]
	;; [unrolled: 2-line block ×6, first 2 shown]
	global_load_dword v38, v[6:7], off
	v_lshrrev_b32_e32 v4, 1, v4
	v_and_b32_e32 v4, 0x1ffe0, v4
	v_mov_b32_e32 v5, v1
	v_lshl_add_u64 v[22:23], s[8:9], 2, v[4:5]
	v_lshl_add_u64 v[4:5], v[22:23], 0, 4
	v_mad_u64_u32 v[6:7], s[16:17], v4, s20, v[18:19]
	v_mul_lo_u32 v4, v4, s21
	v_mul_lo_u32 v5, v5, s20
	v_add3_u32 v7, v5, v7, v4
	s_mov_b64 s[16:17], 0x200
	v_lshl_add_u64 v[4:5], v[6:7], 0, s[16:17]
	v_lshl_add_u64 v[6:7], v[22:23], 0, 8
	v_mad_u64_u32 v[8:9], s[24:25], v6, s20, v[18:19]
	v_mul_lo_u32 v6, v6, s21
	v_mul_lo_u32 v7, v7, s20
	v_add3_u32 v9, v7, v9, v6
	v_lshl_add_u64 v[6:7], v[8:9], 0, s[16:17]
	v_lshl_add_u64 v[8:9], v[22:23], 0, 12
	v_mad_u64_u32 v[10:11], s[24:25], v8, s20, v[18:19]
	v_mul_lo_u32 v8, v8, s21
	v_mul_lo_u32 v9, v9, s20
	v_add3_u32 v11, v9, v11, v8
	;; [unrolled: 6-line block ×5, first 2 shown]
	v_lshl_add_u64 v[14:15], v[16:17], 0, s[16:17]
	v_lshl_add_u64 v[16:17], v[22:23], 0, 28
	v_mad_u64_u32 v[24:25], s[24:25], v16, s20, v[18:19]
	v_mul_lo_u32 v16, v16, s21
	v_mul_lo_u32 v17, v17, s20
	v_mad_u64_u32 v[18:19], s[24:25], v22, s20, v[18:19]
	v_mul_lo_u32 v22, v22, s21
	v_mul_lo_u32 v23, v23, s20
	v_add3_u32 v25, v17, v25, v16
	v_add3_u32 v19, v23, v19, v22
	v_or_b32_e32 v22, v20, v2
	v_lshl_add_u64 v[16:17], v[24:25], 0, s[16:17]
	v_mul_lo_u32 v24, v21, s18
	v_mul_lo_u32 v23, v22, s19
	v_mad_u64_u32 v[20:21], s[20:21], v22, s18, 0
	v_or_b32_e32 v22, 0x100, v22
	s_lshl_b64 s[14:15], s[18:19], 9
	v_add3_u32 v21, v21, v23, v24
	v_mul_lo_u32 v25, v22, s19
	v_mad_u64_u32 v[22:23], s[18:19], v22, s18, 0
	s_add_i32 s4, s23, -1
	v_mov_b32_e32 v3, v1
	v_add3_u32 v23, v23, v25, v24
	s_mov_b64 s[18:19], 0x100
	v_mov_b32_e32 v44, v1
	v_mov_b32_e32 v42, v1
	v_mov_b32_e32 v43, v1
	v_mov_b32_e32 v40, v1
	v_mov_b32_e32 v41, v1
	v_mov_b32_e32 v39, v1
	v_mov_b32_e32 v36, v1
	s_waitcnt vmcnt(7)
	v_mov_b32_e32 v45, v30
	s_waitcnt vmcnt(6)
	v_mov_b32_e32 v46, v31
	;; [unrolled: 2-line block ×8, first 2 shown]
.LBB215_4:                              ; =>This Inner Loop Header: Depth=1
	v_lshl_add_u64 v[24:25], v[18:19], 0, v[2:3]
	v_lshl_add_u64 v[54:55], v[24:25], 0, s[18:19]
	;; [unrolled: 1-line block ×6, first 2 shown]
	global_load_dword v53, v[24:25], off offset:256
	global_load_dword v54, v[56:57], off
	global_load_dword v55, v[58:59], off
                                        ; kill: killed $vgpr58_vgpr59
                                        ; kill: killed $vgpr56_vgpr57
	s_nop 0
	global_load_dword v56, v[60:61], off
	global_load_dword v57, v[62:63], off
	v_lshl_add_u64 v[60:61], v[62:63], 0, s[2:3]
	global_load_dword v58, v[60:61], off
	v_lshl_add_u64 v[60:61], v[60:61], 0, s[2:3]
	;; [unrolled: 2-line block ×3, first 2 shown]
	v_lshl_add_u64 v[62:63], s[12:13], 0, v[20:21]
	global_load_dword v60, v[60:61], off
	s_cmp_lg_u32 s4, s5
	global_load_dword v61, v[62:63], off
	s_cbranch_scc0 .LBB215_6
; %bb.5:                                ;   in Loop: Header=BB215_4 Depth=1
	global_load_dword v45, v[24:25], off offset:512
	v_lshl_add_u64 v[24:25], v[4:5], 0, v[2:3]
	global_load_dword v46, v[24:25], off
	v_lshl_add_u64 v[24:25], v[6:7], 0, v[2:3]
	global_load_dword v47, v[24:25], off
	;; [unrolled: 2-line block ×7, first 2 shown]
.LBB215_6:                              ;   in Loop: Header=BB215_4 Depth=1
	v_lshl_add_u64 v[24:25], s[12:13], 0, v[22:23]
	global_load_dword v24, v[24:25], off
	s_add_i32 s5, s5, 1
	s_add_u32 s12, s12, s14
	s_waitcnt vmcnt(1)
	v_fmac_f32_e32 v1, v30, v61
	v_fmac_f32_e32 v44, v31, v61
	;; [unrolled: 1-line block ×8, first 2 shown]
	s_addc_u32 s13, s13, s15
	v_lshl_add_u64 v[4:5], v[4:5], 0, s[16:17]
	v_lshl_add_u64 v[6:7], v[6:7], 0, s[16:17]
	;; [unrolled: 1-line block ×7, first 2 shown]
	s_cmp_ge_i32 s5, s23
	v_lshl_add_u64 v[18:19], v[18:19], 0, s[16:17]
	s_waitcnt vmcnt(0)
	v_fmac_f32_e32 v1, v53, v24
	v_fmac_f32_e32 v44, v54, v24
	;; [unrolled: 1-line block ×8, first 2 shown]
	s_cbranch_scc1 .LBB215_8
; %bb.7:                                ;   in Loop: Header=BB215_4 Depth=1
	v_mov_b32_e32 v30, v45
	v_mov_b32_e32 v31, v46
	;; [unrolled: 1-line block ×8, first 2 shown]
	s_branch .LBB215_4
.LBB215_8:
	v_lshl_or_b32 v3, v29, 8, v2
	ds_write2st64_b32 v3, v1, v44 offset1:1
	ds_write2st64_b32 v3, v42, v43 offset0:2 offset1:3
	ds_write2st64_b32 v3, v40, v41 offset0:4 offset1:5
	ds_write_b32 v3, v39 offset:1536
	v_lshlrev_b32_e32 v1, 8, v28
	s_movk_i32 s2, 0x700
	v_or3_b32 v1, v1, v2, s2
	v_cmp_eq_u32_e32 vcc, 0, v27
	ds_write_b32 v1, v36
	s_waitcnt lgkmcnt(0)
	s_barrier
	s_and_saveexec_b64 s[2:3], vcc
	s_cbranch_execz .LBB215_10
; %bb.9:
	v_lshlrev_b32_e32 v1, 6, v26
	v_add_u32_e32 v3, 1, v26
	v_add_u32_e32 v4, 2, v26
	;; [unrolled: 1-line block ×7, first 2 shown]
	v_or_b32_e32 v0, v0, v1
	v_and_or_b32 v3, v3, 63, v1
	v_and_or_b32 v4, v4, 63, v1
	v_and_or_b32 v5, v5, 63, v1
	v_and_or_b32 v6, v6, 63, v1
	v_and_or_b32 v7, v7, 63, v1
	v_and_or_b32 v8, v8, 63, v1
	v_and_or_b32 v9, v9, 63, v1
	v_lshlrev_b32_e32 v2, 2, v0
	v_lshlrev_b32_e32 v3, 2, v3
	v_lshlrev_b32_e32 v4, 2, v4
	v_lshlrev_b32_e32 v5, 2, v5
	v_lshlrev_b32_e32 v6, 2, v6
	v_lshlrev_b32_e32 v7, 2, v7
	v_lshlrev_b32_e32 v8, 2, v8
	v_lshlrev_b32_e32 v9, 2, v9
	ds_read_b32 v2, v2
	ds_read_b32 v3, v3
	ds_read_b32 v4, v4
	ds_read_b32 v5, v5
	ds_read_b32 v6, v6
	ds_read_b32 v7, v7
	ds_read_b32 v8, v8
	ds_read_b32 v9, v9
	s_waitcnt lgkmcnt(7)
	v_add_f32_e32 v2, 0, v2
	s_waitcnt lgkmcnt(6)
	v_add_f32_e32 v2, v2, v3
	s_waitcnt lgkmcnt(5)
	v_add_f32_e32 v2, v2, v4
	s_waitcnt lgkmcnt(4)
	v_add_f32_e32 v2, v2, v5
	s_waitcnt lgkmcnt(3)
	v_add_f32_e32 v2, v2, v6
	s_waitcnt lgkmcnt(2)
	v_add_f32_e32 v2, v2, v7
	s_waitcnt lgkmcnt(1)
	v_add_f32_e32 v2, v2, v8
	s_waitcnt lgkmcnt(0)
	v_add_f32_e32 v2, v2, v9
	v_add_u32_e32 v3, 8, v26
	v_add_u32_e32 v4, 9, v26
	v_add_u32_e32 v5, 10, v26
	v_add_u32_e32 v6, 11, v26
	v_add_u32_e32 v7, 12, v26
	v_add_u32_e32 v8, 13, v26
	v_add_u32_e32 v9, 14, v26
	v_add_u32_e32 v10, 15, v26
	v_and_or_b32 v3, v3, 63, v1
	v_and_or_b32 v4, v4, 63, v1
	v_and_or_b32 v5, v5, 63, v1
	v_and_or_b32 v6, v6, 63, v1
	v_and_or_b32 v7, v7, 63, v1
	v_and_or_b32 v8, v8, 63, v1
	v_and_or_b32 v9, v9, 63, v1
	v_and_or_b32 v10, v10, 63, v1
	v_lshlrev_b32_e32 v3, 2, v3
	v_lshlrev_b32_e32 v4, 2, v4
	v_lshlrev_b32_e32 v5, 2, v5
	v_lshlrev_b32_e32 v6, 2, v6
	v_lshlrev_b32_e32 v7, 2, v7
	v_lshlrev_b32_e32 v8, 2, v8
	v_lshlrev_b32_e32 v9, 2, v9
	v_lshlrev_b32_e32 v10, 2, v10
	ds_read_b32 v3, v3
	ds_read_b32 v4, v4
	ds_read_b32 v5, v5
	ds_read_b32 v6, v6
	ds_read_b32 v7, v7
	ds_read_b32 v8, v8
	ds_read_b32 v9, v9
	ds_read_b32 v10, v10
	s_waitcnt lgkmcnt(7)
	v_add_f32_e32 v2, v2, v3
	s_waitcnt lgkmcnt(6)
	v_add_f32_e32 v2, v2, v4
	s_waitcnt lgkmcnt(5)
	v_add_f32_e32 v2, v2, v5
	s_waitcnt lgkmcnt(4)
	v_add_f32_e32 v2, v2, v6
	s_waitcnt lgkmcnt(3)
	v_add_f32_e32 v2, v2, v7
	s_waitcnt lgkmcnt(2)
	v_add_f32_e32 v2, v2, v8
	s_waitcnt lgkmcnt(1)
	v_add_f32_e32 v2, v2, v9
	s_waitcnt lgkmcnt(0)
	v_add_f32_e32 v2, v2, v10
	v_add_u32_e32 v3, 16, v26
	v_add_u32_e32 v4, 17, v26
	v_add_u32_e32 v5, 18, v26
	v_add_u32_e32 v6, 19, v26
	v_add_u32_e32 v7, 20, v26
	v_add_u32_e32 v8, 21, v26
	v_add_u32_e32 v9, 22, v26
	v_add_u32_e32 v10, 23, v26
	v_and_or_b32 v3, v3, 63, v1
	;; [unrolled: 48-line block ×3, first 2 shown]
	v_and_or_b32 v4, v4, 63, v1
	v_and_or_b32 v5, v5, 63, v1
	;; [unrolled: 1-line block ×7, first 2 shown]
	v_lshlrev_b32_e32 v3, 2, v3
	v_lshlrev_b32_e32 v4, 2, v4
	;; [unrolled: 1-line block ×8, first 2 shown]
	ds_read_b32 v3, v3
	ds_read_b32 v4, v4
	;; [unrolled: 1-line block ×8, first 2 shown]
	s_waitcnt lgkmcnt(7)
	v_add_f32_e32 v2, v2, v3
	s_waitcnt lgkmcnt(6)
	v_add_f32_e32 v2, v2, v4
	;; [unrolled: 2-line block ×7, first 2 shown]
	v_add_u32_e32 v3, 33, v26
	v_add_u32_e32 v4, 34, v26
	;; [unrolled: 1-line block ×7, first 2 shown]
	v_xor_b32_e32 v0, 32, v0
	v_and_or_b32 v3, v3, 63, v1
	v_and_or_b32 v4, v4, 63, v1
	;; [unrolled: 1-line block ×7, first 2 shown]
	v_lshlrev_b32_e32 v0, 2, v0
	v_lshlrev_b32_e32 v3, 2, v3
	;; [unrolled: 1-line block ×8, first 2 shown]
	s_waitcnt lgkmcnt(0)
	v_add_f32_e32 v2, v2, v10
	ds_read_b32 v0, v0
	ds_read_b32 v3, v3
	;; [unrolled: 1-line block ×8, first 2 shown]
	s_waitcnt lgkmcnt(7)
	v_add_f32_e32 v0, v2, v0
	s_waitcnt lgkmcnt(6)
	v_add_f32_e32 v0, v0, v3
	;; [unrolled: 2-line block ×8, first 2 shown]
	v_add_u32_e32 v2, 40, v26
	v_add_u32_e32 v3, 41, v26
	;; [unrolled: 1-line block ×8, first 2 shown]
	v_and_or_b32 v2, v2, 63, v1
	v_and_or_b32 v3, v3, 63, v1
	;; [unrolled: 1-line block ×8, first 2 shown]
	v_lshlrev_b32_e32 v2, 2, v2
	v_lshlrev_b32_e32 v3, 2, v3
	;; [unrolled: 1-line block ×8, first 2 shown]
	ds_read_b32 v2, v2
	ds_read_b32 v3, v3
	;; [unrolled: 1-line block ×8, first 2 shown]
	s_waitcnt lgkmcnt(7)
	v_add_f32_e32 v0, v0, v2
	s_waitcnt lgkmcnt(6)
	v_add_f32_e32 v0, v0, v3
	;; [unrolled: 2-line block ×8, first 2 shown]
	v_add_u32_e32 v2, 48, v26
	v_add_u32_e32 v3, 49, v26
	;; [unrolled: 1-line block ×8, first 2 shown]
	v_and_or_b32 v2, v2, 63, v1
	v_and_or_b32 v3, v3, 63, v1
	v_and_or_b32 v4, v4, 63, v1
	v_and_or_b32 v5, v5, 63, v1
	v_and_or_b32 v6, v6, 63, v1
	v_and_or_b32 v7, v7, 63, v1
	v_and_or_b32 v8, v8, 63, v1
	v_and_or_b32 v9, v9, 63, v1
	v_lshlrev_b32_e32 v2, 2, v2
	v_lshlrev_b32_e32 v3, 2, v3
	;; [unrolled: 1-line block ×8, first 2 shown]
	ds_read_b32 v2, v2
	ds_read_b32 v3, v3
	;; [unrolled: 1-line block ×8, first 2 shown]
	s_waitcnt lgkmcnt(7)
	v_add_f32_e32 v0, v0, v2
	s_waitcnt lgkmcnt(6)
	v_add_f32_e32 v0, v0, v3
	;; [unrolled: 2-line block ×8, first 2 shown]
	v_add_u32_e32 v2, 56, v26
	v_add_u32_e32 v3, 57, v26
	;; [unrolled: 1-line block ×7, first 2 shown]
	v_add_u32_e32 v9, -1, v26
	v_and_or_b32 v2, v2, 63, v1
	v_and_or_b32 v3, v3, 63, v1
	;; [unrolled: 1-line block ×8, first 2 shown]
	s_load_dword s2, s[0:1], 0x68
	v_lshlrev_b32_e32 v2, 2, v2
	v_lshlrev_b32_e32 v3, 2, v3
	;; [unrolled: 1-line block ×8, first 2 shown]
	ds_read_b32 v2, v2
	ds_read_b32 v3, v3
	;; [unrolled: 1-line block ×8, first 2 shown]
	s_waitcnt lgkmcnt(0)
	v_add_f32_e32 v0, v0, v2
	v_add_f32_e32 v0, v0, v3
	s_lshl_b64 s[0:1], s[10:11], 2
	v_add_f32_e32 v0, v0, v4
	s_add_u32 s3, s6, s0
	v_add_f32_e32 v0, v0, v5
	s_addc_u32 s4, s7, s1
	s_mul_hi_i32 s1, s2, s8
	s_mul_i32 s0, s2, s8
	v_add_f32_e32 v0, v0, v6
	s_lshl_b64 s[0:1], s[0:1], 2
	v_add_f32_e32 v0, v0, v7
	s_add_u32 s0, s3, s0
	v_add_f32_e32 v0, v0, v8
	s_addc_u32 s1, s4, s1
	v_add_f32_e32 v2, v0, v1
	v_mad_i64_i32 v[0:1], s[2:3], s2, v26, 0
	v_lshl_add_u64 v[0:1], v[0:1], 2, s[0:1]
	v_mul_f32_e32 v2, s22, v2
	global_atomic_add_f32 v[0:1], v2, off
.LBB215_10:
	s_endpgm
	.section	.rodata,"a",@progbits
	.p2align	6, 0x0
	.amdhsa_kernel _ZL36rocblas_gemvt_double_buffered_kernelILb0ELi128ELi8ELi8EPKffKPfEviiT4_lPKT3_lilS7_lilPT5_lili
		.amdhsa_group_segment_fixed_size 32768
		.amdhsa_private_segment_fixed_size 0
		.amdhsa_kernarg_size 384
		.amdhsa_user_sgpr_count 2
		.amdhsa_user_sgpr_dispatch_ptr 0
		.amdhsa_user_sgpr_queue_ptr 0
		.amdhsa_user_sgpr_kernarg_segment_ptr 1
		.amdhsa_user_sgpr_dispatch_id 0
		.amdhsa_user_sgpr_kernarg_preload_length 0
		.amdhsa_user_sgpr_kernarg_preload_offset 0
		.amdhsa_user_sgpr_private_segment_size 0
		.amdhsa_uses_dynamic_stack 0
		.amdhsa_enable_private_segment 0
		.amdhsa_system_sgpr_workgroup_id_x 1
		.amdhsa_system_sgpr_workgroup_id_y 1
		.amdhsa_system_sgpr_workgroup_id_z 1
		.amdhsa_system_sgpr_workgroup_info 0
		.amdhsa_system_vgpr_workitem_id 1
		.amdhsa_next_free_vgpr 64
		.amdhsa_next_free_sgpr 32
		.amdhsa_accum_offset 64
		.amdhsa_reserve_vcc 1
		.amdhsa_float_round_mode_32 0
		.amdhsa_float_round_mode_16_64 0
		.amdhsa_float_denorm_mode_32 3
		.amdhsa_float_denorm_mode_16_64 3
		.amdhsa_dx10_clamp 1
		.amdhsa_ieee_mode 1
		.amdhsa_fp16_overflow 0
		.amdhsa_tg_split 0
		.amdhsa_exception_fp_ieee_invalid_op 0
		.amdhsa_exception_fp_denorm_src 0
		.amdhsa_exception_fp_ieee_div_zero 0
		.amdhsa_exception_fp_ieee_overflow 0
		.amdhsa_exception_fp_ieee_underflow 0
		.amdhsa_exception_fp_ieee_inexact 0
		.amdhsa_exception_int_div_zero 0
	.end_amdhsa_kernel
	.section	.text._ZL36rocblas_gemvt_double_buffered_kernelILb0ELi128ELi8ELi8EPKffKPfEviiT4_lPKT3_lilS7_lilPT5_lili,"axG",@progbits,_ZL36rocblas_gemvt_double_buffered_kernelILb0ELi128ELi8ELi8EPKffKPfEviiT4_lPKT3_lilS7_lilPT5_lili,comdat
.Lfunc_end215:
	.size	_ZL36rocblas_gemvt_double_buffered_kernelILb0ELi128ELi8ELi8EPKffKPfEviiT4_lPKT3_lilS7_lilPT5_lili, .Lfunc_end215-_ZL36rocblas_gemvt_double_buffered_kernelILb0ELi128ELi8ELi8EPKffKPfEviiT4_lPKT3_lilS7_lilPT5_lili
                                        ; -- End function
	.section	.AMDGPU.csdata,"",@progbits
; Kernel info:
; codeLenInByte = 3876
; NumSgprs: 38
; NumVgprs: 64
; NumAgprs: 0
; TotalNumVgprs: 64
; ScratchSize: 0
; MemoryBound: 0
; FloatMode: 240
; IeeeMode: 1
; LDSByteSize: 32768 bytes/workgroup (compile time only)
; SGPRBlocks: 4
; VGPRBlocks: 7
; NumSGPRsForWavesPerEU: 38
; NumVGPRsForWavesPerEU: 64
; AccumOffset: 64
; Occupancy: 8
; WaveLimiterHint : 1
; COMPUTE_PGM_RSRC2:SCRATCH_EN: 0
; COMPUTE_PGM_RSRC2:USER_SGPR: 2
; COMPUTE_PGM_RSRC2:TRAP_HANDLER: 0
; COMPUTE_PGM_RSRC2:TGID_X_EN: 1
; COMPUTE_PGM_RSRC2:TGID_Y_EN: 1
; COMPUTE_PGM_RSRC2:TGID_Z_EN: 1
; COMPUTE_PGM_RSRC2:TIDIG_COMP_CNT: 1
; COMPUTE_PGM_RSRC3_GFX90A:ACCUM_OFFSET: 15
; COMPUTE_PGM_RSRC3_GFX90A:TG_SPLIT: 0
	.section	.text._ZL32rocblas_gemvt_warp_reduce_kernelILb0ELi256EiPKfS1_KPfEviiT3_lPKT2_lT1_lS7_lS8_lS4_lPT4_lS8_li,"axG",@progbits,_ZL32rocblas_gemvt_warp_reduce_kernelILb0ELi256EiPKfS1_KPfEviiT3_lPKT2_lT1_lS7_lS8_lS4_lPT4_lS8_li,comdat
	.globl	_ZL32rocblas_gemvt_warp_reduce_kernelILb0ELi256EiPKfS1_KPfEviiT3_lPKT2_lT1_lS7_lS8_lS4_lPT4_lS8_li ; -- Begin function _ZL32rocblas_gemvt_warp_reduce_kernelILb0ELi256EiPKfS1_KPfEviiT3_lPKT2_lT1_lS7_lS8_lS4_lPT4_lS8_li
	.p2align	8
	.type	_ZL32rocblas_gemvt_warp_reduce_kernelILb0ELi256EiPKfS1_KPfEviiT3_lPKT2_lT1_lS7_lS8_lS4_lPT4_lS8_li,@function
_ZL32rocblas_gemvt_warp_reduce_kernelILb0ELi256EiPKfS1_KPfEviiT3_lPKT2_lT1_lS7_lS8_lS4_lPT4_lS8_li: ; @_ZL32rocblas_gemvt_warp_reduce_kernelILb0ELi256EiPKfS1_KPfEviiT3_lPKT2_lT1_lS7_lS8_lS4_lPT4_lS8_li
; %bb.0:
	s_load_dwordx8 s[12:19], s[0:1], 0x8
	s_load_dwordx8 s[4:11], s[0:1], 0x58
	s_mov_b32 s20, s3
	s_waitcnt lgkmcnt(0)
	s_mul_i32 s3, s3, s15
	s_mul_hi_u32 s15, s20, s14
	s_add_i32 s15, s15, s3
	s_mul_i32 s14, s20, s14
	s_lshl_b64 s[14:15], s[14:15], 2
	s_add_u32 s12, s12, s14
	s_mul_i32 s3, s20, s7
	s_mul_hi_u32 s7, s20, s6
	s_addc_u32 s13, s13, s15
	s_add_i32 s7, s7, s3
	s_mul_i32 s6, s20, s6
	s_lshl_b64 s[6:7], s[6:7], 2
	s_add_u32 s4, s4, s6
	s_addc_u32 s5, s5, s7
	s_load_dword s22, s[12:13], 0x0
	s_load_dword s3, s[4:5], 0x0
	s_waitcnt lgkmcnt(0)
	v_cmp_eq_f32_e64 s[4:5], s22, 0
	v_cmp_eq_f32_e64 s[6:7], s3, 1.0
	s_and_b64 s[6:7], s[4:5], s[6:7]
	s_and_b64 vcc, exec, s[6:7]
	s_cbranch_vccnz .LBB216_33
; %bb.1:
	s_mov_b32 s21, 0
	v_cmp_neq_f32_e64 s[6:7], s22, 0
	s_mov_b64 s[12:13], 0
	s_and_b64 vcc, exec, s[4:5]
	s_mov_b64 s[14:15], 0
	s_cbranch_vccnz .LBB216_3
; %bb.2:
	s_lshl_b64 s[14:15], s[20:21], 3
	s_add_u32 s14, s16, s14
	s_addc_u32 s15, s17, s15
	s_load_dwordx2 s[14:15], s[14:15], 0x0
	s_lshl_b64 s[16:17], s[18:19], 2
	s_waitcnt lgkmcnt(0)
	s_add_u32 s14, s14, s16
	s_addc_u32 s15, s15, s17
.LBB216_3:
	s_andn2_b64 vcc, exec, s[6:7]
	s_cbranch_vccnz .LBB216_5
; %bb.4:
	s_load_dwordx4 s[16:19], s[0:1], 0x38
	s_lshl_b64 s[6:7], s[20:21], 3
	s_waitcnt lgkmcnt(0)
	s_add_u32 s6, s16, s6
	s_addc_u32 s7, s17, s7
	s_load_dwordx2 s[6:7], s[6:7], 0x0
	s_lshl_b64 s[12:13], s[18:19], 2
	s_waitcnt lgkmcnt(0)
	s_add_u32 s12, s6, s12
	s_addc_u32 s13, s7, s13
.LBB216_5:
	s_lshl_b64 s[6:7], s[20:21], 3
	s_add_u32 s6, s8, s6
	s_addc_u32 s7, s9, s7
	s_load_dwordx2 s[8:9], s[6:7], 0x0
	s_load_dword s20, s[0:1], 0x78
	s_lshl_b64 s[6:7], s[10:11], 2
	s_waitcnt lgkmcnt(0)
	s_add_u32 s18, s8, s6
	s_addc_u32 s19, s9, s7
	s_andn2_b64 vcc, exec, s[4:5]
	v_cmp_eq_u32_e64 s[4:5], 0, v0
	s_cbranch_vccnz .LBB216_10
; %bb.6:
	s_mov_b64 s[10:11], 0
	s_mov_b64 s[6:7], 0
                                        ; implicit-def: $vgpr1
                                        ; implicit-def: $sgpr8_sgpr9
	s_and_saveexec_b64 s[16:17], s[4:5]
	s_cbranch_execz .LBB216_11
; %bb.7:
	v_cmp_eq_f32_e64 s[4:5], s3, 0
	s_mul_i32 s8, s2, s20
	v_mov_b32_e32 v1, 0
	s_ashr_i32 s9, s8, 31
	s_and_b64 vcc, exec, s[4:5]
	s_cbranch_vccnz .LBB216_9
; %bb.8:
	s_lshl_b64 s[4:5], s[8:9], 2
	s_add_u32 s4, s18, s4
	s_addc_u32 s5, s19, s5
	s_load_dword s4, s[4:5], 0x0
	s_waitcnt lgkmcnt(0)
	v_mov_b32_e32 v1, s4
	v_mul_f32_e32 v1, s3, v1
.LBB216_9:
	s_mov_b64 s[6:7], exec
	s_or_b64 exec, exec, s[16:17]
	s_and_b64 vcc, exec, s[10:11]
	s_cbranch_vccnz .LBB216_12
	s_branch .LBB216_31
.LBB216_10:
	s_mov_b64 s[6:7], 0
                                        ; implicit-def: $vgpr1
                                        ; implicit-def: $sgpr8_sgpr9
	s_cbranch_execnz .LBB216_12
	s_branch .LBB216_31
.LBB216_11:
	s_or_b64 exec, exec, s[16:17]
	s_and_b64 vcc, exec, s[10:11]
	s_cbranch_vccz .LBB216_31
.LBB216_12:
	s_load_dword s17, s[0:1], 0x0
	s_load_dword s4, s[0:1], 0x28
	;; [unrolled: 1-line block ×3, first 2 shown]
	v_mov_b32_e32 v3, 0
	s_waitcnt lgkmcnt(0)
	v_cmp_gt_i32_e32 vcc, s17, v0
	s_mul_i32 s0, s2, s4
	s_ashr_i32 s1, s0, 31
	s_lshl_b64 s[0:1], s[0:1], 2
	v_cndmask_b32_e32 v1, 0, v0, vcc
	s_add_u32 s0, s0, s14
	v_lshlrev_b32_e32 v2, 2, v1
	s_addc_u32 s1, s1, s15
	v_lshl_add_u64 v[4:5], s[0:1], 0, v[2:3]
	s_ashr_i32 s0, s17, 31
	s_lshr_b32 s0, s0, 24
	s_add_i32 s0, s17, s0
	s_and_b32 s0, s0, 0xffffff00
	v_cmp_gt_i32_e32 vcc, s0, v0
	s_and_saveexec_b64 s[4:5], vcc
	s_cbranch_execz .LBB216_16
; %bb.13:
	v_mul_lo_u32 v6, v0, s16
	s_lshl_b32 s1, s16, 8
	s_mov_b64 s[8:9], 0
	v_mov_b32_e32 v3, 0
	s_mov_b64 s[10:11], 0x400
	v_mov_b64_e32 v[8:9], v[4:5]
	v_mov_b32_e32 v1, v0
.LBB216_14:                             ; =>This Inner Loop Header: Depth=1
	v_ashrrev_i32_e32 v7, 31, v6
	v_lshl_add_u64 v[10:11], v[6:7], 2, s[12:13]
	flat_load_dword v2, v[8:9]
	flat_load_dword v7, v[10:11]
	v_add_u32_e32 v1, 0x100, v1
	v_cmp_le_i32_e32 vcc, s0, v1
	v_lshl_add_u64 v[8:9], v[8:9], 0, s[10:11]
	v_add_u32_e32 v6, s1, v6
	s_or_b64 s[8:9], vcc, s[8:9]
	s_waitcnt vmcnt(0) lgkmcnt(0)
	v_fmac_f32_e32 v3, v2, v7
	s_andn2_b64 exec, exec, s[8:9]
	s_cbranch_execnz .LBB216_14
; %bb.15:
	s_or_b64 exec, exec, s[8:9]
.LBB216_16:
	s_or_b64 exec, exec, s[4:5]
	v_add_u32_e32 v1, s0, v0
	v_cmp_gt_i32_e32 vcc, s17, v1
	s_and_saveexec_b64 s[4:5], vcc
	s_cbranch_execz .LBB216_18
; %bb.17:
	s_ashr_i32 s1, s0, 31
	v_lshl_add_u64 v[4:5], s[0:1], 2, v[4:5]
	flat_load_dword v2, v[4:5]
	v_mul_lo_u32 v4, v1, s16
	v_ashrrev_i32_e32 v5, 31, v4
	v_lshl_add_u64 v[4:5], v[4:5], 2, s[12:13]
	flat_load_dword v1, v[4:5]
	s_waitcnt vmcnt(0) lgkmcnt(0)
	v_fmac_f32_e32 v3, v2, v1
.LBB216_18:
	s_or_b64 exec, exec, s[4:5]
	v_and_b32_e32 v2, 63, v0
	v_cmp_gt_u32_e32 vcc, 64, v0
	v_lshlrev_b32_e32 v1, 2, v2
	s_and_saveexec_b64 s[0:1], vcc
	s_cbranch_execz .LBB216_20
; %bb.19:
	v_mov_b32_e32 v4, 0
	ds_write_b32 v1, v4
.LBB216_20:
	s_or_b64 exec, exec, s[0:1]
	v_mbcnt_lo_u32_b32 v4, -1, 0
	v_mbcnt_hi_u32_b32 v4, -1, v4
	v_and_b32_e32 v5, 63, v4
	v_cmp_gt_u32_e64 s[0:1], 32, v5
	s_waitcnt lgkmcnt(0)
	s_barrier
	v_cndmask_b32_e64 v6, 0, 1, s[0:1]
	v_lshlrev_b32_e32 v6, 5, v6
	v_add_lshl_u32 v6, v6, v4, 2
	ds_bpermute_b32 v6, v6, v3
	v_cmp_gt_u32_e64 s[0:1], 48, v5
	s_waitcnt lgkmcnt(0)
	v_add_f32_e32 v3, v3, v6
	v_cndmask_b32_e64 v7, 0, 1, s[0:1]
	v_lshlrev_b32_e32 v7, 4, v7
	v_add_lshl_u32 v6, v7, v4, 2
	ds_bpermute_b32 v6, v6, v3
	v_cmp_gt_u32_e64 s[0:1], 56, v5
	s_waitcnt lgkmcnt(0)
	v_add_f32_e32 v3, v3, v6
	;; [unrolled: 7-line block ×4, first 2 shown]
	v_cndmask_b32_e64 v7, 0, 1, s[0:1]
	v_lshlrev_b32_e32 v7, 1, v7
	v_add_lshl_u32 v3, v7, v4, 2
	ds_bpermute_b32 v7, v3, v6
	v_cmp_ne_u32_e64 s[0:1], 63, v5
	s_waitcnt lgkmcnt(0)
	v_add_f32_e32 v5, v6, v7
	v_addc_co_u32_e64 v4, s[0:1], 0, v4, s[0:1]
	v_lshlrev_b32_e32 v4, 2, v4
	ds_bpermute_b32 v6, v4, v5
	v_cmp_eq_u32_e64 s[0:1], 0, v2
	s_and_saveexec_b64 s[4:5], s[0:1]
	s_cbranch_execz .LBB216_22
; %bb.21:
	v_lshrrev_b32_e32 v2, 4, v0
	v_and_b32_e32 v2, 12, v2
	s_waitcnt lgkmcnt(0)
	v_add_f32_e32 v5, v5, v6
	ds_write_b32 v2, v5
.LBB216_22:
	s_or_b64 exec, exec, s[4:5]
	v_cmp_gt_u32_e64 s[0:1], 4, v0
	v_mov_b32_e32 v2, 0
	s_waitcnt lgkmcnt(0)
	s_barrier
	s_and_saveexec_b64 s[4:5], s[0:1]
	s_cbranch_execz .LBB216_24
; %bb.23:
	ds_read_b32 v2, v1
	s_or_b64 exec, exec, s[4:5]
	s_and_saveexec_b64 s[0:1], vcc
	s_cbranch_execz .LBB216_26
	s_branch .LBB216_25
.LBB216_24:
	s_or_b64 exec, exec, s[4:5]
	s_and_saveexec_b64 s[0:1], vcc
	s_cbranch_execz .LBB216_26
.LBB216_25:
	s_waitcnt lgkmcnt(0)
	ds_bpermute_b32 v1, v3, v2
	s_waitcnt lgkmcnt(0)
	v_add_f32_e32 v1, v2, v1
	ds_bpermute_b32 v2, v4, v1
	s_waitcnt lgkmcnt(0)
	v_add_f32_e32 v2, v1, v2
.LBB216_26:
	s_or_b64 exec, exec, s[0:1]
	v_cmp_eq_u32_e32 vcc, 0, v0
                                        ; implicit-def: $vgpr1
                                        ; implicit-def: $sgpr8_sgpr9
	s_and_saveexec_b64 s[0:1], vcc
	s_cbranch_execz .LBB216_30
; %bb.27:
	v_cmp_eq_f32_e64 s[4:5], s3, 0
	s_mul_i32 s8, s2, s20
	s_waitcnt lgkmcnt(0)
	v_mul_f32_e32 v1, s22, v2
	s_ashr_i32 s9, s8, 31
	s_and_b64 vcc, exec, s[4:5]
	s_cbranch_vccnz .LBB216_29
; %bb.28:
	s_lshl_b64 s[4:5], s[8:9], 2
	s_add_u32 s4, s18, s4
	s_addc_u32 s5, s19, s5
	s_load_dword s2, s[4:5], 0x0
	s_waitcnt lgkmcnt(0)
	v_mov_b32_e32 v0, s2
	v_fmac_f32_e32 v1, s3, v0
.LBB216_29:
	s_or_b64 s[6:7], s[6:7], exec
.LBB216_30:
	s_or_b64 exec, exec, s[0:1]
.LBB216_31:
	s_and_saveexec_b64 s[0:1], s[6:7]
	s_cbranch_execz .LBB216_33
; %bb.32:
	s_lshl_b64 s[0:1], s[8:9], 2
	s_add_u32 s0, s18, s0
	s_addc_u32 s1, s19, s1
	v_mov_b32_e32 v0, 0
	global_store_dword v0, v1, s[0:1]
.LBB216_33:
	s_endpgm
	.section	.rodata,"a",@progbits
	.p2align	6, 0x0
	.amdhsa_kernel _ZL32rocblas_gemvt_warp_reduce_kernelILb0ELi256EiPKfS1_KPfEviiT3_lPKT2_lT1_lS7_lS8_lS4_lPT4_lS8_li
		.amdhsa_group_segment_fixed_size 256
		.amdhsa_private_segment_fixed_size 0
		.amdhsa_kernarg_size 140
		.amdhsa_user_sgpr_count 2
		.amdhsa_user_sgpr_dispatch_ptr 0
		.amdhsa_user_sgpr_queue_ptr 0
		.amdhsa_user_sgpr_kernarg_segment_ptr 1
		.amdhsa_user_sgpr_dispatch_id 0
		.amdhsa_user_sgpr_kernarg_preload_length 0
		.amdhsa_user_sgpr_kernarg_preload_offset 0
		.amdhsa_user_sgpr_private_segment_size 0
		.amdhsa_uses_dynamic_stack 0
		.amdhsa_enable_private_segment 0
		.amdhsa_system_sgpr_workgroup_id_x 1
		.amdhsa_system_sgpr_workgroup_id_y 0
		.amdhsa_system_sgpr_workgroup_id_z 1
		.amdhsa_system_sgpr_workgroup_info 0
		.amdhsa_system_vgpr_workitem_id 0
		.amdhsa_next_free_vgpr 12
		.amdhsa_next_free_sgpr 23
		.amdhsa_accum_offset 12
		.amdhsa_reserve_vcc 1
		.amdhsa_float_round_mode_32 0
		.amdhsa_float_round_mode_16_64 0
		.amdhsa_float_denorm_mode_32 3
		.amdhsa_float_denorm_mode_16_64 3
		.amdhsa_dx10_clamp 1
		.amdhsa_ieee_mode 1
		.amdhsa_fp16_overflow 0
		.amdhsa_tg_split 0
		.amdhsa_exception_fp_ieee_invalid_op 0
		.amdhsa_exception_fp_denorm_src 0
		.amdhsa_exception_fp_ieee_div_zero 0
		.amdhsa_exception_fp_ieee_overflow 0
		.amdhsa_exception_fp_ieee_underflow 0
		.amdhsa_exception_fp_ieee_inexact 0
		.amdhsa_exception_int_div_zero 0
	.end_amdhsa_kernel
	.section	.text._ZL32rocblas_gemvt_warp_reduce_kernelILb0ELi256EiPKfS1_KPfEviiT3_lPKT2_lT1_lS7_lS8_lS4_lPT4_lS8_li,"axG",@progbits,_ZL32rocblas_gemvt_warp_reduce_kernelILb0ELi256EiPKfS1_KPfEviiT3_lPKT2_lT1_lS7_lS8_lS4_lPT4_lS8_li,comdat
.Lfunc_end216:
	.size	_ZL32rocblas_gemvt_warp_reduce_kernelILb0ELi256EiPKfS1_KPfEviiT3_lPKT2_lT1_lS7_lS8_lS4_lPT4_lS8_li, .Lfunc_end216-_ZL32rocblas_gemvt_warp_reduce_kernelILb0ELi256EiPKfS1_KPfEviiT3_lPKT2_lT1_lS7_lS8_lS4_lPT4_lS8_li
                                        ; -- End function
	.section	.AMDGPU.csdata,"",@progbits
; Kernel info:
; codeLenInByte = 1304
; NumSgprs: 29
; NumVgprs: 12
; NumAgprs: 0
; TotalNumVgprs: 12
; ScratchSize: 0
; MemoryBound: 0
; FloatMode: 240
; IeeeMode: 1
; LDSByteSize: 256 bytes/workgroup (compile time only)
; SGPRBlocks: 3
; VGPRBlocks: 1
; NumSGPRsForWavesPerEU: 29
; NumVGPRsForWavesPerEU: 12
; AccumOffset: 12
; Occupancy: 8
; WaveLimiterHint : 1
; COMPUTE_PGM_RSRC2:SCRATCH_EN: 0
; COMPUTE_PGM_RSRC2:USER_SGPR: 2
; COMPUTE_PGM_RSRC2:TRAP_HANDLER: 0
; COMPUTE_PGM_RSRC2:TGID_X_EN: 1
; COMPUTE_PGM_RSRC2:TGID_Y_EN: 0
; COMPUTE_PGM_RSRC2:TGID_Z_EN: 1
; COMPUTE_PGM_RSRC2:TIDIG_COMP_CNT: 0
; COMPUTE_PGM_RSRC3_GFX90A:ACCUM_OFFSET: 2
; COMPUTE_PGM_RSRC3_GFX90A:TG_SPLIT: 0
	.section	.text._ZL32rocblas_gemvt_warp_reduce_kernelILb0ELi256ElPKfS1_KPfEviiT3_lPKT2_lT1_lS7_lS8_lS4_lPT4_lS8_li,"axG",@progbits,_ZL32rocblas_gemvt_warp_reduce_kernelILb0ELi256ElPKfS1_KPfEviiT3_lPKT2_lT1_lS7_lS8_lS4_lPT4_lS8_li,comdat
	.globl	_ZL32rocblas_gemvt_warp_reduce_kernelILb0ELi256ElPKfS1_KPfEviiT3_lPKT2_lT1_lS7_lS8_lS4_lPT4_lS8_li ; -- Begin function _ZL32rocblas_gemvt_warp_reduce_kernelILb0ELi256ElPKfS1_KPfEviiT3_lPKT2_lT1_lS7_lS8_lS4_lPT4_lS8_li
	.p2align	8
	.type	_ZL32rocblas_gemvt_warp_reduce_kernelILb0ELi256ElPKfS1_KPfEviiT3_lPKT2_lT1_lS7_lS8_lS4_lPT4_lS8_li,@function
_ZL32rocblas_gemvt_warp_reduce_kernelILb0ELi256ElPKfS1_KPfEviiT3_lPKT2_lT1_lS7_lS8_lS4_lPT4_lS8_li: ; @_ZL32rocblas_gemvt_warp_reduce_kernelILb0ELi256ElPKfS1_KPfEviiT3_lPKT2_lT1_lS7_lS8_lS4_lPT4_lS8_li
; %bb.0:
	s_load_dwordx8 s[12:19], s[0:1], 0x8
	s_load_dwordx8 s[4:11], s[0:1], 0x58
	s_mov_b32 s24, s3
	s_waitcnt lgkmcnt(0)
	s_mul_i32 s3, s3, s15
	s_mul_hi_u32 s15, s24, s14
	s_add_i32 s15, s15, s3
	s_mul_i32 s14, s24, s14
	s_lshl_b64 s[14:15], s[14:15], 2
	s_add_u32 s12, s12, s14
	s_mul_i32 s3, s24, s7
	s_mul_hi_u32 s7, s24, s6
	s_addc_u32 s13, s13, s15
	s_add_i32 s7, s7, s3
	s_mul_i32 s6, s24, s6
	s_lshl_b64 s[6:7], s[6:7], 2
	s_add_u32 s4, s4, s6
	s_addc_u32 s5, s5, s7
	s_load_dword s30, s[12:13], 0x0
	s_load_dword s3, s[4:5], 0x0
	s_waitcnt lgkmcnt(0)
	v_cmp_eq_f32_e64 s[26:27], s30, 0
	v_cmp_eq_f32_e64 s[4:5], s3, 1.0
	s_and_b64 s[4:5], s[26:27], s[4:5]
	s_and_b64 vcc, exec, s[4:5]
	s_cbranch_vccnz .LBB217_33
; %bb.1:
	s_load_dwordx2 s[20:21], s[0:1], 0x28
	s_load_dwordx2 s[12:13], s[0:1], 0x78
	s_mov_b32 s25, 0
	v_cmp_neq_f32_e64 s[28:29], s30, 0
	s_mov_b64 s[14:15], 0
	s_and_b64 vcc, exec, s[26:27]
	s_mov_b64 s[22:23], 0
	s_cbranch_vccnz .LBB217_3
; %bb.2:
	s_lshl_b64 s[4:5], s[24:25], 3
	s_add_u32 s4, s16, s4
	s_addc_u32 s5, s17, s5
	s_load_dwordx2 s[4:5], s[4:5], 0x0
	s_lshl_b64 s[6:7], s[18:19], 2
	s_waitcnt lgkmcnt(0)
	s_add_u32 s22, s4, s6
	s_addc_u32 s23, s5, s7
.LBB217_3:
	s_load_dwordx4 s[4:7], s[0:1], 0x38
	s_load_dwordx2 s[16:17], s[0:1], 0x48
	s_andn2_b64 vcc, exec, s[28:29]
	s_cbranch_vccnz .LBB217_5
; %bb.4:
	s_lshl_b64 s[14:15], s[24:25], 3
	s_waitcnt lgkmcnt(0)
	s_add_u32 s4, s4, s14
	s_addc_u32 s5, s5, s15
	s_load_dwordx2 s[4:5], s[4:5], 0x0
	s_lshl_b64 s[6:7], s[6:7], 2
	s_waitcnt lgkmcnt(0)
	s_add_u32 s14, s4, s6
	s_addc_u32 s15, s5, s7
.LBB217_5:
	s_waitcnt lgkmcnt(0)
	s_lshl_b64 s[4:5], s[24:25], 3
	s_add_u32 s4, s8, s4
	s_addc_u32 s5, s9, s5
	s_load_dwordx2 s[4:5], s[4:5], 0x0
	s_lshl_b64 s[6:7], s[10:11], 2
	s_waitcnt lgkmcnt(0)
	s_add_u32 s24, s4, s6
	s_addc_u32 s25, s5, s7
	s_andn2_b64 vcc, exec, s[26:27]
	v_cmp_eq_u32_e64 s[4:5], 0, v0
	s_cbranch_vccnz .LBB217_10
; %bb.6:
	s_mov_b64 s[10:11], 0
	s_mov_b64 s[6:7], 0
                                        ; implicit-def: $vgpr1
                                        ; implicit-def: $sgpr8_sgpr9
	s_and_saveexec_b64 s[18:19], s[4:5]
	s_cbranch_execz .LBB217_11
; %bb.7:
	s_ashr_i32 s6, s2, 31
	s_mul_i32 s7, s2, s13
	s_mul_hi_u32 s8, s2, s12
	v_cmp_eq_f32_e64 s[4:5], s3, 0
	s_add_i32 s7, s8, s7
	s_mul_i32 s6, s6, s12
	v_mov_b32_e32 v1, 0
	s_add_i32 s9, s7, s6
	s_mul_i32 s8, s2, s12
	s_and_b64 vcc, exec, s[4:5]
	s_cbranch_vccnz .LBB217_9
; %bb.8:
	s_lshl_b64 s[4:5], s[8:9], 2
	s_add_u32 s4, s24, s4
	s_addc_u32 s5, s25, s5
	s_load_dword s4, s[4:5], 0x0
	s_waitcnt lgkmcnt(0)
	v_mov_b32_e32 v1, s4
	v_mul_f32_e32 v1, s3, v1
.LBB217_9:
	s_mov_b64 s[6:7], exec
	s_or_b64 exec, exec, s[18:19]
	s_and_b64 vcc, exec, s[10:11]
	s_cbranch_vccnz .LBB217_12
	s_branch .LBB217_31
.LBB217_10:
	s_mov_b64 s[6:7], 0
                                        ; implicit-def: $vgpr1
                                        ; implicit-def: $sgpr8_sgpr9
	s_cbranch_execnz .LBB217_12
	s_branch .LBB217_31
.LBB217_11:
	s_or_b64 exec, exec, s[18:19]
	s_and_b64 vcc, exec, s[10:11]
	s_cbranch_vccz .LBB217_31
.LBB217_12:
	s_load_dword s1, s[0:1], 0x0
	s_ashr_i32 s26, s2, 31
	s_mul_i32 s0, s2, s21
	s_mul_hi_u32 s4, s2, s20
	s_add_i32 s0, s4, s0
	s_mul_i32 s4, s26, s20
	s_add_i32 s5, s0, s4
	s_mul_i32 s4, s2, s20
	s_lshl_b64 s[4:5], s[4:5], 2
	s_add_u32 s4, s4, s22
	s_addc_u32 s5, s5, s23
	s_waitcnt lgkmcnt(0)
	s_ashr_i32 s0, s1, 31
	v_cmp_gt_i32_e32 vcc, s1, v0
	s_lshr_b32 s0, s0, 24
	s_add_i32 s0, s1, s0
	v_cndmask_b32_e32 v1, 0, v0, vcc
	v_mov_b32_e32 v3, 0
	v_lshlrev_b32_e32 v2, 2, v1
	s_and_b32 s0, s0, 0xffffff00
	v_lshl_add_u64 v[4:5], s[4:5], 0, v[2:3]
	v_cmp_gt_i32_e32 vcc, s0, v0
	s_and_saveexec_b64 s[4:5], vcc
	s_cbranch_execz .LBB217_16
; %bb.13:
	v_mad_u64_u32 v[2:3], s[8:9], s16, v0, 0
	v_mov_b32_e32 v6, v3
	v_mad_u64_u32 v[6:7], s[8:9], s17, v0, v[6:7]
	v_mov_b32_e32 v3, v6
	v_lshl_add_u64 v[6:7], v[2:3], 2, s[14:15]
	s_lshl_b64 s[10:11], s[16:17], 10
	s_mov_b64 s[8:9], 0
	v_mov_b32_e32 v3, 0
	s_mov_b64 s[18:19], 0x400
	v_mov_b64_e32 v[8:9], v[4:5]
	v_mov_b32_e32 v1, v0
.LBB217_14:                             ; =>This Inner Loop Header: Depth=1
	flat_load_dword v2, v[8:9]
	flat_load_dword v10, v[6:7]
	v_add_u32_e32 v1, 0x100, v1
	v_cmp_le_i32_e32 vcc, s0, v1
	v_lshl_add_u64 v[8:9], v[8:9], 0, s[18:19]
	v_lshl_add_u64 v[6:7], v[6:7], 0, s[10:11]
	s_or_b64 s[8:9], vcc, s[8:9]
	s_waitcnt vmcnt(0) lgkmcnt(0)
	v_fmac_f32_e32 v3, v2, v10
	s_andn2_b64 exec, exec, s[8:9]
	s_cbranch_execnz .LBB217_14
; %bb.15:
	s_or_b64 exec, exec, s[8:9]
.LBB217_16:
	s_or_b64 exec, exec, s[4:5]
	v_add_u32_e32 v1, s0, v0
	v_cmp_gt_i32_e32 vcc, s1, v1
	s_and_saveexec_b64 s[4:5], vcc
	s_cbranch_execz .LBB217_18
; %bb.17:
	s_ashr_i32 s1, s0, 31
	v_lshl_add_u64 v[4:5], s[0:1], 2, v[4:5]
	flat_load_dword v2, v[4:5]
	v_ashrrev_i32_e32 v4, 31, v1
	v_mul_lo_u32 v6, v1, s17
	v_mul_lo_u32 v7, v4, s16
	v_mad_u64_u32 v[4:5], s[0:1], v1, s16, 0
	v_add3_u32 v5, v5, v6, v7
	v_lshl_add_u64 v[4:5], v[4:5], 2, s[14:15]
	flat_load_dword v1, v[4:5]
	s_waitcnt vmcnt(0) lgkmcnt(0)
	v_fmac_f32_e32 v3, v2, v1
.LBB217_18:
	s_or_b64 exec, exec, s[4:5]
	v_and_b32_e32 v2, 63, v0
	v_cmp_gt_u32_e32 vcc, 64, v0
	v_lshlrev_b32_e32 v1, 2, v2
	s_and_saveexec_b64 s[0:1], vcc
	s_cbranch_execz .LBB217_20
; %bb.19:
	v_mov_b32_e32 v4, 0
	ds_write_b32 v1, v4
.LBB217_20:
	s_or_b64 exec, exec, s[0:1]
	v_mbcnt_lo_u32_b32 v4, -1, 0
	v_mbcnt_hi_u32_b32 v4, -1, v4
	v_and_b32_e32 v5, 63, v4
	v_cmp_gt_u32_e64 s[0:1], 32, v5
	s_waitcnt lgkmcnt(0)
	s_barrier
	v_cndmask_b32_e64 v6, 0, 1, s[0:1]
	v_lshlrev_b32_e32 v6, 5, v6
	v_add_lshl_u32 v6, v6, v4, 2
	ds_bpermute_b32 v6, v6, v3
	v_cmp_gt_u32_e64 s[0:1], 48, v5
	s_waitcnt lgkmcnt(0)
	v_add_f32_e32 v3, v3, v6
	v_cndmask_b32_e64 v7, 0, 1, s[0:1]
	v_lshlrev_b32_e32 v7, 4, v7
	v_add_lshl_u32 v6, v7, v4, 2
	ds_bpermute_b32 v6, v6, v3
	v_cmp_gt_u32_e64 s[0:1], 56, v5
	s_waitcnt lgkmcnt(0)
	v_add_f32_e32 v3, v3, v6
	;; [unrolled: 7-line block ×4, first 2 shown]
	v_cndmask_b32_e64 v7, 0, 1, s[0:1]
	v_lshlrev_b32_e32 v7, 1, v7
	v_add_lshl_u32 v3, v7, v4, 2
	ds_bpermute_b32 v7, v3, v6
	v_cmp_ne_u32_e64 s[0:1], 63, v5
	s_waitcnt lgkmcnt(0)
	v_add_f32_e32 v5, v6, v7
	v_addc_co_u32_e64 v4, s[0:1], 0, v4, s[0:1]
	v_lshlrev_b32_e32 v4, 2, v4
	ds_bpermute_b32 v6, v4, v5
	v_cmp_eq_u32_e64 s[0:1], 0, v2
	s_and_saveexec_b64 s[4:5], s[0:1]
	s_cbranch_execz .LBB217_22
; %bb.21:
	v_lshrrev_b32_e32 v2, 4, v0
	v_and_b32_e32 v2, 12, v2
	s_waitcnt lgkmcnt(0)
	v_add_f32_e32 v5, v5, v6
	ds_write_b32 v2, v5
.LBB217_22:
	s_or_b64 exec, exec, s[4:5]
	v_cmp_gt_u32_e64 s[0:1], 4, v0
	v_mov_b32_e32 v2, 0
	s_waitcnt lgkmcnt(0)
	s_barrier
	s_and_saveexec_b64 s[4:5], s[0:1]
	s_cbranch_execz .LBB217_24
; %bb.23:
	ds_read_b32 v2, v1
	s_or_b64 exec, exec, s[4:5]
	s_and_saveexec_b64 s[0:1], vcc
	s_cbranch_execz .LBB217_26
	s_branch .LBB217_25
.LBB217_24:
	s_or_b64 exec, exec, s[4:5]
	s_and_saveexec_b64 s[0:1], vcc
	s_cbranch_execz .LBB217_26
.LBB217_25:
	s_waitcnt lgkmcnt(0)
	ds_bpermute_b32 v1, v3, v2
	s_waitcnt lgkmcnt(0)
	v_add_f32_e32 v1, v2, v1
	ds_bpermute_b32 v2, v4, v1
	s_waitcnt lgkmcnt(0)
	v_add_f32_e32 v2, v1, v2
.LBB217_26:
	s_or_b64 exec, exec, s[0:1]
	v_cmp_eq_u32_e32 vcc, 0, v0
                                        ; implicit-def: $vgpr1
                                        ; implicit-def: $sgpr8_sgpr9
	s_and_saveexec_b64 s[0:1], vcc
	s_cbranch_execz .LBB217_30
; %bb.27:
	s_mul_i32 s8, s2, s13
	s_mul_hi_u32 s9, s2, s12
	v_cmp_eq_f32_e64 s[4:5], s3, 0
	s_add_i32 s8, s9, s8
	s_mul_i32 s9, s26, s12
	s_waitcnt lgkmcnt(0)
	v_mul_f32_e32 v1, s30, v2
	s_add_i32 s9, s8, s9
	s_mul_i32 s8, s2, s12
	s_and_b64 vcc, exec, s[4:5]
	s_cbranch_vccnz .LBB217_29
; %bb.28:
	s_lshl_b64 s[4:5], s[8:9], 2
	s_add_u32 s4, s24, s4
	s_addc_u32 s5, s25, s5
	s_load_dword s2, s[4:5], 0x0
	s_waitcnt lgkmcnt(0)
	v_mov_b32_e32 v0, s2
	v_fmac_f32_e32 v1, s3, v0
.LBB217_29:
	s_or_b64 s[6:7], s[6:7], exec
.LBB217_30:
	s_or_b64 exec, exec, s[0:1]
.LBB217_31:
	s_and_saveexec_b64 s[0:1], s[6:7]
	s_cbranch_execz .LBB217_33
; %bb.32:
	s_lshl_b64 s[0:1], s[8:9], 2
	s_add_u32 s0, s24, s0
	s_addc_u32 s1, s25, s1
	v_mov_b32_e32 v0, 0
	global_store_dword v0, v1, s[0:1]
.LBB217_33:
	s_endpgm
	.section	.rodata,"a",@progbits
	.p2align	6, 0x0
	.amdhsa_kernel _ZL32rocblas_gemvt_warp_reduce_kernelILb0ELi256ElPKfS1_KPfEviiT3_lPKT2_lT1_lS7_lS8_lS4_lPT4_lS8_li
		.amdhsa_group_segment_fixed_size 256
		.amdhsa_private_segment_fixed_size 0
		.amdhsa_kernarg_size 140
		.amdhsa_user_sgpr_count 2
		.amdhsa_user_sgpr_dispatch_ptr 0
		.amdhsa_user_sgpr_queue_ptr 0
		.amdhsa_user_sgpr_kernarg_segment_ptr 1
		.amdhsa_user_sgpr_dispatch_id 0
		.amdhsa_user_sgpr_kernarg_preload_length 0
		.amdhsa_user_sgpr_kernarg_preload_offset 0
		.amdhsa_user_sgpr_private_segment_size 0
		.amdhsa_uses_dynamic_stack 0
		.amdhsa_enable_private_segment 0
		.amdhsa_system_sgpr_workgroup_id_x 1
		.amdhsa_system_sgpr_workgroup_id_y 0
		.amdhsa_system_sgpr_workgroup_id_z 1
		.amdhsa_system_sgpr_workgroup_info 0
		.amdhsa_system_vgpr_workitem_id 0
		.amdhsa_next_free_vgpr 11
		.amdhsa_next_free_sgpr 31
		.amdhsa_accum_offset 12
		.amdhsa_reserve_vcc 1
		.amdhsa_float_round_mode_32 0
		.amdhsa_float_round_mode_16_64 0
		.amdhsa_float_denorm_mode_32 3
		.amdhsa_float_denorm_mode_16_64 3
		.amdhsa_dx10_clamp 1
		.amdhsa_ieee_mode 1
		.amdhsa_fp16_overflow 0
		.amdhsa_tg_split 0
		.amdhsa_exception_fp_ieee_invalid_op 0
		.amdhsa_exception_fp_denorm_src 0
		.amdhsa_exception_fp_ieee_div_zero 0
		.amdhsa_exception_fp_ieee_overflow 0
		.amdhsa_exception_fp_ieee_underflow 0
		.amdhsa_exception_fp_ieee_inexact 0
		.amdhsa_exception_int_div_zero 0
	.end_amdhsa_kernel
	.section	.text._ZL32rocblas_gemvt_warp_reduce_kernelILb0ELi256ElPKfS1_KPfEviiT3_lPKT2_lT1_lS7_lS8_lS4_lPT4_lS8_li,"axG",@progbits,_ZL32rocblas_gemvt_warp_reduce_kernelILb0ELi256ElPKfS1_KPfEviiT3_lPKT2_lT1_lS7_lS8_lS4_lPT4_lS8_li,comdat
.Lfunc_end217:
	.size	_ZL32rocblas_gemvt_warp_reduce_kernelILb0ELi256ElPKfS1_KPfEviiT3_lPKT2_lT1_lS7_lS8_lS4_lPT4_lS8_li, .Lfunc_end217-_ZL32rocblas_gemvt_warp_reduce_kernelILb0ELi256ElPKfS1_KPfEviiT3_lPKT2_lT1_lS7_lS8_lS4_lPT4_lS8_li
                                        ; -- End function
	.section	.AMDGPU.csdata,"",@progbits
; Kernel info:
; codeLenInByte = 1404
; NumSgprs: 37
; NumVgprs: 11
; NumAgprs: 0
; TotalNumVgprs: 11
; ScratchSize: 0
; MemoryBound: 0
; FloatMode: 240
; IeeeMode: 1
; LDSByteSize: 256 bytes/workgroup (compile time only)
; SGPRBlocks: 4
; VGPRBlocks: 1
; NumSGPRsForWavesPerEU: 37
; NumVGPRsForWavesPerEU: 11
; AccumOffset: 12
; Occupancy: 8
; WaveLimiterHint : 1
; COMPUTE_PGM_RSRC2:SCRATCH_EN: 0
; COMPUTE_PGM_RSRC2:USER_SGPR: 2
; COMPUTE_PGM_RSRC2:TRAP_HANDLER: 0
; COMPUTE_PGM_RSRC2:TGID_X_EN: 1
; COMPUTE_PGM_RSRC2:TGID_Y_EN: 0
; COMPUTE_PGM_RSRC2:TGID_Z_EN: 1
; COMPUTE_PGM_RSRC2:TIDIG_COMP_CNT: 0
; COMPUTE_PGM_RSRC3_GFX90A:ACCUM_OFFSET: 2
; COMPUTE_PGM_RSRC3_GFX90A:TG_SPLIT: 0
	.section	.text._ZL32rocblas_gemvt_warp_reduce_kernelILb0ELi256EiPKffKPfEviiT3_lPKT2_lT1_lS7_lS8_lS4_lPT4_lS8_li,"axG",@progbits,_ZL32rocblas_gemvt_warp_reduce_kernelILb0ELi256EiPKffKPfEviiT3_lPKT2_lT1_lS7_lS8_lS4_lPT4_lS8_li,comdat
	.globl	_ZL32rocblas_gemvt_warp_reduce_kernelILb0ELi256EiPKffKPfEviiT3_lPKT2_lT1_lS7_lS8_lS4_lPT4_lS8_li ; -- Begin function _ZL32rocblas_gemvt_warp_reduce_kernelILb0ELi256EiPKffKPfEviiT3_lPKT2_lT1_lS7_lS8_lS4_lPT4_lS8_li
	.p2align	8
	.type	_ZL32rocblas_gemvt_warp_reduce_kernelILb0ELi256EiPKffKPfEviiT3_lPKT2_lT1_lS7_lS8_lS4_lPT4_lS8_li,@function
_ZL32rocblas_gemvt_warp_reduce_kernelILb0ELi256EiPKffKPfEviiT3_lPKT2_lT1_lS7_lS8_lS4_lPT4_lS8_li: ; @_ZL32rocblas_gemvt_warp_reduce_kernelILb0ELi256EiPKffKPfEviiT3_lPKT2_lT1_lS7_lS8_lS4_lPT4_lS8_li
; %bb.0:
	s_mov_b32 s12, s3
	s_load_dword s18, s[0:1], 0x8
	s_load_dword s3, s[0:1], 0x58
	s_waitcnt lgkmcnt(0)
	v_cmp_eq_f32_e64 s[4:5], s18, 0
	v_cmp_eq_f32_e64 s[6:7], s3, 1.0
	s_and_b64 s[6:7], s[4:5], s[6:7]
	s_and_b64 vcc, exec, s[6:7]
	s_cbranch_vccnz .LBB218_35
; %bb.1:
	v_cmp_neq_f32_e64 s[8:9], s18, 0
	s_mov_b32 s13, 0
	s_and_b64 vcc, exec, s[8:9]
	s_cbranch_vccnz .LBB218_3
; %bb.2:
	s_mov_b64 s[10:11], 0
	s_cbranch_execz .LBB218_4
	s_branch .LBB218_5
.LBB218_3:
                                        ; implicit-def: $sgpr10_sgpr11
.LBB218_4:
	s_load_dwordx4 s[20:23], s[0:1], 0x18
	s_lshl_b64 s[6:7], s[12:13], 3
	s_waitcnt lgkmcnt(0)
	s_add_u32 s6, s20, s6
	s_addc_u32 s7, s21, s7
	s_load_dwordx2 s[6:7], s[6:7], 0x0
	s_lshl_b64 s[10:11], s[22:23], 2
	s_waitcnt lgkmcnt(0)
	s_add_u32 s10, s6, s10
	s_addc_u32 s11, s7, s11
.LBB218_5:
	s_mov_b64 s[6:7], 0
	s_andn2_b64 vcc, exec, s[8:9]
	s_mov_b64 s[8:9], 0
	s_cbranch_vccnz .LBB218_7
; %bb.6:
	s_load_dwordx4 s[20:23], s[0:1], 0x38
	s_lshl_b64 s[8:9], s[12:13], 3
	s_waitcnt lgkmcnt(0)
	s_add_u32 s8, s20, s8
	s_addc_u32 s9, s21, s9
	s_load_dwordx2 s[8:9], s[8:9], 0x0
	s_lshl_b64 s[14:15], s[22:23], 2
	s_waitcnt lgkmcnt(0)
	s_add_u32 s8, s8, s14
	s_addc_u32 s9, s9, s15
.LBB218_7:
	s_load_dwordx4 s[24:27], s[0:1], 0x68
	s_load_dword s21, s[0:1], 0x78
	s_lshl_b64 s[12:13], s[12:13], 3
	s_waitcnt lgkmcnt(0)
	s_add_u32 s12, s24, s12
	s_addc_u32 s13, s25, s13
	s_load_dwordx2 s[12:13], s[12:13], 0x0
	s_lshl_b64 s[14:15], s[26:27], 2
	s_waitcnt lgkmcnt(0)
	s_add_u32 s19, s12, s14
	s_addc_u32 s20, s13, s15
	s_andn2_b64 vcc, exec, s[4:5]
	v_cmp_eq_u32_e64 s[4:5], 0, v0
	s_cbranch_vccnz .LBB218_12
; %bb.8:
	s_mov_b64 s[14:15], 0
                                        ; implicit-def: $vgpr1
                                        ; implicit-def: $sgpr12_sgpr13
	s_and_saveexec_b64 s[16:17], s[4:5]
	s_cbranch_execz .LBB218_13
; %bb.9:
	v_cmp_eq_f32_e64 s[4:5], s3, 0
	s_mul_i32 s12, s2, s21
	v_mov_b32_e32 v1, 0
	s_ashr_i32 s13, s12, 31
	s_and_b64 vcc, exec, s[4:5]
	s_cbranch_vccnz .LBB218_11
; %bb.10:
	s_lshl_b64 s[4:5], s[12:13], 2
	s_add_u32 s4, s19, s4
	s_addc_u32 s5, s20, s5
	s_load_dword s4, s[4:5], 0x0
	v_mov_b32_e32 v1, s3
	s_waitcnt lgkmcnt(0)
	v_mul_f32_e32 v1, s4, v1
.LBB218_11:
	s_mov_b64 s[6:7], exec
	s_or_b64 exec, exec, s[16:17]
	s_and_b64 vcc, exec, s[14:15]
	s_cbranch_vccnz .LBB218_14
	s_branch .LBB218_33
.LBB218_12:
                                        ; implicit-def: $vgpr1
                                        ; implicit-def: $sgpr12_sgpr13
	s_cbranch_execnz .LBB218_14
	s_branch .LBB218_33
.LBB218_13:
	s_or_b64 exec, exec, s[16:17]
	s_and_b64 vcc, exec, s[14:15]
	s_cbranch_vccz .LBB218_33
.LBB218_14:
	s_load_dword s15, s[0:1], 0x0
	s_load_dword s4, s[0:1], 0x28
	;; [unrolled: 1-line block ×3, first 2 shown]
	v_mov_b32_e32 v3, 0
	s_waitcnt lgkmcnt(0)
	v_cmp_gt_i32_e32 vcc, s15, v0
	s_mul_i32 s0, s2, s4
	s_ashr_i32 s1, s0, 31
	s_lshl_b64 s[0:1], s[0:1], 2
	v_cndmask_b32_e32 v1, 0, v0, vcc
	s_add_u32 s0, s0, s10
	v_lshlrev_b32_e32 v2, 2, v1
	s_addc_u32 s1, s1, s11
	v_lshl_add_u64 v[4:5], s[0:1], 0, v[2:3]
	s_ashr_i32 s0, s15, 31
	s_lshr_b32 s0, s0, 24
	s_add_i32 s0, s15, s0
	s_and_b32 s0, s0, 0xffffff00
	v_cmp_gt_i32_e32 vcc, s0, v0
	s_and_saveexec_b64 s[4:5], vcc
	s_cbranch_execz .LBB218_18
; %bb.15:
	v_mul_lo_u32 v6, v0, s14
	s_lshl_b32 s1, s14, 8
	s_mov_b64 s[10:11], 0
	v_mov_b32_e32 v3, 0
	s_mov_b64 s[12:13], 0x400
	v_mov_b64_e32 v[8:9], v[4:5]
	v_mov_b32_e32 v1, v0
.LBB218_16:                             ; =>This Inner Loop Header: Depth=1
	v_ashrrev_i32_e32 v7, 31, v6
	v_lshl_add_u64 v[10:11], v[6:7], 2, s[8:9]
	flat_load_dword v2, v[8:9]
	flat_load_dword v7, v[10:11]
	v_add_u32_e32 v1, 0x100, v1
	v_cmp_le_i32_e32 vcc, s0, v1
	v_lshl_add_u64 v[8:9], v[8:9], 0, s[12:13]
	v_add_u32_e32 v6, s1, v6
	s_or_b64 s[10:11], vcc, s[10:11]
	s_waitcnt vmcnt(0) lgkmcnt(0)
	v_fmac_f32_e32 v3, v2, v7
	s_andn2_b64 exec, exec, s[10:11]
	s_cbranch_execnz .LBB218_16
; %bb.17:
	s_or_b64 exec, exec, s[10:11]
.LBB218_18:
	s_or_b64 exec, exec, s[4:5]
	v_add_u32_e32 v1, s0, v0
	v_cmp_gt_i32_e32 vcc, s15, v1
	s_and_saveexec_b64 s[4:5], vcc
	s_cbranch_execz .LBB218_20
; %bb.19:
	s_ashr_i32 s1, s0, 31
	v_lshl_add_u64 v[4:5], s[0:1], 2, v[4:5]
	flat_load_dword v2, v[4:5]
	v_mul_lo_u32 v4, v1, s14
	v_ashrrev_i32_e32 v5, 31, v4
	v_lshl_add_u64 v[4:5], v[4:5], 2, s[8:9]
	flat_load_dword v1, v[4:5]
	s_waitcnt vmcnt(0) lgkmcnt(0)
	v_fmac_f32_e32 v3, v2, v1
.LBB218_20:
	s_or_b64 exec, exec, s[4:5]
	v_and_b32_e32 v2, 63, v0
	v_cmp_gt_u32_e32 vcc, 64, v0
	v_lshlrev_b32_e32 v1, 2, v2
	s_and_saveexec_b64 s[0:1], vcc
	s_cbranch_execz .LBB218_22
; %bb.21:
	v_mov_b32_e32 v4, 0
	ds_write_b32 v1, v4
.LBB218_22:
	s_or_b64 exec, exec, s[0:1]
	v_mbcnt_lo_u32_b32 v4, -1, 0
	v_mbcnt_hi_u32_b32 v4, -1, v4
	v_and_b32_e32 v5, 63, v4
	v_cmp_gt_u32_e64 s[0:1], 32, v5
	s_waitcnt lgkmcnt(0)
	s_barrier
	v_cndmask_b32_e64 v6, 0, 1, s[0:1]
	v_lshlrev_b32_e32 v6, 5, v6
	v_add_lshl_u32 v6, v6, v4, 2
	ds_bpermute_b32 v6, v6, v3
	v_cmp_gt_u32_e64 s[0:1], 48, v5
	s_waitcnt lgkmcnt(0)
	v_add_f32_e32 v3, v3, v6
	v_cndmask_b32_e64 v7, 0, 1, s[0:1]
	v_lshlrev_b32_e32 v7, 4, v7
	v_add_lshl_u32 v6, v7, v4, 2
	ds_bpermute_b32 v6, v6, v3
	v_cmp_gt_u32_e64 s[0:1], 56, v5
	s_waitcnt lgkmcnt(0)
	v_add_f32_e32 v3, v3, v6
	;; [unrolled: 7-line block ×4, first 2 shown]
	v_cndmask_b32_e64 v7, 0, 1, s[0:1]
	v_lshlrev_b32_e32 v7, 1, v7
	v_add_lshl_u32 v3, v7, v4, 2
	ds_bpermute_b32 v7, v3, v6
	v_cmp_ne_u32_e64 s[0:1], 63, v5
	s_waitcnt lgkmcnt(0)
	v_add_f32_e32 v5, v6, v7
	v_addc_co_u32_e64 v4, s[0:1], 0, v4, s[0:1]
	v_lshlrev_b32_e32 v4, 2, v4
	ds_bpermute_b32 v6, v4, v5
	v_cmp_eq_u32_e64 s[0:1], 0, v2
	s_and_saveexec_b64 s[4:5], s[0:1]
	s_cbranch_execz .LBB218_24
; %bb.23:
	v_lshrrev_b32_e32 v2, 4, v0
	v_and_b32_e32 v2, 12, v2
	s_waitcnt lgkmcnt(0)
	v_add_f32_e32 v5, v5, v6
	ds_write_b32 v2, v5
.LBB218_24:
	s_or_b64 exec, exec, s[4:5]
	v_cmp_gt_u32_e64 s[0:1], 4, v0
	v_mov_b32_e32 v2, 0
	s_waitcnt lgkmcnt(0)
	s_barrier
	s_and_saveexec_b64 s[4:5], s[0:1]
	s_cbranch_execz .LBB218_26
; %bb.25:
	ds_read_b32 v2, v1
	s_or_b64 exec, exec, s[4:5]
	s_and_saveexec_b64 s[0:1], vcc
	s_cbranch_execz .LBB218_28
	s_branch .LBB218_27
.LBB218_26:
	s_or_b64 exec, exec, s[4:5]
	s_and_saveexec_b64 s[0:1], vcc
	s_cbranch_execz .LBB218_28
.LBB218_27:
	s_waitcnt lgkmcnt(0)
	ds_bpermute_b32 v1, v3, v2
	s_waitcnt lgkmcnt(0)
	v_add_f32_e32 v1, v2, v1
	ds_bpermute_b32 v2, v4, v1
	s_waitcnt lgkmcnt(0)
	v_add_f32_e32 v2, v1, v2
.LBB218_28:
	s_or_b64 exec, exec, s[0:1]
	v_cmp_eq_u32_e32 vcc, 0, v0
                                        ; implicit-def: $vgpr1
                                        ; implicit-def: $sgpr12_sgpr13
	s_and_saveexec_b64 s[0:1], vcc
	s_cbranch_execz .LBB218_32
; %bb.29:
	v_cmp_eq_f32_e64 s[4:5], s3, 0
	s_mul_i32 s12, s2, s21
	s_waitcnt lgkmcnt(0)
	v_mul_f32_e32 v1, s18, v2
	s_ashr_i32 s13, s12, 31
	s_and_b64 vcc, exec, s[4:5]
	s_cbranch_vccnz .LBB218_31
; %bb.30:
	s_lshl_b64 s[4:5], s[12:13], 2
	s_add_u32 s4, s19, s4
	s_addc_u32 s5, s20, s5
	s_load_dword s2, s[4:5], 0x0
	v_mov_b32_e32 v0, s3
	s_waitcnt lgkmcnt(0)
	v_fmac_f32_e32 v1, s2, v0
.LBB218_31:
	s_or_b64 s[6:7], s[6:7], exec
.LBB218_32:
	s_or_b64 exec, exec, s[0:1]
.LBB218_33:
	s_and_saveexec_b64 s[0:1], s[6:7]
	s_cbranch_execz .LBB218_35
; %bb.34:
	s_lshl_b64 s[0:1], s[12:13], 2
	s_add_u32 s0, s19, s0
	s_addc_u32 s1, s20, s1
	v_mov_b32_e32 v0, 0
	global_store_dword v0, v1, s[0:1]
.LBB218_35:
	s_endpgm
	.section	.rodata,"a",@progbits
	.p2align	6, 0x0
	.amdhsa_kernel _ZL32rocblas_gemvt_warp_reduce_kernelILb0ELi256EiPKffKPfEviiT3_lPKT2_lT1_lS7_lS8_lS4_lPT4_lS8_li
		.amdhsa_group_segment_fixed_size 256
		.amdhsa_private_segment_fixed_size 0
		.amdhsa_kernarg_size 140
		.amdhsa_user_sgpr_count 2
		.amdhsa_user_sgpr_dispatch_ptr 0
		.amdhsa_user_sgpr_queue_ptr 0
		.amdhsa_user_sgpr_kernarg_segment_ptr 1
		.amdhsa_user_sgpr_dispatch_id 0
		.amdhsa_user_sgpr_kernarg_preload_length 0
		.amdhsa_user_sgpr_kernarg_preload_offset 0
		.amdhsa_user_sgpr_private_segment_size 0
		.amdhsa_uses_dynamic_stack 0
		.amdhsa_enable_private_segment 0
		.amdhsa_system_sgpr_workgroup_id_x 1
		.amdhsa_system_sgpr_workgroup_id_y 0
		.amdhsa_system_sgpr_workgroup_id_z 1
		.amdhsa_system_sgpr_workgroup_info 0
		.amdhsa_system_vgpr_workitem_id 0
		.amdhsa_next_free_vgpr 12
		.amdhsa_next_free_sgpr 28
		.amdhsa_accum_offset 12
		.amdhsa_reserve_vcc 1
		.amdhsa_float_round_mode_32 0
		.amdhsa_float_round_mode_16_64 0
		.amdhsa_float_denorm_mode_32 3
		.amdhsa_float_denorm_mode_16_64 3
		.amdhsa_dx10_clamp 1
		.amdhsa_ieee_mode 1
		.amdhsa_fp16_overflow 0
		.amdhsa_tg_split 0
		.amdhsa_exception_fp_ieee_invalid_op 0
		.amdhsa_exception_fp_denorm_src 0
		.amdhsa_exception_fp_ieee_div_zero 0
		.amdhsa_exception_fp_ieee_overflow 0
		.amdhsa_exception_fp_ieee_underflow 0
		.amdhsa_exception_fp_ieee_inexact 0
		.amdhsa_exception_int_div_zero 0
	.end_amdhsa_kernel
	.section	.text._ZL32rocblas_gemvt_warp_reduce_kernelILb0ELi256EiPKffKPfEviiT3_lPKT2_lT1_lS7_lS8_lS4_lPT4_lS8_li,"axG",@progbits,_ZL32rocblas_gemvt_warp_reduce_kernelILb0ELi256EiPKffKPfEviiT3_lPKT2_lT1_lS7_lS8_lS4_lPT4_lS8_li,comdat
.Lfunc_end218:
	.size	_ZL32rocblas_gemvt_warp_reduce_kernelILb0ELi256EiPKffKPfEviiT3_lPKT2_lT1_lS7_lS8_lS4_lPT4_lS8_li, .Lfunc_end218-_ZL32rocblas_gemvt_warp_reduce_kernelILb0ELi256EiPKffKPfEviiT3_lPKT2_lT1_lS7_lS8_lS4_lPT4_lS8_li
                                        ; -- End function
	.section	.AMDGPU.csdata,"",@progbits
; Kernel info:
; codeLenInByte = 1256
; NumSgprs: 34
; NumVgprs: 12
; NumAgprs: 0
; TotalNumVgprs: 12
; ScratchSize: 0
; MemoryBound: 0
; FloatMode: 240
; IeeeMode: 1
; LDSByteSize: 256 bytes/workgroup (compile time only)
; SGPRBlocks: 4
; VGPRBlocks: 1
; NumSGPRsForWavesPerEU: 34
; NumVGPRsForWavesPerEU: 12
; AccumOffset: 12
; Occupancy: 8
; WaveLimiterHint : 1
; COMPUTE_PGM_RSRC2:SCRATCH_EN: 0
; COMPUTE_PGM_RSRC2:USER_SGPR: 2
; COMPUTE_PGM_RSRC2:TRAP_HANDLER: 0
; COMPUTE_PGM_RSRC2:TGID_X_EN: 1
; COMPUTE_PGM_RSRC2:TGID_Y_EN: 0
; COMPUTE_PGM_RSRC2:TGID_Z_EN: 1
; COMPUTE_PGM_RSRC2:TIDIG_COMP_CNT: 0
; COMPUTE_PGM_RSRC3_GFX90A:ACCUM_OFFSET: 2
; COMPUTE_PGM_RSRC3_GFX90A:TG_SPLIT: 0
	.section	.text._ZL32rocblas_gemvt_warp_reduce_kernelILb0ELi256ElPKffKPfEviiT3_lPKT2_lT1_lS7_lS8_lS4_lPT4_lS8_li,"axG",@progbits,_ZL32rocblas_gemvt_warp_reduce_kernelILb0ELi256ElPKffKPfEviiT3_lPKT2_lT1_lS7_lS8_lS4_lPT4_lS8_li,comdat
	.globl	_ZL32rocblas_gemvt_warp_reduce_kernelILb0ELi256ElPKffKPfEviiT3_lPKT2_lT1_lS7_lS8_lS4_lPT4_lS8_li ; -- Begin function _ZL32rocblas_gemvt_warp_reduce_kernelILb0ELi256ElPKffKPfEviiT3_lPKT2_lT1_lS7_lS8_lS4_lPT4_lS8_li
	.p2align	8
	.type	_ZL32rocblas_gemvt_warp_reduce_kernelILb0ELi256ElPKffKPfEviiT3_lPKT2_lT1_lS7_lS8_lS4_lPT4_lS8_li,@function
_ZL32rocblas_gemvt_warp_reduce_kernelILb0ELi256ElPKffKPfEviiT3_lPKT2_lT1_lS7_lS8_lS4_lPT4_lS8_li: ; @_ZL32rocblas_gemvt_warp_reduce_kernelILb0ELi256ElPKffKPfEviiT3_lPKT2_lT1_lS7_lS8_lS4_lPT4_lS8_li
; %bb.0:
	s_mov_b32 s20, s3
	s_load_dword s24, s[0:1], 0x8
	s_load_dword s3, s[0:1], 0x58
	s_waitcnt lgkmcnt(0)
	v_cmp_eq_f32_e64 s[18:19], s24, 0
	v_cmp_eq_f32_e64 s[4:5], s3, 1.0
	s_and_b64 s[4:5], s[18:19], s[4:5]
	s_and_b64 vcc, exec, s[4:5]
	s_cbranch_vccnz .LBB219_35
; %bb.1:
	s_load_dwordx4 s[4:7], s[0:1], 0x18
	s_load_dwordx2 s[14:15], s[0:1], 0x28
	v_cmp_neq_f32_e64 s[12:13], s24, 0
	s_mov_b32 s21, 0
	s_and_b64 vcc, exec, s[12:13]
	s_cbranch_vccnz .LBB219_3
; %bb.2:
	s_mov_b64 s[16:17], 0
	s_cbranch_execz .LBB219_4
	s_branch .LBB219_5
.LBB219_3:
                                        ; implicit-def: $sgpr16_sgpr17
.LBB219_4:
	s_lshl_b64 s[8:9], s[20:21], 3
	s_waitcnt lgkmcnt(0)
	s_add_u32 s4, s4, s8
	s_addc_u32 s5, s5, s9
	s_load_dwordx2 s[4:5], s[4:5], 0x0
	s_lshl_b64 s[6:7], s[6:7], 2
	s_waitcnt lgkmcnt(0)
	s_add_u32 s16, s4, s6
	s_addc_u32 s17, s5, s7
.LBB219_5:
	s_waitcnt lgkmcnt(0)
	s_load_dwordx4 s[4:7], s[0:1], 0x38
	s_load_dwordx2 s[10:11], s[0:1], 0x48
	s_mov_b64 s[8:9], 0
	s_andn2_b64 vcc, exec, s[12:13]
	s_mov_b64 s[12:13], 0
	s_cbranch_vccnz .LBB219_7
; %bb.6:
	s_lshl_b64 s[12:13], s[20:21], 3
	s_waitcnt lgkmcnt(0)
	s_add_u32 s4, s4, s12
	s_addc_u32 s5, s5, s13
	s_load_dwordx2 s[4:5], s[4:5], 0x0
	s_lshl_b64 s[6:7], s[6:7], 2
	s_waitcnt lgkmcnt(0)
	s_add_u32 s12, s4, s6
	s_addc_u32 s13, s5, s7
.LBB219_7:
	s_load_dwordx4 s[28:31], s[0:1], 0x68
	s_waitcnt lgkmcnt(0)
	s_load_dwordx2 s[6:7], s[0:1], 0x78
	s_lshl_b64 s[4:5], s[20:21], 3
	s_add_u32 s4, s28, s4
	s_addc_u32 s5, s29, s5
	s_load_dwordx2 s[4:5], s[4:5], 0x0
	s_lshl_b64 s[20:21], s[30:31], 2
	s_waitcnt lgkmcnt(0)
	s_add_u32 s25, s4, s20
	s_addc_u32 s26, s5, s21
	s_andn2_b64 vcc, exec, s[18:19]
	v_cmp_eq_u32_e64 s[4:5], 0, v0
	s_cbranch_vccnz .LBB219_12
; %bb.8:
	s_mov_b64 s[20:21], 0
                                        ; implicit-def: $vgpr1
                                        ; implicit-def: $sgpr18_sgpr19
	s_and_saveexec_b64 s[22:23], s[4:5]
	s_cbranch_execz .LBB219_13
; %bb.9:
	s_ashr_i32 s8, s2, 31
	s_mul_i32 s9, s2, s7
	s_mul_hi_u32 s18, s2, s6
	v_cmp_eq_f32_e64 s[4:5], s3, 0
	s_add_i32 s9, s18, s9
	s_mul_i32 s8, s8, s6
	v_mov_b32_e32 v1, 0
	s_add_i32 s19, s9, s8
	s_mul_i32 s18, s2, s6
	s_and_b64 vcc, exec, s[4:5]
	s_cbranch_vccnz .LBB219_11
; %bb.10:
	s_lshl_b64 s[4:5], s[18:19], 2
	s_add_u32 s4, s25, s4
	s_addc_u32 s5, s26, s5
	s_load_dword s4, s[4:5], 0x0
	v_mov_b32_e32 v1, s3
	s_waitcnt lgkmcnt(0)
	v_mul_f32_e32 v1, s4, v1
.LBB219_11:
	s_mov_b64 s[8:9], exec
	s_or_b64 exec, exec, s[22:23]
	s_and_b64 vcc, exec, s[20:21]
	s_cbranch_vccnz .LBB219_14
	s_branch .LBB219_33
.LBB219_12:
                                        ; implicit-def: $vgpr1
                                        ; implicit-def: $sgpr18_sgpr19
	s_cbranch_execnz .LBB219_14
	s_branch .LBB219_33
.LBB219_13:
	s_or_b64 exec, exec, s[22:23]
	s_and_b64 vcc, exec, s[20:21]
	s_cbranch_vccz .LBB219_33
.LBB219_14:
	s_load_dword s1, s[0:1], 0x0
	s_ashr_i32 s20, s2, 31
	s_mul_i32 s0, s2, s15
	s_mul_hi_u32 s4, s2, s14
	s_add_i32 s0, s4, s0
	s_mul_i32 s4, s20, s14
	s_add_i32 s5, s0, s4
	s_mul_i32 s4, s2, s14
	s_lshl_b64 s[4:5], s[4:5], 2
	s_add_u32 s4, s4, s16
	s_addc_u32 s5, s5, s17
	s_waitcnt lgkmcnt(0)
	s_ashr_i32 s0, s1, 31
	v_cmp_gt_i32_e32 vcc, s1, v0
	s_lshr_b32 s0, s0, 24
	s_add_i32 s0, s1, s0
	v_cndmask_b32_e32 v1, 0, v0, vcc
	v_mov_b32_e32 v3, 0
	v_lshlrev_b32_e32 v2, 2, v1
	s_and_b32 s0, s0, 0xffffff00
	v_lshl_add_u64 v[4:5], s[4:5], 0, v[2:3]
	v_cmp_gt_i32_e32 vcc, s0, v0
	s_and_saveexec_b64 s[4:5], vcc
	s_cbranch_execz .LBB219_18
; %bb.15:
	v_mad_u64_u32 v[2:3], s[14:15], s10, v0, 0
	v_mov_b32_e32 v6, v3
	v_mad_u64_u32 v[6:7], s[14:15], s11, v0, v[6:7]
	v_mov_b32_e32 v3, v6
	v_lshl_add_u64 v[6:7], v[2:3], 2, s[12:13]
	s_lshl_b64 s[16:17], s[10:11], 10
	s_mov_b64 s[14:15], 0
	v_mov_b32_e32 v3, 0
	s_mov_b64 s[18:19], 0x400
	v_mov_b64_e32 v[8:9], v[4:5]
	v_mov_b32_e32 v1, v0
.LBB219_16:                             ; =>This Inner Loop Header: Depth=1
	flat_load_dword v2, v[8:9]
	flat_load_dword v10, v[6:7]
	v_add_u32_e32 v1, 0x100, v1
	v_cmp_le_i32_e32 vcc, s0, v1
	v_lshl_add_u64 v[8:9], v[8:9], 0, s[18:19]
	v_lshl_add_u64 v[6:7], v[6:7], 0, s[16:17]
	s_or_b64 s[14:15], vcc, s[14:15]
	s_waitcnt vmcnt(0) lgkmcnt(0)
	v_fmac_f32_e32 v3, v2, v10
	s_andn2_b64 exec, exec, s[14:15]
	s_cbranch_execnz .LBB219_16
; %bb.17:
	s_or_b64 exec, exec, s[14:15]
.LBB219_18:
	s_or_b64 exec, exec, s[4:5]
	v_add_u32_e32 v1, s0, v0
	v_cmp_gt_i32_e32 vcc, s1, v1
	s_and_saveexec_b64 s[4:5], vcc
	s_cbranch_execz .LBB219_20
; %bb.19:
	s_ashr_i32 s1, s0, 31
	v_lshl_add_u64 v[4:5], s[0:1], 2, v[4:5]
	flat_load_dword v2, v[4:5]
	v_ashrrev_i32_e32 v4, 31, v1
	v_mul_lo_u32 v6, v1, s11
	v_mul_lo_u32 v7, v4, s10
	v_mad_u64_u32 v[4:5], s[0:1], v1, s10, 0
	v_add3_u32 v5, v5, v6, v7
	v_lshl_add_u64 v[4:5], v[4:5], 2, s[12:13]
	flat_load_dword v1, v[4:5]
	s_waitcnt vmcnt(0) lgkmcnt(0)
	v_fmac_f32_e32 v3, v2, v1
.LBB219_20:
	s_or_b64 exec, exec, s[4:5]
	v_and_b32_e32 v2, 63, v0
	v_cmp_gt_u32_e32 vcc, 64, v0
	v_lshlrev_b32_e32 v1, 2, v2
	s_and_saveexec_b64 s[0:1], vcc
	s_cbranch_execz .LBB219_22
; %bb.21:
	v_mov_b32_e32 v4, 0
	ds_write_b32 v1, v4
.LBB219_22:
	s_or_b64 exec, exec, s[0:1]
	v_mbcnt_lo_u32_b32 v4, -1, 0
	v_mbcnt_hi_u32_b32 v4, -1, v4
	v_and_b32_e32 v5, 63, v4
	v_cmp_gt_u32_e64 s[0:1], 32, v5
	s_waitcnt lgkmcnt(0)
	s_barrier
	v_cndmask_b32_e64 v6, 0, 1, s[0:1]
	v_lshlrev_b32_e32 v6, 5, v6
	v_add_lshl_u32 v6, v6, v4, 2
	ds_bpermute_b32 v6, v6, v3
	v_cmp_gt_u32_e64 s[0:1], 48, v5
	s_waitcnt lgkmcnt(0)
	v_add_f32_e32 v3, v3, v6
	v_cndmask_b32_e64 v7, 0, 1, s[0:1]
	v_lshlrev_b32_e32 v7, 4, v7
	v_add_lshl_u32 v6, v7, v4, 2
	ds_bpermute_b32 v6, v6, v3
	v_cmp_gt_u32_e64 s[0:1], 56, v5
	s_waitcnt lgkmcnt(0)
	v_add_f32_e32 v3, v3, v6
	;; [unrolled: 7-line block ×4, first 2 shown]
	v_cndmask_b32_e64 v7, 0, 1, s[0:1]
	v_lshlrev_b32_e32 v7, 1, v7
	v_add_lshl_u32 v3, v7, v4, 2
	ds_bpermute_b32 v7, v3, v6
	v_cmp_ne_u32_e64 s[0:1], 63, v5
	s_waitcnt lgkmcnt(0)
	v_add_f32_e32 v5, v6, v7
	v_addc_co_u32_e64 v4, s[0:1], 0, v4, s[0:1]
	v_lshlrev_b32_e32 v4, 2, v4
	ds_bpermute_b32 v6, v4, v5
	v_cmp_eq_u32_e64 s[0:1], 0, v2
	s_and_saveexec_b64 s[4:5], s[0:1]
	s_cbranch_execz .LBB219_24
; %bb.23:
	v_lshrrev_b32_e32 v2, 4, v0
	v_and_b32_e32 v2, 12, v2
	s_waitcnt lgkmcnt(0)
	v_add_f32_e32 v5, v5, v6
	ds_write_b32 v2, v5
.LBB219_24:
	s_or_b64 exec, exec, s[4:5]
	v_cmp_gt_u32_e64 s[0:1], 4, v0
	v_mov_b32_e32 v2, 0
	s_waitcnt lgkmcnt(0)
	s_barrier
	s_and_saveexec_b64 s[4:5], s[0:1]
	s_cbranch_execz .LBB219_26
; %bb.25:
	ds_read_b32 v2, v1
	s_or_b64 exec, exec, s[4:5]
	s_and_saveexec_b64 s[0:1], vcc
	s_cbranch_execz .LBB219_28
	s_branch .LBB219_27
.LBB219_26:
	s_or_b64 exec, exec, s[4:5]
	s_and_saveexec_b64 s[0:1], vcc
	s_cbranch_execz .LBB219_28
.LBB219_27:
	s_waitcnt lgkmcnt(0)
	ds_bpermute_b32 v1, v3, v2
	s_waitcnt lgkmcnt(0)
	v_add_f32_e32 v1, v2, v1
	ds_bpermute_b32 v2, v4, v1
	s_waitcnt lgkmcnt(0)
	v_add_f32_e32 v2, v1, v2
.LBB219_28:
	s_or_b64 exec, exec, s[0:1]
	v_cmp_eq_u32_e32 vcc, 0, v0
                                        ; implicit-def: $vgpr1
                                        ; implicit-def: $sgpr18_sgpr19
	s_and_saveexec_b64 s[0:1], vcc
	s_cbranch_execz .LBB219_32
; %bb.29:
	s_mul_i32 s7, s2, s7
	s_mul_hi_u32 s10, s2, s6
	v_cmp_eq_f32_e64 s[4:5], s3, 0
	s_add_i32 s7, s10, s7
	s_mul_i32 s10, s20, s6
	s_waitcnt lgkmcnt(0)
	v_mul_f32_e32 v1, s24, v2
	s_add_i32 s19, s7, s10
	s_mul_i32 s18, s2, s6
	s_and_b64 vcc, exec, s[4:5]
	s_cbranch_vccnz .LBB219_31
; %bb.30:
	s_lshl_b64 s[4:5], s[18:19], 2
	s_add_u32 s4, s25, s4
	s_addc_u32 s5, s26, s5
	s_load_dword s2, s[4:5], 0x0
	v_mov_b32_e32 v0, s3
	s_waitcnt lgkmcnt(0)
	v_fmac_f32_e32 v1, s2, v0
.LBB219_31:
	s_or_b64 s[8:9], s[8:9], exec
.LBB219_32:
	s_or_b64 exec, exec, s[0:1]
.LBB219_33:
	s_and_saveexec_b64 s[0:1], s[8:9]
	s_cbranch_execz .LBB219_35
; %bb.34:
	s_lshl_b64 s[0:1], s[18:19], 2
	s_add_u32 s0, s25, s0
	s_addc_u32 s1, s26, s1
	v_mov_b32_e32 v0, 0
	global_store_dword v0, v1, s[0:1]
.LBB219_35:
	s_endpgm
	.section	.rodata,"a",@progbits
	.p2align	6, 0x0
	.amdhsa_kernel _ZL32rocblas_gemvt_warp_reduce_kernelILb0ELi256ElPKffKPfEviiT3_lPKT2_lT1_lS7_lS8_lS4_lPT4_lS8_li
		.amdhsa_group_segment_fixed_size 256
		.amdhsa_private_segment_fixed_size 0
		.amdhsa_kernarg_size 140
		.amdhsa_user_sgpr_count 2
		.amdhsa_user_sgpr_dispatch_ptr 0
		.amdhsa_user_sgpr_queue_ptr 0
		.amdhsa_user_sgpr_kernarg_segment_ptr 1
		.amdhsa_user_sgpr_dispatch_id 0
		.amdhsa_user_sgpr_kernarg_preload_length 0
		.amdhsa_user_sgpr_kernarg_preload_offset 0
		.amdhsa_user_sgpr_private_segment_size 0
		.amdhsa_uses_dynamic_stack 0
		.amdhsa_enable_private_segment 0
		.amdhsa_system_sgpr_workgroup_id_x 1
		.amdhsa_system_sgpr_workgroup_id_y 0
		.amdhsa_system_sgpr_workgroup_id_z 1
		.amdhsa_system_sgpr_workgroup_info 0
		.amdhsa_system_vgpr_workitem_id 0
		.amdhsa_next_free_vgpr 11
		.amdhsa_next_free_sgpr 32
		.amdhsa_accum_offset 12
		.amdhsa_reserve_vcc 1
		.amdhsa_float_round_mode_32 0
		.amdhsa_float_round_mode_16_64 0
		.amdhsa_float_denorm_mode_32 3
		.amdhsa_float_denorm_mode_16_64 3
		.amdhsa_dx10_clamp 1
		.amdhsa_ieee_mode 1
		.amdhsa_fp16_overflow 0
		.amdhsa_tg_split 0
		.amdhsa_exception_fp_ieee_invalid_op 0
		.amdhsa_exception_fp_denorm_src 0
		.amdhsa_exception_fp_ieee_div_zero 0
		.amdhsa_exception_fp_ieee_overflow 0
		.amdhsa_exception_fp_ieee_underflow 0
		.amdhsa_exception_fp_ieee_inexact 0
		.amdhsa_exception_int_div_zero 0
	.end_amdhsa_kernel
	.section	.text._ZL32rocblas_gemvt_warp_reduce_kernelILb0ELi256ElPKffKPfEviiT3_lPKT2_lT1_lS7_lS8_lS4_lPT4_lS8_li,"axG",@progbits,_ZL32rocblas_gemvt_warp_reduce_kernelILb0ELi256ElPKffKPfEviiT3_lPKT2_lT1_lS7_lS8_lS4_lPT4_lS8_li,comdat
.Lfunc_end219:
	.size	_ZL32rocblas_gemvt_warp_reduce_kernelILb0ELi256ElPKffKPfEviiT3_lPKT2_lT1_lS7_lS8_lS4_lPT4_lS8_li, .Lfunc_end219-_ZL32rocblas_gemvt_warp_reduce_kernelILb0ELi256ElPKffKPfEviiT3_lPKT2_lT1_lS7_lS8_lS4_lPT4_lS8_li
                                        ; -- End function
	.section	.AMDGPU.csdata,"",@progbits
; Kernel info:
; codeLenInByte = 1356
; NumSgprs: 38
; NumVgprs: 11
; NumAgprs: 0
; TotalNumVgprs: 11
; ScratchSize: 0
; MemoryBound: 0
; FloatMode: 240
; IeeeMode: 1
; LDSByteSize: 256 bytes/workgroup (compile time only)
; SGPRBlocks: 4
; VGPRBlocks: 1
; NumSGPRsForWavesPerEU: 38
; NumVGPRsForWavesPerEU: 11
; AccumOffset: 12
; Occupancy: 8
; WaveLimiterHint : 1
; COMPUTE_PGM_RSRC2:SCRATCH_EN: 0
; COMPUTE_PGM_RSRC2:USER_SGPR: 2
; COMPUTE_PGM_RSRC2:TRAP_HANDLER: 0
; COMPUTE_PGM_RSRC2:TGID_X_EN: 1
; COMPUTE_PGM_RSRC2:TGID_Y_EN: 0
; COMPUTE_PGM_RSRC2:TGID_Z_EN: 1
; COMPUTE_PGM_RSRC2:TIDIG_COMP_CNT: 0
; COMPUTE_PGM_RSRC3_GFX90A:ACCUM_OFFSET: 2
; COMPUTE_PGM_RSRC3_GFX90A:TG_SPLIT: 0
	.section	.text._ZL20rocblas_gemvt_kernelILb0ELi256EPKfS1_KPfEviiT2_lPKT1_lilS7_lilS4_lPT3_lili,"axG",@progbits,_ZL20rocblas_gemvt_kernelILb0ELi256EPKfS1_KPfEviiT2_lPKT1_lilS7_lilS4_lPT3_lili,comdat
	.globl	_ZL20rocblas_gemvt_kernelILb0ELi256EPKfS1_KPfEviiT2_lPKT1_lilS7_lilS4_lPT3_lili ; -- Begin function _ZL20rocblas_gemvt_kernelILb0ELi256EPKfS1_KPfEviiT2_lPKT1_lilS7_lilS4_lPT3_lili
	.p2align	8
	.type	_ZL20rocblas_gemvt_kernelILb0ELi256EPKfS1_KPfEviiT2_lPKT1_lilS7_lilS4_lPT3_lili,@function
_ZL20rocblas_gemvt_kernelILb0ELi256EPKfS1_KPfEviiT2_lPKT1_lilS7_lilS4_lPT3_lili: ; @_ZL20rocblas_gemvt_kernelILb0ELi256EPKfS1_KPfEviiT2_lPKT1_lilS7_lilS4_lPT3_lili
; %bb.0:
	s_load_dwordx8 s[12:19], s[0:1], 0x8
	s_load_dwordx8 s[4:11], s[0:1], 0x58
	s_mov_b32 s20, s3
	s_waitcnt lgkmcnt(0)
	s_mul_i32 s3, s3, s15
	s_mul_hi_u32 s15, s20, s14
	s_add_i32 s15, s15, s3
	s_mul_i32 s14, s20, s14
	s_lshl_b64 s[14:15], s[14:15], 2
	s_add_u32 s12, s12, s14
	s_addc_u32 s13, s13, s15
	s_load_dword s3, s[12:13], 0x0
	s_mul_i32 s7, s20, s7
	s_mul_hi_u32 s12, s20, s6
	s_add_i32 s7, s12, s7
	s_mul_i32 s6, s20, s6
	s_lshl_b64 s[6:7], s[6:7], 2
	s_add_u32 s4, s4, s6
	s_addc_u32 s5, s5, s7
	s_load_dword s22, s[4:5], 0x0
	s_waitcnt lgkmcnt(0)
	v_cmp_eq_f32_e64 s[4:5], s3, 0
	v_cmp_eq_f32_e64 s[6:7], s22, 1.0
	s_and_b64 s[6:7], s[4:5], s[6:7]
	s_and_b64 vcc, exec, s[6:7]
	s_cbranch_vccnz .LBB220_40
; %bb.1:
	s_mov_b32 s21, 0
	v_cmp_neq_f32_e64 s[6:7], s3, 0
	s_mov_b64 s[12:13], 0
	s_and_b64 vcc, exec, s[4:5]
	s_mov_b64 s[14:15], 0
	s_cbranch_vccnz .LBB220_3
; %bb.2:
	s_lshl_b64 s[14:15], s[20:21], 3
	s_add_u32 s14, s16, s14
	s_addc_u32 s15, s17, s15
	s_load_dwordx2 s[14:15], s[14:15], 0x0
	s_lshl_b64 s[16:17], s[18:19], 2
	s_waitcnt lgkmcnt(0)
	s_add_u32 s14, s14, s16
	s_addc_u32 s15, s15, s17
.LBB220_3:
	s_andn2_b64 vcc, exec, s[6:7]
	s_cbranch_vccnz .LBB220_5
; %bb.4:
	s_load_dwordx4 s[16:19], s[0:1], 0x38
	s_lshl_b64 s[6:7], s[20:21], 3
	s_waitcnt lgkmcnt(0)
	s_add_u32 s6, s16, s6
	s_addc_u32 s7, s17, s7
	s_load_dwordx2 s[6:7], s[6:7], 0x0
	s_lshl_b64 s[12:13], s[18:19], 2
	s_waitcnt lgkmcnt(0)
	s_add_u32 s12, s6, s12
	s_addc_u32 s13, s7, s13
.LBB220_5:
	s_lshl_b64 s[6:7], s[20:21], 3
	s_add_u32 s6, s8, s6
	s_addc_u32 s7, s9, s7
	s_load_dwordx2 s[8:9], s[6:7], 0x0
	s_load_dword s20, s[0:1], 0x78
	s_lshl_b64 s[6:7], s[10:11], 2
	s_waitcnt lgkmcnt(0)
	s_add_u32 s18, s8, s6
	s_addc_u32 s19, s9, s7
	s_andn2_b64 vcc, exec, s[4:5]
	v_cmp_eq_u32_e64 s[4:5], 0, v0
	s_cbranch_vccnz .LBB220_10
; %bb.6:
	s_mov_b64 s[10:11], 0
	s_mov_b64 s[6:7], 0
                                        ; implicit-def: $vgpr1
                                        ; implicit-def: $sgpr8_sgpr9
	s_and_saveexec_b64 s[16:17], s[4:5]
	s_cbranch_execz .LBB220_11
; %bb.7:
	v_cmp_eq_f32_e64 s[4:5], s22, 0
	v_mov_b32_e32 v1, 0
	s_mul_hi_i32 s9, s20, s2
	s_mul_i32 s8, s20, s2
	s_and_b64 vcc, exec, s[4:5]
	s_cbranch_vccnz .LBB220_9
; %bb.8:
	s_lshl_b64 s[4:5], s[8:9], 2
	s_add_u32 s4, s18, s4
	s_addc_u32 s5, s19, s5
	s_load_dword s4, s[4:5], 0x0
	s_waitcnt lgkmcnt(0)
	v_mov_b32_e32 v1, s4
	v_mul_f32_e32 v1, s22, v1
.LBB220_9:
	s_mov_b64 s[6:7], exec
	s_or_b64 exec, exec, s[16:17]
	s_and_b64 vcc, exec, s[10:11]
	s_cbranch_vccnz .LBB220_12
	s_branch .LBB220_38
.LBB220_10:
	s_mov_b64 s[6:7], 0
                                        ; implicit-def: $vgpr1
                                        ; implicit-def: $sgpr8_sgpr9
	s_cbranch_execnz .LBB220_12
	s_branch .LBB220_38
.LBB220_11:
	s_or_b64 exec, exec, s[16:17]
	s_and_b64 vcc, exec, s[10:11]
	s_cbranch_vccz .LBB220_38
.LBB220_12:
	s_load_dword s16, s[0:1], 0x0
	s_load_dword s5, s[0:1], 0x28
	;; [unrolled: 1-line block ×3, first 2 shown]
	v_mov_b32_e32 v3, 0
	s_mov_b32 s1, 0
	s_waitcnt lgkmcnt(0)
	v_cmp_gt_i32_e32 vcc, s16, v0
	s_mul_hi_i32 s9, s5, s2
	s_mul_i32 s8, s5, s2
	s_lshl_b64 s[8:9], s[8:9], 2
	s_add_u32 s8, s8, s14
	s_addc_u32 s9, s9, s15
	s_ashr_i32 s0, s16, 31
	s_lshr_b32 s0, s0, 24
	v_cndmask_b32_e32 v1, 0, v0, vcc
	s_add_i32 s0, s16, s0
	v_lshlrev_b32_e32 v2, 2, v1
	s_and_b32 s0, s0, 0xffffff00
	s_cmpk_lt_i32 s16, 0x100
	v_lshl_add_u64 v[4:5], s[8:9], 0, v[2:3]
	s_cbranch_scc1 .LBB220_15
; %bb.13:
	s_ashr_i32 s5, s4, 31
	v_mad_i64_i32 v[2:3], s[8:9], s4, v0, 0
	v_lshl_add_u64 v[6:7], v[2:3], 2, s[12:13]
	s_lshl_b64 s[8:9], s[4:5], 10
	v_mov_b32_e32 v3, 0
	s_mov_b64 s[10:11], 0x400
	v_mov_b64_e32 v[8:9], v[4:5]
.LBB220_14:                             ; =>This Inner Loop Header: Depth=1
	flat_load_dword v1, v[8:9]
	flat_load_dword v2, v[6:7]
	s_addk_i32 s1, 0x100
	v_lshl_add_u64 v[6:7], v[6:7], 0, s[8:9]
	v_lshl_add_u64 v[8:9], v[8:9], 0, s[10:11]
	s_cmp_ge_i32 s1, s0
	s_waitcnt vmcnt(0) lgkmcnt(0)
	v_fmac_f32_e32 v3, v1, v2
	s_cbranch_scc0 .LBB220_14
.LBB220_15:
	v_add_u32_e32 v1, s0, v0
	v_cmp_gt_i32_e32 vcc, s16, v1
	s_and_saveexec_b64 s[8:9], vcc
	s_cbranch_execz .LBB220_17
; %bb.16:
	s_ashr_i32 s1, s0, 31
	v_lshl_add_u64 v[4:5], s[0:1], 2, v[4:5]
	flat_load_dword v2, v[4:5]
	v_mad_i64_i32 v[4:5], s[0:1], s4, v1, 0
	v_lshl_add_u64 v[4:5], v[4:5], 2, s[12:13]
	flat_load_dword v1, v[4:5]
	s_waitcnt vmcnt(0) lgkmcnt(0)
	v_fmac_f32_e32 v3, v2, v1
.LBB220_17:
	s_or_b64 exec, exec, s[8:9]
	s_movk_i32 s0, 0x80
	v_lshlrev_b32_e32 v1, 2, v0
	v_cmp_gt_u32_e32 vcc, s0, v0
	ds_write_b32 v1, v3
	s_waitcnt lgkmcnt(0)
	s_barrier
	s_and_saveexec_b64 s[0:1], vcc
	s_cbranch_execz .LBB220_19
; %bb.18:
	ds_read2st64_b32 v[2:3], v1 offset1:2
	s_waitcnt lgkmcnt(0)
	v_add_f32_e32 v2, v3, v2
	ds_write_b32 v1, v2
.LBB220_19:
	s_or_b64 exec, exec, s[0:1]
	v_cmp_gt_u32_e32 vcc, 64, v0
	s_waitcnt lgkmcnt(0)
	s_barrier
	s_and_saveexec_b64 s[0:1], vcc
	s_cbranch_execz .LBB220_21
; %bb.20:
	ds_read2st64_b32 v[2:3], v1 offset1:1
	s_waitcnt lgkmcnt(0)
	v_add_f32_e32 v2, v3, v2
	ds_write_b32 v1, v2
.LBB220_21:
	s_or_b64 exec, exec, s[0:1]
	v_cmp_gt_u32_e32 vcc, 32, v0
	s_waitcnt lgkmcnt(0)
	s_barrier
	s_and_saveexec_b64 s[0:1], vcc
	s_cbranch_execz .LBB220_23
; %bb.22:
	ds_read2_b32 v[2:3], v1 offset1:32
	s_waitcnt lgkmcnt(0)
	v_add_f32_e32 v2, v3, v2
	ds_write_b32 v1, v2
.LBB220_23:
	s_or_b64 exec, exec, s[0:1]
	v_cmp_gt_u32_e32 vcc, 16, v0
	s_waitcnt lgkmcnt(0)
	s_barrier
	s_and_saveexec_b64 s[0:1], vcc
	s_cbranch_execz .LBB220_25
; %bb.24:
	ds_read2_b32 v[2:3], v1 offset1:16
	s_waitcnt lgkmcnt(0)
	v_add_f32_e32 v2, v3, v2
	ds_write_b32 v1, v2
.LBB220_25:
	;; [unrolled: 12-line block ×5, first 2 shown]
	s_or_b64 exec, exec, s[0:1]
	v_cmp_eq_u32_e32 vcc, 0, v0
	s_waitcnt lgkmcnt(0)
	s_barrier
	s_and_saveexec_b64 s[0:1], vcc
	s_cbranch_execz .LBB220_33
; %bb.32:
	v_mov_b32_e32 v2, 0
	ds_read_b64 v[0:1], v2
	s_waitcnt lgkmcnt(0)
	v_add_f32_e32 v0, v1, v0
	ds_write_b32 v2, v0
.LBB220_33:
	s_or_b64 exec, exec, s[0:1]
	s_waitcnt lgkmcnt(0)
	s_barrier
	s_waitcnt lgkmcnt(0)
                                        ; implicit-def: $vgpr1
                                        ; implicit-def: $sgpr8_sgpr9
	s_and_saveexec_b64 s[0:1], vcc
	s_cbranch_execz .LBB220_37
; %bb.34:
	v_mov_b32_e32 v0, 0
	ds_read_b32 v0, v0
	v_cmp_eq_f32_e64 s[4:5], s22, 0
	s_mul_hi_i32 s9, s20, s2
	s_mul_i32 s8, s20, s2
	s_and_b64 vcc, exec, s[4:5]
	s_waitcnt lgkmcnt(0)
	v_mul_f32_e32 v1, s3, v0
	s_cbranch_vccnz .LBB220_36
; %bb.35:
	s_lshl_b64 s[2:3], s[8:9], 2
	s_add_u32 s2, s18, s2
	s_addc_u32 s3, s19, s3
	s_load_dword s2, s[2:3], 0x0
	s_waitcnt lgkmcnt(0)
	v_mov_b32_e32 v0, s2
	v_fmac_f32_e32 v1, s22, v0
.LBB220_36:
	s_or_b64 s[6:7], s[6:7], exec
.LBB220_37:
	s_or_b64 exec, exec, s[0:1]
.LBB220_38:
	s_and_saveexec_b64 s[0:1], s[6:7]
	s_cbranch_execz .LBB220_40
; %bb.39:
	s_lshl_b64 s[0:1], s[8:9], 2
	s_add_u32 s0, s18, s0
	s_addc_u32 s1, s19, s1
	v_mov_b32_e32 v0, 0
	global_store_dword v0, v1, s[0:1]
.LBB220_40:
	s_endpgm
	.section	.rodata,"a",@progbits
	.p2align	6, 0x0
	.amdhsa_kernel _ZL20rocblas_gemvt_kernelILb0ELi256EPKfS1_KPfEviiT2_lPKT1_lilS7_lilS4_lPT3_lili
		.amdhsa_group_segment_fixed_size 1024
		.amdhsa_private_segment_fixed_size 0
		.amdhsa_kernarg_size 140
		.amdhsa_user_sgpr_count 2
		.amdhsa_user_sgpr_dispatch_ptr 0
		.amdhsa_user_sgpr_queue_ptr 0
		.amdhsa_user_sgpr_kernarg_segment_ptr 1
		.amdhsa_user_sgpr_dispatch_id 0
		.amdhsa_user_sgpr_kernarg_preload_length 0
		.amdhsa_user_sgpr_kernarg_preload_offset 0
		.amdhsa_user_sgpr_private_segment_size 0
		.amdhsa_uses_dynamic_stack 0
		.amdhsa_enable_private_segment 0
		.amdhsa_system_sgpr_workgroup_id_x 1
		.amdhsa_system_sgpr_workgroup_id_y 0
		.amdhsa_system_sgpr_workgroup_id_z 1
		.amdhsa_system_sgpr_workgroup_info 0
		.amdhsa_system_vgpr_workitem_id 0
		.amdhsa_next_free_vgpr 10
		.amdhsa_next_free_sgpr 23
		.amdhsa_accum_offset 12
		.amdhsa_reserve_vcc 1
		.amdhsa_float_round_mode_32 0
		.amdhsa_float_round_mode_16_64 0
		.amdhsa_float_denorm_mode_32 3
		.amdhsa_float_denorm_mode_16_64 3
		.amdhsa_dx10_clamp 1
		.amdhsa_ieee_mode 1
		.amdhsa_fp16_overflow 0
		.amdhsa_tg_split 0
		.amdhsa_exception_fp_ieee_invalid_op 0
		.amdhsa_exception_fp_denorm_src 0
		.amdhsa_exception_fp_ieee_div_zero 0
		.amdhsa_exception_fp_ieee_overflow 0
		.amdhsa_exception_fp_ieee_underflow 0
		.amdhsa_exception_fp_ieee_inexact 0
		.amdhsa_exception_int_div_zero 0
	.end_amdhsa_kernel
	.section	.text._ZL20rocblas_gemvt_kernelILb0ELi256EPKfS1_KPfEviiT2_lPKT1_lilS7_lilS4_lPT3_lili,"axG",@progbits,_ZL20rocblas_gemvt_kernelILb0ELi256EPKfS1_KPfEviiT2_lPKT1_lilS7_lilS4_lPT3_lili,comdat
.Lfunc_end220:
	.size	_ZL20rocblas_gemvt_kernelILb0ELi256EPKfS1_KPfEviiT2_lPKT1_lilS7_lilS4_lPT3_lili, .Lfunc_end220-_ZL20rocblas_gemvt_kernelILb0ELi256EPKfS1_KPfEviiT2_lPKT1_lilS7_lilS4_lPT3_lili
                                        ; -- End function
	.section	.AMDGPU.csdata,"",@progbits
; Kernel info:
; codeLenInByte = 1240
; NumSgprs: 29
; NumVgprs: 10
; NumAgprs: 0
; TotalNumVgprs: 10
; ScratchSize: 0
; MemoryBound: 0
; FloatMode: 240
; IeeeMode: 1
; LDSByteSize: 1024 bytes/workgroup (compile time only)
; SGPRBlocks: 3
; VGPRBlocks: 1
; NumSGPRsForWavesPerEU: 29
; NumVGPRsForWavesPerEU: 10
; AccumOffset: 12
; Occupancy: 8
; WaveLimiterHint : 1
; COMPUTE_PGM_RSRC2:SCRATCH_EN: 0
; COMPUTE_PGM_RSRC2:USER_SGPR: 2
; COMPUTE_PGM_RSRC2:TRAP_HANDLER: 0
; COMPUTE_PGM_RSRC2:TGID_X_EN: 1
; COMPUTE_PGM_RSRC2:TGID_Y_EN: 0
; COMPUTE_PGM_RSRC2:TGID_Z_EN: 1
; COMPUTE_PGM_RSRC2:TIDIG_COMP_CNT: 0
; COMPUTE_PGM_RSRC3_GFX90A:ACCUM_OFFSET: 2
; COMPUTE_PGM_RSRC3_GFX90A:TG_SPLIT: 0
	.section	.text._ZL20rocblas_gemvt_kernelILb0ELi256EPKffKPfEviiT2_lPKT1_lilS7_lilS4_lPT3_lili,"axG",@progbits,_ZL20rocblas_gemvt_kernelILb0ELi256EPKffKPfEviiT2_lPKT1_lilS7_lilS4_lPT3_lili,comdat
	.globl	_ZL20rocblas_gemvt_kernelILb0ELi256EPKffKPfEviiT2_lPKT1_lilS7_lilS4_lPT3_lili ; -- Begin function _ZL20rocblas_gemvt_kernelILb0ELi256EPKffKPfEviiT2_lPKT1_lilS7_lilS4_lPT3_lili
	.p2align	8
	.type	_ZL20rocblas_gemvt_kernelILb0ELi256EPKffKPfEviiT2_lPKT1_lilS7_lilS4_lPT3_lili,@function
_ZL20rocblas_gemvt_kernelILb0ELi256EPKffKPfEviiT2_lPKT1_lilS7_lilS4_lPT3_lili: ; @_ZL20rocblas_gemvt_kernelILb0ELi256EPKffKPfEviiT2_lPKT1_lilS7_lilS4_lPT3_lili
; %bb.0:
	s_mov_b32 s12, s3
	s_load_dword s18, s[0:1], 0x8
	s_load_dword s3, s[0:1], 0x58
	s_waitcnt lgkmcnt(0)
	v_cmp_eq_f32_e64 s[4:5], s18, 0
	v_cmp_eq_f32_e64 s[6:7], s3, 1.0
	s_and_b64 s[6:7], s[4:5], s[6:7]
	s_and_b64 vcc, exec, s[6:7]
	s_cbranch_vccnz .LBB221_42
; %bb.1:
	v_cmp_neq_f32_e64 s[8:9], s18, 0
	s_mov_b32 s13, 0
	s_and_b64 vcc, exec, s[8:9]
	s_cbranch_vccnz .LBB221_3
; %bb.2:
	s_mov_b64 s[10:11], 0
	s_cbranch_execz .LBB221_4
	s_branch .LBB221_5
.LBB221_3:
                                        ; implicit-def: $sgpr10_sgpr11
.LBB221_4:
	s_load_dwordx4 s[20:23], s[0:1], 0x18
	s_lshl_b64 s[6:7], s[12:13], 3
	s_waitcnt lgkmcnt(0)
	s_add_u32 s6, s20, s6
	s_addc_u32 s7, s21, s7
	s_load_dwordx2 s[6:7], s[6:7], 0x0
	s_lshl_b64 s[10:11], s[22:23], 2
	s_waitcnt lgkmcnt(0)
	s_add_u32 s10, s6, s10
	s_addc_u32 s11, s7, s11
.LBB221_5:
	s_mov_b64 s[6:7], 0
	s_andn2_b64 vcc, exec, s[8:9]
	s_mov_b64 s[8:9], 0
	s_cbranch_vccnz .LBB221_7
; %bb.6:
	s_load_dwordx4 s[20:23], s[0:1], 0x38
	s_lshl_b64 s[8:9], s[12:13], 3
	s_waitcnt lgkmcnt(0)
	s_add_u32 s8, s20, s8
	s_addc_u32 s9, s21, s9
	s_load_dwordx2 s[8:9], s[8:9], 0x0
	s_lshl_b64 s[14:15], s[22:23], 2
	s_waitcnt lgkmcnt(0)
	s_add_u32 s8, s8, s14
	s_addc_u32 s9, s9, s15
.LBB221_7:
	s_load_dwordx4 s[24:27], s[0:1], 0x68
	s_load_dword s21, s[0:1], 0x78
	s_lshl_b64 s[12:13], s[12:13], 3
	s_waitcnt lgkmcnt(0)
	s_add_u32 s12, s24, s12
	s_addc_u32 s13, s25, s13
	s_load_dwordx2 s[12:13], s[12:13], 0x0
	s_lshl_b64 s[14:15], s[26:27], 2
	s_waitcnt lgkmcnt(0)
	s_add_u32 s19, s12, s14
	s_addc_u32 s20, s13, s15
	s_andn2_b64 vcc, exec, s[4:5]
	v_cmp_eq_u32_e64 s[4:5], 0, v0
	s_cbranch_vccnz .LBB221_12
; %bb.8:
	s_mov_b64 s[14:15], 0
                                        ; implicit-def: $vgpr1
                                        ; implicit-def: $sgpr12_sgpr13
	s_and_saveexec_b64 s[16:17], s[4:5]
	s_cbranch_execz .LBB221_13
; %bb.9:
	v_cmp_eq_f32_e64 s[4:5], s3, 0
	v_mov_b32_e32 v1, 0
	s_mul_hi_i32 s13, s21, s2
	s_mul_i32 s12, s21, s2
	s_and_b64 vcc, exec, s[4:5]
	s_cbranch_vccnz .LBB221_11
; %bb.10:
	s_lshl_b64 s[4:5], s[12:13], 2
	s_add_u32 s4, s19, s4
	s_addc_u32 s5, s20, s5
	s_load_dword s4, s[4:5], 0x0
	v_mov_b32_e32 v1, s3
	s_waitcnt lgkmcnt(0)
	v_mul_f32_e32 v1, s4, v1
.LBB221_11:
	s_mov_b64 s[6:7], exec
	s_or_b64 exec, exec, s[16:17]
	s_and_b64 vcc, exec, s[14:15]
	s_cbranch_vccnz .LBB221_14
	s_branch .LBB221_40
.LBB221_12:
                                        ; implicit-def: $vgpr1
                                        ; implicit-def: $sgpr12_sgpr13
	s_cbranch_execnz .LBB221_14
	s_branch .LBB221_40
.LBB221_13:
	s_or_b64 exec, exec, s[16:17]
	s_and_b64 vcc, exec, s[14:15]
	s_cbranch_vccz .LBB221_40
.LBB221_14:
	s_load_dword s14, s[0:1], 0x0
	s_load_dword s5, s[0:1], 0x28
	;; [unrolled: 1-line block ×3, first 2 shown]
	v_mov_b32_e32 v3, 0
	s_mov_b32 s1, 0
	s_waitcnt lgkmcnt(0)
	v_cmp_gt_i32_e32 vcc, s14, v0
	s_mul_hi_i32 s13, s5, s2
	s_mul_i32 s12, s5, s2
	s_lshl_b64 s[12:13], s[12:13], 2
	s_add_u32 s10, s12, s10
	s_addc_u32 s11, s13, s11
	s_ashr_i32 s0, s14, 31
	s_lshr_b32 s0, s0, 24
	v_cndmask_b32_e32 v1, 0, v0, vcc
	s_add_i32 s0, s14, s0
	v_lshlrev_b32_e32 v2, 2, v1
	s_and_b32 s0, s0, 0xffffff00
	s_cmpk_lt_i32 s14, 0x100
	v_lshl_add_u64 v[4:5], s[10:11], 0, v[2:3]
	s_cbranch_scc1 .LBB221_17
; %bb.15:
	s_ashr_i32 s5, s4, 31
	v_mad_i64_i32 v[2:3], s[10:11], s4, v0, 0
	v_lshl_add_u64 v[6:7], v[2:3], 2, s[8:9]
	s_lshl_b64 s[10:11], s[4:5], 10
	v_mov_b32_e32 v3, 0
	s_mov_b64 s[12:13], 0x400
	v_mov_b64_e32 v[8:9], v[4:5]
.LBB221_16:                             ; =>This Inner Loop Header: Depth=1
	flat_load_dword v1, v[8:9]
	flat_load_dword v2, v[6:7]
	s_addk_i32 s1, 0x100
	v_lshl_add_u64 v[6:7], v[6:7], 0, s[10:11]
	v_lshl_add_u64 v[8:9], v[8:9], 0, s[12:13]
	s_cmp_ge_i32 s1, s0
	s_waitcnt vmcnt(0) lgkmcnt(0)
	v_fmac_f32_e32 v3, v1, v2
	s_cbranch_scc0 .LBB221_16
.LBB221_17:
	v_add_u32_e32 v1, s0, v0
	v_cmp_gt_i32_e32 vcc, s14, v1
	s_and_saveexec_b64 s[10:11], vcc
	s_cbranch_execz .LBB221_19
; %bb.18:
	s_ashr_i32 s1, s0, 31
	v_lshl_add_u64 v[4:5], s[0:1], 2, v[4:5]
	flat_load_dword v2, v[4:5]
	v_mad_i64_i32 v[4:5], s[0:1], s4, v1, 0
	v_lshl_add_u64 v[4:5], v[4:5], 2, s[8:9]
	flat_load_dword v1, v[4:5]
	s_waitcnt vmcnt(0) lgkmcnt(0)
	v_fmac_f32_e32 v3, v2, v1
.LBB221_19:
	s_or_b64 exec, exec, s[10:11]
	s_movk_i32 s0, 0x80
	v_lshlrev_b32_e32 v1, 2, v0
	v_cmp_gt_u32_e32 vcc, s0, v0
	ds_write_b32 v1, v3
	s_waitcnt lgkmcnt(0)
	s_barrier
	s_and_saveexec_b64 s[0:1], vcc
	s_cbranch_execz .LBB221_21
; %bb.20:
	ds_read2st64_b32 v[2:3], v1 offset1:2
	s_waitcnt lgkmcnt(0)
	v_add_f32_e32 v2, v3, v2
	ds_write_b32 v1, v2
.LBB221_21:
	s_or_b64 exec, exec, s[0:1]
	v_cmp_gt_u32_e32 vcc, 64, v0
	s_waitcnt lgkmcnt(0)
	s_barrier
	s_and_saveexec_b64 s[0:1], vcc
	s_cbranch_execz .LBB221_23
; %bb.22:
	ds_read2st64_b32 v[2:3], v1 offset1:1
	s_waitcnt lgkmcnt(0)
	v_add_f32_e32 v2, v3, v2
	ds_write_b32 v1, v2
.LBB221_23:
	s_or_b64 exec, exec, s[0:1]
	v_cmp_gt_u32_e32 vcc, 32, v0
	s_waitcnt lgkmcnt(0)
	s_barrier
	s_and_saveexec_b64 s[0:1], vcc
	s_cbranch_execz .LBB221_25
; %bb.24:
	ds_read2_b32 v[2:3], v1 offset1:32
	s_waitcnt lgkmcnt(0)
	v_add_f32_e32 v2, v3, v2
	ds_write_b32 v1, v2
.LBB221_25:
	s_or_b64 exec, exec, s[0:1]
	v_cmp_gt_u32_e32 vcc, 16, v0
	s_waitcnt lgkmcnt(0)
	s_barrier
	s_and_saveexec_b64 s[0:1], vcc
	s_cbranch_execz .LBB221_27
; %bb.26:
	ds_read2_b32 v[2:3], v1 offset1:16
	s_waitcnt lgkmcnt(0)
	v_add_f32_e32 v2, v3, v2
	ds_write_b32 v1, v2
.LBB221_27:
	;; [unrolled: 12-line block ×5, first 2 shown]
	s_or_b64 exec, exec, s[0:1]
	v_cmp_eq_u32_e32 vcc, 0, v0
	s_waitcnt lgkmcnt(0)
	s_barrier
	s_and_saveexec_b64 s[0:1], vcc
	s_cbranch_execz .LBB221_35
; %bb.34:
	v_mov_b32_e32 v2, 0
	ds_read_b64 v[0:1], v2
	s_waitcnt lgkmcnt(0)
	v_add_f32_e32 v0, v1, v0
	ds_write_b32 v2, v0
.LBB221_35:
	s_or_b64 exec, exec, s[0:1]
	s_waitcnt lgkmcnt(0)
	s_barrier
	s_waitcnt lgkmcnt(0)
                                        ; implicit-def: $vgpr1
                                        ; implicit-def: $sgpr12_sgpr13
	s_and_saveexec_b64 s[0:1], vcc
	s_cbranch_execz .LBB221_39
; %bb.36:
	v_mov_b32_e32 v0, 0
	ds_read_b32 v0, v0
	v_cmp_eq_f32_e64 s[4:5], s3, 0
	s_mul_hi_i32 s13, s21, s2
	s_mul_i32 s12, s21, s2
	s_and_b64 vcc, exec, s[4:5]
	s_waitcnt lgkmcnt(0)
	v_mul_f32_e32 v1, s18, v0
	s_cbranch_vccnz .LBB221_38
; %bb.37:
	s_lshl_b64 s[4:5], s[12:13], 2
	s_add_u32 s4, s19, s4
	s_addc_u32 s5, s20, s5
	s_load_dword s2, s[4:5], 0x0
	v_mov_b32_e32 v0, s3
	s_waitcnt lgkmcnt(0)
	v_fmac_f32_e32 v1, s2, v0
.LBB221_38:
	s_or_b64 s[6:7], s[6:7], exec
.LBB221_39:
	s_or_b64 exec, exec, s[0:1]
.LBB221_40:
	s_and_saveexec_b64 s[0:1], s[6:7]
	s_cbranch_execz .LBB221_42
; %bb.41:
	s_lshl_b64 s[0:1], s[12:13], 2
	s_add_u32 s0, s19, s0
	s_addc_u32 s1, s20, s1
	v_mov_b32_e32 v0, 0
	global_store_dword v0, v1, s[0:1]
.LBB221_42:
	s_endpgm
	.section	.rodata,"a",@progbits
	.p2align	6, 0x0
	.amdhsa_kernel _ZL20rocblas_gemvt_kernelILb0ELi256EPKffKPfEviiT2_lPKT1_lilS7_lilS4_lPT3_lili
		.amdhsa_group_segment_fixed_size 1024
		.amdhsa_private_segment_fixed_size 0
		.amdhsa_kernarg_size 140
		.amdhsa_user_sgpr_count 2
		.amdhsa_user_sgpr_dispatch_ptr 0
		.amdhsa_user_sgpr_queue_ptr 0
		.amdhsa_user_sgpr_kernarg_segment_ptr 1
		.amdhsa_user_sgpr_dispatch_id 0
		.amdhsa_user_sgpr_kernarg_preload_length 0
		.amdhsa_user_sgpr_kernarg_preload_offset 0
		.amdhsa_user_sgpr_private_segment_size 0
		.amdhsa_uses_dynamic_stack 0
		.amdhsa_enable_private_segment 0
		.amdhsa_system_sgpr_workgroup_id_x 1
		.amdhsa_system_sgpr_workgroup_id_y 0
		.amdhsa_system_sgpr_workgroup_id_z 1
		.amdhsa_system_sgpr_workgroup_info 0
		.amdhsa_system_vgpr_workitem_id 0
		.amdhsa_next_free_vgpr 10
		.amdhsa_next_free_sgpr 28
		.amdhsa_accum_offset 12
		.amdhsa_reserve_vcc 1
		.amdhsa_float_round_mode_32 0
		.amdhsa_float_round_mode_16_64 0
		.amdhsa_float_denorm_mode_32 3
		.amdhsa_float_denorm_mode_16_64 3
		.amdhsa_dx10_clamp 1
		.amdhsa_ieee_mode 1
		.amdhsa_fp16_overflow 0
		.amdhsa_tg_split 0
		.amdhsa_exception_fp_ieee_invalid_op 0
		.amdhsa_exception_fp_denorm_src 0
		.amdhsa_exception_fp_ieee_div_zero 0
		.amdhsa_exception_fp_ieee_overflow 0
		.amdhsa_exception_fp_ieee_underflow 0
		.amdhsa_exception_fp_ieee_inexact 0
		.amdhsa_exception_int_div_zero 0
	.end_amdhsa_kernel
	.section	.text._ZL20rocblas_gemvt_kernelILb0ELi256EPKffKPfEviiT2_lPKT1_lilS7_lilS4_lPT3_lili,"axG",@progbits,_ZL20rocblas_gemvt_kernelILb0ELi256EPKffKPfEviiT2_lPKT1_lilS7_lilS4_lPT3_lili,comdat
.Lfunc_end221:
	.size	_ZL20rocblas_gemvt_kernelILb0ELi256EPKffKPfEviiT2_lPKT1_lilS7_lilS4_lPT3_lili, .Lfunc_end221-_ZL20rocblas_gemvt_kernelILb0ELi256EPKffKPfEviiT2_lPKT1_lilS7_lilS4_lPT3_lili
                                        ; -- End function
	.section	.AMDGPU.csdata,"",@progbits
; Kernel info:
; codeLenInByte = 1192
; NumSgprs: 34
; NumVgprs: 10
; NumAgprs: 0
; TotalNumVgprs: 10
; ScratchSize: 0
; MemoryBound: 0
; FloatMode: 240
; IeeeMode: 1
; LDSByteSize: 1024 bytes/workgroup (compile time only)
; SGPRBlocks: 4
; VGPRBlocks: 1
; NumSGPRsForWavesPerEU: 34
; NumVGPRsForWavesPerEU: 10
; AccumOffset: 12
; Occupancy: 8
; WaveLimiterHint : 1
; COMPUTE_PGM_RSRC2:SCRATCH_EN: 0
; COMPUTE_PGM_RSRC2:USER_SGPR: 2
; COMPUTE_PGM_RSRC2:TRAP_HANDLER: 0
; COMPUTE_PGM_RSRC2:TGID_X_EN: 1
; COMPUTE_PGM_RSRC2:TGID_Y_EN: 0
; COMPUTE_PGM_RSRC2:TGID_Z_EN: 1
; COMPUTE_PGM_RSRC2:TIDIG_COMP_CNT: 0
; COMPUTE_PGM_RSRC3_GFX90A:ACCUM_OFFSET: 2
; COMPUTE_PGM_RSRC3_GFX90A:TG_SPLIT: 0
	.section	.text._ZL32rocblas_gemvt_warp_reduce_kernelILb0ELi1024EiPKfS1_KPfEviiT3_lPKT2_lT1_lS7_lS8_lS4_lPT4_lS8_li,"axG",@progbits,_ZL32rocblas_gemvt_warp_reduce_kernelILb0ELi1024EiPKfS1_KPfEviiT3_lPKT2_lT1_lS7_lS8_lS4_lPT4_lS8_li,comdat
	.globl	_ZL32rocblas_gemvt_warp_reduce_kernelILb0ELi1024EiPKfS1_KPfEviiT3_lPKT2_lT1_lS7_lS8_lS4_lPT4_lS8_li ; -- Begin function _ZL32rocblas_gemvt_warp_reduce_kernelILb0ELi1024EiPKfS1_KPfEviiT3_lPKT2_lT1_lS7_lS8_lS4_lPT4_lS8_li
	.p2align	8
	.type	_ZL32rocblas_gemvt_warp_reduce_kernelILb0ELi1024EiPKfS1_KPfEviiT3_lPKT2_lT1_lS7_lS8_lS4_lPT4_lS8_li,@function
_ZL32rocblas_gemvt_warp_reduce_kernelILb0ELi1024EiPKfS1_KPfEviiT3_lPKT2_lT1_lS7_lS8_lS4_lPT4_lS8_li: ; @_ZL32rocblas_gemvt_warp_reduce_kernelILb0ELi1024EiPKfS1_KPfEviiT3_lPKT2_lT1_lS7_lS8_lS4_lPT4_lS8_li
; %bb.0:
	s_load_dwordx8 s[12:19], s[0:1], 0x8
	s_load_dwordx8 s[4:11], s[0:1], 0x58
	s_mov_b32 s20, s3
	s_waitcnt lgkmcnt(0)
	s_mul_i32 s3, s3, s15
	s_mul_hi_u32 s15, s20, s14
	s_add_i32 s15, s15, s3
	s_mul_i32 s14, s20, s14
	s_lshl_b64 s[14:15], s[14:15], 2
	s_add_u32 s12, s12, s14
	s_mul_i32 s3, s20, s7
	s_mul_hi_u32 s7, s20, s6
	s_addc_u32 s13, s13, s15
	s_add_i32 s7, s7, s3
	s_mul_i32 s6, s20, s6
	s_lshl_b64 s[6:7], s[6:7], 2
	s_add_u32 s4, s4, s6
	s_addc_u32 s5, s5, s7
	s_load_dword s22, s[12:13], 0x0
	s_load_dword s3, s[4:5], 0x0
	s_waitcnt lgkmcnt(0)
	v_cmp_eq_f32_e64 s[4:5], s22, 0
	v_cmp_eq_f32_e64 s[6:7], s3, 1.0
	s_and_b64 s[6:7], s[4:5], s[6:7]
	s_and_b64 vcc, exec, s[6:7]
	s_cbranch_vccnz .LBB222_33
; %bb.1:
	s_mov_b32 s21, 0
	v_cmp_neq_f32_e64 s[6:7], s22, 0
	s_mov_b64 s[12:13], 0
	s_and_b64 vcc, exec, s[4:5]
	s_mov_b64 s[14:15], 0
	s_cbranch_vccnz .LBB222_3
; %bb.2:
	s_lshl_b64 s[14:15], s[20:21], 3
	s_add_u32 s14, s16, s14
	s_addc_u32 s15, s17, s15
	s_load_dwordx2 s[14:15], s[14:15], 0x0
	s_lshl_b64 s[16:17], s[18:19], 2
	s_waitcnt lgkmcnt(0)
	s_add_u32 s14, s14, s16
	s_addc_u32 s15, s15, s17
.LBB222_3:
	s_andn2_b64 vcc, exec, s[6:7]
	s_cbranch_vccnz .LBB222_5
; %bb.4:
	s_load_dwordx4 s[16:19], s[0:1], 0x38
	s_lshl_b64 s[6:7], s[20:21], 3
	s_waitcnt lgkmcnt(0)
	s_add_u32 s6, s16, s6
	s_addc_u32 s7, s17, s7
	s_load_dwordx2 s[6:7], s[6:7], 0x0
	s_lshl_b64 s[12:13], s[18:19], 2
	s_waitcnt lgkmcnt(0)
	s_add_u32 s12, s6, s12
	s_addc_u32 s13, s7, s13
.LBB222_5:
	s_lshl_b64 s[6:7], s[20:21], 3
	s_add_u32 s6, s8, s6
	s_addc_u32 s7, s9, s7
	s_load_dwordx2 s[8:9], s[6:7], 0x0
	s_load_dword s20, s[0:1], 0x78
	s_lshl_b64 s[6:7], s[10:11], 2
	s_waitcnt lgkmcnt(0)
	s_add_u32 s18, s8, s6
	s_addc_u32 s19, s9, s7
	s_andn2_b64 vcc, exec, s[4:5]
	v_cmp_eq_u32_e64 s[4:5], 0, v0
	s_cbranch_vccnz .LBB222_10
; %bb.6:
	s_mov_b64 s[10:11], 0
	s_mov_b64 s[6:7], 0
                                        ; implicit-def: $vgpr1
                                        ; implicit-def: $sgpr8_sgpr9
	s_and_saveexec_b64 s[16:17], s[4:5]
	s_cbranch_execz .LBB222_11
; %bb.7:
	v_cmp_eq_f32_e64 s[4:5], s3, 0
	s_mul_i32 s8, s2, s20
	v_mov_b32_e32 v1, 0
	s_ashr_i32 s9, s8, 31
	s_and_b64 vcc, exec, s[4:5]
	s_cbranch_vccnz .LBB222_9
; %bb.8:
	s_lshl_b64 s[4:5], s[8:9], 2
	s_add_u32 s4, s18, s4
	s_addc_u32 s5, s19, s5
	s_load_dword s4, s[4:5], 0x0
	s_waitcnt lgkmcnt(0)
	v_mov_b32_e32 v1, s4
	v_mul_f32_e32 v1, s3, v1
.LBB222_9:
	s_mov_b64 s[6:7], exec
	s_or_b64 exec, exec, s[16:17]
	s_and_b64 vcc, exec, s[10:11]
	s_cbranch_vccnz .LBB222_12
	s_branch .LBB222_31
.LBB222_10:
	s_mov_b64 s[6:7], 0
                                        ; implicit-def: $vgpr1
                                        ; implicit-def: $sgpr8_sgpr9
	s_cbranch_execnz .LBB222_12
	s_branch .LBB222_31
.LBB222_11:
	s_or_b64 exec, exec, s[16:17]
	s_and_b64 vcc, exec, s[10:11]
	s_cbranch_vccz .LBB222_31
.LBB222_12:
	s_load_dword s17, s[0:1], 0x0
	s_load_dword s4, s[0:1], 0x28
	;; [unrolled: 1-line block ×3, first 2 shown]
	v_mov_b32_e32 v3, 0
	s_waitcnt lgkmcnt(0)
	v_cmp_gt_i32_e32 vcc, s17, v0
	s_mul_i32 s0, s2, s4
	s_ashr_i32 s1, s0, 31
	s_lshl_b64 s[0:1], s[0:1], 2
	v_cndmask_b32_e32 v1, 0, v0, vcc
	s_add_u32 s0, s0, s14
	v_lshlrev_b32_e32 v2, 2, v1
	s_addc_u32 s1, s1, s15
	v_lshl_add_u64 v[4:5], s[0:1], 0, v[2:3]
	s_ashr_i32 s0, s17, 31
	s_lshr_b32 s0, s0, 22
	s_add_i32 s0, s17, s0
	s_and_b32 s0, s0, 0xfffffc00
	v_cmp_gt_i32_e32 vcc, s0, v0
	s_and_saveexec_b64 s[4:5], vcc
	s_cbranch_execz .LBB222_16
; %bb.13:
	v_mul_lo_u32 v6, v0, s16
	s_lshl_b32 s1, s16, 10
	s_mov_b64 s[8:9], 0
	v_mov_b32_e32 v3, 0
	s_mov_b64 s[10:11], 0x1000
	v_mov_b64_e32 v[8:9], v[4:5]
	v_mov_b32_e32 v1, v0
.LBB222_14:                             ; =>This Inner Loop Header: Depth=1
	v_ashrrev_i32_e32 v7, 31, v6
	v_lshl_add_u64 v[10:11], v[6:7], 2, s[12:13]
	flat_load_dword v2, v[8:9]
	flat_load_dword v7, v[10:11]
	v_add_u32_e32 v1, 0x400, v1
	v_cmp_le_i32_e32 vcc, s0, v1
	v_lshl_add_u64 v[8:9], v[8:9], 0, s[10:11]
	v_add_u32_e32 v6, s1, v6
	s_or_b64 s[8:9], vcc, s[8:9]
	s_waitcnt vmcnt(0) lgkmcnt(0)
	v_fmac_f32_e32 v3, v2, v7
	s_andn2_b64 exec, exec, s[8:9]
	s_cbranch_execnz .LBB222_14
; %bb.15:
	s_or_b64 exec, exec, s[8:9]
.LBB222_16:
	s_or_b64 exec, exec, s[4:5]
	v_or_b32_e32 v1, s0, v0
	v_cmp_gt_i32_e32 vcc, s17, v1
	s_and_saveexec_b64 s[4:5], vcc
	s_cbranch_execz .LBB222_18
; %bb.17:
	s_ashr_i32 s1, s0, 31
	v_lshl_add_u64 v[4:5], s[0:1], 2, v[4:5]
	flat_load_dword v2, v[4:5]
	v_mul_lo_u32 v4, v1, s16
	v_ashrrev_i32_e32 v5, 31, v4
	v_lshl_add_u64 v[4:5], v[4:5], 2, s[12:13]
	flat_load_dword v1, v[4:5]
	s_waitcnt vmcnt(0) lgkmcnt(0)
	v_fmac_f32_e32 v3, v2, v1
.LBB222_18:
	s_or_b64 exec, exec, s[4:5]
	v_and_b32_e32 v2, 63, v0
	v_cmp_gt_u32_e32 vcc, 64, v0
	v_lshlrev_b32_e32 v1, 2, v2
	s_and_saveexec_b64 s[0:1], vcc
	s_cbranch_execz .LBB222_20
; %bb.19:
	v_mov_b32_e32 v4, 0
	ds_write_b32 v1, v4
.LBB222_20:
	s_or_b64 exec, exec, s[0:1]
	v_mbcnt_lo_u32_b32 v4, -1, 0
	v_mbcnt_hi_u32_b32 v6, -1, v4
	v_and_b32_e32 v7, 63, v6
	v_cmp_gt_u32_e64 s[0:1], 32, v7
	s_waitcnt lgkmcnt(0)
	s_barrier
	v_cndmask_b32_e64 v4, 0, 1, s[0:1]
	v_lshlrev_b32_e32 v4, 5, v4
	v_add_lshl_u32 v4, v4, v6, 2
	ds_bpermute_b32 v4, v4, v3
	v_cmp_gt_u32_e64 s[0:1], 48, v7
	s_waitcnt lgkmcnt(0)
	v_add_f32_e32 v3, v3, v4
	v_cndmask_b32_e64 v5, 0, 1, s[0:1]
	v_lshlrev_b32_e32 v5, 4, v5
	v_add_lshl_u32 v4, v5, v6, 2
	ds_bpermute_b32 v4, v4, v3
	v_cmp_gt_u32_e64 s[0:1], 56, v7
	s_waitcnt lgkmcnt(0)
	v_add_f32_e32 v4, v3, v4
	;; [unrolled: 7-line block ×4, first 2 shown]
	v_cndmask_b32_e64 v9, 0, 1, s[0:1]
	v_lshlrev_b32_e32 v9, 1, v9
	v_add_lshl_u32 v5, v9, v6, 2
	ds_bpermute_b32 v9, v5, v8
	v_cmp_ne_u32_e64 s[0:1], 63, v7
	s_waitcnt lgkmcnt(0)
	v_add_f32_e32 v7, v8, v9
	v_addc_co_u32_e64 v6, s[0:1], 0, v6, s[0:1]
	v_lshlrev_b32_e32 v6, 2, v6
	ds_bpermute_b32 v8, v6, v7
	v_cmp_eq_u32_e64 s[0:1], 0, v2
	s_and_saveexec_b64 s[4:5], s[0:1]
	s_cbranch_execz .LBB222_22
; %bb.21:
	v_lshrrev_b32_e32 v2, 4, v0
	v_and_b32_e32 v2, 60, v2
	s_waitcnt lgkmcnt(0)
	v_add_f32_e32 v7, v7, v8
	ds_write_b32 v2, v7
.LBB222_22:
	s_or_b64 exec, exec, s[4:5]
	v_cmp_gt_u32_e64 s[0:1], 16, v0
	v_mov_b32_e32 v2, 0
	s_waitcnt lgkmcnt(0)
	s_barrier
	s_and_saveexec_b64 s[4:5], s[0:1]
	s_cbranch_execz .LBB222_24
; %bb.23:
	ds_read_b32 v2, v1
	s_or_b64 exec, exec, s[4:5]
	s_and_saveexec_b64 s[0:1], vcc
	s_cbranch_execz .LBB222_26
	s_branch .LBB222_25
.LBB222_24:
	s_or_b64 exec, exec, s[4:5]
	s_and_saveexec_b64 s[0:1], vcc
	s_cbranch_execz .LBB222_26
.LBB222_25:
	s_waitcnt lgkmcnt(0)
	ds_bpermute_b32 v1, v3, v2
	s_waitcnt lgkmcnt(0)
	v_add_f32_e32 v1, v2, v1
	ds_bpermute_b32 v2, v4, v1
	s_waitcnt lgkmcnt(0)
	v_add_f32_e32 v1, v1, v2
	;; [unrolled: 3-line block ×4, first 2 shown]
.LBB222_26:
	s_or_b64 exec, exec, s[0:1]
	v_cmp_eq_u32_e32 vcc, 0, v0
                                        ; implicit-def: $vgpr1
                                        ; implicit-def: $sgpr8_sgpr9
	s_and_saveexec_b64 s[0:1], vcc
	s_cbranch_execz .LBB222_30
; %bb.27:
	v_cmp_eq_f32_e64 s[4:5], s3, 0
	s_mul_i32 s8, s2, s20
	s_waitcnt lgkmcnt(0)
	v_mul_f32_e32 v1, s22, v2
	s_ashr_i32 s9, s8, 31
	s_and_b64 vcc, exec, s[4:5]
	s_cbranch_vccnz .LBB222_29
; %bb.28:
	s_lshl_b64 s[4:5], s[8:9], 2
	s_add_u32 s4, s18, s4
	s_addc_u32 s5, s19, s5
	s_load_dword s2, s[4:5], 0x0
	s_waitcnt lgkmcnt(0)
	v_mov_b32_e32 v0, s2
	v_fmac_f32_e32 v1, s3, v0
.LBB222_29:
	s_or_b64 s[6:7], s[6:7], exec
.LBB222_30:
	s_or_b64 exec, exec, s[0:1]
.LBB222_31:
	s_and_saveexec_b64 s[0:1], s[6:7]
	s_cbranch_execz .LBB222_33
; %bb.32:
	s_lshl_b64 s[0:1], s[8:9], 2
	s_add_u32 s0, s18, s0
	s_addc_u32 s1, s19, s1
	v_mov_b32_e32 v0, 0
	global_store_dword v0, v1, s[0:1]
.LBB222_33:
	s_endpgm
	.section	.rodata,"a",@progbits
	.p2align	6, 0x0
	.amdhsa_kernel _ZL32rocblas_gemvt_warp_reduce_kernelILb0ELi1024EiPKfS1_KPfEviiT3_lPKT2_lT1_lS7_lS8_lS4_lPT4_lS8_li
		.amdhsa_group_segment_fixed_size 256
		.amdhsa_private_segment_fixed_size 0
		.amdhsa_kernarg_size 140
		.amdhsa_user_sgpr_count 2
		.amdhsa_user_sgpr_dispatch_ptr 0
		.amdhsa_user_sgpr_queue_ptr 0
		.amdhsa_user_sgpr_kernarg_segment_ptr 1
		.amdhsa_user_sgpr_dispatch_id 0
		.amdhsa_user_sgpr_kernarg_preload_length 0
		.amdhsa_user_sgpr_kernarg_preload_offset 0
		.amdhsa_user_sgpr_private_segment_size 0
		.amdhsa_uses_dynamic_stack 0
		.amdhsa_enable_private_segment 0
		.amdhsa_system_sgpr_workgroup_id_x 1
		.amdhsa_system_sgpr_workgroup_id_y 0
		.amdhsa_system_sgpr_workgroup_id_z 1
		.amdhsa_system_sgpr_workgroup_info 0
		.amdhsa_system_vgpr_workitem_id 0
		.amdhsa_next_free_vgpr 12
		.amdhsa_next_free_sgpr 23
		.amdhsa_accum_offset 12
		.amdhsa_reserve_vcc 1
		.amdhsa_float_round_mode_32 0
		.amdhsa_float_round_mode_16_64 0
		.amdhsa_float_denorm_mode_32 3
		.amdhsa_float_denorm_mode_16_64 3
		.amdhsa_dx10_clamp 1
		.amdhsa_ieee_mode 1
		.amdhsa_fp16_overflow 0
		.amdhsa_tg_split 0
		.amdhsa_exception_fp_ieee_invalid_op 0
		.amdhsa_exception_fp_denorm_src 0
		.amdhsa_exception_fp_ieee_div_zero 0
		.amdhsa_exception_fp_ieee_overflow 0
		.amdhsa_exception_fp_ieee_underflow 0
		.amdhsa_exception_fp_ieee_inexact 0
		.amdhsa_exception_int_div_zero 0
	.end_amdhsa_kernel
	.section	.text._ZL32rocblas_gemvt_warp_reduce_kernelILb0ELi1024EiPKfS1_KPfEviiT3_lPKT2_lT1_lS7_lS8_lS4_lPT4_lS8_li,"axG",@progbits,_ZL32rocblas_gemvt_warp_reduce_kernelILb0ELi1024EiPKfS1_KPfEviiT3_lPKT2_lT1_lS7_lS8_lS4_lPT4_lS8_li,comdat
.Lfunc_end222:
	.size	_ZL32rocblas_gemvt_warp_reduce_kernelILb0ELi1024EiPKfS1_KPfEviiT3_lPKT2_lT1_lS7_lS8_lS4_lPT4_lS8_li, .Lfunc_end222-_ZL32rocblas_gemvt_warp_reduce_kernelILb0ELi1024EiPKfS1_KPfEviiT3_lPKT2_lT1_lS7_lS8_lS4_lPT4_lS8_li
                                        ; -- End function
	.section	.AMDGPU.csdata,"",@progbits
; Kernel info:
; codeLenInByte = 1336
; NumSgprs: 29
; NumVgprs: 12
; NumAgprs: 0
; TotalNumVgprs: 12
; ScratchSize: 0
; MemoryBound: 0
; FloatMode: 240
; IeeeMode: 1
; LDSByteSize: 256 bytes/workgroup (compile time only)
; SGPRBlocks: 3
; VGPRBlocks: 1
; NumSGPRsForWavesPerEU: 29
; NumVGPRsForWavesPerEU: 12
; AccumOffset: 12
; Occupancy: 8
; WaveLimiterHint : 1
; COMPUTE_PGM_RSRC2:SCRATCH_EN: 0
; COMPUTE_PGM_RSRC2:USER_SGPR: 2
; COMPUTE_PGM_RSRC2:TRAP_HANDLER: 0
; COMPUTE_PGM_RSRC2:TGID_X_EN: 1
; COMPUTE_PGM_RSRC2:TGID_Y_EN: 0
; COMPUTE_PGM_RSRC2:TGID_Z_EN: 1
; COMPUTE_PGM_RSRC2:TIDIG_COMP_CNT: 0
; COMPUTE_PGM_RSRC3_GFX90A:ACCUM_OFFSET: 2
; COMPUTE_PGM_RSRC3_GFX90A:TG_SPLIT: 0
	.section	.text._ZL32rocblas_gemvt_warp_reduce_kernelILb0ELi1024ElPKfS1_KPfEviiT3_lPKT2_lT1_lS7_lS8_lS4_lPT4_lS8_li,"axG",@progbits,_ZL32rocblas_gemvt_warp_reduce_kernelILb0ELi1024ElPKfS1_KPfEviiT3_lPKT2_lT1_lS7_lS8_lS4_lPT4_lS8_li,comdat
	.globl	_ZL32rocblas_gemvt_warp_reduce_kernelILb0ELi1024ElPKfS1_KPfEviiT3_lPKT2_lT1_lS7_lS8_lS4_lPT4_lS8_li ; -- Begin function _ZL32rocblas_gemvt_warp_reduce_kernelILb0ELi1024ElPKfS1_KPfEviiT3_lPKT2_lT1_lS7_lS8_lS4_lPT4_lS8_li
	.p2align	8
	.type	_ZL32rocblas_gemvt_warp_reduce_kernelILb0ELi1024ElPKfS1_KPfEviiT3_lPKT2_lT1_lS7_lS8_lS4_lPT4_lS8_li,@function
_ZL32rocblas_gemvt_warp_reduce_kernelILb0ELi1024ElPKfS1_KPfEviiT3_lPKT2_lT1_lS7_lS8_lS4_lPT4_lS8_li: ; @_ZL32rocblas_gemvt_warp_reduce_kernelILb0ELi1024ElPKfS1_KPfEviiT3_lPKT2_lT1_lS7_lS8_lS4_lPT4_lS8_li
; %bb.0:
	s_load_dwordx8 s[12:19], s[0:1], 0x8
	s_load_dwordx8 s[4:11], s[0:1], 0x58
	s_mov_b32 s24, s3
	s_waitcnt lgkmcnt(0)
	s_mul_i32 s3, s3, s15
	s_mul_hi_u32 s15, s24, s14
	s_add_i32 s15, s15, s3
	s_mul_i32 s14, s24, s14
	s_lshl_b64 s[14:15], s[14:15], 2
	s_add_u32 s12, s12, s14
	s_mul_i32 s3, s24, s7
	s_mul_hi_u32 s7, s24, s6
	s_addc_u32 s13, s13, s15
	s_add_i32 s7, s7, s3
	s_mul_i32 s6, s24, s6
	s_lshl_b64 s[6:7], s[6:7], 2
	s_add_u32 s4, s4, s6
	s_addc_u32 s5, s5, s7
	s_load_dword s30, s[12:13], 0x0
	s_load_dword s3, s[4:5], 0x0
	s_waitcnt lgkmcnt(0)
	v_cmp_eq_f32_e64 s[26:27], s30, 0
	v_cmp_eq_f32_e64 s[4:5], s3, 1.0
	s_and_b64 s[4:5], s[26:27], s[4:5]
	s_and_b64 vcc, exec, s[4:5]
	s_cbranch_vccnz .LBB223_33
; %bb.1:
	s_load_dwordx2 s[20:21], s[0:1], 0x28
	s_load_dwordx2 s[12:13], s[0:1], 0x78
	s_mov_b32 s25, 0
	v_cmp_neq_f32_e64 s[28:29], s30, 0
	s_mov_b64 s[14:15], 0
	s_and_b64 vcc, exec, s[26:27]
	s_mov_b64 s[22:23], 0
	s_cbranch_vccnz .LBB223_3
; %bb.2:
	s_lshl_b64 s[4:5], s[24:25], 3
	s_add_u32 s4, s16, s4
	s_addc_u32 s5, s17, s5
	s_load_dwordx2 s[4:5], s[4:5], 0x0
	s_lshl_b64 s[6:7], s[18:19], 2
	s_waitcnt lgkmcnt(0)
	s_add_u32 s22, s4, s6
	s_addc_u32 s23, s5, s7
.LBB223_3:
	s_load_dwordx4 s[4:7], s[0:1], 0x38
	s_load_dwordx2 s[16:17], s[0:1], 0x48
	s_andn2_b64 vcc, exec, s[28:29]
	s_cbranch_vccnz .LBB223_5
; %bb.4:
	s_lshl_b64 s[14:15], s[24:25], 3
	s_waitcnt lgkmcnt(0)
	s_add_u32 s4, s4, s14
	s_addc_u32 s5, s5, s15
	s_load_dwordx2 s[4:5], s[4:5], 0x0
	s_lshl_b64 s[6:7], s[6:7], 2
	s_waitcnt lgkmcnt(0)
	s_add_u32 s14, s4, s6
	s_addc_u32 s15, s5, s7
.LBB223_5:
	s_waitcnt lgkmcnt(0)
	s_lshl_b64 s[4:5], s[24:25], 3
	s_add_u32 s4, s8, s4
	s_addc_u32 s5, s9, s5
	s_load_dwordx2 s[4:5], s[4:5], 0x0
	s_lshl_b64 s[6:7], s[10:11], 2
	s_waitcnt lgkmcnt(0)
	s_add_u32 s24, s4, s6
	s_addc_u32 s25, s5, s7
	s_andn2_b64 vcc, exec, s[26:27]
	v_cmp_eq_u32_e64 s[4:5], 0, v0
	s_cbranch_vccnz .LBB223_10
; %bb.6:
	s_mov_b64 s[10:11], 0
	s_mov_b64 s[6:7], 0
                                        ; implicit-def: $vgpr1
                                        ; implicit-def: $sgpr8_sgpr9
	s_and_saveexec_b64 s[18:19], s[4:5]
	s_cbranch_execz .LBB223_11
; %bb.7:
	s_ashr_i32 s6, s2, 31
	s_mul_i32 s7, s2, s13
	s_mul_hi_u32 s8, s2, s12
	v_cmp_eq_f32_e64 s[4:5], s3, 0
	s_add_i32 s7, s8, s7
	s_mul_i32 s6, s6, s12
	v_mov_b32_e32 v1, 0
	s_add_i32 s9, s7, s6
	s_mul_i32 s8, s2, s12
	s_and_b64 vcc, exec, s[4:5]
	s_cbranch_vccnz .LBB223_9
; %bb.8:
	s_lshl_b64 s[4:5], s[8:9], 2
	s_add_u32 s4, s24, s4
	s_addc_u32 s5, s25, s5
	s_load_dword s4, s[4:5], 0x0
	s_waitcnt lgkmcnt(0)
	v_mov_b32_e32 v1, s4
	v_mul_f32_e32 v1, s3, v1
.LBB223_9:
	s_mov_b64 s[6:7], exec
	s_or_b64 exec, exec, s[18:19]
	s_and_b64 vcc, exec, s[10:11]
	s_cbranch_vccnz .LBB223_12
	s_branch .LBB223_31
.LBB223_10:
	s_mov_b64 s[6:7], 0
                                        ; implicit-def: $vgpr1
                                        ; implicit-def: $sgpr8_sgpr9
	s_cbranch_execnz .LBB223_12
	s_branch .LBB223_31
.LBB223_11:
	s_or_b64 exec, exec, s[18:19]
	s_and_b64 vcc, exec, s[10:11]
	s_cbranch_vccz .LBB223_31
.LBB223_12:
	s_load_dword s1, s[0:1], 0x0
	s_ashr_i32 s26, s2, 31
	s_mul_i32 s0, s2, s21
	s_mul_hi_u32 s4, s2, s20
	s_add_i32 s0, s4, s0
	s_mul_i32 s4, s26, s20
	s_add_i32 s5, s0, s4
	s_mul_i32 s4, s2, s20
	s_lshl_b64 s[4:5], s[4:5], 2
	s_add_u32 s4, s4, s22
	s_addc_u32 s5, s5, s23
	s_waitcnt lgkmcnt(0)
	s_ashr_i32 s0, s1, 31
	v_cmp_gt_i32_e32 vcc, s1, v0
	s_lshr_b32 s0, s0, 22
	s_add_i32 s0, s1, s0
	v_cndmask_b32_e32 v1, 0, v0, vcc
	v_mov_b32_e32 v3, 0
	v_lshlrev_b32_e32 v2, 2, v1
	s_and_b32 s0, s0, 0xfffffc00
	v_lshl_add_u64 v[4:5], s[4:5], 0, v[2:3]
	v_cmp_gt_i32_e32 vcc, s0, v0
	s_and_saveexec_b64 s[4:5], vcc
	s_cbranch_execz .LBB223_16
; %bb.13:
	v_mad_u64_u32 v[2:3], s[8:9], s16, v0, 0
	v_mov_b32_e32 v6, v3
	v_mad_u64_u32 v[6:7], s[8:9], s17, v0, v[6:7]
	v_mov_b32_e32 v3, v6
	v_lshl_add_u64 v[6:7], v[2:3], 2, s[14:15]
	s_lshl_b64 s[10:11], s[16:17], 12
	s_mov_b64 s[8:9], 0
	v_mov_b32_e32 v3, 0
	s_mov_b64 s[18:19], 0x1000
	v_mov_b64_e32 v[8:9], v[4:5]
	v_mov_b32_e32 v1, v0
.LBB223_14:                             ; =>This Inner Loop Header: Depth=1
	flat_load_dword v2, v[8:9]
	flat_load_dword v10, v[6:7]
	v_add_u32_e32 v1, 0x400, v1
	v_cmp_le_i32_e32 vcc, s0, v1
	v_lshl_add_u64 v[8:9], v[8:9], 0, s[18:19]
	v_lshl_add_u64 v[6:7], v[6:7], 0, s[10:11]
	s_or_b64 s[8:9], vcc, s[8:9]
	s_waitcnt vmcnt(0) lgkmcnt(0)
	v_fmac_f32_e32 v3, v2, v10
	s_andn2_b64 exec, exec, s[8:9]
	s_cbranch_execnz .LBB223_14
; %bb.15:
	s_or_b64 exec, exec, s[8:9]
.LBB223_16:
	s_or_b64 exec, exec, s[4:5]
	v_or_b32_e32 v1, s0, v0
	v_cmp_gt_i32_e32 vcc, s1, v1
	s_and_saveexec_b64 s[4:5], vcc
	s_cbranch_execz .LBB223_18
; %bb.17:
	s_ashr_i32 s1, s0, 31
	v_lshl_add_u64 v[4:5], s[0:1], 2, v[4:5]
	flat_load_dword v2, v[4:5]
	v_ashrrev_i32_e32 v4, 31, v1
	v_mul_lo_u32 v6, v1, s17
	v_mul_lo_u32 v7, v4, s16
	v_mad_u64_u32 v[4:5], s[0:1], v1, s16, 0
	v_add3_u32 v5, v5, v6, v7
	v_lshl_add_u64 v[4:5], v[4:5], 2, s[14:15]
	flat_load_dword v1, v[4:5]
	s_waitcnt vmcnt(0) lgkmcnt(0)
	v_fmac_f32_e32 v3, v2, v1
.LBB223_18:
	s_or_b64 exec, exec, s[4:5]
	v_and_b32_e32 v2, 63, v0
	v_cmp_gt_u32_e32 vcc, 64, v0
	v_lshlrev_b32_e32 v1, 2, v2
	s_and_saveexec_b64 s[0:1], vcc
	s_cbranch_execz .LBB223_20
; %bb.19:
	v_mov_b32_e32 v4, 0
	ds_write_b32 v1, v4
.LBB223_20:
	s_or_b64 exec, exec, s[0:1]
	v_mbcnt_lo_u32_b32 v4, -1, 0
	v_mbcnt_hi_u32_b32 v6, -1, v4
	v_and_b32_e32 v7, 63, v6
	v_cmp_gt_u32_e64 s[0:1], 32, v7
	s_waitcnt lgkmcnt(0)
	s_barrier
	v_cndmask_b32_e64 v4, 0, 1, s[0:1]
	v_lshlrev_b32_e32 v4, 5, v4
	v_add_lshl_u32 v4, v4, v6, 2
	ds_bpermute_b32 v4, v4, v3
	v_cmp_gt_u32_e64 s[0:1], 48, v7
	s_waitcnt lgkmcnt(0)
	v_add_f32_e32 v3, v3, v4
	v_cndmask_b32_e64 v5, 0, 1, s[0:1]
	v_lshlrev_b32_e32 v5, 4, v5
	v_add_lshl_u32 v4, v5, v6, 2
	ds_bpermute_b32 v4, v4, v3
	v_cmp_gt_u32_e64 s[0:1], 56, v7
	s_waitcnt lgkmcnt(0)
	v_add_f32_e32 v4, v3, v4
	;; [unrolled: 7-line block ×4, first 2 shown]
	v_cndmask_b32_e64 v9, 0, 1, s[0:1]
	v_lshlrev_b32_e32 v9, 1, v9
	v_add_lshl_u32 v5, v9, v6, 2
	ds_bpermute_b32 v9, v5, v8
	v_cmp_ne_u32_e64 s[0:1], 63, v7
	s_waitcnt lgkmcnt(0)
	v_add_f32_e32 v7, v8, v9
	v_addc_co_u32_e64 v6, s[0:1], 0, v6, s[0:1]
	v_lshlrev_b32_e32 v6, 2, v6
	ds_bpermute_b32 v8, v6, v7
	v_cmp_eq_u32_e64 s[0:1], 0, v2
	s_and_saveexec_b64 s[4:5], s[0:1]
	s_cbranch_execz .LBB223_22
; %bb.21:
	v_lshrrev_b32_e32 v2, 4, v0
	v_and_b32_e32 v2, 60, v2
	s_waitcnt lgkmcnt(0)
	v_add_f32_e32 v7, v7, v8
	ds_write_b32 v2, v7
.LBB223_22:
	s_or_b64 exec, exec, s[4:5]
	v_cmp_gt_u32_e64 s[0:1], 16, v0
	v_mov_b32_e32 v2, 0
	s_waitcnt lgkmcnt(0)
	s_barrier
	s_and_saveexec_b64 s[4:5], s[0:1]
	s_cbranch_execz .LBB223_24
; %bb.23:
	ds_read_b32 v2, v1
	s_or_b64 exec, exec, s[4:5]
	s_and_saveexec_b64 s[0:1], vcc
	s_cbranch_execz .LBB223_26
	s_branch .LBB223_25
.LBB223_24:
	s_or_b64 exec, exec, s[4:5]
	s_and_saveexec_b64 s[0:1], vcc
	s_cbranch_execz .LBB223_26
.LBB223_25:
	s_waitcnt lgkmcnt(0)
	ds_bpermute_b32 v1, v3, v2
	s_waitcnt lgkmcnt(0)
	v_add_f32_e32 v1, v2, v1
	ds_bpermute_b32 v2, v4, v1
	s_waitcnt lgkmcnt(0)
	v_add_f32_e32 v1, v1, v2
	;; [unrolled: 3-line block ×4, first 2 shown]
.LBB223_26:
	s_or_b64 exec, exec, s[0:1]
	v_cmp_eq_u32_e32 vcc, 0, v0
                                        ; implicit-def: $vgpr1
                                        ; implicit-def: $sgpr8_sgpr9
	s_and_saveexec_b64 s[0:1], vcc
	s_cbranch_execz .LBB223_30
; %bb.27:
	s_mul_i32 s8, s2, s13
	s_mul_hi_u32 s9, s2, s12
	v_cmp_eq_f32_e64 s[4:5], s3, 0
	s_add_i32 s8, s9, s8
	s_mul_i32 s9, s26, s12
	s_waitcnt lgkmcnt(0)
	v_mul_f32_e32 v1, s30, v2
	s_add_i32 s9, s8, s9
	s_mul_i32 s8, s2, s12
	s_and_b64 vcc, exec, s[4:5]
	s_cbranch_vccnz .LBB223_29
; %bb.28:
	s_lshl_b64 s[4:5], s[8:9], 2
	s_add_u32 s4, s24, s4
	s_addc_u32 s5, s25, s5
	s_load_dword s2, s[4:5], 0x0
	s_waitcnt lgkmcnt(0)
	v_mov_b32_e32 v0, s2
	v_fmac_f32_e32 v1, s3, v0
.LBB223_29:
	s_or_b64 s[6:7], s[6:7], exec
.LBB223_30:
	s_or_b64 exec, exec, s[0:1]
.LBB223_31:
	s_and_saveexec_b64 s[0:1], s[6:7]
	s_cbranch_execz .LBB223_33
; %bb.32:
	s_lshl_b64 s[0:1], s[8:9], 2
	s_add_u32 s0, s24, s0
	s_addc_u32 s1, s25, s1
	v_mov_b32_e32 v0, 0
	global_store_dword v0, v1, s[0:1]
.LBB223_33:
	s_endpgm
	.section	.rodata,"a",@progbits
	.p2align	6, 0x0
	.amdhsa_kernel _ZL32rocblas_gemvt_warp_reduce_kernelILb0ELi1024ElPKfS1_KPfEviiT3_lPKT2_lT1_lS7_lS8_lS4_lPT4_lS8_li
		.amdhsa_group_segment_fixed_size 256
		.amdhsa_private_segment_fixed_size 0
		.amdhsa_kernarg_size 140
		.amdhsa_user_sgpr_count 2
		.amdhsa_user_sgpr_dispatch_ptr 0
		.amdhsa_user_sgpr_queue_ptr 0
		.amdhsa_user_sgpr_kernarg_segment_ptr 1
		.amdhsa_user_sgpr_dispatch_id 0
		.amdhsa_user_sgpr_kernarg_preload_length 0
		.amdhsa_user_sgpr_kernarg_preload_offset 0
		.amdhsa_user_sgpr_private_segment_size 0
		.amdhsa_uses_dynamic_stack 0
		.amdhsa_enable_private_segment 0
		.amdhsa_system_sgpr_workgroup_id_x 1
		.amdhsa_system_sgpr_workgroup_id_y 0
		.amdhsa_system_sgpr_workgroup_id_z 1
		.amdhsa_system_sgpr_workgroup_info 0
		.amdhsa_system_vgpr_workitem_id 0
		.amdhsa_next_free_vgpr 11
		.amdhsa_next_free_sgpr 31
		.amdhsa_accum_offset 12
		.amdhsa_reserve_vcc 1
		.amdhsa_float_round_mode_32 0
		.amdhsa_float_round_mode_16_64 0
		.amdhsa_float_denorm_mode_32 3
		.amdhsa_float_denorm_mode_16_64 3
		.amdhsa_dx10_clamp 1
		.amdhsa_ieee_mode 1
		.amdhsa_fp16_overflow 0
		.amdhsa_tg_split 0
		.amdhsa_exception_fp_ieee_invalid_op 0
		.amdhsa_exception_fp_denorm_src 0
		.amdhsa_exception_fp_ieee_div_zero 0
		.amdhsa_exception_fp_ieee_overflow 0
		.amdhsa_exception_fp_ieee_underflow 0
		.amdhsa_exception_fp_ieee_inexact 0
		.amdhsa_exception_int_div_zero 0
	.end_amdhsa_kernel
	.section	.text._ZL32rocblas_gemvt_warp_reduce_kernelILb0ELi1024ElPKfS1_KPfEviiT3_lPKT2_lT1_lS7_lS8_lS4_lPT4_lS8_li,"axG",@progbits,_ZL32rocblas_gemvt_warp_reduce_kernelILb0ELi1024ElPKfS1_KPfEviiT3_lPKT2_lT1_lS7_lS8_lS4_lPT4_lS8_li,comdat
.Lfunc_end223:
	.size	_ZL32rocblas_gemvt_warp_reduce_kernelILb0ELi1024ElPKfS1_KPfEviiT3_lPKT2_lT1_lS7_lS8_lS4_lPT4_lS8_li, .Lfunc_end223-_ZL32rocblas_gemvt_warp_reduce_kernelILb0ELi1024ElPKfS1_KPfEviiT3_lPKT2_lT1_lS7_lS8_lS4_lPT4_lS8_li
                                        ; -- End function
	.section	.AMDGPU.csdata,"",@progbits
; Kernel info:
; codeLenInByte = 1436
; NumSgprs: 37
; NumVgprs: 11
; NumAgprs: 0
; TotalNumVgprs: 11
; ScratchSize: 0
; MemoryBound: 0
; FloatMode: 240
; IeeeMode: 1
; LDSByteSize: 256 bytes/workgroup (compile time only)
; SGPRBlocks: 4
; VGPRBlocks: 1
; NumSGPRsForWavesPerEU: 37
; NumVGPRsForWavesPerEU: 11
; AccumOffset: 12
; Occupancy: 8
; WaveLimiterHint : 1
; COMPUTE_PGM_RSRC2:SCRATCH_EN: 0
; COMPUTE_PGM_RSRC2:USER_SGPR: 2
; COMPUTE_PGM_RSRC2:TRAP_HANDLER: 0
; COMPUTE_PGM_RSRC2:TGID_X_EN: 1
; COMPUTE_PGM_RSRC2:TGID_Y_EN: 0
; COMPUTE_PGM_RSRC2:TGID_Z_EN: 1
; COMPUTE_PGM_RSRC2:TIDIG_COMP_CNT: 0
; COMPUTE_PGM_RSRC3_GFX90A:ACCUM_OFFSET: 2
; COMPUTE_PGM_RSRC3_GFX90A:TG_SPLIT: 0
	.section	.text._ZL32rocblas_gemvt_warp_reduce_kernelILb0ELi1024EiPKffKPfEviiT3_lPKT2_lT1_lS7_lS8_lS4_lPT4_lS8_li,"axG",@progbits,_ZL32rocblas_gemvt_warp_reduce_kernelILb0ELi1024EiPKffKPfEviiT3_lPKT2_lT1_lS7_lS8_lS4_lPT4_lS8_li,comdat
	.globl	_ZL32rocblas_gemvt_warp_reduce_kernelILb0ELi1024EiPKffKPfEviiT3_lPKT2_lT1_lS7_lS8_lS4_lPT4_lS8_li ; -- Begin function _ZL32rocblas_gemvt_warp_reduce_kernelILb0ELi1024EiPKffKPfEviiT3_lPKT2_lT1_lS7_lS8_lS4_lPT4_lS8_li
	.p2align	8
	.type	_ZL32rocblas_gemvt_warp_reduce_kernelILb0ELi1024EiPKffKPfEviiT3_lPKT2_lT1_lS7_lS8_lS4_lPT4_lS8_li,@function
_ZL32rocblas_gemvt_warp_reduce_kernelILb0ELi1024EiPKffKPfEviiT3_lPKT2_lT1_lS7_lS8_lS4_lPT4_lS8_li: ; @_ZL32rocblas_gemvt_warp_reduce_kernelILb0ELi1024EiPKffKPfEviiT3_lPKT2_lT1_lS7_lS8_lS4_lPT4_lS8_li
; %bb.0:
	s_mov_b32 s12, s3
	s_load_dword s18, s[0:1], 0x8
	s_load_dword s3, s[0:1], 0x58
	s_waitcnt lgkmcnt(0)
	v_cmp_eq_f32_e64 s[4:5], s18, 0
	v_cmp_eq_f32_e64 s[6:7], s3, 1.0
	s_and_b64 s[6:7], s[4:5], s[6:7]
	s_and_b64 vcc, exec, s[6:7]
	s_cbranch_vccnz .LBB224_35
; %bb.1:
	v_cmp_neq_f32_e64 s[8:9], s18, 0
	s_mov_b32 s13, 0
	s_and_b64 vcc, exec, s[8:9]
	s_cbranch_vccnz .LBB224_3
; %bb.2:
	s_mov_b64 s[10:11], 0
	s_cbranch_execz .LBB224_4
	s_branch .LBB224_5
.LBB224_3:
                                        ; implicit-def: $sgpr10_sgpr11
.LBB224_4:
	s_load_dwordx4 s[20:23], s[0:1], 0x18
	s_lshl_b64 s[6:7], s[12:13], 3
	s_waitcnt lgkmcnt(0)
	s_add_u32 s6, s20, s6
	s_addc_u32 s7, s21, s7
	s_load_dwordx2 s[6:7], s[6:7], 0x0
	s_lshl_b64 s[10:11], s[22:23], 2
	s_waitcnt lgkmcnt(0)
	s_add_u32 s10, s6, s10
	s_addc_u32 s11, s7, s11
.LBB224_5:
	s_mov_b64 s[6:7], 0
	s_andn2_b64 vcc, exec, s[8:9]
	s_mov_b64 s[8:9], 0
	s_cbranch_vccnz .LBB224_7
; %bb.6:
	s_load_dwordx4 s[20:23], s[0:1], 0x38
	s_lshl_b64 s[8:9], s[12:13], 3
	s_waitcnt lgkmcnt(0)
	s_add_u32 s8, s20, s8
	s_addc_u32 s9, s21, s9
	s_load_dwordx2 s[8:9], s[8:9], 0x0
	s_lshl_b64 s[14:15], s[22:23], 2
	s_waitcnt lgkmcnt(0)
	s_add_u32 s8, s8, s14
	s_addc_u32 s9, s9, s15
.LBB224_7:
	s_load_dwordx4 s[24:27], s[0:1], 0x68
	s_load_dword s21, s[0:1], 0x78
	s_lshl_b64 s[12:13], s[12:13], 3
	s_waitcnt lgkmcnt(0)
	s_add_u32 s12, s24, s12
	s_addc_u32 s13, s25, s13
	s_load_dwordx2 s[12:13], s[12:13], 0x0
	s_lshl_b64 s[14:15], s[26:27], 2
	s_waitcnt lgkmcnt(0)
	s_add_u32 s19, s12, s14
	s_addc_u32 s20, s13, s15
	s_andn2_b64 vcc, exec, s[4:5]
	v_cmp_eq_u32_e64 s[4:5], 0, v0
	s_cbranch_vccnz .LBB224_12
; %bb.8:
	s_mov_b64 s[14:15], 0
                                        ; implicit-def: $vgpr1
                                        ; implicit-def: $sgpr12_sgpr13
	s_and_saveexec_b64 s[16:17], s[4:5]
	s_cbranch_execz .LBB224_13
; %bb.9:
	v_cmp_eq_f32_e64 s[4:5], s3, 0
	s_mul_i32 s12, s2, s21
	v_mov_b32_e32 v1, 0
	s_ashr_i32 s13, s12, 31
	s_and_b64 vcc, exec, s[4:5]
	s_cbranch_vccnz .LBB224_11
; %bb.10:
	s_lshl_b64 s[4:5], s[12:13], 2
	s_add_u32 s4, s19, s4
	s_addc_u32 s5, s20, s5
	s_load_dword s4, s[4:5], 0x0
	v_mov_b32_e32 v1, s3
	s_waitcnt lgkmcnt(0)
	v_mul_f32_e32 v1, s4, v1
.LBB224_11:
	s_mov_b64 s[6:7], exec
	s_or_b64 exec, exec, s[16:17]
	s_and_b64 vcc, exec, s[14:15]
	s_cbranch_vccnz .LBB224_14
	s_branch .LBB224_33
.LBB224_12:
                                        ; implicit-def: $vgpr1
                                        ; implicit-def: $sgpr12_sgpr13
	s_cbranch_execnz .LBB224_14
	s_branch .LBB224_33
.LBB224_13:
	s_or_b64 exec, exec, s[16:17]
	s_and_b64 vcc, exec, s[14:15]
	s_cbranch_vccz .LBB224_33
.LBB224_14:
	s_load_dword s15, s[0:1], 0x0
	s_load_dword s4, s[0:1], 0x28
	;; [unrolled: 1-line block ×3, first 2 shown]
	v_mov_b32_e32 v3, 0
	s_waitcnt lgkmcnt(0)
	v_cmp_gt_i32_e32 vcc, s15, v0
	s_mul_i32 s0, s2, s4
	s_ashr_i32 s1, s0, 31
	s_lshl_b64 s[0:1], s[0:1], 2
	v_cndmask_b32_e32 v1, 0, v0, vcc
	s_add_u32 s0, s0, s10
	v_lshlrev_b32_e32 v2, 2, v1
	s_addc_u32 s1, s1, s11
	v_lshl_add_u64 v[4:5], s[0:1], 0, v[2:3]
	s_ashr_i32 s0, s15, 31
	s_lshr_b32 s0, s0, 22
	s_add_i32 s0, s15, s0
	s_and_b32 s0, s0, 0xfffffc00
	v_cmp_gt_i32_e32 vcc, s0, v0
	s_and_saveexec_b64 s[4:5], vcc
	s_cbranch_execz .LBB224_18
; %bb.15:
	v_mul_lo_u32 v6, v0, s14
	s_lshl_b32 s1, s14, 10
	s_mov_b64 s[10:11], 0
	v_mov_b32_e32 v3, 0
	s_mov_b64 s[12:13], 0x1000
	v_mov_b64_e32 v[8:9], v[4:5]
	v_mov_b32_e32 v1, v0
.LBB224_16:                             ; =>This Inner Loop Header: Depth=1
	v_ashrrev_i32_e32 v7, 31, v6
	v_lshl_add_u64 v[10:11], v[6:7], 2, s[8:9]
	flat_load_dword v2, v[8:9]
	flat_load_dword v7, v[10:11]
	v_add_u32_e32 v1, 0x400, v1
	v_cmp_le_i32_e32 vcc, s0, v1
	v_lshl_add_u64 v[8:9], v[8:9], 0, s[12:13]
	v_add_u32_e32 v6, s1, v6
	s_or_b64 s[10:11], vcc, s[10:11]
	s_waitcnt vmcnt(0) lgkmcnt(0)
	v_fmac_f32_e32 v3, v2, v7
	s_andn2_b64 exec, exec, s[10:11]
	s_cbranch_execnz .LBB224_16
; %bb.17:
	s_or_b64 exec, exec, s[10:11]
.LBB224_18:
	s_or_b64 exec, exec, s[4:5]
	v_or_b32_e32 v1, s0, v0
	v_cmp_gt_i32_e32 vcc, s15, v1
	s_and_saveexec_b64 s[4:5], vcc
	s_cbranch_execz .LBB224_20
; %bb.19:
	s_ashr_i32 s1, s0, 31
	v_lshl_add_u64 v[4:5], s[0:1], 2, v[4:5]
	flat_load_dword v2, v[4:5]
	v_mul_lo_u32 v4, v1, s14
	v_ashrrev_i32_e32 v5, 31, v4
	v_lshl_add_u64 v[4:5], v[4:5], 2, s[8:9]
	flat_load_dword v1, v[4:5]
	s_waitcnt vmcnt(0) lgkmcnt(0)
	v_fmac_f32_e32 v3, v2, v1
.LBB224_20:
	s_or_b64 exec, exec, s[4:5]
	v_and_b32_e32 v2, 63, v0
	v_cmp_gt_u32_e32 vcc, 64, v0
	v_lshlrev_b32_e32 v1, 2, v2
	s_and_saveexec_b64 s[0:1], vcc
	s_cbranch_execz .LBB224_22
; %bb.21:
	v_mov_b32_e32 v4, 0
	ds_write_b32 v1, v4
.LBB224_22:
	s_or_b64 exec, exec, s[0:1]
	v_mbcnt_lo_u32_b32 v4, -1, 0
	v_mbcnt_hi_u32_b32 v6, -1, v4
	v_and_b32_e32 v7, 63, v6
	v_cmp_gt_u32_e64 s[0:1], 32, v7
	s_waitcnt lgkmcnt(0)
	s_barrier
	v_cndmask_b32_e64 v4, 0, 1, s[0:1]
	v_lshlrev_b32_e32 v4, 5, v4
	v_add_lshl_u32 v4, v4, v6, 2
	ds_bpermute_b32 v4, v4, v3
	v_cmp_gt_u32_e64 s[0:1], 48, v7
	s_waitcnt lgkmcnt(0)
	v_add_f32_e32 v3, v3, v4
	v_cndmask_b32_e64 v5, 0, 1, s[0:1]
	v_lshlrev_b32_e32 v5, 4, v5
	v_add_lshl_u32 v4, v5, v6, 2
	ds_bpermute_b32 v4, v4, v3
	v_cmp_gt_u32_e64 s[0:1], 56, v7
	s_waitcnt lgkmcnt(0)
	v_add_f32_e32 v4, v3, v4
	;; [unrolled: 7-line block ×4, first 2 shown]
	v_cndmask_b32_e64 v9, 0, 1, s[0:1]
	v_lshlrev_b32_e32 v9, 1, v9
	v_add_lshl_u32 v5, v9, v6, 2
	ds_bpermute_b32 v9, v5, v8
	v_cmp_ne_u32_e64 s[0:1], 63, v7
	s_waitcnt lgkmcnt(0)
	v_add_f32_e32 v7, v8, v9
	v_addc_co_u32_e64 v6, s[0:1], 0, v6, s[0:1]
	v_lshlrev_b32_e32 v6, 2, v6
	ds_bpermute_b32 v8, v6, v7
	v_cmp_eq_u32_e64 s[0:1], 0, v2
	s_and_saveexec_b64 s[4:5], s[0:1]
	s_cbranch_execz .LBB224_24
; %bb.23:
	v_lshrrev_b32_e32 v2, 4, v0
	v_and_b32_e32 v2, 60, v2
	s_waitcnt lgkmcnt(0)
	v_add_f32_e32 v7, v7, v8
	ds_write_b32 v2, v7
.LBB224_24:
	s_or_b64 exec, exec, s[4:5]
	v_cmp_gt_u32_e64 s[0:1], 16, v0
	v_mov_b32_e32 v2, 0
	s_waitcnt lgkmcnt(0)
	s_barrier
	s_and_saveexec_b64 s[4:5], s[0:1]
	s_cbranch_execz .LBB224_26
; %bb.25:
	ds_read_b32 v2, v1
	s_or_b64 exec, exec, s[4:5]
	s_and_saveexec_b64 s[0:1], vcc
	s_cbranch_execz .LBB224_28
	s_branch .LBB224_27
.LBB224_26:
	s_or_b64 exec, exec, s[4:5]
	s_and_saveexec_b64 s[0:1], vcc
	s_cbranch_execz .LBB224_28
.LBB224_27:
	s_waitcnt lgkmcnt(0)
	ds_bpermute_b32 v1, v3, v2
	s_waitcnt lgkmcnt(0)
	v_add_f32_e32 v1, v2, v1
	ds_bpermute_b32 v2, v4, v1
	s_waitcnt lgkmcnt(0)
	v_add_f32_e32 v1, v1, v2
	;; [unrolled: 3-line block ×4, first 2 shown]
.LBB224_28:
	s_or_b64 exec, exec, s[0:1]
	v_cmp_eq_u32_e32 vcc, 0, v0
                                        ; implicit-def: $vgpr1
                                        ; implicit-def: $sgpr12_sgpr13
	s_and_saveexec_b64 s[0:1], vcc
	s_cbranch_execz .LBB224_32
; %bb.29:
	v_cmp_eq_f32_e64 s[4:5], s3, 0
	s_mul_i32 s12, s2, s21
	s_waitcnt lgkmcnt(0)
	v_mul_f32_e32 v1, s18, v2
	s_ashr_i32 s13, s12, 31
	s_and_b64 vcc, exec, s[4:5]
	s_cbranch_vccnz .LBB224_31
; %bb.30:
	s_lshl_b64 s[4:5], s[12:13], 2
	s_add_u32 s4, s19, s4
	s_addc_u32 s5, s20, s5
	s_load_dword s2, s[4:5], 0x0
	v_mov_b32_e32 v0, s3
	s_waitcnt lgkmcnt(0)
	v_fmac_f32_e32 v1, s2, v0
.LBB224_31:
	s_or_b64 s[6:7], s[6:7], exec
.LBB224_32:
	s_or_b64 exec, exec, s[0:1]
.LBB224_33:
	s_and_saveexec_b64 s[0:1], s[6:7]
	s_cbranch_execz .LBB224_35
; %bb.34:
	s_lshl_b64 s[0:1], s[12:13], 2
	s_add_u32 s0, s19, s0
	s_addc_u32 s1, s20, s1
	v_mov_b32_e32 v0, 0
	global_store_dword v0, v1, s[0:1]
.LBB224_35:
	s_endpgm
	.section	.rodata,"a",@progbits
	.p2align	6, 0x0
	.amdhsa_kernel _ZL32rocblas_gemvt_warp_reduce_kernelILb0ELi1024EiPKffKPfEviiT3_lPKT2_lT1_lS7_lS8_lS4_lPT4_lS8_li
		.amdhsa_group_segment_fixed_size 256
		.amdhsa_private_segment_fixed_size 0
		.amdhsa_kernarg_size 140
		.amdhsa_user_sgpr_count 2
		.amdhsa_user_sgpr_dispatch_ptr 0
		.amdhsa_user_sgpr_queue_ptr 0
		.amdhsa_user_sgpr_kernarg_segment_ptr 1
		.amdhsa_user_sgpr_dispatch_id 0
		.amdhsa_user_sgpr_kernarg_preload_length 0
		.amdhsa_user_sgpr_kernarg_preload_offset 0
		.amdhsa_user_sgpr_private_segment_size 0
		.amdhsa_uses_dynamic_stack 0
		.amdhsa_enable_private_segment 0
		.amdhsa_system_sgpr_workgroup_id_x 1
		.amdhsa_system_sgpr_workgroup_id_y 0
		.amdhsa_system_sgpr_workgroup_id_z 1
		.amdhsa_system_sgpr_workgroup_info 0
		.amdhsa_system_vgpr_workitem_id 0
		.amdhsa_next_free_vgpr 12
		.amdhsa_next_free_sgpr 28
		.amdhsa_accum_offset 12
		.amdhsa_reserve_vcc 1
		.amdhsa_float_round_mode_32 0
		.amdhsa_float_round_mode_16_64 0
		.amdhsa_float_denorm_mode_32 3
		.amdhsa_float_denorm_mode_16_64 3
		.amdhsa_dx10_clamp 1
		.amdhsa_ieee_mode 1
		.amdhsa_fp16_overflow 0
		.amdhsa_tg_split 0
		.amdhsa_exception_fp_ieee_invalid_op 0
		.amdhsa_exception_fp_denorm_src 0
		.amdhsa_exception_fp_ieee_div_zero 0
		.amdhsa_exception_fp_ieee_overflow 0
		.amdhsa_exception_fp_ieee_underflow 0
		.amdhsa_exception_fp_ieee_inexact 0
		.amdhsa_exception_int_div_zero 0
	.end_amdhsa_kernel
	.section	.text._ZL32rocblas_gemvt_warp_reduce_kernelILb0ELi1024EiPKffKPfEviiT3_lPKT2_lT1_lS7_lS8_lS4_lPT4_lS8_li,"axG",@progbits,_ZL32rocblas_gemvt_warp_reduce_kernelILb0ELi1024EiPKffKPfEviiT3_lPKT2_lT1_lS7_lS8_lS4_lPT4_lS8_li,comdat
.Lfunc_end224:
	.size	_ZL32rocblas_gemvt_warp_reduce_kernelILb0ELi1024EiPKffKPfEviiT3_lPKT2_lT1_lS7_lS8_lS4_lPT4_lS8_li, .Lfunc_end224-_ZL32rocblas_gemvt_warp_reduce_kernelILb0ELi1024EiPKffKPfEviiT3_lPKT2_lT1_lS7_lS8_lS4_lPT4_lS8_li
                                        ; -- End function
	.section	.AMDGPU.csdata,"",@progbits
; Kernel info:
; codeLenInByte = 1288
; NumSgprs: 34
; NumVgprs: 12
; NumAgprs: 0
; TotalNumVgprs: 12
; ScratchSize: 0
; MemoryBound: 0
; FloatMode: 240
; IeeeMode: 1
; LDSByteSize: 256 bytes/workgroup (compile time only)
; SGPRBlocks: 4
; VGPRBlocks: 1
; NumSGPRsForWavesPerEU: 34
; NumVGPRsForWavesPerEU: 12
; AccumOffset: 12
; Occupancy: 8
; WaveLimiterHint : 1
; COMPUTE_PGM_RSRC2:SCRATCH_EN: 0
; COMPUTE_PGM_RSRC2:USER_SGPR: 2
; COMPUTE_PGM_RSRC2:TRAP_HANDLER: 0
; COMPUTE_PGM_RSRC2:TGID_X_EN: 1
; COMPUTE_PGM_RSRC2:TGID_Y_EN: 0
; COMPUTE_PGM_RSRC2:TGID_Z_EN: 1
; COMPUTE_PGM_RSRC2:TIDIG_COMP_CNT: 0
; COMPUTE_PGM_RSRC3_GFX90A:ACCUM_OFFSET: 2
; COMPUTE_PGM_RSRC3_GFX90A:TG_SPLIT: 0
	.section	.text._ZL32rocblas_gemvt_warp_reduce_kernelILb0ELi1024ElPKffKPfEviiT3_lPKT2_lT1_lS7_lS8_lS4_lPT4_lS8_li,"axG",@progbits,_ZL32rocblas_gemvt_warp_reduce_kernelILb0ELi1024ElPKffKPfEviiT3_lPKT2_lT1_lS7_lS8_lS4_lPT4_lS8_li,comdat
	.globl	_ZL32rocblas_gemvt_warp_reduce_kernelILb0ELi1024ElPKffKPfEviiT3_lPKT2_lT1_lS7_lS8_lS4_lPT4_lS8_li ; -- Begin function _ZL32rocblas_gemvt_warp_reduce_kernelILb0ELi1024ElPKffKPfEviiT3_lPKT2_lT1_lS7_lS8_lS4_lPT4_lS8_li
	.p2align	8
	.type	_ZL32rocblas_gemvt_warp_reduce_kernelILb0ELi1024ElPKffKPfEviiT3_lPKT2_lT1_lS7_lS8_lS4_lPT4_lS8_li,@function
_ZL32rocblas_gemvt_warp_reduce_kernelILb0ELi1024ElPKffKPfEviiT3_lPKT2_lT1_lS7_lS8_lS4_lPT4_lS8_li: ; @_ZL32rocblas_gemvt_warp_reduce_kernelILb0ELi1024ElPKffKPfEviiT3_lPKT2_lT1_lS7_lS8_lS4_lPT4_lS8_li
; %bb.0:
	s_mov_b32 s20, s3
	s_load_dword s24, s[0:1], 0x8
	s_load_dword s3, s[0:1], 0x58
	s_waitcnt lgkmcnt(0)
	v_cmp_eq_f32_e64 s[18:19], s24, 0
	v_cmp_eq_f32_e64 s[4:5], s3, 1.0
	s_and_b64 s[4:5], s[18:19], s[4:5]
	s_and_b64 vcc, exec, s[4:5]
	s_cbranch_vccnz .LBB225_35
; %bb.1:
	s_load_dwordx4 s[4:7], s[0:1], 0x18
	s_load_dwordx2 s[14:15], s[0:1], 0x28
	v_cmp_neq_f32_e64 s[12:13], s24, 0
	s_mov_b32 s21, 0
	s_and_b64 vcc, exec, s[12:13]
	s_cbranch_vccnz .LBB225_3
; %bb.2:
	s_mov_b64 s[16:17], 0
	s_cbranch_execz .LBB225_4
	s_branch .LBB225_5
.LBB225_3:
                                        ; implicit-def: $sgpr16_sgpr17
.LBB225_4:
	s_lshl_b64 s[8:9], s[20:21], 3
	s_waitcnt lgkmcnt(0)
	s_add_u32 s4, s4, s8
	s_addc_u32 s5, s5, s9
	s_load_dwordx2 s[4:5], s[4:5], 0x0
	s_lshl_b64 s[6:7], s[6:7], 2
	s_waitcnt lgkmcnt(0)
	s_add_u32 s16, s4, s6
	s_addc_u32 s17, s5, s7
.LBB225_5:
	s_waitcnt lgkmcnt(0)
	s_load_dwordx4 s[4:7], s[0:1], 0x38
	s_load_dwordx2 s[10:11], s[0:1], 0x48
	s_mov_b64 s[8:9], 0
	s_andn2_b64 vcc, exec, s[12:13]
	s_mov_b64 s[12:13], 0
	s_cbranch_vccnz .LBB225_7
; %bb.6:
	s_lshl_b64 s[12:13], s[20:21], 3
	s_waitcnt lgkmcnt(0)
	s_add_u32 s4, s4, s12
	s_addc_u32 s5, s5, s13
	s_load_dwordx2 s[4:5], s[4:5], 0x0
	s_lshl_b64 s[6:7], s[6:7], 2
	s_waitcnt lgkmcnt(0)
	s_add_u32 s12, s4, s6
	s_addc_u32 s13, s5, s7
.LBB225_7:
	s_load_dwordx4 s[28:31], s[0:1], 0x68
	s_waitcnt lgkmcnt(0)
	s_load_dwordx2 s[6:7], s[0:1], 0x78
	s_lshl_b64 s[4:5], s[20:21], 3
	s_add_u32 s4, s28, s4
	s_addc_u32 s5, s29, s5
	s_load_dwordx2 s[4:5], s[4:5], 0x0
	s_lshl_b64 s[20:21], s[30:31], 2
	s_waitcnt lgkmcnt(0)
	s_add_u32 s25, s4, s20
	s_addc_u32 s26, s5, s21
	s_andn2_b64 vcc, exec, s[18:19]
	v_cmp_eq_u32_e64 s[4:5], 0, v0
	s_cbranch_vccnz .LBB225_12
; %bb.8:
	s_mov_b64 s[20:21], 0
                                        ; implicit-def: $vgpr1
                                        ; implicit-def: $sgpr18_sgpr19
	s_and_saveexec_b64 s[22:23], s[4:5]
	s_cbranch_execz .LBB225_13
; %bb.9:
	s_ashr_i32 s8, s2, 31
	s_mul_i32 s9, s2, s7
	s_mul_hi_u32 s18, s2, s6
	v_cmp_eq_f32_e64 s[4:5], s3, 0
	s_add_i32 s9, s18, s9
	s_mul_i32 s8, s8, s6
	v_mov_b32_e32 v1, 0
	s_add_i32 s19, s9, s8
	s_mul_i32 s18, s2, s6
	s_and_b64 vcc, exec, s[4:5]
	s_cbranch_vccnz .LBB225_11
; %bb.10:
	s_lshl_b64 s[4:5], s[18:19], 2
	s_add_u32 s4, s25, s4
	s_addc_u32 s5, s26, s5
	s_load_dword s4, s[4:5], 0x0
	v_mov_b32_e32 v1, s3
	s_waitcnt lgkmcnt(0)
	v_mul_f32_e32 v1, s4, v1
.LBB225_11:
	s_mov_b64 s[8:9], exec
	s_or_b64 exec, exec, s[22:23]
	s_and_b64 vcc, exec, s[20:21]
	s_cbranch_vccnz .LBB225_14
	s_branch .LBB225_33
.LBB225_12:
                                        ; implicit-def: $vgpr1
                                        ; implicit-def: $sgpr18_sgpr19
	s_cbranch_execnz .LBB225_14
	s_branch .LBB225_33
.LBB225_13:
	s_or_b64 exec, exec, s[22:23]
	s_and_b64 vcc, exec, s[20:21]
	s_cbranch_vccz .LBB225_33
.LBB225_14:
	s_load_dword s1, s[0:1], 0x0
	s_ashr_i32 s20, s2, 31
	s_mul_i32 s0, s2, s15
	s_mul_hi_u32 s4, s2, s14
	s_add_i32 s0, s4, s0
	s_mul_i32 s4, s20, s14
	s_add_i32 s5, s0, s4
	s_mul_i32 s4, s2, s14
	s_lshl_b64 s[4:5], s[4:5], 2
	s_add_u32 s4, s4, s16
	s_addc_u32 s5, s5, s17
	s_waitcnt lgkmcnt(0)
	s_ashr_i32 s0, s1, 31
	v_cmp_gt_i32_e32 vcc, s1, v0
	s_lshr_b32 s0, s0, 22
	s_add_i32 s0, s1, s0
	v_cndmask_b32_e32 v1, 0, v0, vcc
	v_mov_b32_e32 v3, 0
	v_lshlrev_b32_e32 v2, 2, v1
	s_and_b32 s0, s0, 0xfffffc00
	v_lshl_add_u64 v[4:5], s[4:5], 0, v[2:3]
	v_cmp_gt_i32_e32 vcc, s0, v0
	s_and_saveexec_b64 s[4:5], vcc
	s_cbranch_execz .LBB225_18
; %bb.15:
	v_mad_u64_u32 v[2:3], s[14:15], s10, v0, 0
	v_mov_b32_e32 v6, v3
	v_mad_u64_u32 v[6:7], s[14:15], s11, v0, v[6:7]
	v_mov_b32_e32 v3, v6
	v_lshl_add_u64 v[6:7], v[2:3], 2, s[12:13]
	s_lshl_b64 s[16:17], s[10:11], 12
	s_mov_b64 s[14:15], 0
	v_mov_b32_e32 v3, 0
	s_mov_b64 s[18:19], 0x1000
	v_mov_b64_e32 v[8:9], v[4:5]
	v_mov_b32_e32 v1, v0
.LBB225_16:                             ; =>This Inner Loop Header: Depth=1
	flat_load_dword v2, v[8:9]
	flat_load_dword v10, v[6:7]
	v_add_u32_e32 v1, 0x400, v1
	v_cmp_le_i32_e32 vcc, s0, v1
	v_lshl_add_u64 v[8:9], v[8:9], 0, s[18:19]
	v_lshl_add_u64 v[6:7], v[6:7], 0, s[16:17]
	s_or_b64 s[14:15], vcc, s[14:15]
	s_waitcnt vmcnt(0) lgkmcnt(0)
	v_fmac_f32_e32 v3, v2, v10
	s_andn2_b64 exec, exec, s[14:15]
	s_cbranch_execnz .LBB225_16
; %bb.17:
	s_or_b64 exec, exec, s[14:15]
.LBB225_18:
	s_or_b64 exec, exec, s[4:5]
	v_or_b32_e32 v1, s0, v0
	v_cmp_gt_i32_e32 vcc, s1, v1
	s_and_saveexec_b64 s[4:5], vcc
	s_cbranch_execz .LBB225_20
; %bb.19:
	s_ashr_i32 s1, s0, 31
	v_lshl_add_u64 v[4:5], s[0:1], 2, v[4:5]
	flat_load_dword v2, v[4:5]
	v_ashrrev_i32_e32 v4, 31, v1
	v_mul_lo_u32 v6, v1, s11
	v_mul_lo_u32 v7, v4, s10
	v_mad_u64_u32 v[4:5], s[0:1], v1, s10, 0
	v_add3_u32 v5, v5, v6, v7
	v_lshl_add_u64 v[4:5], v[4:5], 2, s[12:13]
	flat_load_dword v1, v[4:5]
	s_waitcnt vmcnt(0) lgkmcnt(0)
	v_fmac_f32_e32 v3, v2, v1
.LBB225_20:
	s_or_b64 exec, exec, s[4:5]
	v_and_b32_e32 v2, 63, v0
	v_cmp_gt_u32_e32 vcc, 64, v0
	v_lshlrev_b32_e32 v1, 2, v2
	s_and_saveexec_b64 s[0:1], vcc
	s_cbranch_execz .LBB225_22
; %bb.21:
	v_mov_b32_e32 v4, 0
	ds_write_b32 v1, v4
.LBB225_22:
	s_or_b64 exec, exec, s[0:1]
	v_mbcnt_lo_u32_b32 v4, -1, 0
	v_mbcnt_hi_u32_b32 v6, -1, v4
	v_and_b32_e32 v7, 63, v6
	v_cmp_gt_u32_e64 s[0:1], 32, v7
	s_waitcnt lgkmcnt(0)
	s_barrier
	v_cndmask_b32_e64 v4, 0, 1, s[0:1]
	v_lshlrev_b32_e32 v4, 5, v4
	v_add_lshl_u32 v4, v4, v6, 2
	ds_bpermute_b32 v4, v4, v3
	v_cmp_gt_u32_e64 s[0:1], 48, v7
	s_waitcnt lgkmcnt(0)
	v_add_f32_e32 v3, v3, v4
	v_cndmask_b32_e64 v5, 0, 1, s[0:1]
	v_lshlrev_b32_e32 v5, 4, v5
	v_add_lshl_u32 v4, v5, v6, 2
	ds_bpermute_b32 v4, v4, v3
	v_cmp_gt_u32_e64 s[0:1], 56, v7
	s_waitcnt lgkmcnt(0)
	v_add_f32_e32 v4, v3, v4
	;; [unrolled: 7-line block ×4, first 2 shown]
	v_cndmask_b32_e64 v9, 0, 1, s[0:1]
	v_lshlrev_b32_e32 v9, 1, v9
	v_add_lshl_u32 v5, v9, v6, 2
	ds_bpermute_b32 v9, v5, v8
	v_cmp_ne_u32_e64 s[0:1], 63, v7
	s_waitcnt lgkmcnt(0)
	v_add_f32_e32 v7, v8, v9
	v_addc_co_u32_e64 v6, s[0:1], 0, v6, s[0:1]
	v_lshlrev_b32_e32 v6, 2, v6
	ds_bpermute_b32 v8, v6, v7
	v_cmp_eq_u32_e64 s[0:1], 0, v2
	s_and_saveexec_b64 s[4:5], s[0:1]
	s_cbranch_execz .LBB225_24
; %bb.23:
	v_lshrrev_b32_e32 v2, 4, v0
	v_and_b32_e32 v2, 60, v2
	s_waitcnt lgkmcnt(0)
	v_add_f32_e32 v7, v7, v8
	ds_write_b32 v2, v7
.LBB225_24:
	s_or_b64 exec, exec, s[4:5]
	v_cmp_gt_u32_e64 s[0:1], 16, v0
	v_mov_b32_e32 v2, 0
	s_waitcnt lgkmcnt(0)
	s_barrier
	s_and_saveexec_b64 s[4:5], s[0:1]
	s_cbranch_execz .LBB225_26
; %bb.25:
	ds_read_b32 v2, v1
	s_or_b64 exec, exec, s[4:5]
	s_and_saveexec_b64 s[0:1], vcc
	s_cbranch_execz .LBB225_28
	s_branch .LBB225_27
.LBB225_26:
	s_or_b64 exec, exec, s[4:5]
	s_and_saveexec_b64 s[0:1], vcc
	s_cbranch_execz .LBB225_28
.LBB225_27:
	s_waitcnt lgkmcnt(0)
	ds_bpermute_b32 v1, v3, v2
	s_waitcnt lgkmcnt(0)
	v_add_f32_e32 v1, v2, v1
	ds_bpermute_b32 v2, v4, v1
	s_waitcnt lgkmcnt(0)
	v_add_f32_e32 v1, v1, v2
	;; [unrolled: 3-line block ×4, first 2 shown]
.LBB225_28:
	s_or_b64 exec, exec, s[0:1]
	v_cmp_eq_u32_e32 vcc, 0, v0
                                        ; implicit-def: $vgpr1
                                        ; implicit-def: $sgpr18_sgpr19
	s_and_saveexec_b64 s[0:1], vcc
	s_cbranch_execz .LBB225_32
; %bb.29:
	s_mul_i32 s7, s2, s7
	s_mul_hi_u32 s10, s2, s6
	v_cmp_eq_f32_e64 s[4:5], s3, 0
	s_add_i32 s7, s10, s7
	s_mul_i32 s10, s20, s6
	s_waitcnt lgkmcnt(0)
	v_mul_f32_e32 v1, s24, v2
	s_add_i32 s19, s7, s10
	s_mul_i32 s18, s2, s6
	s_and_b64 vcc, exec, s[4:5]
	s_cbranch_vccnz .LBB225_31
; %bb.30:
	s_lshl_b64 s[4:5], s[18:19], 2
	s_add_u32 s4, s25, s4
	s_addc_u32 s5, s26, s5
	s_load_dword s2, s[4:5], 0x0
	v_mov_b32_e32 v0, s3
	s_waitcnt lgkmcnt(0)
	v_fmac_f32_e32 v1, s2, v0
.LBB225_31:
	s_or_b64 s[8:9], s[8:9], exec
.LBB225_32:
	s_or_b64 exec, exec, s[0:1]
.LBB225_33:
	s_and_saveexec_b64 s[0:1], s[8:9]
	s_cbranch_execz .LBB225_35
; %bb.34:
	s_lshl_b64 s[0:1], s[18:19], 2
	s_add_u32 s0, s25, s0
	s_addc_u32 s1, s26, s1
	v_mov_b32_e32 v0, 0
	global_store_dword v0, v1, s[0:1]
.LBB225_35:
	s_endpgm
	.section	.rodata,"a",@progbits
	.p2align	6, 0x0
	.amdhsa_kernel _ZL32rocblas_gemvt_warp_reduce_kernelILb0ELi1024ElPKffKPfEviiT3_lPKT2_lT1_lS7_lS8_lS4_lPT4_lS8_li
		.amdhsa_group_segment_fixed_size 256
		.amdhsa_private_segment_fixed_size 0
		.amdhsa_kernarg_size 140
		.amdhsa_user_sgpr_count 2
		.amdhsa_user_sgpr_dispatch_ptr 0
		.amdhsa_user_sgpr_queue_ptr 0
		.amdhsa_user_sgpr_kernarg_segment_ptr 1
		.amdhsa_user_sgpr_dispatch_id 0
		.amdhsa_user_sgpr_kernarg_preload_length 0
		.amdhsa_user_sgpr_kernarg_preload_offset 0
		.amdhsa_user_sgpr_private_segment_size 0
		.amdhsa_uses_dynamic_stack 0
		.amdhsa_enable_private_segment 0
		.amdhsa_system_sgpr_workgroup_id_x 1
		.amdhsa_system_sgpr_workgroup_id_y 0
		.amdhsa_system_sgpr_workgroup_id_z 1
		.amdhsa_system_sgpr_workgroup_info 0
		.amdhsa_system_vgpr_workitem_id 0
		.amdhsa_next_free_vgpr 11
		.amdhsa_next_free_sgpr 32
		.amdhsa_accum_offset 12
		.amdhsa_reserve_vcc 1
		.amdhsa_float_round_mode_32 0
		.amdhsa_float_round_mode_16_64 0
		.amdhsa_float_denorm_mode_32 3
		.amdhsa_float_denorm_mode_16_64 3
		.amdhsa_dx10_clamp 1
		.amdhsa_ieee_mode 1
		.amdhsa_fp16_overflow 0
		.amdhsa_tg_split 0
		.amdhsa_exception_fp_ieee_invalid_op 0
		.amdhsa_exception_fp_denorm_src 0
		.amdhsa_exception_fp_ieee_div_zero 0
		.amdhsa_exception_fp_ieee_overflow 0
		.amdhsa_exception_fp_ieee_underflow 0
		.amdhsa_exception_fp_ieee_inexact 0
		.amdhsa_exception_int_div_zero 0
	.end_amdhsa_kernel
	.section	.text._ZL32rocblas_gemvt_warp_reduce_kernelILb0ELi1024ElPKffKPfEviiT3_lPKT2_lT1_lS7_lS8_lS4_lPT4_lS8_li,"axG",@progbits,_ZL32rocblas_gemvt_warp_reduce_kernelILb0ELi1024ElPKffKPfEviiT3_lPKT2_lT1_lS7_lS8_lS4_lPT4_lS8_li,comdat
.Lfunc_end225:
	.size	_ZL32rocblas_gemvt_warp_reduce_kernelILb0ELi1024ElPKffKPfEviiT3_lPKT2_lT1_lS7_lS8_lS4_lPT4_lS8_li, .Lfunc_end225-_ZL32rocblas_gemvt_warp_reduce_kernelILb0ELi1024ElPKffKPfEviiT3_lPKT2_lT1_lS7_lS8_lS4_lPT4_lS8_li
                                        ; -- End function
	.section	.AMDGPU.csdata,"",@progbits
; Kernel info:
; codeLenInByte = 1388
; NumSgprs: 38
; NumVgprs: 11
; NumAgprs: 0
; TotalNumVgprs: 11
; ScratchSize: 0
; MemoryBound: 0
; FloatMode: 240
; IeeeMode: 1
; LDSByteSize: 256 bytes/workgroup (compile time only)
; SGPRBlocks: 4
; VGPRBlocks: 1
; NumSGPRsForWavesPerEU: 38
; NumVGPRsForWavesPerEU: 11
; AccumOffset: 12
; Occupancy: 8
; WaveLimiterHint : 1
; COMPUTE_PGM_RSRC2:SCRATCH_EN: 0
; COMPUTE_PGM_RSRC2:USER_SGPR: 2
; COMPUTE_PGM_RSRC2:TRAP_HANDLER: 0
; COMPUTE_PGM_RSRC2:TGID_X_EN: 1
; COMPUTE_PGM_RSRC2:TGID_Y_EN: 0
; COMPUTE_PGM_RSRC2:TGID_Z_EN: 1
; COMPUTE_PGM_RSRC2:TIDIG_COMP_CNT: 0
; COMPUTE_PGM_RSRC3_GFX90A:ACCUM_OFFSET: 2
; COMPUTE_PGM_RSRC3_GFX90A:TG_SPLIT: 0
	.section	.text._ZL22rocblas_gemvtsm_kernelILb1ELi256EPKfS1_KPfEviiT2_lPKT1_lilS7_lilS4_lPT3_lil,"axG",@progbits,_ZL22rocblas_gemvtsm_kernelILb1ELi256EPKfS1_KPfEviiT2_lPKT1_lilS7_lilS4_lPT3_lil,comdat
	.globl	_ZL22rocblas_gemvtsm_kernelILb1ELi256EPKfS1_KPfEviiT2_lPKT1_lilS7_lilS4_lPT3_lil ; -- Begin function _ZL22rocblas_gemvtsm_kernelILb1ELi256EPKfS1_KPfEviiT2_lPKT1_lilS7_lilS4_lPT3_lil
	.p2align	8
	.type	_ZL22rocblas_gemvtsm_kernelILb1ELi256EPKfS1_KPfEviiT2_lPKT1_lilS7_lilS4_lPT3_lil,@function
_ZL22rocblas_gemvtsm_kernelILb1ELi256EPKfS1_KPfEviiT2_lPKT1_lilS7_lilS4_lPT3_lil: ; @_ZL22rocblas_gemvtsm_kernelILb1ELi256EPKfS1_KPfEviiT2_lPKT1_lilS7_lilS4_lPT3_lil
; %bb.0:
	s_load_dwordx8 s[12:19], s[0:1], 0x8
	s_load_dwordx8 s[4:11], s[0:1], 0x58
	s_waitcnt lgkmcnt(0)
	s_mul_i32 s3, s2, s15
	s_mul_hi_u32 s15, s2, s14
	s_add_i32 s15, s15, s3
	s_mul_i32 s14, s2, s14
	s_lshl_b64 s[14:15], s[14:15], 2
	s_add_u32 s12, s12, s14
	s_mul_i32 s3, s2, s7
	s_mul_hi_u32 s7, s2, s6
	s_addc_u32 s13, s13, s15
	s_add_i32 s7, s7, s3
	s_mul_i32 s6, s2, s6
	s_lshl_b64 s[6:7], s[6:7], 2
	s_add_u32 s4, s4, s6
	s_addc_u32 s5, s5, s7
	s_load_dword s23, s[12:13], 0x0
	s_load_dword s22, s[4:5], 0x0
	s_waitcnt lgkmcnt(0)
	v_cmp_eq_f32_e64 s[20:21], s23, 0
	v_cmp_eq_f32_e64 s[4:5], s22, 1.0
	s_and_b64 s[4:5], s[20:21], s[4:5]
	s_and_b64 vcc, exec, s[4:5]
	s_cbranch_vccnz .LBB226_38
; %bb.1:
	s_mov_b32 s3, 0
	v_cmp_neq_f32_e64 s[12:13], s23, 0
	s_mov_b64 s[6:7], 0
	s_and_b64 vcc, exec, s[20:21]
	s_mov_b64 s[4:5], 0
	s_cbranch_vccnz .LBB226_3
; %bb.2:
	s_lshl_b64 s[4:5], s[2:3], 3
	s_add_u32 s4, s16, s4
	s_addc_u32 s5, s17, s5
	s_load_dwordx2 s[4:5], s[4:5], 0x0
	s_lshl_b64 s[14:15], s[18:19], 2
	s_waitcnt lgkmcnt(0)
	s_add_u32 s4, s4, s14
	s_addc_u32 s5, s5, s15
.LBB226_3:
	s_andn2_b64 vcc, exec, s[12:13]
	s_cbranch_vccnz .LBB226_5
; %bb.4:
	s_load_dwordx4 s[12:15], s[0:1], 0x38
	s_lshl_b64 s[6:7], s[2:3], 3
	s_waitcnt lgkmcnt(0)
	s_add_u32 s6, s12, s6
	s_addc_u32 s7, s13, s7
	s_load_dwordx2 s[6:7], s[6:7], 0x0
	s_lshl_b64 s[12:13], s[14:15], 2
	s_waitcnt lgkmcnt(0)
	s_add_u32 s6, s6, s12
	s_addc_u32 s7, s7, s13
.LBB226_5:
	s_lshl_b64 s[2:3], s[2:3], 3
	s_add_u32 s2, s8, s2
	s_addc_u32 s3, s9, s3
	s_load_dwordx2 s[12:13], s[0:1], 0x0
	s_load_dword s14, s[0:1], 0x78
	s_load_dwordx2 s[8:9], s[2:3], 0x0
	s_andn2_b64 vcc, exec, s[20:21]
	s_mov_b64 s[2:3], -1
	s_cbranch_vccnz .LBB226_20
; %bb.6:
	s_waitcnt lgkmcnt(0)
	s_cmp_gt_i32 s13, 0
	s_cselect_b64 s[16:17], -1, 0
	v_cmp_neq_f32_e64 s[2:3], s22, 0
	v_cndmask_b32_e64 v1, 0, 1, s[16:17]
	s_and_b64 vcc, exec, s[2:3]
	v_cmp_ne_u32_e64 s[2:3], 1, v1
	s_cbranch_vccnz .LBB226_13
; %bb.7:
	s_and_b64 vcc, exec, s[2:3]
	s_cbranch_vccnz .LBB226_12
; %bb.8:
	v_mad_i64_i32 v[2:3], s[16:17], s14, v0, 0
	s_ashr_i32 s15, s14, 31
	s_lshl_b64 s[16:17], s[10:11], 2
	s_add_u32 s16, s8, s16
	s_addc_u32 s17, s9, s17
	v_lshl_add_u64 v[2:3], v[2:3], 2, s[16:17]
	s_lshl_b64 s[16:17], s[14:15], 10
	s_mov_b32 s15, 0
	v_mov_b32_e32 v1, 0
	s_branch .LBB226_10
.LBB226_9:                              ;   in Loop: Header=BB226_10 Depth=1
	s_or_b64 exec, exec, s[18:19]
	s_addk_i32 s15, 0x100
	s_cmp_ge_i32 s15, s13
	v_lshl_add_u64 v[2:3], v[2:3], 0, s[16:17]
	s_cbranch_scc1 .LBB226_12
.LBB226_10:                             ; =>This Inner Loop Header: Depth=1
	v_add_u32_e32 v4, s15, v0
	v_cmp_gt_i32_e32 vcc, s13, v4
	s_and_saveexec_b64 s[18:19], vcc
	s_cbranch_execz .LBB226_9
; %bb.11:                               ;   in Loop: Header=BB226_10 Depth=1
	global_store_dword v[2:3], v1, off
	s_branch .LBB226_9
.LBB226_12:
	s_cbranch_execz .LBB226_14
	s_branch .LBB226_19
.LBB226_13:
.LBB226_14:
	s_and_b64 vcc, exec, s[2:3]
	s_cbranch_vccnz .LBB226_19
; %bb.15:
	v_mad_i64_i32 v[2:3], s[2:3], s14, v0, 0
	s_ashr_i32 s15, s14, 31
	s_lshl_b64 s[2:3], s[10:11], 2
	s_add_u32 s2, s8, s2
	s_addc_u32 s3, s9, s3
	v_lshl_add_u64 v[2:3], v[2:3], 2, s[2:3]
	s_lshl_b64 s[2:3], s[14:15], 10
	s_mov_b32 s15, 0
	s_branch .LBB226_17
.LBB226_16:                             ;   in Loop: Header=BB226_17 Depth=1
	s_or_b64 exec, exec, s[16:17]
	s_addk_i32 s15, 0x100
	s_cmp_ge_i32 s15, s13
	v_lshl_add_u64 v[2:3], v[2:3], 0, s[2:3]
	s_cbranch_scc1 .LBB226_19
.LBB226_17:                             ; =>This Inner Loop Header: Depth=1
	v_add_u32_e32 v1, s15, v0
	v_cmp_gt_i32_e32 vcc, s13, v1
	s_and_saveexec_b64 s[16:17], vcc
	s_cbranch_execz .LBB226_16
; %bb.18:                               ;   in Loop: Header=BB226_17 Depth=1
	global_load_dword v1, v[2:3], off
	s_waitcnt vmcnt(0)
	v_mul_f32_e32 v1, s22, v1
	global_store_dword v[2:3], v1, off
	s_branch .LBB226_16
.LBB226_19:
	s_mov_b64 s[2:3], 0
.LBB226_20:
	s_andn2_b64 vcc, exec, s[2:3]
	s_cbranch_vccnz .LBB226_38
; %bb.21:
	s_waitcnt lgkmcnt(0)
	v_cmp_gt_i32_e32 vcc, s12, v0
	s_and_saveexec_b64 s[2:3], vcc
	s_cbranch_execz .LBB226_23
; %bb.22:
	s_load_dword s15, s[0:1], 0x48
	s_waitcnt lgkmcnt(0)
	v_mad_i64_i32 v[2:3], s[16:17], s15, v0, 0
	v_lshl_add_u64 v[2:3], v[2:3], 2, s[6:7]
	flat_load_dword v1, v[2:3]
	v_lshlrev_b32_e32 v2, 2, v0
	s_waitcnt vmcnt(0) lgkmcnt(0)
	v_mul_f32_e32 v1, s23, v1
	ds_write_b32 v2, v1
.LBB226_23:
	s_or_b64 exec, exec, s[2:3]
	s_cmp_lt_i32 s13, 1
	s_waitcnt lgkmcnt(0)
	s_barrier
	s_cbranch_scc1 .LBB226_38
; %bb.24:
	s_load_dword s0, s[0:1], 0x28
	s_lshl_b64 s[2:3], s[10:11], 2
	s_add_u32 s8, s8, s2
	s_addc_u32 s9, s9, s3
	s_ashr_i32 s15, s14, 31
	s_waitcnt lgkmcnt(0)
	s_ashr_i32 s1, s0, 31
	s_cmp_gt_i32 s12, 0
	s_cselect_b64 s[2:3], -1, 0
	s_and_b32 s20, s12, 7
	s_cmp_gt_u32 s12, 7
	s_cselect_b64 s[6:7], -1, 0
	s_and_b32 s12, s12, 0x7ffffff8
	s_cmp_lg_u32 s20, 0
	v_mad_i64_i32 v[2:3], s[16:17], s0, v0, 0
	s_cselect_b64 s[18:19], -1, 0
	s_lshl_b64 s[16:17], s[0:1], 10
	v_cmp_neq_f32_e64 s[0:1], s22, 0
	v_lshl_add_u64 v[2:3], v[2:3], 2, s[4:5]
	s_mov_b32 s11, 0
	v_cndmask_b32_e64 v1, 0, 1, s[0:1]
	v_cmp_ne_u32_e64 s[0:1], 1, v1
	v_cndmask_b32_e64 v1, 0, 1, s[2:3]
	v_cmp_ne_u32_e64 s[2:3], 1, v1
	;; [unrolled: 2-line block ×4, first 2 shown]
	s_mov_b32 s21, 0
	s_branch .LBB226_27
.LBB226_25:                             ;   in Loop: Header=BB226_27 Depth=1
	global_store_dword v[4:5], v1, off
.LBB226_26:                             ;   in Loop: Header=BB226_27 Depth=1
	s_or_b64 exec, exec, s[18:19]
	s_addk_i32 s21, 0x100
	s_cmp_ge_i32 s21, s13
	v_lshl_add_u64 v[2:3], v[2:3], 0, s[16:17]
	s_cbranch_scc1 .LBB226_38
.LBB226_27:                             ; =>This Loop Header: Depth=1
                                        ;     Child Loop BB226_33 Depth 2
                                        ;     Child Loop BB226_37 Depth 2
	v_add_u32_e32 v1, s21, v0
	v_cmp_gt_i32_e32 vcc, s13, v1
	s_and_saveexec_b64 s[18:19], vcc
	s_cbranch_execz .LBB226_26
; %bb.28:                               ;   in Loop: Header=BB226_27 Depth=1
	v_mad_u64_u32 v[4:5], s[24:25], v1, s14, 0
	v_mov_b32_e32 v6, v5
	v_mad_u64_u32 v[6:7], s[24:25], v1, s15, v[6:7]
	v_mov_b32_e32 v5, v6
	s_and_b64 vcc, exec, s[0:1]
	v_lshl_add_u64 v[4:5], v[4:5], 2, s[8:9]
	s_cbranch_vccnz .LBB226_30
; %bb.29:                               ;   in Loop: Header=BB226_27 Depth=1
	global_load_dword v1, v[4:5], off
	s_waitcnt vmcnt(0)
	v_mul_f32_e32 v1, s22, v1
	s_and_b64 vcc, exec, s[2:3]
	s_cbranch_vccz .LBB226_31
	s_branch .LBB226_25
.LBB226_30:                             ;   in Loop: Header=BB226_27 Depth=1
	v_mov_b32_e32 v1, 0
	s_and_b64 vcc, exec, s[2:3]
	s_cbranch_vccnz .LBB226_25
.LBB226_31:                             ;   in Loop: Header=BB226_27 Depth=1
	s_mov_b32 s10, 0
	s_and_b64 vcc, exec, s[4:5]
	s_cbranch_vccnz .LBB226_35
; %bb.32:                               ;   in Loop: Header=BB226_27 Depth=1
	s_mov_b32 s23, 0
	v_mov_b64_e32 v[6:7], v[2:3]
.LBB226_33:                             ;   Parent Loop BB226_27 Depth=1
                                        ; =>  This Inner Loop Header: Depth=2
	flat_load_dwordx4 v[8:11], v[6:7]
	flat_load_dwordx4 v[12:15], v[6:7] offset:16
	v_mov_b32_e32 v20, s10
	ds_read_b128 v[16:19], v20
	ds_read_b128 v[20:23], v20 offset:16
	s_add_i32 s23, s23, 8
	s_add_i32 s10, s10, 32
	v_lshl_add_u64 v[6:7], v[6:7], 0, 32
	s_cmp_eq_u32 s12, s23
	s_waitcnt vmcnt(0) lgkmcnt(0)
	v_fmac_f32_e32 v1, v16, v8
	v_fmac_f32_e32 v1, v17, v9
	;; [unrolled: 1-line block ×8, first 2 shown]
	s_cbranch_scc0 .LBB226_33
; %bb.34:                               ;   in Loop: Header=BB226_27 Depth=1
	s_mov_b32 s10, s12
.LBB226_35:                             ;   in Loop: Header=BB226_27 Depth=1
	s_and_b64 vcc, exec, s[6:7]
	s_cbranch_vccnz .LBB226_25
; %bb.36:                               ;   in Loop: Header=BB226_27 Depth=1
	s_lshl_b32 s23, s10, 2
	v_lshl_add_u64 v[6:7], s[10:11], 2, v[2:3]
	s_mov_b32 s10, s20
.LBB226_37:                             ;   Parent Loop BB226_27 Depth=1
                                        ; =>  This Inner Loop Header: Depth=2
	flat_load_dword v8, v[6:7]
	v_mov_b32_e32 v9, s23
	ds_read_b32 v9, v9
	s_add_i32 s23, s23, 4
	s_add_i32 s10, s10, -1
	v_lshl_add_u64 v[6:7], v[6:7], 0, 4
	s_cmp_lg_u32 s10, 0
	s_waitcnt vmcnt(0) lgkmcnt(0)
	v_fmac_f32_e32 v1, v9, v8
	s_cbranch_scc1 .LBB226_37
	s_branch .LBB226_25
.LBB226_38:
	s_endpgm
	.section	.rodata,"a",@progbits
	.p2align	6, 0x0
	.amdhsa_kernel _ZL22rocblas_gemvtsm_kernelILb1ELi256EPKfS1_KPfEviiT2_lPKT1_lilS7_lilS4_lPT3_lil
		.amdhsa_group_segment_fixed_size 256
		.amdhsa_private_segment_fixed_size 0
		.amdhsa_kernarg_size 136
		.amdhsa_user_sgpr_count 2
		.amdhsa_user_sgpr_dispatch_ptr 0
		.amdhsa_user_sgpr_queue_ptr 0
		.amdhsa_user_sgpr_kernarg_segment_ptr 1
		.amdhsa_user_sgpr_dispatch_id 0
		.amdhsa_user_sgpr_kernarg_preload_length 0
		.amdhsa_user_sgpr_kernarg_preload_offset 0
		.amdhsa_user_sgpr_private_segment_size 0
		.amdhsa_uses_dynamic_stack 0
		.amdhsa_enable_private_segment 0
		.amdhsa_system_sgpr_workgroup_id_x 1
		.amdhsa_system_sgpr_workgroup_id_y 0
		.amdhsa_system_sgpr_workgroup_id_z 0
		.amdhsa_system_sgpr_workgroup_info 0
		.amdhsa_system_vgpr_workitem_id 0
		.amdhsa_next_free_vgpr 24
		.amdhsa_next_free_sgpr 26
		.amdhsa_accum_offset 24
		.amdhsa_reserve_vcc 1
		.amdhsa_float_round_mode_32 0
		.amdhsa_float_round_mode_16_64 0
		.amdhsa_float_denorm_mode_32 3
		.amdhsa_float_denorm_mode_16_64 3
		.amdhsa_dx10_clamp 1
		.amdhsa_ieee_mode 1
		.amdhsa_fp16_overflow 0
		.amdhsa_tg_split 0
		.amdhsa_exception_fp_ieee_invalid_op 0
		.amdhsa_exception_fp_denorm_src 0
		.amdhsa_exception_fp_ieee_div_zero 0
		.amdhsa_exception_fp_ieee_overflow 0
		.amdhsa_exception_fp_ieee_underflow 0
		.amdhsa_exception_fp_ieee_inexact 0
		.amdhsa_exception_int_div_zero 0
	.end_amdhsa_kernel
	.section	.text._ZL22rocblas_gemvtsm_kernelILb1ELi256EPKfS1_KPfEviiT2_lPKT1_lilS7_lilS4_lPT3_lil,"axG",@progbits,_ZL22rocblas_gemvtsm_kernelILb1ELi256EPKfS1_KPfEviiT2_lPKT1_lilS7_lilS4_lPT3_lil,comdat
.Lfunc_end226:
	.size	_ZL22rocblas_gemvtsm_kernelILb1ELi256EPKfS1_KPfEviiT2_lPKT1_lilS7_lilS4_lPT3_lil, .Lfunc_end226-_ZL22rocblas_gemvtsm_kernelILb1ELi256EPKfS1_KPfEviiT2_lPKT1_lilS7_lilS4_lPT3_lil
                                        ; -- End function
	.section	.AMDGPU.csdata,"",@progbits
; Kernel info:
; codeLenInByte = 1180
; NumSgprs: 32
; NumVgprs: 24
; NumAgprs: 0
; TotalNumVgprs: 24
; ScratchSize: 0
; MemoryBound: 0
; FloatMode: 240
; IeeeMode: 1
; LDSByteSize: 256 bytes/workgroup (compile time only)
; SGPRBlocks: 3
; VGPRBlocks: 2
; NumSGPRsForWavesPerEU: 32
; NumVGPRsForWavesPerEU: 24
; AccumOffset: 24
; Occupancy: 8
; WaveLimiterHint : 1
; COMPUTE_PGM_RSRC2:SCRATCH_EN: 0
; COMPUTE_PGM_RSRC2:USER_SGPR: 2
; COMPUTE_PGM_RSRC2:TRAP_HANDLER: 0
; COMPUTE_PGM_RSRC2:TGID_X_EN: 1
; COMPUTE_PGM_RSRC2:TGID_Y_EN: 0
; COMPUTE_PGM_RSRC2:TGID_Z_EN: 0
; COMPUTE_PGM_RSRC2:TIDIG_COMP_CNT: 0
; COMPUTE_PGM_RSRC3_GFX90A:ACCUM_OFFSET: 5
; COMPUTE_PGM_RSRC3_GFX90A:TG_SPLIT: 0
	.section	.text._ZL22rocblas_gemvtsm_kernelILb1ELi256EPKffKPfEviiT2_lPKT1_lilS7_lilS4_lPT3_lil,"axG",@progbits,_ZL22rocblas_gemvtsm_kernelILb1ELi256EPKffKPfEviiT2_lPKT1_lilS7_lilS4_lPT3_lil,comdat
	.globl	_ZL22rocblas_gemvtsm_kernelILb1ELi256EPKffKPfEviiT2_lPKT1_lilS7_lilS4_lPT3_lil ; -- Begin function _ZL22rocblas_gemvtsm_kernelILb1ELi256EPKffKPfEviiT2_lPKT1_lilS7_lilS4_lPT3_lil
	.p2align	8
	.type	_ZL22rocblas_gemvtsm_kernelILb1ELi256EPKffKPfEviiT2_lPKT1_lilS7_lilS4_lPT3_lil,@function
_ZL22rocblas_gemvtsm_kernelILb1ELi256EPKffKPfEviiT2_lPKT1_lilS7_lilS4_lPT3_lil: ; @_ZL22rocblas_gemvtsm_kernelILb1ELi256EPKffKPfEviiT2_lPKT1_lilS7_lilS4_lPT3_lil
; %bb.0:
	s_load_dwordx4 s[8:11], s[0:1], 0x0
	s_load_dword s22, s[0:1], 0x58
	s_waitcnt lgkmcnt(0)
	v_cmp_eq_f32_e64 s[18:19], s10, 0
	v_cmp_eq_f32_e64 s[4:5], s22, 1.0
	s_and_b64 s[4:5], s[18:19], s[4:5]
	s_and_b64 vcc, exec, s[4:5]
	s_cbranch_vccnz .LBB227_41
; %bb.1:
	v_cmp_neq_f32_e64 s[4:5], s10, 0
	s_mov_b32 s3, 0
	s_and_b64 vcc, exec, s[4:5]
	s_cbranch_vccnz .LBB227_3
; %bb.2:
	s_mov_b64 s[14:15], 0
	s_cbranch_execz .LBB227_4
	s_branch .LBB227_5
.LBB227_3:
                                        ; implicit-def: $sgpr14_sgpr15
.LBB227_4:
	s_load_dwordx4 s[12:15], s[0:1], 0x18
	s_lshl_b64 s[6:7], s[2:3], 3
	s_waitcnt lgkmcnt(0)
	s_add_u32 s6, s12, s6
	s_addc_u32 s7, s13, s7
	s_load_dwordx2 s[6:7], s[6:7], 0x0
	s_lshl_b64 s[12:13], s[14:15], 2
	s_waitcnt lgkmcnt(0)
	s_add_u32 s14, s6, s12
	s_addc_u32 s15, s7, s13
.LBB227_5:
	s_andn2_b64 vcc, exec, s[4:5]
	s_cbranch_vccnz .LBB227_7
; %bb.6:
	s_load_dwordx4 s[4:7], s[0:1], 0x38
	s_lshl_b64 s[12:13], s[2:3], 3
	s_waitcnt lgkmcnt(0)
	s_add_u32 s4, s4, s12
	s_addc_u32 s5, s5, s13
	s_load_dwordx2 s[4:5], s[4:5], 0x0
	s_lshl_b64 s[6:7], s[6:7], 2
	s_waitcnt lgkmcnt(0)
	s_add_u32 s16, s4, s6
	s_addc_u32 s17, s5, s7
	s_branch .LBB227_8
.LBB227_7:
	s_mov_b64 s[16:17], 0
.LBB227_8:
	s_load_dwordx4 s[4:7], s[0:1], 0x68
	s_load_dword s12, s[0:1], 0x78
	s_lshl_b64 s[2:3], s[2:3], 3
	s_waitcnt lgkmcnt(0)
	s_add_u32 s2, s4, s2
	s_addc_u32 s3, s5, s3
	s_load_dwordx2 s[4:5], s[2:3], 0x0
	s_andn2_b64 vcc, exec, s[18:19]
	s_mov_b64 s[2:3], -1
	s_cbranch_vccnz .LBB227_23
; %bb.9:
	s_cmp_gt_i32 s9, 0
	s_cselect_b64 s[18:19], -1, 0
	v_cmp_neq_f32_e64 s[2:3], s22, 0
	v_cndmask_b32_e64 v1, 0, 1, s[18:19]
	s_and_b64 vcc, exec, s[2:3]
	v_cmp_ne_u32_e64 s[2:3], 1, v1
	s_cbranch_vccnz .LBB227_16
; %bb.10:
	s_and_b64 vcc, exec, s[2:3]
	s_cbranch_vccnz .LBB227_15
; %bb.11:
	v_mad_i64_i32 v[2:3], s[18:19], s12, v0, 0
	s_ashr_i32 s13, s12, 31
	s_lshl_b64 s[18:19], s[6:7], 2
	s_waitcnt lgkmcnt(0)
	s_add_u32 s18, s4, s18
	s_addc_u32 s19, s5, s19
	v_lshl_add_u64 v[2:3], v[2:3], 2, s[18:19]
	s_lshl_b64 s[18:19], s[12:13], 10
	s_mov_b32 s11, 0
	v_mov_b32_e32 v1, 0
	s_branch .LBB227_13
.LBB227_12:                             ;   in Loop: Header=BB227_13 Depth=1
	s_or_b64 exec, exec, s[20:21]
	s_addk_i32 s11, 0x100
	s_cmp_ge_i32 s11, s9
	v_lshl_add_u64 v[2:3], v[2:3], 0, s[18:19]
	s_cbranch_scc1 .LBB227_15
.LBB227_13:                             ; =>This Inner Loop Header: Depth=1
	v_add_u32_e32 v4, s11, v0
	v_cmp_gt_i32_e32 vcc, s9, v4
	s_and_saveexec_b64 s[20:21], vcc
	s_cbranch_execz .LBB227_12
; %bb.14:                               ;   in Loop: Header=BB227_13 Depth=1
	global_store_dword v[2:3], v1, off
	s_branch .LBB227_12
.LBB227_15:
	s_cbranch_execz .LBB227_17
	s_branch .LBB227_22
.LBB227_16:
.LBB227_17:
	s_and_b64 vcc, exec, s[2:3]
	s_cbranch_vccnz .LBB227_22
; %bb.18:
	v_mad_i64_i32 v[2:3], s[2:3], s12, v0, 0
	s_ashr_i32 s13, s12, 31
	s_lshl_b64 s[2:3], s[6:7], 2
	s_waitcnt lgkmcnt(0)
	s_add_u32 s2, s4, s2
	s_addc_u32 s3, s5, s3
	v_lshl_add_u64 v[2:3], v[2:3], 2, s[2:3]
	s_lshl_b64 s[2:3], s[12:13], 10
	s_mov_b32 s11, 0
	s_branch .LBB227_20
.LBB227_19:                             ;   in Loop: Header=BB227_20 Depth=1
	s_or_b64 exec, exec, s[18:19]
	s_addk_i32 s11, 0x100
	s_cmp_ge_i32 s11, s9
	v_lshl_add_u64 v[2:3], v[2:3], 0, s[2:3]
	s_cbranch_scc1 .LBB227_22
.LBB227_20:                             ; =>This Inner Loop Header: Depth=1
	v_add_u32_e32 v1, s11, v0
	v_cmp_gt_i32_e32 vcc, s9, v1
	s_and_saveexec_b64 s[18:19], vcc
	s_cbranch_execz .LBB227_19
; %bb.21:                               ;   in Loop: Header=BB227_20 Depth=1
	global_load_dword v1, v[2:3], off
	s_waitcnt vmcnt(0)
	v_mul_f32_e32 v1, s22, v1
	global_store_dword v[2:3], v1, off
	s_branch .LBB227_19
.LBB227_22:
	s_mov_b64 s[2:3], 0
.LBB227_23:
	s_andn2_b64 vcc, exec, s[2:3]
	s_cbranch_vccnz .LBB227_41
; %bb.24:
	v_cmp_gt_i32_e32 vcc, s8, v0
	s_and_saveexec_b64 s[2:3], vcc
	s_cbranch_execz .LBB227_26
; %bb.25:
	s_load_dword s11, s[0:1], 0x48
	s_waitcnt lgkmcnt(0)
	v_mad_i64_i32 v[2:3], s[18:19], s11, v0, 0
	v_lshl_add_u64 v[2:3], v[2:3], 2, s[16:17]
	flat_load_dword v1, v[2:3]
	v_lshlrev_b32_e32 v2, 2, v0
	s_waitcnt vmcnt(0) lgkmcnt(0)
	v_mul_f32_e32 v1, s10, v1
	ds_write_b32 v2, v1
.LBB227_26:
	s_or_b64 exec, exec, s[2:3]
	s_cmp_lt_i32 s9, 1
	s_waitcnt lgkmcnt(0)
	s_barrier
	s_cbranch_scc1 .LBB227_41
; %bb.27:
	s_load_dword s0, s[0:1], 0x28
	s_lshl_b64 s[2:3], s[6:7], 2
	s_add_u32 s10, s4, s2
	s_addc_u32 s11, s5, s3
	s_ashr_i32 s13, s12, 31
	s_waitcnt lgkmcnt(0)
	s_ashr_i32 s1, s0, 31
	s_cmp_gt_i32 s8, 0
	s_cselect_b64 s[2:3], -1, 0
	s_and_b32 s20, s8, 7
	s_cmp_gt_u32 s8, 7
	s_cselect_b64 s[4:5], -1, 0
	s_and_b32 s8, s8, 0x7ffffff8
	s_cmp_lg_u32 s20, 0
	v_mad_i64_i32 v[2:3], s[18:19], s0, v0, 0
	s_cselect_b64 s[6:7], -1, 0
	v_lshl_add_u64 v[2:3], v[2:3], 2, s[14:15]
	s_lshl_b64 s[14:15], s[0:1], 10
	v_cmp_neq_f32_e64 s[0:1], s22, 0
	s_mov_b32 s17, 0
	s_mov_b32 s21, 0
	v_cndmask_b32_e64 v1, 0, 1, s[0:1]
	v_cmp_ne_u32_e64 s[0:1], 1, v1
	v_cndmask_b32_e64 v1, 0, 1, s[2:3]
	v_cmp_ne_u32_e64 s[2:3], 1, v1
	;; [unrolled: 2-line block ×4, first 2 shown]
	s_branch .LBB227_30
.LBB227_28:                             ;   in Loop: Header=BB227_30 Depth=1
	global_store_dword v[4:5], v1, off
.LBB227_29:                             ;   in Loop: Header=BB227_30 Depth=1
	s_or_b64 exec, exec, s[18:19]
	s_addk_i32 s21, 0x100
	s_cmp_ge_i32 s21, s9
	v_lshl_add_u64 v[2:3], v[2:3], 0, s[14:15]
	s_cbranch_scc1 .LBB227_41
.LBB227_30:                             ; =>This Loop Header: Depth=1
                                        ;     Child Loop BB227_36 Depth 2
                                        ;     Child Loop BB227_40 Depth 2
	v_add_u32_e32 v1, s21, v0
	v_cmp_gt_i32_e32 vcc, s9, v1
	s_and_saveexec_b64 s[18:19], vcc
	s_cbranch_execz .LBB227_29
; %bb.31:                               ;   in Loop: Header=BB227_30 Depth=1
	v_mad_u64_u32 v[4:5], s[24:25], v1, s12, 0
	v_mov_b32_e32 v6, v5
	v_mad_u64_u32 v[6:7], s[24:25], v1, s13, v[6:7]
	v_mov_b32_e32 v5, v6
	s_and_b64 vcc, exec, s[0:1]
	v_lshl_add_u64 v[4:5], v[4:5], 2, s[10:11]
	s_cbranch_vccnz .LBB227_33
; %bb.32:                               ;   in Loop: Header=BB227_30 Depth=1
	global_load_dword v1, v[4:5], off
	s_waitcnt vmcnt(0)
	v_mul_f32_e32 v1, s22, v1
	s_and_b64 vcc, exec, s[2:3]
	s_cbranch_vccz .LBB227_34
	s_branch .LBB227_28
.LBB227_33:                             ;   in Loop: Header=BB227_30 Depth=1
	v_mov_b32_e32 v1, 0
	s_and_b64 vcc, exec, s[2:3]
	s_cbranch_vccnz .LBB227_28
.LBB227_34:                             ;   in Loop: Header=BB227_30 Depth=1
	s_mov_b32 s16, 0
	s_and_b64 vcc, exec, s[4:5]
	s_cbranch_vccnz .LBB227_38
; %bb.35:                               ;   in Loop: Header=BB227_30 Depth=1
	s_mov_b32 s23, 0
	v_mov_b64_e32 v[6:7], v[2:3]
.LBB227_36:                             ;   Parent Loop BB227_30 Depth=1
                                        ; =>  This Inner Loop Header: Depth=2
	flat_load_dwordx4 v[8:11], v[6:7]
	flat_load_dwordx4 v[12:15], v[6:7] offset:16
	v_mov_b32_e32 v20, s16
	ds_read_b128 v[16:19], v20
	ds_read_b128 v[20:23], v20 offset:16
	s_add_i32 s23, s23, 8
	s_add_i32 s16, s16, 32
	v_lshl_add_u64 v[6:7], v[6:7], 0, 32
	s_cmp_eq_u32 s8, s23
	s_waitcnt vmcnt(0) lgkmcnt(0)
	v_fmac_f32_e32 v1, v16, v8
	v_fmac_f32_e32 v1, v17, v9
	;; [unrolled: 1-line block ×8, first 2 shown]
	s_cbranch_scc0 .LBB227_36
; %bb.37:                               ;   in Loop: Header=BB227_30 Depth=1
	s_mov_b32 s16, s8
.LBB227_38:                             ;   in Loop: Header=BB227_30 Depth=1
	s_and_b64 vcc, exec, s[6:7]
	s_cbranch_vccnz .LBB227_28
; %bb.39:                               ;   in Loop: Header=BB227_30 Depth=1
	s_lshl_b32 s23, s16, 2
	v_lshl_add_u64 v[6:7], s[16:17], 2, v[2:3]
	s_mov_b32 s16, s20
.LBB227_40:                             ;   Parent Loop BB227_30 Depth=1
                                        ; =>  This Inner Loop Header: Depth=2
	flat_load_dword v8, v[6:7]
	v_mov_b32_e32 v9, s23
	ds_read_b32 v9, v9
	s_add_i32 s23, s23, 4
	s_add_i32 s16, s16, -1
	v_lshl_add_u64 v[6:7], v[6:7], 0, 4
	s_cmp_lg_u32 s16, 0
	s_waitcnt vmcnt(0) lgkmcnt(0)
	v_fmac_f32_e32 v1, v9, v8
	s_cbranch_scc1 .LBB227_40
	s_branch .LBB227_28
.LBB227_41:
	s_endpgm
	.section	.rodata,"a",@progbits
	.p2align	6, 0x0
	.amdhsa_kernel _ZL22rocblas_gemvtsm_kernelILb1ELi256EPKffKPfEviiT2_lPKT1_lilS7_lilS4_lPT3_lil
		.amdhsa_group_segment_fixed_size 256
		.amdhsa_private_segment_fixed_size 0
		.amdhsa_kernarg_size 136
		.amdhsa_user_sgpr_count 2
		.amdhsa_user_sgpr_dispatch_ptr 0
		.amdhsa_user_sgpr_queue_ptr 0
		.amdhsa_user_sgpr_kernarg_segment_ptr 1
		.amdhsa_user_sgpr_dispatch_id 0
		.amdhsa_user_sgpr_kernarg_preload_length 0
		.amdhsa_user_sgpr_kernarg_preload_offset 0
		.amdhsa_user_sgpr_private_segment_size 0
		.amdhsa_uses_dynamic_stack 0
		.amdhsa_enable_private_segment 0
		.amdhsa_system_sgpr_workgroup_id_x 1
		.amdhsa_system_sgpr_workgroup_id_y 0
		.amdhsa_system_sgpr_workgroup_id_z 0
		.amdhsa_system_sgpr_workgroup_info 0
		.amdhsa_system_vgpr_workitem_id 0
		.amdhsa_next_free_vgpr 24
		.amdhsa_next_free_sgpr 26
		.amdhsa_accum_offset 24
		.amdhsa_reserve_vcc 1
		.amdhsa_float_round_mode_32 0
		.amdhsa_float_round_mode_16_64 0
		.amdhsa_float_denorm_mode_32 3
		.amdhsa_float_denorm_mode_16_64 3
		.amdhsa_dx10_clamp 1
		.amdhsa_ieee_mode 1
		.amdhsa_fp16_overflow 0
		.amdhsa_tg_split 0
		.amdhsa_exception_fp_ieee_invalid_op 0
		.amdhsa_exception_fp_denorm_src 0
		.amdhsa_exception_fp_ieee_div_zero 0
		.amdhsa_exception_fp_ieee_overflow 0
		.amdhsa_exception_fp_ieee_underflow 0
		.amdhsa_exception_fp_ieee_inexact 0
		.amdhsa_exception_int_div_zero 0
	.end_amdhsa_kernel
	.section	.text._ZL22rocblas_gemvtsm_kernelILb1ELi256EPKffKPfEviiT2_lPKT1_lilS7_lilS4_lPT3_lil,"axG",@progbits,_ZL22rocblas_gemvtsm_kernelILb1ELi256EPKffKPfEviiT2_lPKT1_lilS7_lilS4_lPT3_lil,comdat
.Lfunc_end227:
	.size	_ZL22rocblas_gemvtsm_kernelILb1ELi256EPKffKPfEviiT2_lPKT1_lilS7_lilS4_lPT3_lil, .Lfunc_end227-_ZL22rocblas_gemvtsm_kernelILb1ELi256EPKffKPfEviiT2_lPKT1_lilS7_lilS4_lPT3_lil
                                        ; -- End function
	.section	.AMDGPU.csdata,"",@progbits
; Kernel info:
; codeLenInByte = 1132
; NumSgprs: 32
; NumVgprs: 24
; NumAgprs: 0
; TotalNumVgprs: 24
; ScratchSize: 0
; MemoryBound: 0
; FloatMode: 240
; IeeeMode: 1
; LDSByteSize: 256 bytes/workgroup (compile time only)
; SGPRBlocks: 3
; VGPRBlocks: 2
; NumSGPRsForWavesPerEU: 32
; NumVGPRsForWavesPerEU: 24
; AccumOffset: 24
; Occupancy: 8
; WaveLimiterHint : 1
; COMPUTE_PGM_RSRC2:SCRATCH_EN: 0
; COMPUTE_PGM_RSRC2:USER_SGPR: 2
; COMPUTE_PGM_RSRC2:TRAP_HANDLER: 0
; COMPUTE_PGM_RSRC2:TGID_X_EN: 1
; COMPUTE_PGM_RSRC2:TGID_Y_EN: 0
; COMPUTE_PGM_RSRC2:TGID_Z_EN: 0
; COMPUTE_PGM_RSRC2:TIDIG_COMP_CNT: 0
; COMPUTE_PGM_RSRC3_GFX90A:ACCUM_OFFSET: 5
; COMPUTE_PGM_RSRC3_GFX90A:TG_SPLIT: 0
	.section	.text._ZL23rocblas_gemvt_sn_kernelILb1ELi256ELi4EiPKfS1_fEviiT4_lPKT3_lilS5_lilPT5_i,"axG",@progbits,_ZL23rocblas_gemvt_sn_kernelILb1ELi256ELi4EiPKfS1_fEviiT4_lPKT3_lilS5_lilPT5_i,comdat
	.globl	_ZL23rocblas_gemvt_sn_kernelILb1ELi256ELi4EiPKfS1_fEviiT4_lPKT3_lilS5_lilPT5_i ; -- Begin function _ZL23rocblas_gemvt_sn_kernelILb1ELi256ELi4EiPKfS1_fEviiT4_lPKT3_lilS5_lilPT5_i
	.p2align	8
	.type	_ZL23rocblas_gemvt_sn_kernelILb1ELi256ELi4EiPKfS1_fEviiT4_lPKT3_lilS5_lilPT5_i,@function
_ZL23rocblas_gemvt_sn_kernelILb1ELi256ELi4EiPKfS1_fEviiT4_lPKT3_lilS5_lilPT5_i: ; @_ZL23rocblas_gemvt_sn_kernelILb1ELi256ELi4EiPKfS1_fEviiT4_lPKT3_lilS5_lilPT5_i
; %bb.0:
	s_load_dwordx8 s[4:11], s[0:1], 0x8
	s_mov_b32 s12, s3
	s_mov_b32 s13, 0
	s_mov_b64 s[22:23], 0
	s_waitcnt lgkmcnt(0)
	s_mul_i32 s3, s3, s7
	s_mul_hi_u32 s7, s12, s6
	s_add_i32 s7, s7, s3
	s_mul_i32 s6, s12, s6
	s_lshl_b64 s[6:7], s[6:7], 2
	s_add_u32 s4, s4, s6
	s_addc_u32 s5, s5, s7
	s_load_dword s33, s[4:5], 0x0
	s_mov_b64 s[4:5], 0
	s_waitcnt lgkmcnt(0)
	v_cmp_eq_f32_e64 s[14:15], s33, 0
	v_cmp_neq_f32_e64 s[6:7], s33, 0
	s_and_b64 vcc, exec, s[14:15]
	s_cbranch_vccnz .LBB228_2
; %bb.1:
	s_lshl_b64 s[4:5], s[12:13], 3
	s_add_u32 s4, s8, s4
	s_addc_u32 s5, s9, s5
	s_load_dwordx2 s[4:5], s[4:5], 0x0
	s_lshl_b64 s[8:9], s[10:11], 2
	s_waitcnt lgkmcnt(0)
	s_add_u32 s4, s4, s8
	s_addc_u32 s5, s5, s9
.LBB228_2:
	s_andn2_b64 vcc, exec, s[6:7]
	s_cbranch_vccnz .LBB228_4
; %bb.3:
	s_load_dwordx4 s[8:11], s[0:1], 0x38
	s_lshl_b64 s[6:7], s[12:13], 3
	s_waitcnt lgkmcnt(0)
	s_add_u32 s6, s8, s6
	s_addc_u32 s7, s9, s7
	s_load_dwordx2 s[6:7], s[6:7], 0x0
	s_lshl_b64 s[8:9], s[10:11], 2
	s_waitcnt lgkmcnt(0)
	s_add_u32 s22, s6, s8
	s_addc_u32 s23, s7, s9
.LBB228_4:
	s_load_dwordx2 s[24:25], s[0:1], 0x0
	s_load_dwordx2 s[6:7], s[0:1], 0x58
	s_load_dword s26, s[0:1], 0x68
	s_mov_b32 s27, 0
	s_waitcnt lgkmcnt(0)
	s_ashr_i32 s16, s25, 31
	s_mul_hi_u32 s3, s25, s12
	s_mul_i32 s8, s16, s12
	s_add_i32 s11, s3, s8
	s_mul_i32 s10, s25, s12
	s_mul_i32 s3, s11, s26
	s_mul_hi_u32 s8, s10, s26
	s_add_i32 s9, s8, s3
	s_mul_i32 s8, s10, s26
	s_lshl_b64 s[8:9], s[8:9], 2
	s_add_u32 s49, s6, s8
	s_addc_u32 s50, s7, s9
	s_andn2_b64 vcc, exec, s[14:15]
	s_mov_b64 s[8:9], -1
	s_cbranch_vccnz .LBB228_14
; %bb.5:
	s_cmp_gt_i32 s25, 0
	v_cmp_eq_u32_e32 vcc, 0, v0
	s_cselect_b64 s[8:9], -1, 0
	s_and_b64 s[12:13], vcc, s[8:9]
	s_and_saveexec_b64 s[8:9], s[12:13]
	s_cbranch_execz .LBB228_13
; %bb.6:
	s_cmp_gt_u32 s25, 1
	s_cselect_b64 s[12:13], -1, 0
	s_cmp_eq_u32 s26, 1
	s_cselect_b64 s[18:19], -1, 0
	s_mov_b32 s3, 0
	s_and_b64 s[12:13], s[12:13], s[18:19]
	s_mov_b64 s[14:15], -1
	s_andn2_b64 vcc, exec, s[12:13]
	s_mov_b32 s12, s3
	s_cbranch_vccnz .LBB228_10
; %bb.7:
	s_lshl_b64 s[12:13], s[2:3], 2
	s_add_u32 s14, s49, s12
	s_addc_u32 s15, s50, s13
	s_and_b32 s12, s25, 0x7ffffffe
	v_mov_b32_e32 v2, 0
	v_mov_b32_e32 v3, v2
	s_mov_b32 s13, s12
.LBB228_8:                              ; =>This Inner Loop Header: Depth=1
	global_store_dwordx2 v2, v[2:3], s[14:15]
	s_add_u32 s14, s14, 8
	s_addc_u32 s15, s15, 0
	s_add_i32 s13, s13, -2
	s_cmp_lg_u32 s13, 0
	s_cbranch_scc1 .LBB228_8
; %bb.9:
	s_cmp_lg_u32 s12, s25
	s_cselect_b64 s[14:15], -1, 0
.LBB228_10:
	s_and_b64 vcc, exec, s[14:15]
	s_cbranch_vccz .LBB228_13
; %bb.11:
	s_mov_b32 s13, 0
	s_sub_i32 s14, s25, s12
	s_lshl_b64 s[10:11], s[10:11], 2
	s_lshl_b64 s[12:13], s[12:13], 2
	s_add_u32 s10, s10, s12
	s_addc_u32 s11, s11, s13
	s_mul_i32 s11, s11, s26
	s_mul_hi_u32 s12, s10, s26
	s_add_i32 s12, s12, s11
	s_mul_i32 s13, s10, s26
	s_lshl_b64 s[10:11], s[2:3], 2
	s_add_u32 s3, s13, s10
	s_addc_u32 s10, s12, s11
	s_add_u32 s6, s6, s3
	s_addc_u32 s7, s7, s10
	s_lshl_b64 s[10:11], s[26:27], 2
	v_mov_b32_e32 v1, 0
.LBB228_12:                             ; =>This Inner Loop Header: Depth=1
	s_add_i32 s14, s14, -1
	global_store_dword v1, v1, s[6:7]
	s_add_u32 s6, s6, s10
	s_addc_u32 s7, s7, s11
	s_cmp_eq_u32 s14, 0
	s_cbranch_scc0 .LBB228_12
.LBB228_13:
	s_or_b64 exec, exec, s[8:9]
	s_mov_b64 s[8:9], 0
.LBB228_14:
	s_andn2_b64 vcc, exec, s[8:9]
	s_cbranch_vccnz .LBB228_88
; %bb.15:
	s_load_dword s28, s[0:1], 0x28
	s_load_dword s27, s[0:1], 0x48
	s_lshl_b32 s0, s2, 10
	v_lshl_or_b32 v2, v0, 2, s0
	s_lshr_b32 s0, s16, 30
	s_add_i32 s0, s25, s0
	s_and_b32 s3, s0, -4
	s_ashr_i32 s0, s24, 31
	s_lshr_b32 s0, s0, 30
	s_add_i32 s0, s24, s0
	s_and_b32 s0, s0, -4
	v_ashrrev_i32_e32 v3, 31, v2
	s_sub_i32 s48, s24, s0
	v_lshl_add_u64 v[6:7], v[2:3], 2, s[4:5]
	s_cmp_lt_i32 s3, 1
	v_add_u32_e32 v25, 4, v2
	v_add_u32_e32 v26, s48, v2
	v_and_b32_e32 v1, 63, v0
	v_cmp_gt_u32_e64 s[0:1], 64, v0
	v_mbcnt_lo_u32_b32 v24, -1, 0
	v_cmp_gt_u32_e64 s[4:5], 4, v0
	v_lshrrev_b32_e32 v9, 4, v0
	v_cmp_eq_u32_e64 s[6:7], 0, v0
	s_waitcnt lgkmcnt(0)
	v_mul_lo_u32 v8, v2, s27
	s_cbranch_scc1 .LBB228_63
; %bb.16:
	v_mbcnt_hi_u32_b32 v3, -1, v24
	v_and_b32_e32 v4, 63, v3
	v_cmp_gt_u32_e32 vcc, 32, v4
	v_mul_lo_u32 v10, v2, s27
	v_add_u32_e32 v2, s27, v10
	v_cndmask_b32_e64 v5, 0, 1, vcc
	v_lshlrev_b32_e32 v5, 5, v5
	v_cmp_gt_u32_e32 vcc, 48, v4
	v_add_lshl_u32 v27, v5, v3, 2
	s_mov_b32 s31, 0
	v_cndmask_b32_e64 v5, 0, 1, vcc
	v_lshlrev_b32_e32 v5, 4, v5
	v_cmp_gt_u32_e32 vcc, 56, v4
	v_add_lshl_u32 v28, v5, v3, 2
	s_cmp_gt_i32 s48, 0
	v_cndmask_b32_e64 v5, 0, 1, vcc
	v_lshlrev_b32_e32 v5, 3, v5
	v_cmp_gt_u32_e32 vcc, 60, v4
	v_add_lshl_u32 v29, v5, v3, 2
	s_cselect_b64 s[34:35], -1, 0
	v_cndmask_b32_e64 v5, 0, 1, vcc
	v_lshlrev_b32_e32 v5, 2, v5
	v_cmp_gt_u32_e32 vcc, 62, v4
	v_add_lshl_u32 v30, v5, v3, 2
	v_ashrrev_i32_e32 v11, 31, v10
	v_cndmask_b32_e64 v5, 0, 1, vcc
	v_lshlrev_b32_e32 v5, 1, v5
	v_cmp_ne_u32_e32 vcc, 63, v4
	v_add_lshl_u32 v31, v5, v3, 2
	s_mov_b32 s29, s31
	v_addc_co_u32_e32 v3, vcc, 0, v3, vcc
	v_lshlrev_b32_e32 v32, 2, v3
	v_ashrrev_i32_e32 v3, 31, v2
	v_lshl_add_u64 v[14:15], v[2:3], 2, s[22:23]
	v_add_u32_e32 v2, s27, v2
	v_ashrrev_i32_e32 v3, 31, v2
	v_lshl_add_u64 v[16:17], v[2:3], 2, s[22:23]
	v_add_u32_e32 v2, s27, v2
	v_ashrrev_i32_e32 v3, 31, v2
	s_lshl_b32 s30, s28, 1
	v_cmp_ge_i32_e64 s[8:9], s24, v25
	v_cmp_ge_i32_e64 s[10:11], s24, v26
	v_cmp_eq_u32_e64 s[12:13], 0, v1
	v_lshlrev_b32_e32 v33, 2, v1
	v_and_b32_e32 v34, 12, v9
	v_lshl_add_u64 v[12:13], v[10:11], 2, s[22:23]
	v_lshl_add_u64 v[18:19], v[2:3], 2, s[22:23]
	s_lshl_b32 s51, s28, 2
	s_mul_i32 s52, s28, 3
	s_mov_b32 s53, s31
	v_mov_b32_e32 v11, 0
	s_mov_b32 s36, s31
	s_mov_b64 s[38:39], s[30:31]
	s_mov_b64 s[40:41], s[28:29]
	s_mov_b32 s29, 0
                                        ; implicit-def: $vgpr2_vgpr3_vgpr4_vgpr5
	s_branch .LBB228_18
.LBB228_17:                             ;   in Loop: Header=BB228_18 Depth=1
	s_or_b64 exec, exec, s[14:15]
	s_add_i32 s29, s29, 4
	s_add_u32 s40, s40, s51
	s_addc_u32 s41, s41, 0
	s_add_u32 s38, s38, s51
	s_addc_u32 s39, s39, 0
	;; [unrolled: 2-line block ×3, first 2 shown]
	s_add_i32 s36, s36, s51
	s_cmp_ge_i32 s29, s3
	s_cbranch_scc1 .LBB228_64
.LBB228_18:                             ; =>This Loop Header: Depth=1
                                        ;     Child Loop BB228_49 Depth 2
                                        ;     Child Loop BB228_52 Depth 2
                                        ; implicit-def: $vgpr21
                                        ; implicit-def: $vgpr35
                                        ; implicit-def: $vgpr36
	s_and_saveexec_b64 s[14:15], s[8:9]
	s_xor_b64 s[14:15], exec, s[14:15]
	s_cbranch_execnz .LBB228_45
; %bb.19:                               ;   in Loop: Header=BB228_18 Depth=1
	s_andn2_saveexec_b64 s[42:43], s[14:15]
	s_cbranch_execnz .LBB228_46
.LBB228_20:                             ;   in Loop: Header=BB228_18 Depth=1
	s_or_b64 exec, exec, s[42:43]
	s_and_saveexec_b64 s[14:15], s[0:1]
	s_cbranch_execz .LBB228_22
.LBB228_21:                             ;   in Loop: Header=BB228_18 Depth=1
	ds_write_b32 v33, v11
.LBB228_22:                             ;   in Loop: Header=BB228_18 Depth=1
	s_or_b64 exec, exec, s[14:15]
	ds_bpermute_b32 v22, v27, v36
	s_waitcnt lgkmcnt(0)
	s_barrier
	v_add_f32_e32 v22, v36, v22
	ds_bpermute_b32 v23, v28, v22
	s_waitcnt lgkmcnt(0)
	v_add_f32_e32 v22, v22, v23
	ds_bpermute_b32 v23, v29, v22
	s_waitcnt lgkmcnt(0)
	;; [unrolled: 3-line block ×4, first 2 shown]
	v_add_f32_e32 v22, v22, v23
	ds_bpermute_b32 v23, v32, v22
	s_and_saveexec_b64 s[14:15], s[12:13]
	s_cbranch_execz .LBB228_24
; %bb.23:                               ;   in Loop: Header=BB228_18 Depth=1
	s_waitcnt lgkmcnt(0)
	v_add_f32_e32 v22, v22, v23
	ds_write_b32 v34, v22
.LBB228_24:                             ;   in Loop: Header=BB228_18 Depth=1
	s_or_b64 exec, exec, s[14:15]
	v_mov_b32_e32 v22, 0
	s_waitcnt lgkmcnt(0)
	s_barrier
	s_and_saveexec_b64 s[14:15], s[4:5]
	s_cbranch_execnz .LBB228_54
; %bb.25:                               ;   in Loop: Header=BB228_18 Depth=1
	s_or_b64 exec, exec, s[14:15]
	s_and_saveexec_b64 s[14:15], s[0:1]
	s_cbranch_execnz .LBB228_55
.LBB228_26:                             ;   in Loop: Header=BB228_18 Depth=1
	s_or_b64 exec, exec, s[14:15]
	s_and_saveexec_b64 s[14:15], s[0:1]
	s_cbranch_execz .LBB228_28
.LBB228_27:                             ;   in Loop: Header=BB228_18 Depth=1
	ds_write_b32 v33, v11
.LBB228_28:                             ;   in Loop: Header=BB228_18 Depth=1
	s_or_b64 exec, exec, s[14:15]
	ds_bpermute_b32 v23, v27, v35
	s_waitcnt lgkmcnt(0)
	s_barrier
	v_add_f32_e32 v23, v35, v23
	ds_bpermute_b32 v35, v28, v23
	s_waitcnt lgkmcnt(0)
	v_add_f32_e32 v23, v23, v35
	ds_bpermute_b32 v35, v29, v23
	s_waitcnt lgkmcnt(0)
	;; [unrolled: 3-line block ×4, first 2 shown]
	v_add_f32_e32 v23, v23, v35
	ds_bpermute_b32 v35, v32, v23
	s_and_saveexec_b64 s[14:15], s[12:13]
	s_cbranch_execz .LBB228_30
; %bb.29:                               ;   in Loop: Header=BB228_18 Depth=1
	s_waitcnt lgkmcnt(0)
	v_add_f32_e32 v23, v23, v35
	ds_write_b32 v34, v23
.LBB228_30:                             ;   in Loop: Header=BB228_18 Depth=1
	s_or_b64 exec, exec, s[14:15]
	v_mov_b32_e32 v23, 0
	s_waitcnt lgkmcnt(0)
	s_barrier
	s_and_saveexec_b64 s[14:15], s[4:5]
	s_cbranch_execnz .LBB228_56
; %bb.31:                               ;   in Loop: Header=BB228_18 Depth=1
	s_or_b64 exec, exec, s[14:15]
	s_and_saveexec_b64 s[14:15], s[0:1]
	s_cbranch_execnz .LBB228_57
.LBB228_32:                             ;   in Loop: Header=BB228_18 Depth=1
	s_or_b64 exec, exec, s[14:15]
	s_and_saveexec_b64 s[14:15], s[0:1]
	s_cbranch_execz .LBB228_34
.LBB228_33:                             ;   in Loop: Header=BB228_18 Depth=1
	ds_write_b32 v33, v11
.LBB228_34:                             ;   in Loop: Header=BB228_18 Depth=1
	s_or_b64 exec, exec, s[14:15]
	ds_bpermute_b32 v35, v27, v20
	s_waitcnt lgkmcnt(0)
	s_barrier
	v_add_f32_e32 v20, v20, v35
	ds_bpermute_b32 v35, v28, v20
	s_waitcnt lgkmcnt(0)
	v_add_f32_e32 v20, v20, v35
	ds_bpermute_b32 v35, v29, v20
	s_waitcnt lgkmcnt(0)
	;; [unrolled: 3-line block ×4, first 2 shown]
	v_add_f32_e32 v20, v20, v35
	ds_bpermute_b32 v35, v32, v20
	s_and_saveexec_b64 s[14:15], s[12:13]
	s_cbranch_execz .LBB228_36
; %bb.35:                               ;   in Loop: Header=BB228_18 Depth=1
	s_waitcnt lgkmcnt(0)
	v_add_f32_e32 v20, v20, v35
	ds_write_b32 v34, v20
.LBB228_36:                             ;   in Loop: Header=BB228_18 Depth=1
	s_or_b64 exec, exec, s[14:15]
	v_mov_b32_e32 v20, 0
	s_waitcnt lgkmcnt(0)
	s_barrier
	s_and_saveexec_b64 s[14:15], s[4:5]
	s_cbranch_execnz .LBB228_58
; %bb.37:                               ;   in Loop: Header=BB228_18 Depth=1
	s_or_b64 exec, exec, s[14:15]
	s_and_saveexec_b64 s[14:15], s[0:1]
	s_cbranch_execnz .LBB228_59
.LBB228_38:                             ;   in Loop: Header=BB228_18 Depth=1
	s_or_b64 exec, exec, s[14:15]
	s_and_saveexec_b64 s[14:15], s[0:1]
	s_cbranch_execz .LBB228_40
.LBB228_39:                             ;   in Loop: Header=BB228_18 Depth=1
	ds_write_b32 v33, v11
.LBB228_40:                             ;   in Loop: Header=BB228_18 Depth=1
	s_or_b64 exec, exec, s[14:15]
	ds_bpermute_b32 v35, v27, v21
	s_waitcnt lgkmcnt(0)
	s_barrier
	v_add_f32_e32 v21, v21, v35
	ds_bpermute_b32 v35, v28, v21
	s_waitcnt lgkmcnt(0)
	v_add_f32_e32 v21, v21, v35
	ds_bpermute_b32 v35, v29, v21
	s_waitcnt lgkmcnt(0)
	;; [unrolled: 3-line block ×4, first 2 shown]
	v_add_f32_e32 v21, v21, v35
	ds_bpermute_b32 v35, v32, v21
	s_and_saveexec_b64 s[14:15], s[12:13]
	s_cbranch_execz .LBB228_42
; %bb.41:                               ;   in Loop: Header=BB228_18 Depth=1
	s_waitcnt lgkmcnt(0)
	v_add_f32_e32 v21, v21, v35
	ds_write_b32 v34, v21
.LBB228_42:                             ;   in Loop: Header=BB228_18 Depth=1
	s_or_b64 exec, exec, s[14:15]
	v_mov_b32_e32 v21, 0
	s_waitcnt lgkmcnt(0)
	s_barrier
	s_and_saveexec_b64 s[14:15], s[4:5]
	s_cbranch_execnz .LBB228_60
; %bb.43:                               ;   in Loop: Header=BB228_18 Depth=1
	s_or_b64 exec, exec, s[14:15]
	s_and_saveexec_b64 s[14:15], s[0:1]
	s_cbranch_execnz .LBB228_61
.LBB228_44:                             ;   in Loop: Header=BB228_18 Depth=1
	s_or_b64 exec, exec, s[14:15]
	s_and_saveexec_b64 s[14:15], s[6:7]
	s_cbranch_execz .LBB228_17
	s_branch .LBB228_62
.LBB228_45:                             ;   in Loop: Header=BB228_18 Depth=1
	s_mul_i32 s16, s29, s28
	s_ashr_i32 s17, s16, 31
	s_waitcnt lgkmcnt(0)
	v_lshl_add_u64 v[20:21], s[16:17], 2, v[6:7]
	s_add_i32 s16, s16, s28
	s_ashr_i32 s17, s16, 31
	v_lshl_add_u64 v[36:37], s[16:17], 2, v[6:7]
	s_add_i32 s16, s16, s28
	s_ashr_i32 s17, s16, 31
	flat_load_dword v2, v[12:13]
	flat_load_dword v3, v[14:15]
	;; [unrolled: 1-line block ×4, first 2 shown]
	v_lshl_add_u64 v[40:41], s[16:17], 2, v[6:7]
	flat_load_dwordx4 v[20:23], v[20:21]
	s_add_i32 s16, s16, s28
	flat_load_dwordx4 v[36:39], v[36:37]
	s_ashr_i32 s17, s16, 31
	v_lshl_add_u64 v[44:45], s[16:17], 2, v[6:7]
	flat_load_dwordx4 v[40:43], v[40:41]
	s_waitcnt vmcnt(0) lgkmcnt(0)
	v_pk_mul_f32 v[20:21], v[2:3], v[20:21]
	flat_load_dwordx4 v[44:47], v[44:45]
	v_add_f32_e32 v35, 0, v20
	v_pk_mul_f32 v[22:23], v[4:5], v[22:23]
	v_add_f32_e32 v21, v35, v21
	v_pk_mul_f32 v[36:37], v[2:3], v[36:37]
	v_add_f32_e32 v21, v21, v22
	v_mul_f32_e32 v20, v2, v40
	v_add_f32_e32 v35, 0, v36
	v_add_f32_e32 v36, v21, v23
	v_mul_f32_e32 v40, v3, v41
	v_pk_mul_f32 v[38:39], v[4:5], v[38:39]
	v_mul_f32_e32 v42, v4, v42
	v_mul_f32_e32 v48, v5, v43
	v_add_f32_e32 v35, v35, v37
	v_add_f32_e32 v22, v35, v38
	;; [unrolled: 1-line block ×3, first 2 shown]
	s_waitcnt vmcnt(0) lgkmcnt(0)
	v_pk_mul_f32 v[44:45], v[2:3], v[44:45]
	s_nop 0
	v_mov_b32_e32 v21, v44
	v_pk_mul_f32 v[46:47], v[4:5], v[46:47]
	v_mov_b32_e32 v41, v45
	v_pk_add_f32 v[20:21], v[20:21], 0 op_sel_hi:[1,0]
	v_mov_b32_e32 v43, v46
	v_pk_add_f32 v[20:21], v[20:21], v[40:41]
	v_mov_b32_e32 v49, v47
	v_pk_add_f32 v[20:21], v[20:21], v[42:43]
	s_nop 0
	v_pk_add_f32 v[20:21], v[20:21], v[48:49]
	s_andn2_saveexec_b64 s[42:43], s[14:15]
	s_cbranch_execz .LBB228_20
.LBB228_46:                             ;   in Loop: Header=BB228_18 Depth=1
	s_waitcnt lgkmcnt(0)
	v_mov_b32_e32 v21, 0
	v_mov_b32_e32 v20, 0
	;; [unrolled: 1-line block ×4, first 2 shown]
	s_and_saveexec_b64 s[44:45], s[10:11]
	s_cbranch_execz .LBB228_53
; %bb.47:                               ;   in Loop: Header=BB228_18 Depth=1
	v_cndmask_b32_e64 v20, 0, 1, s[34:35]
	v_cmp_ne_u32_e64 s[14:15], 1, v20
	s_andn2_b64 vcc, exec, s[34:35]
	s_cbranch_vccnz .LBB228_50
; %bb.48:                               ;   in Loop: Header=BB228_18 Depth=1
	s_mov_b64 s[46:47], 0
	v_mov_b32_e32 v20, v10
.LBB228_49:                             ;   Parent Loop BB228_18 Depth=1
                                        ; =>  This Inner Loop Header: Depth=2
	v_ashrrev_i32_e32 v21, 31, v20
	v_lshl_add_u64 v[22:23], v[20:21], 2, s[22:23]
	flat_load_dword v21, v[22:23]
	s_cmp_eq_u32 s46, 3
	s_cselect_b64 vcc, -1, 0
	s_cmp_eq_u32 s46, 2
	s_cselect_b64 s[16:17], -1, 0
	s_cmp_eq_u32 s46, 1
	s_cselect_b64 s[18:19], -1, 0
	;; [unrolled: 2-line block ×3, first 2 shown]
	s_add_u32 s46, s46, 1
	s_addc_u32 s47, s47, 0
	v_add_u32_e32 v20, s27, v20
	s_cmp_eq_u32 s48, s46
	s_waitcnt vmcnt(0) lgkmcnt(0)
	v_cndmask_b32_e32 v5, v5, v21, vcc
	v_cndmask_b32_e64 v4, v4, v21, s[16:17]
	v_cndmask_b32_e64 v3, v3, v21, s[18:19]
	;; [unrolled: 1-line block ×3, first 2 shown]
	s_cbranch_scc0 .LBB228_49
.LBB228_50:                             ;   in Loop: Header=BB228_18 Depth=1
	s_and_b64 vcc, exec, s[14:15]
	v_mov_b32_e32 v21, 0
	v_mov_b32_e32 v20, 0
	;; [unrolled: 1-line block ×4, first 2 shown]
	s_cbranch_vccnz .LBB228_53
; %bb.51:                               ;   in Loop: Header=BB228_18 Depth=1
	s_ashr_i32 s37, s36, 31
	v_mov_b32_e32 v36, 0
	v_lshl_add_u64 v[22:23], s[36:37], 2, v[6:7]
	s_mov_b64 s[14:15], 0
	v_mov_b32_e32 v35, 0
	v_mov_b32_e32 v20, 0
	;; [unrolled: 1-line block ×3, first 2 shown]
.LBB228_52:                             ;   Parent Loop BB228_18 Depth=1
                                        ; =>  This Inner Loop Header: Depth=2
	s_cmp_eq_u32 s14, 1
	s_cselect_b64 vcc, -1, 0
	s_cmp_eq_u32 s14, 2
	v_cndmask_b32_e32 v38, v2, v3, vcc
	s_cselect_b64 vcc, -1, 0
	s_cmp_eq_u32 s14, 3
	v_cndmask_b32_e32 v44, v38, v4, vcc
	s_cselect_b64 vcc, -1, 0
	s_add_i32 s16, s40, s14
	s_add_i32 s18, s38, s14
	;; [unrolled: 1-line block ×3, first 2 shown]
	s_ashr_i32 s17, s16, 31
	s_ashr_i32 s19, s18, 31
	;; [unrolled: 1-line block ×3, first 2 shown]
	v_lshl_add_u64 v[38:39], s[16:17], 2, v[6:7]
	flat_load_dword v37, v[22:23]
	v_lshl_add_u64 v[40:41], s[18:19], 2, v[6:7]
	v_lshl_add_u64 v[42:43], s[20:21], 2, v[6:7]
	flat_load_dword v38, v[38:39]
	s_nop 0
	flat_load_dword v39, v[40:41]
	flat_load_dword v45, v[42:43]
	s_add_u32 s14, s14, 1
	v_cndmask_b32_e32 v40, v44, v5, vcc
	s_addc_u32 s15, s15, 0
	v_lshl_add_u64 v[22:23], v[22:23], 0, 4
	s_cmp_lg_u32 s48, s14
	s_waitcnt vmcnt(0) lgkmcnt(0)
	v_fmac_f32_e32 v36, v40, v37
	v_fmac_f32_e32 v35, v40, v38
	;; [unrolled: 1-line block ×4, first 2 shown]
	s_cbranch_scc1 .LBB228_52
.LBB228_53:                             ;   in Loop: Header=BB228_18 Depth=1
	s_or_b64 exec, exec, s[44:45]
	s_or_b64 exec, exec, s[42:43]
	s_and_saveexec_b64 s[14:15], s[0:1]
	s_cbranch_execnz .LBB228_21
	s_branch .LBB228_22
.LBB228_54:                             ;   in Loop: Header=BB228_18 Depth=1
	ds_read_b32 v22, v33
	s_or_b64 exec, exec, s[14:15]
	s_and_saveexec_b64 s[14:15], s[0:1]
	s_cbranch_execz .LBB228_26
.LBB228_55:                             ;   in Loop: Header=BB228_18 Depth=1
	s_waitcnt lgkmcnt(0)
	ds_bpermute_b32 v23, v31, v22
	s_waitcnt lgkmcnt(0)
	v_add_f32_e32 v22, v22, v23
	ds_bpermute_b32 v23, v32, v22
	s_waitcnt lgkmcnt(0)
	v_add_f32_e32 v22, v22, v23
	s_or_b64 exec, exec, s[14:15]
	s_and_saveexec_b64 s[14:15], s[0:1]
	s_cbranch_execnz .LBB228_27
	s_branch .LBB228_28
.LBB228_56:                             ;   in Loop: Header=BB228_18 Depth=1
	ds_read_b32 v23, v33
	s_or_b64 exec, exec, s[14:15]
	s_and_saveexec_b64 s[14:15], s[0:1]
	s_cbranch_execz .LBB228_32
.LBB228_57:                             ;   in Loop: Header=BB228_18 Depth=1
	s_waitcnt lgkmcnt(0)
	ds_bpermute_b32 v35, v31, v23
	s_waitcnt lgkmcnt(0)
	v_add_f32_e32 v23, v23, v35
	ds_bpermute_b32 v35, v32, v23
	s_waitcnt lgkmcnt(0)
	v_add_f32_e32 v23, v23, v35
	s_or_b64 exec, exec, s[14:15]
	s_and_saveexec_b64 s[14:15], s[0:1]
	s_cbranch_execnz .LBB228_33
	s_branch .LBB228_34
.LBB228_58:                             ;   in Loop: Header=BB228_18 Depth=1
	ds_read_b32 v20, v33
	s_or_b64 exec, exec, s[14:15]
	s_and_saveexec_b64 s[14:15], s[0:1]
	s_cbranch_execz .LBB228_38
.LBB228_59:                             ;   in Loop: Header=BB228_18 Depth=1
	s_waitcnt lgkmcnt(0)
	ds_bpermute_b32 v35, v31, v20
	s_waitcnt lgkmcnt(0)
	v_add_f32_e32 v20, v20, v35
	ds_bpermute_b32 v35, v32, v20
	s_waitcnt lgkmcnt(0)
	v_add_f32_e32 v20, v20, v35
	s_or_b64 exec, exec, s[14:15]
	s_and_saveexec_b64 s[14:15], s[0:1]
	s_cbranch_execnz .LBB228_39
	s_branch .LBB228_40
.LBB228_60:                             ;   in Loop: Header=BB228_18 Depth=1
	ds_read_b32 v21, v33
	s_or_b64 exec, exec, s[14:15]
	s_and_saveexec_b64 s[14:15], s[0:1]
	s_cbranch_execz .LBB228_44
.LBB228_61:                             ;   in Loop: Header=BB228_18 Depth=1
	s_waitcnt lgkmcnt(0)
	ds_bpermute_b32 v35, v31, v21
	s_waitcnt lgkmcnt(0)
	v_add_f32_e32 v21, v21, v35
	ds_bpermute_b32 v35, v32, v21
	s_waitcnt lgkmcnt(0)
	v_add_f32_e32 v21, v21, v35
	s_or_b64 exec, exec, s[14:15]
	s_and_saveexec_b64 s[14:15], s[6:7]
	s_cbranch_execz .LBB228_17
.LBB228_62:                             ;   in Loop: Header=BB228_18 Depth=1
	s_mul_i32 s16, s29, s26
	s_add_i32 s30, s16, s2
	s_lshl_b64 s[16:17], s[30:31], 2
	s_add_u32 s16, s49, s16
	v_mul_f32_e32 v22, s33, v22
	s_addc_u32 s17, s50, s17
	s_add_i32 s30, s30, s26
	global_store_dword v11, v22, s[16:17]
	s_lshl_b64 s[16:17], s[30:31], 2
	s_add_u32 s16, s49, s16
	v_mul_f32_e32 v22, s33, v23
	s_addc_u32 s17, s50, s17
	s_add_i32 s30, s30, s26
	global_store_dword v11, v22, s[16:17]
	s_lshl_b64 s[16:17], s[30:31], 2
	s_add_u32 s16, s49, s16
	v_mul_f32_e32 v20, s33, v20
	s_addc_u32 s17, s50, s17
	s_add_i32 s30, s30, s26
	global_store_dword v11, v20, s[16:17]
	s_lshl_b64 s[16:17], s[30:31], 2
	s_add_u32 s16, s49, s16
	s_waitcnt lgkmcnt(0)
	v_mul_f32_e32 v20, s33, v21
	s_addc_u32 s17, s50, s17
	global_store_dword v11, v20, s[16:17]
	s_branch .LBB228_17
.LBB228_63:
	s_mov_b32 s29, 0
                                        ; implicit-def: $vgpr2_vgpr3_vgpr4_vgpr5
.LBB228_64:
	s_cmp_ge_i32 s29, s25
	s_cbranch_scc1 .LBB228_88
; %bb.65:
	v_mbcnt_hi_u32_b32 v10, -1, v24
	v_and_b32_e32 v11, 63, v10
	v_cmp_gt_u32_e32 vcc, 32, v11
	v_add_u32_e32 v14, s27, v8
	v_add_u32_e32 v16, s27, v14
	v_cndmask_b32_e64 v12, 0, 1, vcc
	v_lshlrev_b32_e32 v12, 5, v12
	v_cmp_gt_u32_e32 vcc, 48, v11
	s_waitcnt lgkmcnt(0)
	v_add_lshl_u32 v21, v12, v10, 2
	s_mov_b32 s3, 0
	v_cndmask_b32_e64 v12, 0, 1, vcc
	v_lshlrev_b32_e32 v12, 4, v12
	v_cmp_gt_u32_e32 vcc, 56, v11
	v_add_lshl_u32 v22, v12, v10, 2
	s_cmp_gt_i32 s48, 0
	v_cndmask_b32_e64 v12, 0, 1, vcc
	v_lshlrev_b32_e32 v12, 3, v12
	v_cmp_gt_u32_e32 vcc, 60, v11
	v_add_lshl_u32 v23, v12, v10, 2
	v_ashrrev_i32_e32 v15, 31, v14
	v_cndmask_b32_e64 v12, 0, 1, vcc
	v_lshlrev_b32_e32 v12, 2, v12
	v_cmp_gt_u32_e32 vcc, 62, v11
	v_add_lshl_u32 v24, v12, v10, 2
	v_ashrrev_i32_e32 v17, 31, v16
	v_cndmask_b32_e64 v12, 0, 1, vcc
	v_lshlrev_b32_e32 v12, 1, v12
	v_cmp_ge_i32_e64 s[0:1], s24, v25
	s_cselect_b64 s[30:31], -1, 0
	v_add_lshl_u32 v25, v12, v10, 2
	v_cmp_ne_u32_e32 vcc, 63, v11
	s_lshl_b64 s[14:15], s[2:3], 2
	v_lshl_add_u64 v[12:13], v[14:15], 2, s[22:23]
	v_lshl_add_u64 v[14:15], v[16:17], 2, s[22:23]
	v_add_u32_e32 v16, s27, v16
	v_lshlrev_b32_e32 v20, 2, v1
	v_addc_co_u32_e32 v10, vcc, 0, v10, vcc
	v_cmp_eq_u32_e64 s[8:9], 0, v1
	v_and_b32_e32 v1, 12, v9
	s_add_u32 s2, s49, s14
	v_ashrrev_i32_e32 v9, 31, v8
	v_ashrrev_i32_e32 v17, 31, v16
	v_cmp_ge_i32_e64 s[4:5], s24, v26
	v_cmp_gt_u32_e64 s[6:7], 64, v0
	v_lshlrev_b32_e32 v26, 2, v10
	v_cmp_gt_u32_e64 s[10:11], 4, v0
	v_cmp_eq_u32_e64 s[12:13], 0, v0
	s_addc_u32 s24, s50, s15
	v_lshl_add_u64 v[10:11], v[8:9], 2, s[22:23]
	v_lshl_add_u64 v[16:17], v[16:17], 2, s[22:23]
	s_mul_i32 s34, s29, s28
	v_mov_b32_e32 v9, 0
	s_branch .LBB228_67
.LBB228_66:                             ;   in Loop: Header=BB228_67 Depth=1
	s_or_b64 exec, exec, s[14:15]
	s_add_i32 s29, s29, 1
	s_add_i32 s34, s34, s28
	s_cmp_ge_i32 s29, s25
	s_cbranch_scc1 .LBB228_88
.LBB228_67:                             ; =>This Loop Header: Depth=1
                                        ;     Child Loop BB228_80 Depth 2
                                        ;     Child Loop BB228_83 Depth 2
	s_waitcnt lgkmcnt(0)
	v_mov_b32_e32 v0, s3
	s_and_saveexec_b64 s[14:15], s[0:1]
	s_xor_b64 s[14:15], exec, s[14:15]
	s_cbranch_execnz .LBB228_76
; %bb.68:                               ;   in Loop: Header=BB228_67 Depth=1
	s_andn2_saveexec_b64 s[36:37], s[14:15]
	s_cbranch_execnz .LBB228_77
.LBB228_69:                             ;   in Loop: Header=BB228_67 Depth=1
	s_or_b64 exec, exec, s[36:37]
	s_and_saveexec_b64 s[14:15], s[6:7]
	s_cbranch_execz .LBB228_71
.LBB228_70:                             ;   in Loop: Header=BB228_67 Depth=1
	ds_write_b32 v20, v9
.LBB228_71:                             ;   in Loop: Header=BB228_67 Depth=1
	s_or_b64 exec, exec, s[14:15]
	ds_bpermute_b32 v18, v21, v0
	s_waitcnt lgkmcnt(0)
	s_barrier
	v_add_f32_e32 v0, v0, v18
	ds_bpermute_b32 v18, v22, v0
	s_waitcnt lgkmcnt(0)
	v_add_f32_e32 v0, v0, v18
	ds_bpermute_b32 v18, v23, v0
	s_waitcnt lgkmcnt(0)
	;; [unrolled: 3-line block ×4, first 2 shown]
	v_add_f32_e32 v0, v0, v18
	ds_bpermute_b32 v18, v26, v0
	s_and_saveexec_b64 s[14:15], s[8:9]
	s_cbranch_execz .LBB228_73
; %bb.72:                               ;   in Loop: Header=BB228_67 Depth=1
	s_waitcnt lgkmcnt(0)
	v_add_f32_e32 v0, v0, v18
	ds_write_b32 v1, v0
.LBB228_73:                             ;   in Loop: Header=BB228_67 Depth=1
	s_or_b64 exec, exec, s[14:15]
	v_mov_b32_e32 v0, 0
	s_waitcnt lgkmcnt(0)
	s_barrier
	s_and_saveexec_b64 s[14:15], s[10:11]
	s_cbranch_execnz .LBB228_85
; %bb.74:                               ;   in Loop: Header=BB228_67 Depth=1
	s_or_b64 exec, exec, s[14:15]
	s_and_saveexec_b64 s[14:15], s[6:7]
	s_cbranch_execnz .LBB228_86
.LBB228_75:                             ;   in Loop: Header=BB228_67 Depth=1
	s_or_b64 exec, exec, s[14:15]
	s_and_saveexec_b64 s[14:15], s[12:13]
	s_cbranch_execz .LBB228_66
	s_branch .LBB228_87
.LBB228_76:                             ;   in Loop: Header=BB228_67 Depth=1
	s_mul_i32 s16, s29, s28
	s_ashr_i32 s17, s16, 31
	v_lshl_add_u64 v[18:19], s[16:17], 2, v[6:7]
	flat_load_dwordx4 v[28:31], v[18:19]
	flat_load_dword v2, v[10:11]
	flat_load_dword v3, v[12:13]
	;; [unrolled: 1-line block ×4, first 2 shown]
	s_waitcnt vmcnt(0) lgkmcnt(0)
	v_pk_mul_f32 v[18:19], v[2:3], v[28:29]
	s_nop 0
	v_add_f32_e32 v0, 0, v18
	v_add_f32_e32 v0, v0, v19
	v_pk_mul_f32 v[18:19], v[4:5], v[30:31]
	s_nop 0
	v_add_f32_e32 v0, v0, v18
	v_add_f32_e32 v0, v0, v19
	s_andn2_saveexec_b64 s[36:37], s[14:15]
	s_cbranch_execz .LBB228_69
.LBB228_77:                             ;   in Loop: Header=BB228_67 Depth=1
	s_and_saveexec_b64 s[38:39], s[4:5]
	s_cbranch_execz .LBB228_84
; %bb.78:                               ;   in Loop: Header=BB228_67 Depth=1
	v_cndmask_b32_e64 v18, 0, 1, s[30:31]
	v_cmp_ne_u32_e64 s[14:15], 1, v18
	s_andn2_b64 vcc, exec, s[30:31]
	s_cbranch_vccnz .LBB228_81
; %bb.79:                               ;   in Loop: Header=BB228_67 Depth=1
	s_mov_b64 s[40:41], 0
	v_mov_b32_e32 v18, v8
.LBB228_80:                             ;   Parent Loop BB228_67 Depth=1
                                        ; =>  This Inner Loop Header: Depth=2
	v_ashrrev_i32_e32 v19, 31, v18
	v_lshl_add_u64 v[28:29], v[18:19], 2, s[22:23]
	flat_load_dword v19, v[28:29]
	s_cmp_eq_u32 s40, 3
	s_cselect_b64 vcc, -1, 0
	s_cmp_eq_u32 s40, 2
	s_cselect_b64 s[16:17], -1, 0
	s_cmp_eq_u32 s40, 1
	s_cselect_b64 s[18:19], -1, 0
	;; [unrolled: 2-line block ×3, first 2 shown]
	s_add_u32 s40, s40, 1
	s_addc_u32 s41, s41, 0
	v_add_u32_e32 v18, s27, v18
	s_cmp_eq_u32 s48, s40
	s_waitcnt vmcnt(0) lgkmcnt(0)
	v_cndmask_b32_e32 v5, v5, v19, vcc
	v_cndmask_b32_e64 v4, v4, v19, s[16:17]
	v_cndmask_b32_e64 v3, v3, v19, s[18:19]
	;; [unrolled: 1-line block ×3, first 2 shown]
	s_cbranch_scc0 .LBB228_80
.LBB228_81:                             ;   in Loop: Header=BB228_67 Depth=1
	s_and_b64 vcc, exec, s[14:15]
	s_cbranch_vccnz .LBB228_84
; %bb.82:                               ;   in Loop: Header=BB228_67 Depth=1
	s_ashr_i32 s35, s34, 31
	v_lshl_add_u64 v[18:19], s[34:35], 2, v[6:7]
	s_mov_b64 s[14:15], 0
.LBB228_83:                             ;   Parent Loop BB228_67 Depth=1
                                        ; =>  This Inner Loop Header: Depth=2
	flat_load_dword v27, v[18:19]
	s_cmp_eq_u32 s14, 1
	s_cselect_b64 vcc, -1, 0
	s_cmp_eq_u32 s14, 2
	v_cndmask_b32_e32 v28, v2, v3, vcc
	s_cselect_b64 vcc, -1, 0
	s_cmp_eq_u32 s14, 3
	v_cndmask_b32_e32 v28, v28, v4, vcc
	s_cselect_b64 vcc, -1, 0
	s_add_u32 s14, s14, 1
	v_cndmask_b32_e32 v28, v28, v5, vcc
	s_addc_u32 s15, s15, 0
	v_lshl_add_u64 v[18:19], v[18:19], 0, 4
	s_cmp_lg_u32 s48, s14
	s_waitcnt vmcnt(0) lgkmcnt(0)
	v_fmac_f32_e32 v0, v28, v27
	s_cbranch_scc1 .LBB228_83
.LBB228_84:                             ;   in Loop: Header=BB228_67 Depth=1
	s_or_b64 exec, exec, s[38:39]
	s_or_b64 exec, exec, s[36:37]
	s_and_saveexec_b64 s[14:15], s[6:7]
	s_cbranch_execnz .LBB228_70
	s_branch .LBB228_71
.LBB228_85:                             ;   in Loop: Header=BB228_67 Depth=1
	ds_read_b32 v0, v20
	s_or_b64 exec, exec, s[14:15]
	s_and_saveexec_b64 s[14:15], s[6:7]
	s_cbranch_execz .LBB228_75
.LBB228_86:                             ;   in Loop: Header=BB228_67 Depth=1
	s_waitcnt lgkmcnt(0)
	ds_bpermute_b32 v18, v25, v0
	s_waitcnt lgkmcnt(0)
	v_add_f32_e32 v0, v0, v18
	ds_bpermute_b32 v18, v26, v0
	s_waitcnt lgkmcnt(0)
	v_add_f32_e32 v0, v0, v18
	s_or_b64 exec, exec, s[14:15]
	s_and_saveexec_b64 s[14:15], s[12:13]
	s_cbranch_execz .LBB228_66
.LBB228_87:                             ;   in Loop: Header=BB228_67 Depth=1
	s_mul_hi_u32 s17, s29, s26
	s_mul_i32 s16, s29, s26
	s_lshl_b64 s[16:17], s[16:17], 2
	s_add_u32 s16, s2, s16
	s_waitcnt lgkmcnt(0)
	v_mul_f32_e32 v0, s33, v0
	s_addc_u32 s17, s24, s17
	global_store_dword v9, v0, s[16:17]
	s_branch .LBB228_66
.LBB228_88:
	s_endpgm
	.section	.rodata,"a",@progbits
	.p2align	6, 0x0
	.amdhsa_kernel _ZL23rocblas_gemvt_sn_kernelILb1ELi256ELi4EiPKfS1_fEviiT4_lPKT3_lilS5_lilPT5_i
		.amdhsa_group_segment_fixed_size 256
		.amdhsa_private_segment_fixed_size 0
		.amdhsa_kernarg_size 360
		.amdhsa_user_sgpr_count 2
		.amdhsa_user_sgpr_dispatch_ptr 0
		.amdhsa_user_sgpr_queue_ptr 0
		.amdhsa_user_sgpr_kernarg_segment_ptr 1
		.amdhsa_user_sgpr_dispatch_id 0
		.amdhsa_user_sgpr_kernarg_preload_length 0
		.amdhsa_user_sgpr_kernarg_preload_offset 0
		.amdhsa_user_sgpr_private_segment_size 0
		.amdhsa_uses_dynamic_stack 0
		.amdhsa_enable_private_segment 0
		.amdhsa_system_sgpr_workgroup_id_x 1
		.amdhsa_system_sgpr_workgroup_id_y 0
		.amdhsa_system_sgpr_workgroup_id_z 1
		.amdhsa_system_sgpr_workgroup_info 0
		.amdhsa_system_vgpr_workitem_id 0
		.amdhsa_next_free_vgpr 50
		.amdhsa_next_free_sgpr 54
		.amdhsa_accum_offset 52
		.amdhsa_reserve_vcc 1
		.amdhsa_float_round_mode_32 0
		.amdhsa_float_round_mode_16_64 0
		.amdhsa_float_denorm_mode_32 3
		.amdhsa_float_denorm_mode_16_64 3
		.amdhsa_dx10_clamp 1
		.amdhsa_ieee_mode 1
		.amdhsa_fp16_overflow 0
		.amdhsa_tg_split 0
		.amdhsa_exception_fp_ieee_invalid_op 0
		.amdhsa_exception_fp_denorm_src 0
		.amdhsa_exception_fp_ieee_div_zero 0
		.amdhsa_exception_fp_ieee_overflow 0
		.amdhsa_exception_fp_ieee_underflow 0
		.amdhsa_exception_fp_ieee_inexact 0
		.amdhsa_exception_int_div_zero 0
	.end_amdhsa_kernel
	.section	.text._ZL23rocblas_gemvt_sn_kernelILb1ELi256ELi4EiPKfS1_fEviiT4_lPKT3_lilS5_lilPT5_i,"axG",@progbits,_ZL23rocblas_gemvt_sn_kernelILb1ELi256ELi4EiPKfS1_fEviiT4_lPKT3_lilS5_lilPT5_i,comdat
.Lfunc_end228:
	.size	_ZL23rocblas_gemvt_sn_kernelILb1ELi256ELi4EiPKfS1_fEviiT4_lPKT3_lilS5_lilPT5_i, .Lfunc_end228-_ZL23rocblas_gemvt_sn_kernelILb1ELi256ELi4EiPKfS1_fEviiT4_lPKT3_lilS5_lilPT5_i
                                        ; -- End function
	.section	.AMDGPU.csdata,"",@progbits
; Kernel info:
; codeLenInByte = 3900
; NumSgprs: 60
; NumVgprs: 50
; NumAgprs: 0
; TotalNumVgprs: 50
; ScratchSize: 0
; MemoryBound: 0
; FloatMode: 240
; IeeeMode: 1
; LDSByteSize: 256 bytes/workgroup (compile time only)
; SGPRBlocks: 7
; VGPRBlocks: 6
; NumSGPRsForWavesPerEU: 60
; NumVGPRsForWavesPerEU: 50
; AccumOffset: 52
; Occupancy: 8
; WaveLimiterHint : 0
; COMPUTE_PGM_RSRC2:SCRATCH_EN: 0
; COMPUTE_PGM_RSRC2:USER_SGPR: 2
; COMPUTE_PGM_RSRC2:TRAP_HANDLER: 0
; COMPUTE_PGM_RSRC2:TGID_X_EN: 1
; COMPUTE_PGM_RSRC2:TGID_Y_EN: 0
; COMPUTE_PGM_RSRC2:TGID_Z_EN: 1
; COMPUTE_PGM_RSRC2:TIDIG_COMP_CNT: 0
; COMPUTE_PGM_RSRC3_GFX90A:ACCUM_OFFSET: 12
; COMPUTE_PGM_RSRC3_GFX90A:TG_SPLIT: 0
	.section	.text._ZL23rocblas_gemvt_sn_kernelILb1ELi256ELi4ElPKfS1_fEviiT4_lPKT3_lilS5_lilPT5_i,"axG",@progbits,_ZL23rocblas_gemvt_sn_kernelILb1ELi256ELi4ElPKfS1_fEviiT4_lPKT3_lilS5_lilPT5_i,comdat
	.globl	_ZL23rocblas_gemvt_sn_kernelILb1ELi256ELi4ElPKfS1_fEviiT4_lPKT3_lilS5_lilPT5_i ; -- Begin function _ZL23rocblas_gemvt_sn_kernelILb1ELi256ELi4ElPKfS1_fEviiT4_lPKT3_lilS5_lilPT5_i
	.p2align	8
	.type	_ZL23rocblas_gemvt_sn_kernelILb1ELi256ELi4ElPKfS1_fEviiT4_lPKT3_lilS5_lilPT5_i,@function
_ZL23rocblas_gemvt_sn_kernelILb1ELi256ELi4ElPKfS1_fEviiT4_lPKT3_lilS5_lilPT5_i: ; @_ZL23rocblas_gemvt_sn_kernelILb1ELi256ELi4ElPKfS1_fEviiT4_lPKT3_lilS5_lilPT5_i
; %bb.0:
	s_load_dwordx8 s[4:11], s[0:1], 0x8
	s_mov_b32 s12, s3
	s_mov_b32 s13, 0
	s_mov_b64 s[30:31], 0
	s_mov_b64 s[28:29], 0
	s_waitcnt lgkmcnt(0)
	s_mul_i32 s3, s3, s7
	s_mul_hi_u32 s7, s12, s6
	s_add_i32 s7, s7, s3
	s_mul_i32 s6, s12, s6
	s_lshl_b64 s[6:7], s[6:7], 2
	s_add_u32 s4, s4, s6
	s_addc_u32 s5, s5, s7
	s_load_dword s33, s[4:5], 0x0
	s_waitcnt lgkmcnt(0)
	v_cmp_eq_f32_e64 s[6:7], s33, 0
	v_cmp_neq_f32_e64 s[4:5], s33, 0
	s_and_b64 vcc, exec, s[6:7]
	s_cbranch_vccnz .LBB229_2
; %bb.1:
	s_lshl_b64 s[14:15], s[12:13], 3
	s_add_u32 s8, s8, s14
	s_addc_u32 s9, s9, s15
	s_load_dwordx2 s[8:9], s[8:9], 0x0
	s_lshl_b64 s[10:11], s[10:11], 2
	s_waitcnt lgkmcnt(0)
	s_add_u32 s28, s8, s10
	s_addc_u32 s29, s9, s11
.LBB229_2:
	s_andn2_b64 vcc, exec, s[4:5]
	s_cbranch_vccnz .LBB229_4
; %bb.3:
	s_load_dwordx4 s[8:11], s[0:1], 0x38
	s_lshl_b64 s[4:5], s[12:13], 3
	s_waitcnt lgkmcnt(0)
	s_add_u32 s4, s8, s4
	s_addc_u32 s5, s9, s5
	s_load_dwordx2 s[4:5], s[4:5], 0x0
	s_lshl_b64 s[8:9], s[10:11], 2
	s_waitcnt lgkmcnt(0)
	s_add_u32 s30, s4, s8
	s_addc_u32 s31, s5, s9
.LBB229_4:
	s_load_dwordx2 s[22:23], s[0:1], 0x0
	s_load_dwordx2 s[4:5], s[0:1], 0x58
	s_load_dword s24, s[0:1], 0x68
	s_mov_b32 s25, 0
	s_waitcnt lgkmcnt(0)
	s_ashr_i32 s14, s23, 31
	s_mul_hi_u32 s3, s23, s12
	s_mul_i32 s8, s14, s12
	s_add_i32 s9, s3, s8
	s_mul_i32 s8, s23, s12
	s_mul_i32 s3, s9, s24
	s_mul_hi_u32 s10, s8, s24
	s_add_i32 s11, s10, s3
	s_mul_i32 s10, s8, s24
	s_lshl_b64 s[10:11], s[10:11], 2
	s_add_u32 s54, s4, s10
	s_addc_u32 s55, s5, s11
	s_andn2_b64 vcc, exec, s[6:7]
	s_mov_b64 s[6:7], -1
	s_cbranch_vccnz .LBB229_14
; %bb.5:
	s_cmp_gt_i32 s23, 0
	v_cmp_eq_u32_e32 vcc, 0, v0
	s_cselect_b64 s[6:7], -1, 0
	s_and_b64 s[10:11], vcc, s[6:7]
	s_and_saveexec_b64 s[6:7], s[10:11]
	s_cbranch_execz .LBB229_13
; %bb.6:
	s_cmp_gt_u32 s23, 1
	s_cselect_b64 s[10:11], -1, 0
	s_cmp_eq_u32 s24, 1
	s_cselect_b64 s[16:17], -1, 0
	s_mov_b32 s3, 0
	s_and_b64 s[10:11], s[10:11], s[16:17]
	s_mov_b64 s[12:13], -1
	s_andn2_b64 vcc, exec, s[10:11]
	s_mov_b32 s10, s3
	s_cbranch_vccnz .LBB229_10
; %bb.7:
	s_lshl_b64 s[10:11], s[2:3], 2
	s_add_u32 s12, s54, s10
	s_addc_u32 s13, s55, s11
	s_and_b32 s10, s23, 0x7ffffffe
	v_mov_b32_e32 v2, 0
	v_mov_b32_e32 v3, v2
	s_mov_b32 s11, s10
.LBB229_8:                              ; =>This Inner Loop Header: Depth=1
	global_store_dwordx2 v2, v[2:3], s[12:13]
	s_add_u32 s12, s12, 8
	s_addc_u32 s13, s13, 0
	s_add_i32 s11, s11, -2
	s_cmp_lg_u32 s11, 0
	s_cbranch_scc1 .LBB229_8
; %bb.9:
	s_cmp_lg_u32 s10, s23
	s_cselect_b64 s[12:13], -1, 0
.LBB229_10:
	s_and_b64 vcc, exec, s[12:13]
	s_cbranch_vccz .LBB229_13
; %bb.11:
	s_mov_b32 s11, 0
	s_sub_i32 s12, s23, s10
	s_lshl_b64 s[8:9], s[8:9], 2
	s_lshl_b64 s[10:11], s[10:11], 2
	s_add_u32 s8, s8, s10
	s_addc_u32 s9, s9, s11
	s_mul_i32 s9, s9, s24
	s_mul_hi_u32 s10, s8, s24
	s_add_i32 s10, s10, s9
	s_mul_i32 s11, s8, s24
	s_lshl_b64 s[8:9], s[2:3], 2
	s_add_u32 s3, s11, s8
	s_addc_u32 s8, s10, s9
	s_add_u32 s4, s4, s3
	s_addc_u32 s5, s5, s8
	s_lshl_b64 s[8:9], s[24:25], 2
	v_mov_b32_e32 v1, 0
.LBB229_12:                             ; =>This Inner Loop Header: Depth=1
	s_add_i32 s12, s12, -1
	global_store_dword v1, v1, s[4:5]
	s_add_u32 s4, s4, s8
	s_addc_u32 s5, s5, s9
	s_cmp_eq_u32 s12, 0
	s_cbranch_scc0 .LBB229_12
.LBB229_13:
	s_or_b64 exec, exec, s[6:7]
	s_mov_b64 s[6:7], 0
.LBB229_14:
	s_andn2_b64 vcc, exec, s[6:7]
	s_cbranch_vccnz .LBB229_88
; %bb.15:
	s_load_dword s26, s[0:1], 0x28
	s_load_dword s34, s[0:1], 0x48
	s_lshl_b32 s0, s2, 10
	v_lshl_or_b32 v8, v0, 2, s0
	s_lshr_b32 s0, s14, 30
	s_add_i32 s0, s23, s0
	s_and_b32 s56, s0, -4
	s_ashr_i32 s0, s22, 31
	s_lshr_b32 s0, s0, 30
	s_add_i32 s0, s22, s0
	s_and_b32 s0, s0, -4
	s_waitcnt lgkmcnt(0)
	s_ashr_i32 s27, s26, 31
	s_ashr_i32 s35, s34, 31
	v_ashrrev_i32_e32 v9, 31, v8
	s_sub_i32 s25, s22, s0
	v_lshl_add_u64 v[6:7], v[8:9], 2, s[28:29]
	s_cmp_lt_i32 s56, 1
	v_add_u32_e32 v29, 4, v8
	v_add_u32_e32 v30, s25, v8
	v_and_b32_e32 v26, 63, v0
	v_cmp_gt_u32_e64 s[0:1], 64, v0
	v_mbcnt_lo_u32_b32 v28, -1, 0
	v_cmp_gt_u32_e64 s[4:5], 4, v0
	v_lshrrev_b32_e32 v27, 4, v0
	v_cmp_eq_u32_e64 s[6:7], 0, v0
	v_or_b32_e32 v25, 1, v8
	v_or_b32_e32 v24, 2, v8
	v_or_b32_e32 v1, 3, v8
	s_cbranch_scc1 .LBB229_63
; %bb.16:
	v_mbcnt_hi_u32_b32 v2, -1, v28
	v_and_b32_e32 v3, 63, v2
	v_cmp_gt_u32_e32 vcc, 32, v3
	s_mov_b32 s3, 0
	s_cmp_gt_i32 s25, 0
	v_cndmask_b32_e64 v4, 0, 1, vcc
	v_lshlrev_b32_e32 v4, 5, v4
	v_cmp_gt_u32_e32 vcc, 48, v3
	v_add_lshl_u32 v31, v4, v2, 2
	s_cselect_b64 s[36:37], -1, 0
	v_cndmask_b32_e64 v4, 0, 1, vcc
	v_lshlrev_b32_e32 v4, 4, v4
	v_cmp_gt_u32_e32 vcc, 56, v3
	v_add_lshl_u32 v32, v4, v2, 2
	s_lshl_b64 s[14:15], s[2:3], 2
	v_cndmask_b32_e64 v4, 0, 1, vcc
	v_lshlrev_b32_e32 v4, 3, v4
	v_cmp_gt_u32_e32 vcc, 60, v3
	v_add_lshl_u32 v33, v4, v2, 2
	s_add_u32 s57, s54, s14
	v_cndmask_b32_e64 v4, 0, 1, vcc
	v_lshlrev_b32_e32 v4, 2, v4
	v_cmp_gt_u32_e32 vcc, 62, v3
	v_add_lshl_u32 v34, v4, v2, 2
	s_addc_u32 s58, s55, s15
	v_cndmask_b32_e64 v4, 0, 1, vcc
	v_lshlrev_b32_e32 v4, 1, v4
	v_cmp_ne_u32_e32 vcc, 63, v3
	v_add_lshl_u32 v35, v4, v2, 2
	v_cmp_ge_i32_e64 s[8:9], s22, v29
	v_addc_co_u32_e32 v2, vcc, 0, v2, vcc
	v_lshlrev_b32_e32 v36, 2, v2
	v_mad_i64_i32 v[2:3], s[14:15], s34, v8, 0
	v_lshl_add_u64 v[10:11], v[2:3], 2, s[30:31]
	v_mad_i64_i32 v[2:3], s[14:15], s34, v25, 0
	v_lshl_add_u64 v[12:13], v[2:3], 2, s[30:31]
	;; [unrolled: 2-line block ×3, first 2 shown]
	v_mad_i64_i32 v[2:3], s[14:15], s34, v1, 0
	v_cmp_ge_i32_e64 s[10:11], s22, v30
	v_cmp_eq_u32_e64 s[12:13], 0, v26
	v_lshlrev_b32_e32 v37, 2, v26
	v_and_b32_e32 v38, 12, v27
	v_lshl_add_u64 v[16:17], v[2:3], 2, s[30:31]
	s_lshl_b64 s[38:39], s[34:35], 2
	s_mul_hi_i32 s41, s26, 12
	s_mul_i32 s40, s26, 12
	s_lshl_b64 s[42:43], s[26:27], 4
	s_lshl_b64 s[44:45], s[26:27], 3
	;; [unrolled: 1-line block ×3, first 2 shown]
	v_mov_b32_e32 v39, 0
	v_mov_b64_e32 v[18:19], v[6:7]
                                        ; implicit-def: $vgpr2_vgpr3_vgpr4_vgpr5
	s_branch .LBB229_18
.LBB229_17:                             ;   in Loop: Header=BB229_18 Depth=1
	s_or_b64 exec, exec, s[14:15]
	s_add_i32 s3, s3, 4
	s_cmp_ge_i32 s3, s56
	v_lshl_add_u64 v[18:19], v[18:19], 0, s[42:43]
	s_cbranch_scc1 .LBB229_64
.LBB229_18:                             ; =>This Loop Header: Depth=1
                                        ;     Child Loop BB229_49 Depth 2
                                        ;     Child Loop BB229_52 Depth 2
                                        ; implicit-def: $vgpr21
                                        ; implicit-def: $vgpr40
                                        ; implicit-def: $vgpr41
	s_and_saveexec_b64 s[14:15], s[8:9]
	s_xor_b64 s[14:15], exec, s[14:15]
	s_cbranch_execnz .LBB229_45
; %bb.19:                               ;   in Loop: Header=BB229_18 Depth=1
	s_andn2_saveexec_b64 s[48:49], s[14:15]
	s_cbranch_execnz .LBB229_46
.LBB229_20:                             ;   in Loop: Header=BB229_18 Depth=1
	s_or_b64 exec, exec, s[48:49]
	s_and_saveexec_b64 s[14:15], s[0:1]
	s_cbranch_execz .LBB229_22
.LBB229_21:                             ;   in Loop: Header=BB229_18 Depth=1
	ds_write_b32 v37, v39
.LBB229_22:                             ;   in Loop: Header=BB229_18 Depth=1
	s_or_b64 exec, exec, s[14:15]
	ds_bpermute_b32 v22, v31, v41
	s_waitcnt lgkmcnt(0)
	s_barrier
	v_add_f32_e32 v22, v41, v22
	ds_bpermute_b32 v23, v32, v22
	s_waitcnt lgkmcnt(0)
	v_add_f32_e32 v22, v22, v23
	ds_bpermute_b32 v23, v33, v22
	s_waitcnt lgkmcnt(0)
	;; [unrolled: 3-line block ×4, first 2 shown]
	v_add_f32_e32 v22, v22, v23
	ds_bpermute_b32 v23, v36, v22
	s_and_saveexec_b64 s[14:15], s[12:13]
	s_cbranch_execz .LBB229_24
; %bb.23:                               ;   in Loop: Header=BB229_18 Depth=1
	s_waitcnt lgkmcnt(0)
	v_add_f32_e32 v22, v22, v23
	ds_write_b32 v38, v22
.LBB229_24:                             ;   in Loop: Header=BB229_18 Depth=1
	s_or_b64 exec, exec, s[14:15]
	v_mov_b32_e32 v22, 0
	s_waitcnt lgkmcnt(0)
	s_barrier
	s_and_saveexec_b64 s[14:15], s[4:5]
	s_cbranch_execnz .LBB229_54
; %bb.25:                               ;   in Loop: Header=BB229_18 Depth=1
	s_or_b64 exec, exec, s[14:15]
	s_and_saveexec_b64 s[14:15], s[0:1]
	s_cbranch_execnz .LBB229_55
.LBB229_26:                             ;   in Loop: Header=BB229_18 Depth=1
	s_or_b64 exec, exec, s[14:15]
	s_and_saveexec_b64 s[14:15], s[0:1]
	s_cbranch_execz .LBB229_28
.LBB229_27:                             ;   in Loop: Header=BB229_18 Depth=1
	ds_write_b32 v37, v39
.LBB229_28:                             ;   in Loop: Header=BB229_18 Depth=1
	s_or_b64 exec, exec, s[14:15]
	ds_bpermute_b32 v23, v31, v40
	s_waitcnt lgkmcnt(0)
	s_barrier
	v_add_f32_e32 v23, v40, v23
	ds_bpermute_b32 v40, v32, v23
	s_waitcnt lgkmcnt(0)
	v_add_f32_e32 v23, v23, v40
	ds_bpermute_b32 v40, v33, v23
	s_waitcnt lgkmcnt(0)
	;; [unrolled: 3-line block ×4, first 2 shown]
	v_add_f32_e32 v23, v23, v40
	ds_bpermute_b32 v40, v36, v23
	s_and_saveexec_b64 s[14:15], s[12:13]
	s_cbranch_execz .LBB229_30
; %bb.29:                               ;   in Loop: Header=BB229_18 Depth=1
	s_waitcnt lgkmcnt(0)
	v_add_f32_e32 v23, v23, v40
	ds_write_b32 v38, v23
.LBB229_30:                             ;   in Loop: Header=BB229_18 Depth=1
	s_or_b64 exec, exec, s[14:15]
	v_mov_b32_e32 v23, 0
	s_waitcnt lgkmcnt(0)
	s_barrier
	s_and_saveexec_b64 s[14:15], s[4:5]
	s_cbranch_execnz .LBB229_56
; %bb.31:                               ;   in Loop: Header=BB229_18 Depth=1
	s_or_b64 exec, exec, s[14:15]
	s_and_saveexec_b64 s[14:15], s[0:1]
	s_cbranch_execnz .LBB229_57
.LBB229_32:                             ;   in Loop: Header=BB229_18 Depth=1
	s_or_b64 exec, exec, s[14:15]
	s_and_saveexec_b64 s[14:15], s[0:1]
	s_cbranch_execz .LBB229_34
.LBB229_33:                             ;   in Loop: Header=BB229_18 Depth=1
	ds_write_b32 v37, v39
.LBB229_34:                             ;   in Loop: Header=BB229_18 Depth=1
	s_or_b64 exec, exec, s[14:15]
	ds_bpermute_b32 v40, v31, v20
	s_waitcnt lgkmcnt(0)
	s_barrier
	v_add_f32_e32 v20, v20, v40
	ds_bpermute_b32 v40, v32, v20
	s_waitcnt lgkmcnt(0)
	v_add_f32_e32 v20, v20, v40
	ds_bpermute_b32 v40, v33, v20
	s_waitcnt lgkmcnt(0)
	v_add_f32_e32 v20, v20, v40
	ds_bpermute_b32 v40, v34, v20
	s_waitcnt lgkmcnt(0)
	v_add_f32_e32 v20, v20, v40
	ds_bpermute_b32 v40, v35, v20
	s_waitcnt lgkmcnt(0)
	v_add_f32_e32 v20, v20, v40
	ds_bpermute_b32 v40, v36, v20
	s_and_saveexec_b64 s[14:15], s[12:13]
	s_cbranch_execz .LBB229_36
; %bb.35:                               ;   in Loop: Header=BB229_18 Depth=1
	s_waitcnt lgkmcnt(0)
	v_add_f32_e32 v20, v20, v40
	ds_write_b32 v38, v20
.LBB229_36:                             ;   in Loop: Header=BB229_18 Depth=1
	s_or_b64 exec, exec, s[14:15]
	v_mov_b32_e32 v20, 0
	s_waitcnt lgkmcnt(0)
	s_barrier
	s_and_saveexec_b64 s[14:15], s[4:5]
	s_cbranch_execnz .LBB229_58
; %bb.37:                               ;   in Loop: Header=BB229_18 Depth=1
	s_or_b64 exec, exec, s[14:15]
	s_and_saveexec_b64 s[14:15], s[0:1]
	s_cbranch_execnz .LBB229_59
.LBB229_38:                             ;   in Loop: Header=BB229_18 Depth=1
	s_or_b64 exec, exec, s[14:15]
	s_and_saveexec_b64 s[14:15], s[0:1]
	s_cbranch_execz .LBB229_40
.LBB229_39:                             ;   in Loop: Header=BB229_18 Depth=1
	ds_write_b32 v37, v39
.LBB229_40:                             ;   in Loop: Header=BB229_18 Depth=1
	s_or_b64 exec, exec, s[14:15]
	ds_bpermute_b32 v40, v31, v21
	s_waitcnt lgkmcnt(0)
	s_barrier
	v_add_f32_e32 v21, v21, v40
	ds_bpermute_b32 v40, v32, v21
	s_waitcnt lgkmcnt(0)
	v_add_f32_e32 v21, v21, v40
	ds_bpermute_b32 v40, v33, v21
	s_waitcnt lgkmcnt(0)
	;; [unrolled: 3-line block ×4, first 2 shown]
	v_add_f32_e32 v21, v21, v40
	ds_bpermute_b32 v40, v36, v21
	s_and_saveexec_b64 s[14:15], s[12:13]
	s_cbranch_execz .LBB229_42
; %bb.41:                               ;   in Loop: Header=BB229_18 Depth=1
	s_waitcnt lgkmcnt(0)
	v_add_f32_e32 v21, v21, v40
	ds_write_b32 v38, v21
.LBB229_42:                             ;   in Loop: Header=BB229_18 Depth=1
	s_or_b64 exec, exec, s[14:15]
	v_mov_b32_e32 v21, 0
	s_waitcnt lgkmcnt(0)
	s_barrier
	s_and_saveexec_b64 s[14:15], s[4:5]
	s_cbranch_execnz .LBB229_60
; %bb.43:                               ;   in Loop: Header=BB229_18 Depth=1
	s_or_b64 exec, exec, s[14:15]
	s_and_saveexec_b64 s[14:15], s[0:1]
	s_cbranch_execnz .LBB229_61
.LBB229_44:                             ;   in Loop: Header=BB229_18 Depth=1
	s_or_b64 exec, exec, s[14:15]
	s_and_saveexec_b64 s[14:15], s[6:7]
	s_cbranch_execz .LBB229_17
	s_branch .LBB229_62
.LBB229_45:                             ;   in Loop: Header=BB229_18 Depth=1
	s_mul_i32 s16, s3, s27
	s_mul_hi_u32 s17, s3, s26
	s_add_i32 s17, s17, s16
	s_mul_i32 s16, s3, s26
	v_lshl_add_u64 v[40:41], s[16:17], 2, v[6:7]
	s_or_b32 s16, s3, 1
	s_mul_i32 s17, s16, s27
	s_mul_hi_u32 s18, s16, s26
	s_add_i32 s17, s18, s17
	s_mul_i32 s16, s16, s26
	v_lshl_add_u64 v[44:45], s[16:17], 2, v[6:7]
	s_or_b32 s16, s3, 2
	s_mul_i32 s17, s16, s27
	s_mul_hi_u32 s18, s16, s26
	s_add_i32 s17, s18, s17
	s_mul_i32 s16, s16, s26
	s_waitcnt lgkmcnt(0)
	v_lshl_add_u64 v[20:21], s[16:17], 2, v[6:7]
	s_or_b32 s16, s3, 3
	s_mul_i32 s17, s16, s27
	s_mul_hi_u32 s18, s16, s26
	s_add_i32 s17, s18, s17
	s_mul_i32 s16, s16, s26
	v_lshl_add_u64 v[48:49], s[16:17], 2, v[6:7]
	flat_load_dword v3, v[12:13]
	flat_load_dword v4, v[14:15]
	;; [unrolled: 1-line block ×4, first 2 shown]
	s_nop 0
	flat_load_dwordx4 v[20:23], v[20:21]
	s_nop 0
	flat_load_dwordx4 v[40:43], v[40:41]
	s_waitcnt vmcnt(0) lgkmcnt(0)
	v_mul_f32_e32 v20, v2, v20
	flat_load_dwordx4 v[44:47], v[44:45]
	v_pk_mul_f32 v[40:41], v[2:3], v[40:41]
	flat_load_dwordx4 v[48:51], v[48:49]
	v_add_f32_e32 v40, 0, v40
	v_mul_f32_e32 v52, v3, v21
	v_pk_mul_f32 v[42:43], v[4:5], v[42:43]
	v_add_f32_e32 v40, v40, v41
	v_mul_f32_e32 v22, v4, v22
	v_mul_f32_e32 v54, v5, v23
	v_add_f32_e32 v40, v40, v42
	s_waitcnt vmcnt(0) lgkmcnt(0)
	v_pk_mul_f32 v[44:45], v[2:3], v[44:45]
	s_nop 0
	v_add_f32_e32 v41, 0, v44
	v_pk_mul_f32 v[48:49], v[2:3], v[48:49]
	v_pk_mul_f32 v[50:51], v[4:5], v[50:51]
	v_mov_b32_e32 v21, v48
	v_mov_b32_e32 v53, v49
	v_pk_add_f32 v[20:21], v[20:21], 0 op_sel_hi:[1,0]
	v_pk_mul_f32 v[46:47], v[4:5], v[46:47]
	v_mov_b32_e32 v23, v50
	v_add_f32_e32 v44, v41, v45
	v_pk_add_f32 v[20:21], v[20:21], v[52:53]
	v_add_f32_e32 v41, v40, v43
	v_add_f32_e32 v40, v44, v46
	v_pk_add_f32 v[20:21], v[20:21], v[22:23]
	v_mov_b32_e32 v55, v51
	v_add_f32_e32 v40, v40, v47
	v_pk_add_f32 v[20:21], v[20:21], v[54:55]
	s_andn2_saveexec_b64 s[48:49], s[14:15]
	s_cbranch_execz .LBB229_20
.LBB229_46:                             ;   in Loop: Header=BB229_18 Depth=1
	s_waitcnt lgkmcnt(0)
	v_mov_b32_e32 v21, 0
	v_mov_b32_e32 v20, 0
	;; [unrolled: 1-line block ×4, first 2 shown]
	s_and_saveexec_b64 s[50:51], s[10:11]
	s_cbranch_execz .LBB229_53
; %bb.47:                               ;   in Loop: Header=BB229_18 Depth=1
	v_cndmask_b32_e64 v20, 0, 1, s[36:37]
	v_cmp_ne_u32_e64 s[14:15], 1, v20
	s_andn2_b64 vcc, exec, s[36:37]
	s_cbranch_vccnz .LBB229_50
; %bb.48:                               ;   in Loop: Header=BB229_18 Depth=1
	s_mov_b64 s[52:53], 0
	v_mov_b64_e32 v[20:21], v[10:11]
.LBB229_49:                             ;   Parent Loop BB229_18 Depth=1
                                        ; =>  This Inner Loop Header: Depth=2
	flat_load_dword v22, v[20:21]
	s_cmp_eq_u32 s52, 3
	s_cselect_b64 vcc, -1, 0
	s_cmp_eq_u32 s52, 2
	s_cselect_b64 s[16:17], -1, 0
	s_cmp_eq_u32 s52, 1
	s_cselect_b64 s[18:19], -1, 0
	;; [unrolled: 2-line block ×3, first 2 shown]
	s_add_u32 s52, s52, 1
	s_addc_u32 s53, s53, 0
	v_lshl_add_u64 v[20:21], v[20:21], 0, s[38:39]
	s_cmp_eq_u32 s25, s52
	s_waitcnt vmcnt(0) lgkmcnt(0)
	v_cndmask_b32_e32 v5, v5, v22, vcc
	v_cndmask_b32_e64 v4, v4, v22, s[16:17]
	v_cndmask_b32_e64 v3, v3, v22, s[18:19]
	;; [unrolled: 1-line block ×3, first 2 shown]
	s_cbranch_scc0 .LBB229_49
.LBB229_50:                             ;   in Loop: Header=BB229_18 Depth=1
	s_and_b64 vcc, exec, s[14:15]
	v_mov_b32_e32 v21, 0
	v_mov_b32_e32 v20, 0
	;; [unrolled: 1-line block ×4, first 2 shown]
	s_cbranch_vccnz .LBB229_53
; %bb.51:                               ;   in Loop: Header=BB229_18 Depth=1
	v_mov_b32_e32 v41, 0
	s_mov_b64 s[14:15], 0
	v_mov_b64_e32 v[22:23], v[18:19]
	v_mov_b32_e32 v40, 0
	v_mov_b32_e32 v20, 0
	;; [unrolled: 1-line block ×3, first 2 shown]
.LBB229_52:                             ;   Parent Loop BB229_18 Depth=1
                                        ; =>  This Inner Loop Header: Depth=2
	v_lshl_add_u64 v[42:43], v[22:23], 0, s[46:47]
	v_lshl_add_u64 v[44:45], v[22:23], 0, s[44:45]
	flat_load_dword v48, v[22:23]
	v_lshl_add_u64 v[46:47], v[22:23], 0, s[40:41]
	flat_load_dword v42, v[42:43]
	s_nop 0
	flat_load_dword v43, v[44:45]
	s_nop 0
	flat_load_dword v44, v[46:47]
	s_cmp_eq_u32 s14, 1
	s_cselect_b64 vcc, -1, 0
	s_cmp_eq_u32 s14, 2
	v_cndmask_b32_e32 v45, v2, v3, vcc
	s_cselect_b64 vcc, -1, 0
	s_cmp_eq_u32 s14, 3
	v_cndmask_b32_e32 v45, v45, v4, vcc
	s_cselect_b64 vcc, -1, 0
	s_add_u32 s14, s14, 1
	v_cndmask_b32_e32 v45, v45, v5, vcc
	s_addc_u32 s15, s15, 0
	v_lshl_add_u64 v[22:23], v[22:23], 0, 4
	s_cmp_lg_u32 s25, s14
	s_waitcnt vmcnt(0) lgkmcnt(0)
	v_fmac_f32_e32 v40, v45, v42
	v_fmac_f32_e32 v41, v45, v48
	;; [unrolled: 1-line block ×4, first 2 shown]
	s_cbranch_scc1 .LBB229_52
.LBB229_53:                             ;   in Loop: Header=BB229_18 Depth=1
	s_or_b64 exec, exec, s[50:51]
	s_or_b64 exec, exec, s[48:49]
	s_and_saveexec_b64 s[14:15], s[0:1]
	s_cbranch_execnz .LBB229_21
	s_branch .LBB229_22
.LBB229_54:                             ;   in Loop: Header=BB229_18 Depth=1
	ds_read_b32 v22, v37
	s_or_b64 exec, exec, s[14:15]
	s_and_saveexec_b64 s[14:15], s[0:1]
	s_cbranch_execz .LBB229_26
.LBB229_55:                             ;   in Loop: Header=BB229_18 Depth=1
	s_waitcnt lgkmcnt(0)
	ds_bpermute_b32 v23, v35, v22
	s_waitcnt lgkmcnt(0)
	v_add_f32_e32 v22, v22, v23
	ds_bpermute_b32 v23, v36, v22
	s_waitcnt lgkmcnt(0)
	v_add_f32_e32 v22, v22, v23
	s_or_b64 exec, exec, s[14:15]
	s_and_saveexec_b64 s[14:15], s[0:1]
	s_cbranch_execnz .LBB229_27
	s_branch .LBB229_28
.LBB229_56:                             ;   in Loop: Header=BB229_18 Depth=1
	ds_read_b32 v23, v37
	s_or_b64 exec, exec, s[14:15]
	s_and_saveexec_b64 s[14:15], s[0:1]
	s_cbranch_execz .LBB229_32
.LBB229_57:                             ;   in Loop: Header=BB229_18 Depth=1
	s_waitcnt lgkmcnt(0)
	ds_bpermute_b32 v40, v35, v23
	s_waitcnt lgkmcnt(0)
	v_add_f32_e32 v23, v23, v40
	ds_bpermute_b32 v40, v36, v23
	s_waitcnt lgkmcnt(0)
	v_add_f32_e32 v23, v23, v40
	s_or_b64 exec, exec, s[14:15]
	s_and_saveexec_b64 s[14:15], s[0:1]
	s_cbranch_execnz .LBB229_33
	s_branch .LBB229_34
.LBB229_58:                             ;   in Loop: Header=BB229_18 Depth=1
	ds_read_b32 v20, v37
	s_or_b64 exec, exec, s[14:15]
	s_and_saveexec_b64 s[14:15], s[0:1]
	s_cbranch_execz .LBB229_38
.LBB229_59:                             ;   in Loop: Header=BB229_18 Depth=1
	s_waitcnt lgkmcnt(0)
	ds_bpermute_b32 v40, v35, v20
	s_waitcnt lgkmcnt(0)
	v_add_f32_e32 v20, v20, v40
	ds_bpermute_b32 v40, v36, v20
	s_waitcnt lgkmcnt(0)
	v_add_f32_e32 v20, v20, v40
	s_or_b64 exec, exec, s[14:15]
	s_and_saveexec_b64 s[14:15], s[0:1]
	s_cbranch_execnz .LBB229_39
	s_branch .LBB229_40
.LBB229_60:                             ;   in Loop: Header=BB229_18 Depth=1
	ds_read_b32 v21, v37
	s_or_b64 exec, exec, s[14:15]
	s_and_saveexec_b64 s[14:15], s[0:1]
	s_cbranch_execz .LBB229_44
.LBB229_61:                             ;   in Loop: Header=BB229_18 Depth=1
	s_waitcnt lgkmcnt(0)
	ds_bpermute_b32 v40, v35, v21
	s_waitcnt lgkmcnt(0)
	v_add_f32_e32 v21, v21, v40
	ds_bpermute_b32 v40, v36, v21
	s_waitcnt lgkmcnt(0)
	v_add_f32_e32 v21, v21, v40
	s_or_b64 exec, exec, s[14:15]
	s_and_saveexec_b64 s[14:15], s[6:7]
	s_cbranch_execz .LBB229_17
.LBB229_62:                             ;   in Loop: Header=BB229_18 Depth=1
	s_mul_hi_u32 s17, s3, s24
	s_mul_i32 s16, s3, s24
	s_lshl_b64 s[16:17], s[16:17], 2
	s_add_u32 s16, s57, s16
	v_mul_f32_e32 v22, s33, v22
	s_addc_u32 s17, s58, s17
	global_store_dword v39, v22, s[16:17]
	s_or_b32 s16, s3, 1
	s_mul_hi_u32 s17, s16, s24
	s_mul_i32 s16, s16, s24
	s_lshl_b64 s[16:17], s[16:17], 2
	s_add_u32 s16, s57, s16
	v_mul_f32_e32 v22, s33, v23
	s_addc_u32 s17, s58, s17
	global_store_dword v39, v22, s[16:17]
	s_or_b32 s16, s3, 2
	;; [unrolled: 8-line block ×3, first 2 shown]
	s_mul_hi_u32 s17, s16, s24
	s_mul_i32 s16, s16, s24
	s_lshl_b64 s[16:17], s[16:17], 2
	s_add_u32 s16, s57, s16
	s_waitcnt lgkmcnt(0)
	v_mul_f32_e32 v20, s33, v21
	s_addc_u32 s17, s58, s17
	global_store_dword v39, v20, s[16:17]
	s_branch .LBB229_17
.LBB229_63:
	s_mov_b32 s3, 0
                                        ; implicit-def: $vgpr2_vgpr3_vgpr4_vgpr5
.LBB229_64:
	s_cmp_ge_i32 s3, s23
	s_cbranch_scc1 .LBB229_88
; %bb.65:
	v_mbcnt_hi_u32_b32 v10, -1, v28
	v_and_b32_e32 v11, 63, v10
	v_cmp_gt_u32_e32 vcc, 32, v11
	s_mov_b32 s37, 0
	s_cmp_gt_i32 s25, 0
	v_cndmask_b32_e64 v12, 0, 1, vcc
	v_lshlrev_b32_e32 v12, 5, v12
	v_cmp_gt_u32_e32 vcc, 48, v11
	s_waitcnt lgkmcnt(0)
	v_add_lshl_u32 v21, v12, v10, 2
	s_mov_b32 s36, s2
	v_cndmask_b32_e64 v12, 0, 1, vcc
	v_lshlrev_b32_e32 v12, 4, v12
	v_cmp_gt_u32_e32 vcc, 56, v11
	v_add_lshl_u32 v22, v12, v10, 2
	s_cselect_b64 s[38:39], -1, 0
	v_cndmask_b32_e64 v12, 0, 1, vcc
	v_lshlrev_b32_e32 v12, 3, v12
	v_cmp_gt_u32_e32 vcc, 60, v11
	v_add_lshl_u32 v23, v12, v10, 2
	s_lshl_b64 s[14:15], s[36:37], 2
	v_cndmask_b32_e64 v12, 0, 1, vcc
	v_lshlrev_b32_e32 v12, 2, v12
	v_cmp_gt_u32_e32 vcc, 62, v11
	v_add_lshl_u32 v28, v12, v10, 2
	v_cmp_ge_i32_e64 s[0:1], s22, v29
	v_cndmask_b32_e64 v12, 0, 1, vcc
	v_lshlrev_b32_e32 v12, 1, v12
	v_cmp_ne_u32_e32 vcc, 63, v11
	v_add_lshl_u32 v29, v12, v10, 2
	s_add_u32 s2, s54, s14
	v_addc_co_u32_e32 v10, vcc, 0, v10, vcc
	v_cmp_ge_i32_e64 s[4:5], s22, v30
	v_cmp_gt_u32_e64 s[6:7], 64, v0
	v_lshlrev_b32_e32 v30, 2, v10
	v_cmp_gt_u32_e64 s[10:11], 4, v0
	v_cmp_eq_u32_e64 s[12:13], 0, v0
	s_addc_u32 s22, s55, s15
	v_mad_i64_i32 v[10:11], s[14:15], s34, v8, 0
	v_mad_i64_i32 v[12:13], s[14:15], s34, v25, 0
	;; [unrolled: 1-line block ×4, first 2 shown]
	s_mul_i32 s14, s27, s3
	s_mul_hi_u32 s15, s26, s3
	s_add_i32 s15, s15, s14
	s_mul_i32 s14, s26, s3
	v_lshl_add_u64 v[10:11], v[10:11], 2, s[30:31]
	v_lshl_add_u64 v[12:13], v[12:13], 2, s[30:31]
	;; [unrolled: 1-line block ×4, first 2 shown]
	s_lshl_b64 s[30:31], s[34:35], 2
	s_lshl_b64 s[14:15], s[14:15], 2
	s_add_u32 s14, s28, s14
	s_addc_u32 s15, s29, s15
	v_lshlrev_b32_e32 v20, 2, v26
	v_cmp_eq_u32_e64 s[8:9], 0, v26
	v_and_b32_e32 v26, 12, v27
	v_lshl_add_u64 v[8:9], v[8:9], 2, s[14:15]
	s_lshl_b64 s[28:29], s[26:27], 2
	v_mov_b32_e32 v1, 0
	s_branch .LBB229_67
.LBB229_66:                             ;   in Loop: Header=BB229_67 Depth=1
	s_or_b64 exec, exec, s[14:15]
	s_add_i32 s3, s3, 1
	s_cmp_ge_i32 s3, s23
	v_lshl_add_u64 v[8:9], v[8:9], 0, s[28:29]
	s_cbranch_scc1 .LBB229_88
.LBB229_67:                             ; =>This Loop Header: Depth=1
                                        ;     Child Loop BB229_80 Depth 2
                                        ;     Child Loop BB229_83 Depth 2
	s_waitcnt lgkmcnt(0)
	v_mov_b32_e32 v0, s37
	s_and_saveexec_b64 s[14:15], s[0:1]
	s_xor_b64 s[14:15], exec, s[14:15]
	s_cbranch_execnz .LBB229_76
; %bb.68:                               ;   in Loop: Header=BB229_67 Depth=1
	s_andn2_saveexec_b64 s[34:35], s[14:15]
	s_cbranch_execnz .LBB229_77
.LBB229_69:                             ;   in Loop: Header=BB229_67 Depth=1
	s_or_b64 exec, exec, s[34:35]
	s_and_saveexec_b64 s[14:15], s[6:7]
	s_cbranch_execz .LBB229_71
.LBB229_70:                             ;   in Loop: Header=BB229_67 Depth=1
	ds_write_b32 v20, v1
.LBB229_71:                             ;   in Loop: Header=BB229_67 Depth=1
	s_or_b64 exec, exec, s[14:15]
	ds_bpermute_b32 v18, v21, v0
	s_waitcnt lgkmcnt(0)
	s_barrier
	v_add_f32_e32 v0, v0, v18
	ds_bpermute_b32 v18, v22, v0
	s_waitcnt lgkmcnt(0)
	v_add_f32_e32 v0, v0, v18
	ds_bpermute_b32 v18, v23, v0
	s_waitcnt lgkmcnt(0)
	;; [unrolled: 3-line block ×4, first 2 shown]
	v_add_f32_e32 v0, v0, v18
	ds_bpermute_b32 v18, v30, v0
	s_and_saveexec_b64 s[14:15], s[8:9]
	s_cbranch_execz .LBB229_73
; %bb.72:                               ;   in Loop: Header=BB229_67 Depth=1
	s_waitcnt lgkmcnt(0)
	v_add_f32_e32 v0, v0, v18
	ds_write_b32 v26, v0
.LBB229_73:                             ;   in Loop: Header=BB229_67 Depth=1
	s_or_b64 exec, exec, s[14:15]
	v_mov_b32_e32 v0, 0
	s_waitcnt lgkmcnt(0)
	s_barrier
	s_and_saveexec_b64 s[14:15], s[10:11]
	s_cbranch_execnz .LBB229_85
; %bb.74:                               ;   in Loop: Header=BB229_67 Depth=1
	s_or_b64 exec, exec, s[14:15]
	s_and_saveexec_b64 s[14:15], s[6:7]
	s_cbranch_execnz .LBB229_86
.LBB229_75:                             ;   in Loop: Header=BB229_67 Depth=1
	s_or_b64 exec, exec, s[14:15]
	s_and_saveexec_b64 s[14:15], s[12:13]
	s_cbranch_execz .LBB229_66
	s_branch .LBB229_87
.LBB229_76:                             ;   in Loop: Header=BB229_67 Depth=1
	flat_load_dword v2, v[10:11]
	s_mul_i32 s16, s3, s27
	s_mul_hi_u32 s17, s3, s26
	s_add_i32 s17, s17, s16
	s_mul_i32 s16, s3, s26
	v_lshl_add_u64 v[18:19], s[16:17], 2, v[6:7]
	flat_load_dwordx4 v[32:35], v[18:19]
	flat_load_dword v3, v[12:13]
	flat_load_dword v4, v[14:15]
	;; [unrolled: 1-line block ×3, first 2 shown]
	s_waitcnt vmcnt(0) lgkmcnt(0)
	v_fma_f32 v0, v2, v32, 0
	v_fmac_f32_e32 v0, v3, v33
	v_fmac_f32_e32 v0, v4, v34
	;; [unrolled: 1-line block ×3, first 2 shown]
	s_andn2_saveexec_b64 s[34:35], s[14:15]
	s_cbranch_execz .LBB229_69
.LBB229_77:                             ;   in Loop: Header=BB229_67 Depth=1
	s_and_saveexec_b64 s[40:41], s[4:5]
	s_cbranch_execz .LBB229_84
; %bb.78:                               ;   in Loop: Header=BB229_67 Depth=1
	v_cndmask_b32_e64 v18, 0, 1, s[38:39]
	v_cmp_ne_u32_e64 s[14:15], 1, v18
	s_andn2_b64 vcc, exec, s[38:39]
	s_cbranch_vccnz .LBB229_81
; %bb.79:                               ;   in Loop: Header=BB229_67 Depth=1
	s_mov_b64 s[42:43], 0
	v_mov_b64_e32 v[18:19], v[10:11]
.LBB229_80:                             ;   Parent Loop BB229_67 Depth=1
                                        ; =>  This Inner Loop Header: Depth=2
	flat_load_dword v24, v[18:19]
	s_cmp_eq_u32 s42, 3
	s_cselect_b64 vcc, -1, 0
	s_cmp_eq_u32 s42, 2
	s_cselect_b64 s[16:17], -1, 0
	s_cmp_eq_u32 s42, 1
	s_cselect_b64 s[18:19], -1, 0
	;; [unrolled: 2-line block ×3, first 2 shown]
	s_add_u32 s42, s42, 1
	s_addc_u32 s43, s43, 0
	v_lshl_add_u64 v[18:19], v[18:19], 0, s[30:31]
	s_cmp_eq_u32 s25, s42
	s_waitcnt vmcnt(0) lgkmcnt(0)
	v_cndmask_b32_e32 v5, v5, v24, vcc
	v_cndmask_b32_e64 v4, v4, v24, s[16:17]
	v_cndmask_b32_e64 v3, v3, v24, s[18:19]
	;; [unrolled: 1-line block ×3, first 2 shown]
	s_cbranch_scc0 .LBB229_80
.LBB229_81:                             ;   in Loop: Header=BB229_67 Depth=1
	s_and_b64 vcc, exec, s[14:15]
	s_cbranch_vccnz .LBB229_84
; %bb.82:                               ;   in Loop: Header=BB229_67 Depth=1
	s_mov_b64 s[14:15], 0
	v_mov_b64_e32 v[18:19], v[8:9]
.LBB229_83:                             ;   Parent Loop BB229_67 Depth=1
                                        ; =>  This Inner Loop Header: Depth=2
	flat_load_dword v24, v[18:19]
	s_cmp_eq_u32 s14, 1
	s_cselect_b64 vcc, -1, 0
	s_cmp_eq_u32 s14, 2
	v_cndmask_b32_e32 v25, v2, v3, vcc
	s_cselect_b64 vcc, -1, 0
	s_cmp_eq_u32 s14, 3
	v_cndmask_b32_e32 v25, v25, v4, vcc
	s_cselect_b64 vcc, -1, 0
	s_add_u32 s14, s14, 1
	v_cndmask_b32_e32 v25, v25, v5, vcc
	s_addc_u32 s15, s15, 0
	v_lshl_add_u64 v[18:19], v[18:19], 0, 4
	s_cmp_lg_u32 s25, s14
	s_waitcnt vmcnt(0) lgkmcnt(0)
	v_fmac_f32_e32 v0, v25, v24
	s_cbranch_scc1 .LBB229_83
.LBB229_84:                             ;   in Loop: Header=BB229_67 Depth=1
	s_or_b64 exec, exec, s[40:41]
	s_or_b64 exec, exec, s[34:35]
	s_and_saveexec_b64 s[14:15], s[6:7]
	s_cbranch_execnz .LBB229_70
	s_branch .LBB229_71
.LBB229_85:                             ;   in Loop: Header=BB229_67 Depth=1
	ds_read_b32 v0, v20
	s_or_b64 exec, exec, s[14:15]
	s_and_saveexec_b64 s[14:15], s[6:7]
	s_cbranch_execz .LBB229_75
.LBB229_86:                             ;   in Loop: Header=BB229_67 Depth=1
	s_waitcnt lgkmcnt(0)
	ds_bpermute_b32 v18, v29, v0
	s_waitcnt lgkmcnt(0)
	v_add_f32_e32 v0, v0, v18
	ds_bpermute_b32 v18, v30, v0
	s_waitcnt lgkmcnt(0)
	v_add_f32_e32 v0, v0, v18
	s_or_b64 exec, exec, s[14:15]
	s_and_saveexec_b64 s[14:15], s[12:13]
	s_cbranch_execz .LBB229_66
.LBB229_87:                             ;   in Loop: Header=BB229_67 Depth=1
	s_mul_hi_u32 s17, s3, s24
	s_mul_i32 s16, s3, s24
	s_lshl_b64 s[16:17], s[16:17], 2
	s_add_u32 s16, s2, s16
	s_waitcnt lgkmcnt(0)
	v_mul_f32_e32 v0, s33, v0
	s_addc_u32 s17, s22, s17
	global_store_dword v1, v0, s[16:17]
	s_branch .LBB229_66
.LBB229_88:
	s_endpgm
	.section	.rodata,"a",@progbits
	.p2align	6, 0x0
	.amdhsa_kernel _ZL23rocblas_gemvt_sn_kernelILb1ELi256ELi4ElPKfS1_fEviiT4_lPKT3_lilS5_lilPT5_i
		.amdhsa_group_segment_fixed_size 256
		.amdhsa_private_segment_fixed_size 0
		.amdhsa_kernarg_size 360
		.amdhsa_user_sgpr_count 2
		.amdhsa_user_sgpr_dispatch_ptr 0
		.amdhsa_user_sgpr_queue_ptr 0
		.amdhsa_user_sgpr_kernarg_segment_ptr 1
		.amdhsa_user_sgpr_dispatch_id 0
		.amdhsa_user_sgpr_kernarg_preload_length 0
		.amdhsa_user_sgpr_kernarg_preload_offset 0
		.amdhsa_user_sgpr_private_segment_size 0
		.amdhsa_uses_dynamic_stack 0
		.amdhsa_enable_private_segment 0
		.amdhsa_system_sgpr_workgroup_id_x 1
		.amdhsa_system_sgpr_workgroup_id_y 0
		.amdhsa_system_sgpr_workgroup_id_z 1
		.amdhsa_system_sgpr_workgroup_info 0
		.amdhsa_system_vgpr_workitem_id 0
		.amdhsa_next_free_vgpr 56
		.amdhsa_next_free_sgpr 59
		.amdhsa_accum_offset 56
		.amdhsa_reserve_vcc 1
		.amdhsa_float_round_mode_32 0
		.amdhsa_float_round_mode_16_64 0
		.amdhsa_float_denorm_mode_32 3
		.amdhsa_float_denorm_mode_16_64 3
		.amdhsa_dx10_clamp 1
		.amdhsa_ieee_mode 1
		.amdhsa_fp16_overflow 0
		.amdhsa_tg_split 0
		.amdhsa_exception_fp_ieee_invalid_op 0
		.amdhsa_exception_fp_denorm_src 0
		.amdhsa_exception_fp_ieee_div_zero 0
		.amdhsa_exception_fp_ieee_overflow 0
		.amdhsa_exception_fp_ieee_underflow 0
		.amdhsa_exception_fp_ieee_inexact 0
		.amdhsa_exception_int_div_zero 0
	.end_amdhsa_kernel
	.section	.text._ZL23rocblas_gemvt_sn_kernelILb1ELi256ELi4ElPKfS1_fEviiT4_lPKT3_lilS5_lilPT5_i,"axG",@progbits,_ZL23rocblas_gemvt_sn_kernelILb1ELi256ELi4ElPKfS1_fEviiT4_lPKT3_lilS5_lilPT5_i,comdat
.Lfunc_end229:
	.size	_ZL23rocblas_gemvt_sn_kernelILb1ELi256ELi4ElPKfS1_fEviiT4_lPKT3_lilS5_lilPT5_i, .Lfunc_end229-_ZL23rocblas_gemvt_sn_kernelILb1ELi256ELi4ElPKfS1_fEviiT4_lPKT3_lilS5_lilPT5_i
                                        ; -- End function
	.section	.AMDGPU.csdata,"",@progbits
; Kernel info:
; codeLenInByte = 3952
; NumSgprs: 65
; NumVgprs: 56
; NumAgprs: 0
; TotalNumVgprs: 56
; ScratchSize: 0
; MemoryBound: 0
; FloatMode: 240
; IeeeMode: 1
; LDSByteSize: 256 bytes/workgroup (compile time only)
; SGPRBlocks: 8
; VGPRBlocks: 6
; NumSGPRsForWavesPerEU: 65
; NumVGPRsForWavesPerEU: 56
; AccumOffset: 56
; Occupancy: 8
; WaveLimiterHint : 0
; COMPUTE_PGM_RSRC2:SCRATCH_EN: 0
; COMPUTE_PGM_RSRC2:USER_SGPR: 2
; COMPUTE_PGM_RSRC2:TRAP_HANDLER: 0
; COMPUTE_PGM_RSRC2:TGID_X_EN: 1
; COMPUTE_PGM_RSRC2:TGID_Y_EN: 0
; COMPUTE_PGM_RSRC2:TGID_Z_EN: 1
; COMPUTE_PGM_RSRC2:TIDIG_COMP_CNT: 0
; COMPUTE_PGM_RSRC3_GFX90A:ACCUM_OFFSET: 13
; COMPUTE_PGM_RSRC3_GFX90A:TG_SPLIT: 0
	.section	.text._ZL23rocblas_gemvt_sn_kernelILb1ELi256ELi4EiPKfffEviiT4_lPKT3_lilS5_lilPT5_i,"axG",@progbits,_ZL23rocblas_gemvt_sn_kernelILb1ELi256ELi4EiPKfffEviiT4_lPKT3_lilS5_lilPT5_i,comdat
	.globl	_ZL23rocblas_gemvt_sn_kernelILb1ELi256ELi4EiPKfffEviiT4_lPKT3_lilS5_lilPT5_i ; -- Begin function _ZL23rocblas_gemvt_sn_kernelILb1ELi256ELi4EiPKfffEviiT4_lPKT3_lilS5_lilPT5_i
	.p2align	8
	.type	_ZL23rocblas_gemvt_sn_kernelILb1ELi256ELi4EiPKfffEviiT4_lPKT3_lilS5_lilPT5_i,@function
_ZL23rocblas_gemvt_sn_kernelILb1ELi256ELi4EiPKfffEviiT4_lPKT3_lilS5_lilPT5_i: ; @_ZL23rocblas_gemvt_sn_kernelILb1ELi256ELi4EiPKfffEviiT4_lPKT3_lilS5_lilPT5_i
; %bb.0:
	s_load_dwordx4 s[24:27], s[0:1], 0x0
	s_mov_b32 s10, s3
	s_mov_b32 s11, 0
	s_waitcnt lgkmcnt(0)
	v_cmp_neq_f32_e64 s[6:7], s26, 0
	v_cmp_eq_f32_e64 s[8:9], s26, 0
	s_and_b64 vcc, exec, s[6:7]
	s_cbranch_vccnz .LBB230_2
; %bb.1:
	s_mov_b64 s[4:5], 0
	s_cbranch_execz .LBB230_3
	s_branch .LBB230_4
.LBB230_2:
                                        ; implicit-def: $sgpr4_sgpr5
.LBB230_3:
	s_load_dwordx4 s[12:15], s[0:1], 0x18
	s_lshl_b64 s[4:5], s[10:11], 3
	s_waitcnt lgkmcnt(0)
	s_add_u32 s4, s12, s4
	s_addc_u32 s5, s13, s5
	s_load_dwordx2 s[4:5], s[4:5], 0x0
	s_lshl_b64 s[12:13], s[14:15], 2
	s_waitcnt lgkmcnt(0)
	s_add_u32 s4, s4, s12
	s_addc_u32 s5, s5, s13
.LBB230_4:
	s_andn2_b64 vcc, exec, s[6:7]
	s_cbranch_vccnz .LBB230_6
; %bb.5:
	s_load_dwordx4 s[12:15], s[0:1], 0x38
	s_lshl_b64 s[6:7], s[10:11], 3
	s_waitcnt lgkmcnt(0)
	s_add_u32 s6, s12, s6
	s_addc_u32 s7, s13, s7
	s_load_dwordx2 s[6:7], s[6:7], 0x0
	s_lshl_b64 s[12:13], s[14:15], 2
	s_waitcnt lgkmcnt(0)
	s_add_u32 s22, s6, s12
	s_addc_u32 s23, s7, s13
	s_branch .LBB230_7
.LBB230_6:
	s_mov_b64 s[22:23], 0
.LBB230_7:
	s_load_dwordx2 s[6:7], s[0:1], 0x58
	s_load_dword s28, s[0:1], 0x68
	s_ashr_i32 s16, s25, 31
	s_mul_hi_u32 s3, s10, s25
	s_mul_i32 s12, s10, s16
	s_add_i32 s3, s3, s12
	s_mul_i32 s11, s11, s25
	s_add_i32 s11, s3, s11
	s_mul_i32 s10, s10, s25
	s_waitcnt lgkmcnt(0)
	s_mul_i32 s3, s11, s28
	s_mul_hi_u32 s12, s10, s28
	s_add_i32 s13, s12, s3
	s_mul_i32 s12, s10, s28
	s_lshl_b64 s[12:13], s[12:13], 2
	s_add_u32 s33, s6, s12
	s_mov_b32 s29, 0
	s_addc_u32 s50, s7, s13
	s_andn2_b64 vcc, exec, s[8:9]
	s_mov_b64 s[8:9], -1
	s_cbranch_vccnz .LBB230_17
; %bb.8:
	s_cmp_gt_i32 s25, 0
	v_cmp_eq_u32_e32 vcc, 0, v0
	s_cselect_b64 s[8:9], -1, 0
	s_and_b64 s[12:13], vcc, s[8:9]
	s_and_saveexec_b64 s[8:9], s[12:13]
	s_cbranch_execz .LBB230_16
; %bb.9:
	s_cmp_gt_u32 s25, 1
	s_cselect_b64 s[12:13], -1, 0
	s_cmp_eq_u32 s28, 1
	s_cselect_b64 s[18:19], -1, 0
	s_mov_b32 s3, 0
	s_and_b64 s[12:13], s[12:13], s[18:19]
	s_mov_b64 s[14:15], -1
	s_andn2_b64 vcc, exec, s[12:13]
	s_mov_b32 s12, s3
	s_cbranch_vccnz .LBB230_13
; %bb.10:
	s_lshl_b64 s[12:13], s[2:3], 2
	s_add_u32 s14, s33, s12
	s_addc_u32 s15, s50, s13
	s_and_b32 s12, s25, 0x7ffffffe
	v_mov_b32_e32 v2, 0
	v_mov_b32_e32 v3, v2
	s_mov_b32 s13, s12
.LBB230_11:                             ; =>This Inner Loop Header: Depth=1
	global_store_dwordx2 v2, v[2:3], s[14:15]
	s_add_u32 s14, s14, 8
	s_addc_u32 s15, s15, 0
	s_add_i32 s13, s13, -2
	s_cmp_lg_u32 s13, 0
	s_cbranch_scc1 .LBB230_11
; %bb.12:
	s_cmp_lg_u32 s12, s25
	s_cselect_b64 s[14:15], -1, 0
.LBB230_13:
	s_and_b64 vcc, exec, s[14:15]
	s_cbranch_vccz .LBB230_16
; %bb.14:
	s_mov_b32 s13, 0
	s_sub_i32 s14, s25, s12
	s_lshl_b64 s[10:11], s[10:11], 2
	s_lshl_b64 s[12:13], s[12:13], 2
	s_add_u32 s10, s10, s12
	s_addc_u32 s11, s11, s13
	s_mul_i32 s11, s11, s28
	s_mul_hi_u32 s12, s10, s28
	s_add_i32 s12, s12, s11
	s_mul_i32 s13, s10, s28
	s_lshl_b64 s[10:11], s[2:3], 2
	s_add_u32 s3, s13, s10
	s_addc_u32 s10, s12, s11
	s_add_u32 s6, s6, s3
	s_addc_u32 s7, s7, s10
	s_lshl_b64 s[10:11], s[28:29], 2
	v_mov_b32_e32 v1, 0
.LBB230_15:                             ; =>This Inner Loop Header: Depth=1
	s_add_i32 s14, s14, -1
	global_store_dword v1, v1, s[6:7]
	s_add_u32 s6, s6, s10
	s_addc_u32 s7, s7, s11
	s_cmp_eq_u32 s14, 0
	s_cbranch_scc0 .LBB230_15
.LBB230_16:
	s_or_b64 exec, exec, s[8:9]
	s_mov_b64 s[8:9], 0
.LBB230_17:
	s_andn2_b64 vcc, exec, s[8:9]
	s_cbranch_vccnz .LBB230_91
; %bb.18:
	s_load_dword s30, s[0:1], 0x28
	s_load_dword s27, s[0:1], 0x48
	s_lshl_b32 s0, s2, 10
	v_lshl_or_b32 v2, v0, 2, s0
	s_lshr_b32 s0, s16, 30
	s_add_i32 s0, s25, s0
	s_and_b32 s3, s0, -4
	s_ashr_i32 s0, s24, 31
	s_lshr_b32 s0, s0, 30
	s_add_i32 s0, s24, s0
	s_and_b32 s0, s0, -4
	v_ashrrev_i32_e32 v3, 31, v2
	s_sub_i32 s29, s24, s0
	v_lshl_add_u64 v[6:7], v[2:3], 2, s[4:5]
	s_cmp_lt_i32 s3, 1
	v_add_u32_e32 v25, 4, v2
	v_add_u32_e32 v26, s29, v2
	v_and_b32_e32 v1, 63, v0
	v_cmp_gt_u32_e64 s[0:1], 64, v0
	v_mbcnt_lo_u32_b32 v24, -1, 0
	v_cmp_gt_u32_e64 s[4:5], 4, v0
	v_lshrrev_b32_e32 v9, 4, v0
	v_cmp_eq_u32_e64 s[6:7], 0, v0
	s_waitcnt lgkmcnt(0)
	v_mul_lo_u32 v8, v2, s27
	s_cbranch_scc1 .LBB230_66
; %bb.19:
	v_mbcnt_hi_u32_b32 v3, -1, v24
	v_and_b32_e32 v4, 63, v3
	v_cmp_gt_u32_e32 vcc, 32, v4
	v_mul_lo_u32 v10, v2, s27
	v_add_u32_e32 v2, s27, v10
	v_cndmask_b32_e64 v5, 0, 1, vcc
	v_lshlrev_b32_e32 v5, 5, v5
	v_cmp_gt_u32_e32 vcc, 48, v4
	v_add_lshl_u32 v27, v5, v3, 2
	s_mov_b32 s35, 0
	v_cndmask_b32_e64 v5, 0, 1, vcc
	v_lshlrev_b32_e32 v5, 4, v5
	v_cmp_gt_u32_e32 vcc, 56, v4
	v_add_lshl_u32 v28, v5, v3, 2
	s_cmp_gt_i32 s29, 0
	v_cndmask_b32_e64 v5, 0, 1, vcc
	v_lshlrev_b32_e32 v5, 3, v5
	v_cmp_gt_u32_e32 vcc, 60, v4
	v_add_lshl_u32 v29, v5, v3, 2
	s_cselect_b64 s[36:37], -1, 0
	v_cndmask_b32_e64 v5, 0, 1, vcc
	v_lshlrev_b32_e32 v5, 2, v5
	v_cmp_gt_u32_e32 vcc, 62, v4
	v_add_lshl_u32 v30, v5, v3, 2
	v_ashrrev_i32_e32 v11, 31, v10
	v_cndmask_b32_e64 v5, 0, 1, vcc
	v_lshlrev_b32_e32 v5, 1, v5
	v_cmp_ne_u32_e32 vcc, 63, v4
	v_add_lshl_u32 v31, v5, v3, 2
	s_mov_b32 s31, s35
	v_addc_co_u32_e32 v3, vcc, 0, v3, vcc
	v_lshlrev_b32_e32 v32, 2, v3
	v_ashrrev_i32_e32 v3, 31, v2
	v_lshl_add_u64 v[14:15], v[2:3], 2, s[22:23]
	v_add_u32_e32 v2, s27, v2
	v_ashrrev_i32_e32 v3, 31, v2
	v_lshl_add_u64 v[16:17], v[2:3], 2, s[22:23]
	v_add_u32_e32 v2, s27, v2
	v_ashrrev_i32_e32 v3, 31, v2
	s_lshl_b32 s34, s30, 1
	v_cmp_ge_i32_e64 s[8:9], s24, v25
	v_cmp_ge_i32_e64 s[10:11], s24, v26
	v_cmp_eq_u32_e64 s[12:13], 0, v1
	v_lshlrev_b32_e32 v33, 2, v1
	v_and_b32_e32 v34, 12, v9
	v_lshl_add_u64 v[12:13], v[10:11], 2, s[22:23]
	v_lshl_add_u64 v[18:19], v[2:3], 2, s[22:23]
	s_lshl_b32 s51, s30, 2
	s_mul_i32 s52, s30, 3
	s_mov_b32 s53, s35
	v_mov_b32_e32 v11, 0
	s_mov_b32 s38, s35
	s_mov_b64 s[40:41], s[34:35]
	s_mov_b64 s[42:43], s[30:31]
	s_mov_b32 s31, 0
                                        ; implicit-def: $vgpr2_vgpr3_vgpr4_vgpr5
	s_branch .LBB230_21
.LBB230_20:                             ;   in Loop: Header=BB230_21 Depth=1
	s_or_b64 exec, exec, s[14:15]
	s_add_i32 s31, s31, 4
	s_add_u32 s42, s42, s51
	s_addc_u32 s43, s43, 0
	s_add_u32 s40, s40, s51
	s_addc_u32 s41, s41, 0
	;; [unrolled: 2-line block ×3, first 2 shown]
	s_add_i32 s38, s38, s51
	s_cmp_ge_i32 s31, s3
	s_cbranch_scc1 .LBB230_67
.LBB230_21:                             ; =>This Loop Header: Depth=1
                                        ;     Child Loop BB230_52 Depth 2
                                        ;     Child Loop BB230_55 Depth 2
                                        ; implicit-def: $vgpr21
                                        ; implicit-def: $vgpr35
                                        ; implicit-def: $vgpr36
	s_and_saveexec_b64 s[14:15], s[8:9]
	s_xor_b64 s[14:15], exec, s[14:15]
	s_cbranch_execnz .LBB230_48
; %bb.22:                               ;   in Loop: Header=BB230_21 Depth=1
	s_andn2_saveexec_b64 s[44:45], s[14:15]
	s_cbranch_execnz .LBB230_49
.LBB230_23:                             ;   in Loop: Header=BB230_21 Depth=1
	s_or_b64 exec, exec, s[44:45]
	s_and_saveexec_b64 s[14:15], s[0:1]
	s_cbranch_execz .LBB230_25
.LBB230_24:                             ;   in Loop: Header=BB230_21 Depth=1
	ds_write_b32 v33, v11
.LBB230_25:                             ;   in Loop: Header=BB230_21 Depth=1
	s_or_b64 exec, exec, s[14:15]
	ds_bpermute_b32 v22, v27, v36
	s_waitcnt lgkmcnt(0)
	s_barrier
	v_add_f32_e32 v22, v36, v22
	ds_bpermute_b32 v23, v28, v22
	s_waitcnt lgkmcnt(0)
	v_add_f32_e32 v22, v22, v23
	ds_bpermute_b32 v23, v29, v22
	s_waitcnt lgkmcnt(0)
	;; [unrolled: 3-line block ×4, first 2 shown]
	v_add_f32_e32 v22, v22, v23
	ds_bpermute_b32 v23, v32, v22
	s_and_saveexec_b64 s[14:15], s[12:13]
	s_cbranch_execz .LBB230_27
; %bb.26:                               ;   in Loop: Header=BB230_21 Depth=1
	s_waitcnt lgkmcnt(0)
	v_add_f32_e32 v22, v22, v23
	ds_write_b32 v34, v22
.LBB230_27:                             ;   in Loop: Header=BB230_21 Depth=1
	s_or_b64 exec, exec, s[14:15]
	v_mov_b32_e32 v22, 0
	s_waitcnt lgkmcnt(0)
	s_barrier
	s_and_saveexec_b64 s[14:15], s[4:5]
	s_cbranch_execnz .LBB230_57
; %bb.28:                               ;   in Loop: Header=BB230_21 Depth=1
	s_or_b64 exec, exec, s[14:15]
	s_and_saveexec_b64 s[14:15], s[0:1]
	s_cbranch_execnz .LBB230_58
.LBB230_29:                             ;   in Loop: Header=BB230_21 Depth=1
	s_or_b64 exec, exec, s[14:15]
	s_and_saveexec_b64 s[14:15], s[0:1]
	s_cbranch_execz .LBB230_31
.LBB230_30:                             ;   in Loop: Header=BB230_21 Depth=1
	ds_write_b32 v33, v11
.LBB230_31:                             ;   in Loop: Header=BB230_21 Depth=1
	s_or_b64 exec, exec, s[14:15]
	ds_bpermute_b32 v23, v27, v35
	s_waitcnt lgkmcnt(0)
	s_barrier
	v_add_f32_e32 v23, v35, v23
	ds_bpermute_b32 v35, v28, v23
	s_waitcnt lgkmcnt(0)
	v_add_f32_e32 v23, v23, v35
	ds_bpermute_b32 v35, v29, v23
	s_waitcnt lgkmcnt(0)
	;; [unrolled: 3-line block ×4, first 2 shown]
	v_add_f32_e32 v23, v23, v35
	ds_bpermute_b32 v35, v32, v23
	s_and_saveexec_b64 s[14:15], s[12:13]
	s_cbranch_execz .LBB230_33
; %bb.32:                               ;   in Loop: Header=BB230_21 Depth=1
	s_waitcnt lgkmcnt(0)
	v_add_f32_e32 v23, v23, v35
	ds_write_b32 v34, v23
.LBB230_33:                             ;   in Loop: Header=BB230_21 Depth=1
	s_or_b64 exec, exec, s[14:15]
	v_mov_b32_e32 v23, 0
	s_waitcnt lgkmcnt(0)
	s_barrier
	s_and_saveexec_b64 s[14:15], s[4:5]
	s_cbranch_execnz .LBB230_59
; %bb.34:                               ;   in Loop: Header=BB230_21 Depth=1
	s_or_b64 exec, exec, s[14:15]
	s_and_saveexec_b64 s[14:15], s[0:1]
	s_cbranch_execnz .LBB230_60
.LBB230_35:                             ;   in Loop: Header=BB230_21 Depth=1
	s_or_b64 exec, exec, s[14:15]
	s_and_saveexec_b64 s[14:15], s[0:1]
	s_cbranch_execz .LBB230_37
.LBB230_36:                             ;   in Loop: Header=BB230_21 Depth=1
	ds_write_b32 v33, v11
.LBB230_37:                             ;   in Loop: Header=BB230_21 Depth=1
	s_or_b64 exec, exec, s[14:15]
	ds_bpermute_b32 v35, v27, v20
	s_waitcnt lgkmcnt(0)
	s_barrier
	v_add_f32_e32 v20, v20, v35
	ds_bpermute_b32 v35, v28, v20
	s_waitcnt lgkmcnt(0)
	v_add_f32_e32 v20, v20, v35
	ds_bpermute_b32 v35, v29, v20
	s_waitcnt lgkmcnt(0)
	;; [unrolled: 3-line block ×4, first 2 shown]
	v_add_f32_e32 v20, v20, v35
	ds_bpermute_b32 v35, v32, v20
	s_and_saveexec_b64 s[14:15], s[12:13]
	s_cbranch_execz .LBB230_39
; %bb.38:                               ;   in Loop: Header=BB230_21 Depth=1
	s_waitcnt lgkmcnt(0)
	v_add_f32_e32 v20, v20, v35
	ds_write_b32 v34, v20
.LBB230_39:                             ;   in Loop: Header=BB230_21 Depth=1
	s_or_b64 exec, exec, s[14:15]
	v_mov_b32_e32 v20, 0
	s_waitcnt lgkmcnt(0)
	s_barrier
	s_and_saveexec_b64 s[14:15], s[4:5]
	s_cbranch_execnz .LBB230_61
; %bb.40:                               ;   in Loop: Header=BB230_21 Depth=1
	s_or_b64 exec, exec, s[14:15]
	s_and_saveexec_b64 s[14:15], s[0:1]
	s_cbranch_execnz .LBB230_62
.LBB230_41:                             ;   in Loop: Header=BB230_21 Depth=1
	s_or_b64 exec, exec, s[14:15]
	s_and_saveexec_b64 s[14:15], s[0:1]
	s_cbranch_execz .LBB230_43
.LBB230_42:                             ;   in Loop: Header=BB230_21 Depth=1
	ds_write_b32 v33, v11
.LBB230_43:                             ;   in Loop: Header=BB230_21 Depth=1
	s_or_b64 exec, exec, s[14:15]
	ds_bpermute_b32 v35, v27, v21
	s_waitcnt lgkmcnt(0)
	s_barrier
	v_add_f32_e32 v21, v21, v35
	ds_bpermute_b32 v35, v28, v21
	s_waitcnt lgkmcnt(0)
	v_add_f32_e32 v21, v21, v35
	ds_bpermute_b32 v35, v29, v21
	s_waitcnt lgkmcnt(0)
	v_add_f32_e32 v21, v21, v35
	ds_bpermute_b32 v35, v30, v21
	s_waitcnt lgkmcnt(0)
	v_add_f32_e32 v21, v21, v35
	ds_bpermute_b32 v35, v31, v21
	s_waitcnt lgkmcnt(0)
	v_add_f32_e32 v21, v21, v35
	ds_bpermute_b32 v35, v32, v21
	s_and_saveexec_b64 s[14:15], s[12:13]
	s_cbranch_execz .LBB230_45
; %bb.44:                               ;   in Loop: Header=BB230_21 Depth=1
	s_waitcnt lgkmcnt(0)
	v_add_f32_e32 v21, v21, v35
	ds_write_b32 v34, v21
.LBB230_45:                             ;   in Loop: Header=BB230_21 Depth=1
	s_or_b64 exec, exec, s[14:15]
	v_mov_b32_e32 v21, 0
	s_waitcnt lgkmcnt(0)
	s_barrier
	s_and_saveexec_b64 s[14:15], s[4:5]
	s_cbranch_execnz .LBB230_63
; %bb.46:                               ;   in Loop: Header=BB230_21 Depth=1
	s_or_b64 exec, exec, s[14:15]
	s_and_saveexec_b64 s[14:15], s[0:1]
	s_cbranch_execnz .LBB230_64
.LBB230_47:                             ;   in Loop: Header=BB230_21 Depth=1
	s_or_b64 exec, exec, s[14:15]
	s_and_saveexec_b64 s[14:15], s[6:7]
	s_cbranch_execz .LBB230_20
	s_branch .LBB230_65
.LBB230_48:                             ;   in Loop: Header=BB230_21 Depth=1
	s_mul_i32 s16, s31, s30
	s_ashr_i32 s17, s16, 31
	s_waitcnt lgkmcnt(0)
	v_lshl_add_u64 v[20:21], s[16:17], 2, v[6:7]
	s_add_i32 s16, s16, s30
	s_ashr_i32 s17, s16, 31
	v_lshl_add_u64 v[36:37], s[16:17], 2, v[6:7]
	s_add_i32 s16, s16, s30
	s_ashr_i32 s17, s16, 31
	flat_load_dword v2, v[12:13]
	flat_load_dword v3, v[14:15]
	;; [unrolled: 1-line block ×4, first 2 shown]
	v_lshl_add_u64 v[40:41], s[16:17], 2, v[6:7]
	flat_load_dwordx4 v[20:23], v[20:21]
	s_add_i32 s16, s16, s30
	flat_load_dwordx4 v[36:39], v[36:37]
	s_ashr_i32 s17, s16, 31
	v_lshl_add_u64 v[44:45], s[16:17], 2, v[6:7]
	flat_load_dwordx4 v[40:43], v[40:41]
	s_waitcnt vmcnt(0) lgkmcnt(0)
	v_pk_mul_f32 v[20:21], v[2:3], v[20:21]
	flat_load_dwordx4 v[44:47], v[44:45]
	v_add_f32_e32 v35, 0, v20
	v_pk_mul_f32 v[22:23], v[4:5], v[22:23]
	v_add_f32_e32 v21, v35, v21
	v_pk_mul_f32 v[36:37], v[2:3], v[36:37]
	v_add_f32_e32 v21, v21, v22
	v_mul_f32_e32 v20, v2, v40
	v_add_f32_e32 v35, 0, v36
	v_add_f32_e32 v36, v21, v23
	v_mul_f32_e32 v40, v3, v41
	v_pk_mul_f32 v[38:39], v[4:5], v[38:39]
	v_mul_f32_e32 v42, v4, v42
	v_mul_f32_e32 v48, v5, v43
	v_add_f32_e32 v35, v35, v37
	v_add_f32_e32 v22, v35, v38
	v_add_f32_e32 v35, v22, v39
	s_waitcnt vmcnt(0) lgkmcnt(0)
	v_pk_mul_f32 v[44:45], v[2:3], v[44:45]
	s_nop 0
	v_mov_b32_e32 v21, v44
	v_pk_mul_f32 v[46:47], v[4:5], v[46:47]
	v_mov_b32_e32 v41, v45
	v_pk_add_f32 v[20:21], v[20:21], 0 op_sel_hi:[1,0]
	v_mov_b32_e32 v43, v46
	v_pk_add_f32 v[20:21], v[20:21], v[40:41]
	v_mov_b32_e32 v49, v47
	v_pk_add_f32 v[20:21], v[20:21], v[42:43]
	s_nop 0
	v_pk_add_f32 v[20:21], v[20:21], v[48:49]
	s_andn2_saveexec_b64 s[44:45], s[14:15]
	s_cbranch_execz .LBB230_23
.LBB230_49:                             ;   in Loop: Header=BB230_21 Depth=1
	s_waitcnt lgkmcnt(0)
	v_mov_b32_e32 v21, 0
	v_mov_b32_e32 v20, 0
	;; [unrolled: 1-line block ×4, first 2 shown]
	s_and_saveexec_b64 s[46:47], s[10:11]
	s_cbranch_execz .LBB230_56
; %bb.50:                               ;   in Loop: Header=BB230_21 Depth=1
	v_cndmask_b32_e64 v20, 0, 1, s[36:37]
	v_cmp_ne_u32_e64 s[14:15], 1, v20
	s_andn2_b64 vcc, exec, s[36:37]
	s_cbranch_vccnz .LBB230_53
; %bb.51:                               ;   in Loop: Header=BB230_21 Depth=1
	s_mov_b64 s[48:49], 0
	v_mov_b32_e32 v20, v10
.LBB230_52:                             ;   Parent Loop BB230_21 Depth=1
                                        ; =>  This Inner Loop Header: Depth=2
	v_ashrrev_i32_e32 v21, 31, v20
	v_lshl_add_u64 v[22:23], v[20:21], 2, s[22:23]
	flat_load_dword v21, v[22:23]
	s_cmp_eq_u32 s48, 3
	s_cselect_b64 vcc, -1, 0
	s_cmp_eq_u32 s48, 2
	s_cselect_b64 s[16:17], -1, 0
	s_cmp_eq_u32 s48, 1
	s_cselect_b64 s[18:19], -1, 0
	s_cmp_eq_u32 s48, 0
	s_cselect_b64 s[20:21], -1, 0
	s_add_u32 s48, s48, 1
	s_addc_u32 s49, s49, 0
	v_add_u32_e32 v20, s27, v20
	s_cmp_eq_u32 s29, s48
	s_waitcnt vmcnt(0) lgkmcnt(0)
	v_cndmask_b32_e32 v5, v5, v21, vcc
	v_cndmask_b32_e64 v4, v4, v21, s[16:17]
	v_cndmask_b32_e64 v3, v3, v21, s[18:19]
	;; [unrolled: 1-line block ×3, first 2 shown]
	s_cbranch_scc0 .LBB230_52
.LBB230_53:                             ;   in Loop: Header=BB230_21 Depth=1
	s_and_b64 vcc, exec, s[14:15]
	v_mov_b32_e32 v21, 0
	v_mov_b32_e32 v20, 0
	v_mov_b32_e32 v35, 0
	v_mov_b32_e32 v36, 0
	s_cbranch_vccnz .LBB230_56
; %bb.54:                               ;   in Loop: Header=BB230_21 Depth=1
	s_ashr_i32 s39, s38, 31
	v_mov_b32_e32 v36, 0
	v_lshl_add_u64 v[22:23], s[38:39], 2, v[6:7]
	s_mov_b64 s[14:15], 0
	v_mov_b32_e32 v35, 0
	v_mov_b32_e32 v20, 0
	;; [unrolled: 1-line block ×3, first 2 shown]
.LBB230_55:                             ;   Parent Loop BB230_21 Depth=1
                                        ; =>  This Inner Loop Header: Depth=2
	s_cmp_eq_u32 s14, 1
	s_cselect_b64 vcc, -1, 0
	s_cmp_eq_u32 s14, 2
	v_cndmask_b32_e32 v38, v2, v3, vcc
	s_cselect_b64 vcc, -1, 0
	s_cmp_eq_u32 s14, 3
	v_cndmask_b32_e32 v44, v38, v4, vcc
	s_cselect_b64 vcc, -1, 0
	s_add_i32 s16, s42, s14
	s_add_i32 s18, s40, s14
	;; [unrolled: 1-line block ×3, first 2 shown]
	s_ashr_i32 s17, s16, 31
	s_ashr_i32 s19, s18, 31
	;; [unrolled: 1-line block ×3, first 2 shown]
	v_lshl_add_u64 v[38:39], s[16:17], 2, v[6:7]
	flat_load_dword v37, v[22:23]
	v_lshl_add_u64 v[40:41], s[18:19], 2, v[6:7]
	v_lshl_add_u64 v[42:43], s[20:21], 2, v[6:7]
	flat_load_dword v38, v[38:39]
	s_nop 0
	flat_load_dword v39, v[40:41]
	flat_load_dword v45, v[42:43]
	s_add_u32 s14, s14, 1
	v_cndmask_b32_e32 v40, v44, v5, vcc
	s_addc_u32 s15, s15, 0
	v_lshl_add_u64 v[22:23], v[22:23], 0, 4
	s_cmp_lg_u32 s29, s14
	s_waitcnt vmcnt(0) lgkmcnt(0)
	v_fmac_f32_e32 v36, v40, v37
	v_fmac_f32_e32 v35, v40, v38
	;; [unrolled: 1-line block ×4, first 2 shown]
	s_cbranch_scc1 .LBB230_55
.LBB230_56:                             ;   in Loop: Header=BB230_21 Depth=1
	s_or_b64 exec, exec, s[46:47]
	s_or_b64 exec, exec, s[44:45]
	s_and_saveexec_b64 s[14:15], s[0:1]
	s_cbranch_execnz .LBB230_24
	s_branch .LBB230_25
.LBB230_57:                             ;   in Loop: Header=BB230_21 Depth=1
	ds_read_b32 v22, v33
	s_or_b64 exec, exec, s[14:15]
	s_and_saveexec_b64 s[14:15], s[0:1]
	s_cbranch_execz .LBB230_29
.LBB230_58:                             ;   in Loop: Header=BB230_21 Depth=1
	s_waitcnt lgkmcnt(0)
	ds_bpermute_b32 v23, v31, v22
	s_waitcnt lgkmcnt(0)
	v_add_f32_e32 v22, v22, v23
	ds_bpermute_b32 v23, v32, v22
	s_waitcnt lgkmcnt(0)
	v_add_f32_e32 v22, v22, v23
	s_or_b64 exec, exec, s[14:15]
	s_and_saveexec_b64 s[14:15], s[0:1]
	s_cbranch_execnz .LBB230_30
	s_branch .LBB230_31
.LBB230_59:                             ;   in Loop: Header=BB230_21 Depth=1
	ds_read_b32 v23, v33
	s_or_b64 exec, exec, s[14:15]
	s_and_saveexec_b64 s[14:15], s[0:1]
	s_cbranch_execz .LBB230_35
.LBB230_60:                             ;   in Loop: Header=BB230_21 Depth=1
	s_waitcnt lgkmcnt(0)
	ds_bpermute_b32 v35, v31, v23
	s_waitcnt lgkmcnt(0)
	v_add_f32_e32 v23, v23, v35
	ds_bpermute_b32 v35, v32, v23
	s_waitcnt lgkmcnt(0)
	v_add_f32_e32 v23, v23, v35
	s_or_b64 exec, exec, s[14:15]
	s_and_saveexec_b64 s[14:15], s[0:1]
	s_cbranch_execnz .LBB230_36
	s_branch .LBB230_37
.LBB230_61:                             ;   in Loop: Header=BB230_21 Depth=1
	ds_read_b32 v20, v33
	s_or_b64 exec, exec, s[14:15]
	s_and_saveexec_b64 s[14:15], s[0:1]
	s_cbranch_execz .LBB230_41
.LBB230_62:                             ;   in Loop: Header=BB230_21 Depth=1
	s_waitcnt lgkmcnt(0)
	ds_bpermute_b32 v35, v31, v20
	s_waitcnt lgkmcnt(0)
	v_add_f32_e32 v20, v20, v35
	ds_bpermute_b32 v35, v32, v20
	s_waitcnt lgkmcnt(0)
	v_add_f32_e32 v20, v20, v35
	s_or_b64 exec, exec, s[14:15]
	s_and_saveexec_b64 s[14:15], s[0:1]
	s_cbranch_execnz .LBB230_42
	s_branch .LBB230_43
.LBB230_63:                             ;   in Loop: Header=BB230_21 Depth=1
	ds_read_b32 v21, v33
	s_or_b64 exec, exec, s[14:15]
	s_and_saveexec_b64 s[14:15], s[0:1]
	s_cbranch_execz .LBB230_47
.LBB230_64:                             ;   in Loop: Header=BB230_21 Depth=1
	s_waitcnt lgkmcnt(0)
	ds_bpermute_b32 v35, v31, v21
	s_waitcnt lgkmcnt(0)
	v_add_f32_e32 v21, v21, v35
	ds_bpermute_b32 v35, v32, v21
	s_waitcnt lgkmcnt(0)
	v_add_f32_e32 v21, v21, v35
	s_or_b64 exec, exec, s[14:15]
	s_and_saveexec_b64 s[14:15], s[6:7]
	s_cbranch_execz .LBB230_20
.LBB230_65:                             ;   in Loop: Header=BB230_21 Depth=1
	s_mul_i32 s16, s31, s28
	s_add_i32 s34, s16, s2
	s_lshl_b64 s[16:17], s[34:35], 2
	s_add_u32 s16, s33, s16
	v_mul_f32_e32 v22, s26, v22
	s_addc_u32 s17, s50, s17
	s_add_i32 s34, s34, s28
	global_store_dword v11, v22, s[16:17]
	s_lshl_b64 s[16:17], s[34:35], 2
	s_add_u32 s16, s33, s16
	v_mul_f32_e32 v22, s26, v23
	s_addc_u32 s17, s50, s17
	s_add_i32 s34, s34, s28
	global_store_dword v11, v22, s[16:17]
	;; [unrolled: 6-line block ×3, first 2 shown]
	s_lshl_b64 s[16:17], s[34:35], 2
	s_add_u32 s16, s33, s16
	s_waitcnt lgkmcnt(0)
	v_mul_f32_e32 v20, s26, v21
	s_addc_u32 s17, s50, s17
	global_store_dword v11, v20, s[16:17]
	s_branch .LBB230_20
.LBB230_66:
	s_mov_b32 s31, 0
                                        ; implicit-def: $vgpr2_vgpr3_vgpr4_vgpr5
.LBB230_67:
	s_cmp_ge_i32 s31, s25
	s_cbranch_scc1 .LBB230_91
; %bb.68:
	v_mbcnt_hi_u32_b32 v10, -1, v24
	v_and_b32_e32 v11, 63, v10
	v_cmp_gt_u32_e32 vcc, 32, v11
	v_add_u32_e32 v14, s27, v8
	v_add_u32_e32 v16, s27, v14
	v_cndmask_b32_e64 v12, 0, 1, vcc
	v_lshlrev_b32_e32 v12, 5, v12
	v_cmp_gt_u32_e32 vcc, 48, v11
	s_waitcnt lgkmcnt(0)
	v_add_lshl_u32 v21, v12, v10, 2
	s_mov_b32 s3, 0
	v_cndmask_b32_e64 v12, 0, 1, vcc
	v_lshlrev_b32_e32 v12, 4, v12
	v_cmp_gt_u32_e32 vcc, 56, v11
	v_add_lshl_u32 v22, v12, v10, 2
	s_cmp_gt_i32 s29, 0
	v_cndmask_b32_e64 v12, 0, 1, vcc
	v_lshlrev_b32_e32 v12, 3, v12
	v_cmp_gt_u32_e32 vcc, 60, v11
	v_add_lshl_u32 v23, v12, v10, 2
	v_ashrrev_i32_e32 v15, 31, v14
	v_cndmask_b32_e64 v12, 0, 1, vcc
	v_lshlrev_b32_e32 v12, 2, v12
	v_cmp_gt_u32_e32 vcc, 62, v11
	v_add_lshl_u32 v24, v12, v10, 2
	v_ashrrev_i32_e32 v17, 31, v16
	v_cndmask_b32_e64 v12, 0, 1, vcc
	v_lshlrev_b32_e32 v12, 1, v12
	v_cmp_ge_i32_e64 s[0:1], s24, v25
	s_cselect_b64 s[34:35], -1, 0
	v_add_lshl_u32 v25, v12, v10, 2
	v_cmp_ne_u32_e32 vcc, 63, v11
	s_lshl_b64 s[14:15], s[2:3], 2
	v_lshl_add_u64 v[12:13], v[14:15], 2, s[22:23]
	v_lshl_add_u64 v[14:15], v[16:17], 2, s[22:23]
	v_add_u32_e32 v16, s27, v16
	v_lshlrev_b32_e32 v20, 2, v1
	v_addc_co_u32_e32 v10, vcc, 0, v10, vcc
	v_cmp_eq_u32_e64 s[8:9], 0, v1
	v_and_b32_e32 v1, 12, v9
	s_add_u32 s2, s33, s14
	v_ashrrev_i32_e32 v9, 31, v8
	v_ashrrev_i32_e32 v17, 31, v16
	v_cmp_ge_i32_e64 s[4:5], s24, v26
	v_cmp_gt_u32_e64 s[6:7], 64, v0
	v_lshlrev_b32_e32 v26, 2, v10
	v_cmp_gt_u32_e64 s[10:11], 4, v0
	v_cmp_eq_u32_e64 s[12:13], 0, v0
	s_addc_u32 s24, s50, s15
	v_lshl_add_u64 v[10:11], v[8:9], 2, s[22:23]
	v_lshl_add_u64 v[16:17], v[16:17], 2, s[22:23]
	s_mul_i32 s36, s31, s30
	v_mov_b32_e32 v9, 0
	s_branch .LBB230_70
.LBB230_69:                             ;   in Loop: Header=BB230_70 Depth=1
	s_or_b64 exec, exec, s[14:15]
	s_add_i32 s31, s31, 1
	s_add_i32 s36, s36, s30
	s_cmp_ge_i32 s31, s25
	s_cbranch_scc1 .LBB230_91
.LBB230_70:                             ; =>This Loop Header: Depth=1
                                        ;     Child Loop BB230_83 Depth 2
                                        ;     Child Loop BB230_86 Depth 2
	s_waitcnt lgkmcnt(0)
	v_mov_b32_e32 v0, s3
	s_and_saveexec_b64 s[14:15], s[0:1]
	s_xor_b64 s[14:15], exec, s[14:15]
	s_cbranch_execnz .LBB230_79
; %bb.71:                               ;   in Loop: Header=BB230_70 Depth=1
	s_andn2_saveexec_b64 s[38:39], s[14:15]
	s_cbranch_execnz .LBB230_80
.LBB230_72:                             ;   in Loop: Header=BB230_70 Depth=1
	s_or_b64 exec, exec, s[38:39]
	s_and_saveexec_b64 s[14:15], s[6:7]
	s_cbranch_execz .LBB230_74
.LBB230_73:                             ;   in Loop: Header=BB230_70 Depth=1
	ds_write_b32 v20, v9
.LBB230_74:                             ;   in Loop: Header=BB230_70 Depth=1
	s_or_b64 exec, exec, s[14:15]
	ds_bpermute_b32 v18, v21, v0
	s_waitcnt lgkmcnt(0)
	s_barrier
	v_add_f32_e32 v0, v0, v18
	ds_bpermute_b32 v18, v22, v0
	s_waitcnt lgkmcnt(0)
	v_add_f32_e32 v0, v0, v18
	ds_bpermute_b32 v18, v23, v0
	s_waitcnt lgkmcnt(0)
	;; [unrolled: 3-line block ×4, first 2 shown]
	v_add_f32_e32 v0, v0, v18
	ds_bpermute_b32 v18, v26, v0
	s_and_saveexec_b64 s[14:15], s[8:9]
	s_cbranch_execz .LBB230_76
; %bb.75:                               ;   in Loop: Header=BB230_70 Depth=1
	s_waitcnt lgkmcnt(0)
	v_add_f32_e32 v0, v0, v18
	ds_write_b32 v1, v0
.LBB230_76:                             ;   in Loop: Header=BB230_70 Depth=1
	s_or_b64 exec, exec, s[14:15]
	v_mov_b32_e32 v0, 0
	s_waitcnt lgkmcnt(0)
	s_barrier
	s_and_saveexec_b64 s[14:15], s[10:11]
	s_cbranch_execnz .LBB230_88
; %bb.77:                               ;   in Loop: Header=BB230_70 Depth=1
	s_or_b64 exec, exec, s[14:15]
	s_and_saveexec_b64 s[14:15], s[6:7]
	s_cbranch_execnz .LBB230_89
.LBB230_78:                             ;   in Loop: Header=BB230_70 Depth=1
	s_or_b64 exec, exec, s[14:15]
	s_and_saveexec_b64 s[14:15], s[12:13]
	s_cbranch_execz .LBB230_69
	s_branch .LBB230_90
.LBB230_79:                             ;   in Loop: Header=BB230_70 Depth=1
	s_mul_i32 s16, s31, s30
	s_ashr_i32 s17, s16, 31
	v_lshl_add_u64 v[18:19], s[16:17], 2, v[6:7]
	flat_load_dwordx4 v[28:31], v[18:19]
	flat_load_dword v2, v[10:11]
	flat_load_dword v3, v[12:13]
	;; [unrolled: 1-line block ×4, first 2 shown]
	s_waitcnt vmcnt(0) lgkmcnt(0)
	v_pk_mul_f32 v[18:19], v[2:3], v[28:29]
	s_nop 0
	v_add_f32_e32 v0, 0, v18
	v_add_f32_e32 v0, v0, v19
	v_pk_mul_f32 v[18:19], v[4:5], v[30:31]
	s_nop 0
	v_add_f32_e32 v0, v0, v18
	v_add_f32_e32 v0, v0, v19
	s_andn2_saveexec_b64 s[38:39], s[14:15]
	s_cbranch_execz .LBB230_72
.LBB230_80:                             ;   in Loop: Header=BB230_70 Depth=1
	s_and_saveexec_b64 s[40:41], s[4:5]
	s_cbranch_execz .LBB230_87
; %bb.81:                               ;   in Loop: Header=BB230_70 Depth=1
	v_cndmask_b32_e64 v18, 0, 1, s[34:35]
	v_cmp_ne_u32_e64 s[14:15], 1, v18
	s_andn2_b64 vcc, exec, s[34:35]
	s_cbranch_vccnz .LBB230_84
; %bb.82:                               ;   in Loop: Header=BB230_70 Depth=1
	s_mov_b64 s[42:43], 0
	v_mov_b32_e32 v18, v8
.LBB230_83:                             ;   Parent Loop BB230_70 Depth=1
                                        ; =>  This Inner Loop Header: Depth=2
	v_ashrrev_i32_e32 v19, 31, v18
	v_lshl_add_u64 v[28:29], v[18:19], 2, s[22:23]
	flat_load_dword v19, v[28:29]
	s_cmp_eq_u32 s42, 3
	s_cselect_b64 vcc, -1, 0
	s_cmp_eq_u32 s42, 2
	s_cselect_b64 s[16:17], -1, 0
	s_cmp_eq_u32 s42, 1
	s_cselect_b64 s[18:19], -1, 0
	;; [unrolled: 2-line block ×3, first 2 shown]
	s_add_u32 s42, s42, 1
	s_addc_u32 s43, s43, 0
	v_add_u32_e32 v18, s27, v18
	s_cmp_eq_u32 s29, s42
	s_waitcnt vmcnt(0) lgkmcnt(0)
	v_cndmask_b32_e32 v5, v5, v19, vcc
	v_cndmask_b32_e64 v4, v4, v19, s[16:17]
	v_cndmask_b32_e64 v3, v3, v19, s[18:19]
	;; [unrolled: 1-line block ×3, first 2 shown]
	s_cbranch_scc0 .LBB230_83
.LBB230_84:                             ;   in Loop: Header=BB230_70 Depth=1
	s_and_b64 vcc, exec, s[14:15]
	s_cbranch_vccnz .LBB230_87
; %bb.85:                               ;   in Loop: Header=BB230_70 Depth=1
	s_ashr_i32 s37, s36, 31
	v_lshl_add_u64 v[18:19], s[36:37], 2, v[6:7]
	s_mov_b64 s[14:15], 0
.LBB230_86:                             ;   Parent Loop BB230_70 Depth=1
                                        ; =>  This Inner Loop Header: Depth=2
	flat_load_dword v27, v[18:19]
	s_cmp_eq_u32 s14, 1
	s_cselect_b64 vcc, -1, 0
	s_cmp_eq_u32 s14, 2
	v_cndmask_b32_e32 v28, v2, v3, vcc
	s_cselect_b64 vcc, -1, 0
	s_cmp_eq_u32 s14, 3
	v_cndmask_b32_e32 v28, v28, v4, vcc
	s_cselect_b64 vcc, -1, 0
	s_add_u32 s14, s14, 1
	v_cndmask_b32_e32 v28, v28, v5, vcc
	s_addc_u32 s15, s15, 0
	v_lshl_add_u64 v[18:19], v[18:19], 0, 4
	s_cmp_lg_u32 s29, s14
	s_waitcnt vmcnt(0) lgkmcnt(0)
	v_fmac_f32_e32 v0, v28, v27
	s_cbranch_scc1 .LBB230_86
.LBB230_87:                             ;   in Loop: Header=BB230_70 Depth=1
	s_or_b64 exec, exec, s[40:41]
	s_or_b64 exec, exec, s[38:39]
	s_and_saveexec_b64 s[14:15], s[6:7]
	s_cbranch_execnz .LBB230_73
	s_branch .LBB230_74
.LBB230_88:                             ;   in Loop: Header=BB230_70 Depth=1
	ds_read_b32 v0, v20
	s_or_b64 exec, exec, s[14:15]
	s_and_saveexec_b64 s[14:15], s[6:7]
	s_cbranch_execz .LBB230_78
.LBB230_89:                             ;   in Loop: Header=BB230_70 Depth=1
	s_waitcnt lgkmcnt(0)
	ds_bpermute_b32 v18, v25, v0
	s_waitcnt lgkmcnt(0)
	v_add_f32_e32 v0, v0, v18
	ds_bpermute_b32 v18, v26, v0
	s_waitcnt lgkmcnt(0)
	v_add_f32_e32 v0, v0, v18
	s_or_b64 exec, exec, s[14:15]
	s_and_saveexec_b64 s[14:15], s[12:13]
	s_cbranch_execz .LBB230_69
.LBB230_90:                             ;   in Loop: Header=BB230_70 Depth=1
	s_mul_hi_u32 s17, s31, s28
	s_mul_i32 s16, s31, s28
	s_lshl_b64 s[16:17], s[16:17], 2
	s_add_u32 s16, s2, s16
	s_waitcnt lgkmcnt(0)
	v_mul_f32_e32 v0, s26, v0
	s_addc_u32 s17, s24, s17
	global_store_dword v9, v0, s[16:17]
	s_branch .LBB230_69
.LBB230_91:
	s_endpgm
	.section	.rodata,"a",@progbits
	.p2align	6, 0x0
	.amdhsa_kernel _ZL23rocblas_gemvt_sn_kernelILb1ELi256ELi4EiPKfffEviiT4_lPKT3_lilS5_lilPT5_i
		.amdhsa_group_segment_fixed_size 256
		.amdhsa_private_segment_fixed_size 0
		.amdhsa_kernarg_size 360
		.amdhsa_user_sgpr_count 2
		.amdhsa_user_sgpr_dispatch_ptr 0
		.amdhsa_user_sgpr_queue_ptr 0
		.amdhsa_user_sgpr_kernarg_segment_ptr 1
		.amdhsa_user_sgpr_dispatch_id 0
		.amdhsa_user_sgpr_kernarg_preload_length 0
		.amdhsa_user_sgpr_kernarg_preload_offset 0
		.amdhsa_user_sgpr_private_segment_size 0
		.amdhsa_uses_dynamic_stack 0
		.amdhsa_enable_private_segment 0
		.amdhsa_system_sgpr_workgroup_id_x 1
		.amdhsa_system_sgpr_workgroup_id_y 0
		.amdhsa_system_sgpr_workgroup_id_z 1
		.amdhsa_system_sgpr_workgroup_info 0
		.amdhsa_system_vgpr_workitem_id 0
		.amdhsa_next_free_vgpr 50
		.amdhsa_next_free_sgpr 54
		.amdhsa_accum_offset 52
		.amdhsa_reserve_vcc 1
		.amdhsa_float_round_mode_32 0
		.amdhsa_float_round_mode_16_64 0
		.amdhsa_float_denorm_mode_32 3
		.amdhsa_float_denorm_mode_16_64 3
		.amdhsa_dx10_clamp 1
		.amdhsa_ieee_mode 1
		.amdhsa_fp16_overflow 0
		.amdhsa_tg_split 0
		.amdhsa_exception_fp_ieee_invalid_op 0
		.amdhsa_exception_fp_denorm_src 0
		.amdhsa_exception_fp_ieee_div_zero 0
		.amdhsa_exception_fp_ieee_overflow 0
		.amdhsa_exception_fp_ieee_underflow 0
		.amdhsa_exception_fp_ieee_inexact 0
		.amdhsa_exception_int_div_zero 0
	.end_amdhsa_kernel
	.section	.text._ZL23rocblas_gemvt_sn_kernelILb1ELi256ELi4EiPKfffEviiT4_lPKT3_lilS5_lilPT5_i,"axG",@progbits,_ZL23rocblas_gemvt_sn_kernelILb1ELi256ELi4EiPKfffEviiT4_lPKT3_lilS5_lilPT5_i,comdat
.Lfunc_end230:
	.size	_ZL23rocblas_gemvt_sn_kernelILb1ELi256ELi4EiPKfffEviiT4_lPKT3_lilS5_lilPT5_i, .Lfunc_end230-_ZL23rocblas_gemvt_sn_kernelILb1ELi256ELi4EiPKfffEviiT4_lPKT3_lilS5_lilPT5_i
                                        ; -- End function
	.section	.AMDGPU.csdata,"",@progbits
; Kernel info:
; codeLenInByte = 3884
; NumSgprs: 60
; NumVgprs: 50
; NumAgprs: 0
; TotalNumVgprs: 50
; ScratchSize: 0
; MemoryBound: 0
; FloatMode: 240
; IeeeMode: 1
; LDSByteSize: 256 bytes/workgroup (compile time only)
; SGPRBlocks: 7
; VGPRBlocks: 6
; NumSGPRsForWavesPerEU: 60
; NumVGPRsForWavesPerEU: 50
; AccumOffset: 52
; Occupancy: 8
; WaveLimiterHint : 0
; COMPUTE_PGM_RSRC2:SCRATCH_EN: 0
; COMPUTE_PGM_RSRC2:USER_SGPR: 2
; COMPUTE_PGM_RSRC2:TRAP_HANDLER: 0
; COMPUTE_PGM_RSRC2:TGID_X_EN: 1
; COMPUTE_PGM_RSRC2:TGID_Y_EN: 0
; COMPUTE_PGM_RSRC2:TGID_Z_EN: 1
; COMPUTE_PGM_RSRC2:TIDIG_COMP_CNT: 0
; COMPUTE_PGM_RSRC3_GFX90A:ACCUM_OFFSET: 12
; COMPUTE_PGM_RSRC3_GFX90A:TG_SPLIT: 0
	.section	.text._ZL23rocblas_gemvt_sn_kernelILb1ELi256ELi4ElPKfffEviiT4_lPKT3_lilS5_lilPT5_i,"axG",@progbits,_ZL23rocblas_gemvt_sn_kernelILb1ELi256ELi4ElPKfffEviiT4_lPKT3_lilS5_lilPT5_i,comdat
	.globl	_ZL23rocblas_gemvt_sn_kernelILb1ELi256ELi4ElPKfffEviiT4_lPKT3_lilS5_lilPT5_i ; -- Begin function _ZL23rocblas_gemvt_sn_kernelILb1ELi256ELi4ElPKfffEviiT4_lPKT3_lilS5_lilPT5_i
	.p2align	8
	.type	_ZL23rocblas_gemvt_sn_kernelILb1ELi256ELi4ElPKfffEviiT4_lPKT3_lilS5_lilPT5_i,@function
_ZL23rocblas_gemvt_sn_kernelILb1ELi256ELi4ElPKfffEviiT4_lPKT3_lilS5_lilPT5_i: ; @_ZL23rocblas_gemvt_sn_kernelILb1ELi256ELi4ElPKfffEviiT4_lPKT3_lilS5_lilPT5_i
; %bb.0:
	s_load_dwordx4 s[24:27], s[0:1], 0x0
	s_mov_b32 s8, s3
	s_mov_b32 s9, 0
	s_waitcnt lgkmcnt(0)
	v_cmp_neq_f32_e64 s[4:5], s26, 0
	v_cmp_eq_f32_e64 s[6:7], s26, 0
	s_and_b64 vcc, exec, s[4:5]
	s_cbranch_vccnz .LBB231_2
; %bb.1:
	s_mov_b64 s[30:31], 0
	s_cbranch_execz .LBB231_3
	s_branch .LBB231_4
.LBB231_2:
                                        ; implicit-def: $sgpr30_sgpr31
.LBB231_3:
	s_load_dwordx4 s[12:15], s[0:1], 0x18
	s_lshl_b64 s[10:11], s[8:9], 3
	s_waitcnt lgkmcnt(0)
	s_add_u32 s10, s12, s10
	s_addc_u32 s11, s13, s11
	s_load_dwordx2 s[10:11], s[10:11], 0x0
	s_lshl_b64 s[12:13], s[14:15], 2
	s_waitcnt lgkmcnt(0)
	s_add_u32 s30, s10, s12
	s_addc_u32 s31, s11, s13
.LBB231_4:
	s_andn2_b64 vcc, exec, s[4:5]
	s_cbranch_vccnz .LBB231_6
; %bb.5:
	s_load_dwordx4 s[12:15], s[0:1], 0x38
	s_lshl_b64 s[4:5], s[8:9], 3
	s_waitcnt lgkmcnt(0)
	s_add_u32 s4, s12, s4
	s_addc_u32 s5, s13, s5
	s_load_dwordx2 s[4:5], s[4:5], 0x0
	s_lshl_b64 s[10:11], s[14:15], 2
	s_waitcnt lgkmcnt(0)
	s_add_u32 s34, s4, s10
	s_addc_u32 s35, s5, s11
	s_branch .LBB231_7
.LBB231_6:
	s_mov_b64 s[34:35], 0
.LBB231_7:
	s_load_dwordx2 s[4:5], s[0:1], 0x58
	s_load_dword s22, s[0:1], 0x68
	s_ashr_i32 s14, s25, 31
	s_mul_hi_u32 s3, s8, s25
	s_mul_i32 s10, s8, s14
	s_add_i32 s3, s3, s10
	s_mul_i32 s9, s9, s25
	s_add_i32 s9, s3, s9
	s_mul_i32 s8, s8, s25
	s_waitcnt lgkmcnt(0)
	s_mul_i32 s3, s9, s22
	s_mul_hi_u32 s10, s8, s22
	s_add_i32 s11, s10, s3
	s_mul_i32 s10, s8, s22
	s_lshl_b64 s[10:11], s[10:11], 2
	s_add_u32 s27, s4, s10
	s_mov_b32 s23, 0
	s_addc_u32 s33, s5, s11
	s_andn2_b64 vcc, exec, s[6:7]
	s_mov_b64 s[6:7], -1
	s_cbranch_vccnz .LBB231_17
; %bb.8:
	s_cmp_gt_i32 s25, 0
	v_cmp_eq_u32_e32 vcc, 0, v0
	s_cselect_b64 s[6:7], -1, 0
	s_and_b64 s[10:11], vcc, s[6:7]
	s_and_saveexec_b64 s[6:7], s[10:11]
	s_cbranch_execz .LBB231_16
; %bb.9:
	s_cmp_gt_u32 s25, 1
	s_cselect_b64 s[10:11], -1, 0
	s_cmp_eq_u32 s22, 1
	s_cselect_b64 s[16:17], -1, 0
	s_mov_b32 s3, 0
	s_and_b64 s[10:11], s[10:11], s[16:17]
	s_mov_b64 s[12:13], -1
	s_andn2_b64 vcc, exec, s[10:11]
	s_mov_b32 s10, s3
	s_cbranch_vccnz .LBB231_13
; %bb.10:
	s_lshl_b64 s[10:11], s[2:3], 2
	s_add_u32 s12, s27, s10
	s_addc_u32 s13, s33, s11
	s_and_b32 s10, s25, 0x7ffffffe
	v_mov_b32_e32 v2, 0
	v_mov_b32_e32 v3, v2
	s_mov_b32 s11, s10
.LBB231_11:                             ; =>This Inner Loop Header: Depth=1
	global_store_dwordx2 v2, v[2:3], s[12:13]
	s_add_u32 s12, s12, 8
	s_addc_u32 s13, s13, 0
	s_add_i32 s11, s11, -2
	s_cmp_lg_u32 s11, 0
	s_cbranch_scc1 .LBB231_11
; %bb.12:
	s_cmp_lg_u32 s10, s25
	s_cselect_b64 s[12:13], -1, 0
.LBB231_13:
	s_and_b64 vcc, exec, s[12:13]
	s_cbranch_vccz .LBB231_16
; %bb.14:
	s_mov_b32 s11, 0
	s_sub_i32 s12, s25, s10
	s_lshl_b64 s[8:9], s[8:9], 2
	s_lshl_b64 s[10:11], s[10:11], 2
	s_add_u32 s8, s8, s10
	s_addc_u32 s9, s9, s11
	s_mul_i32 s9, s9, s22
	s_mul_hi_u32 s10, s8, s22
	s_add_i32 s10, s10, s9
	s_mul_i32 s11, s8, s22
	s_lshl_b64 s[8:9], s[2:3], 2
	s_add_u32 s3, s11, s8
	s_addc_u32 s8, s10, s9
	s_add_u32 s4, s4, s3
	s_addc_u32 s5, s5, s8
	s_lshl_b64 s[8:9], s[22:23], 2
	v_mov_b32_e32 v1, 0
.LBB231_15:                             ; =>This Inner Loop Header: Depth=1
	s_add_i32 s12, s12, -1
	global_store_dword v1, v1, s[4:5]
	s_add_u32 s4, s4, s8
	s_addc_u32 s5, s5, s9
	s_cmp_eq_u32 s12, 0
	s_cbranch_scc0 .LBB231_15
.LBB231_16:
	s_or_b64 exec, exec, s[6:7]
	s_mov_b64 s[6:7], 0
.LBB231_17:
	s_andn2_b64 vcc, exec, s[6:7]
	s_cbranch_vccnz .LBB231_91
; %bb.18:
	s_load_dword s28, s[0:1], 0x28
	s_load_dword s36, s[0:1], 0x48
	s_lshl_b32 s0, s2, 10
	v_lshl_or_b32 v8, v0, 2, s0
	s_lshr_b32 s0, s14, 30
	s_add_i32 s0, s25, s0
	s_and_b32 s56, s0, -4
	s_ashr_i32 s0, s24, 31
	s_lshr_b32 s0, s0, 30
	s_add_i32 s0, s24, s0
	s_and_b32 s0, s0, -4
	s_waitcnt lgkmcnt(0)
	s_ashr_i32 s29, s28, 31
	s_ashr_i32 s37, s36, 31
	v_ashrrev_i32_e32 v9, 31, v8
	s_sub_i32 s23, s24, s0
	v_lshl_add_u64 v[6:7], v[8:9], 2, s[30:31]
	s_cmp_lt_i32 s56, 1
	v_add_u32_e32 v29, 4, v8
	v_add_u32_e32 v30, s23, v8
	v_and_b32_e32 v26, 63, v0
	v_cmp_gt_u32_e64 s[0:1], 64, v0
	v_mbcnt_lo_u32_b32 v28, -1, 0
	v_cmp_gt_u32_e64 s[4:5], 4, v0
	v_lshrrev_b32_e32 v27, 4, v0
	v_cmp_eq_u32_e64 s[6:7], 0, v0
	v_or_b32_e32 v25, 1, v8
	v_or_b32_e32 v24, 2, v8
	;; [unrolled: 1-line block ×3, first 2 shown]
	s_cbranch_scc1 .LBB231_66
; %bb.19:
	v_mbcnt_hi_u32_b32 v2, -1, v28
	v_and_b32_e32 v3, 63, v2
	v_cmp_gt_u32_e32 vcc, 32, v3
	s_mov_b32 s3, 0
	s_cmp_gt_i32 s23, 0
	v_cndmask_b32_e64 v4, 0, 1, vcc
	v_lshlrev_b32_e32 v4, 5, v4
	v_cmp_gt_u32_e32 vcc, 48, v3
	v_add_lshl_u32 v31, v4, v2, 2
	s_cselect_b64 s[38:39], -1, 0
	v_cndmask_b32_e64 v4, 0, 1, vcc
	v_lshlrev_b32_e32 v4, 4, v4
	v_cmp_gt_u32_e32 vcc, 56, v3
	v_add_lshl_u32 v32, v4, v2, 2
	s_lshl_b64 s[14:15], s[2:3], 2
	v_cndmask_b32_e64 v4, 0, 1, vcc
	v_lshlrev_b32_e32 v4, 3, v4
	v_cmp_gt_u32_e32 vcc, 60, v3
	v_add_lshl_u32 v33, v4, v2, 2
	s_add_u32 s57, s27, s14
	v_cndmask_b32_e64 v4, 0, 1, vcc
	v_lshlrev_b32_e32 v4, 2, v4
	v_cmp_gt_u32_e32 vcc, 62, v3
	v_add_lshl_u32 v34, v4, v2, 2
	s_addc_u32 s58, s33, s15
	v_cndmask_b32_e64 v4, 0, 1, vcc
	v_lshlrev_b32_e32 v4, 1, v4
	v_cmp_ne_u32_e32 vcc, 63, v3
	v_add_lshl_u32 v35, v4, v2, 2
	v_cmp_ge_i32_e64 s[8:9], s24, v29
	v_addc_co_u32_e32 v2, vcc, 0, v2, vcc
	v_lshlrev_b32_e32 v36, 2, v2
	v_mad_i64_i32 v[2:3], s[14:15], s36, v8, 0
	v_lshl_add_u64 v[10:11], v[2:3], 2, s[34:35]
	v_mad_i64_i32 v[2:3], s[14:15], s36, v25, 0
	v_lshl_add_u64 v[12:13], v[2:3], 2, s[34:35]
	;; [unrolled: 2-line block ×3, first 2 shown]
	v_mad_i64_i32 v[2:3], s[14:15], s36, v1, 0
	v_cmp_ge_i32_e64 s[10:11], s24, v30
	v_cmp_eq_u32_e64 s[12:13], 0, v26
	v_lshlrev_b32_e32 v37, 2, v26
	v_and_b32_e32 v38, 12, v27
	v_lshl_add_u64 v[16:17], v[2:3], 2, s[34:35]
	s_lshl_b64 s[40:41], s[36:37], 2
	s_mul_hi_i32 s43, s28, 12
	s_mul_i32 s42, s28, 12
	s_lshl_b64 s[44:45], s[28:29], 4
	s_lshl_b64 s[46:47], s[28:29], 3
	;; [unrolled: 1-line block ×3, first 2 shown]
	v_mov_b32_e32 v39, 0
	v_mov_b64_e32 v[18:19], v[6:7]
                                        ; implicit-def: $vgpr2_vgpr3_vgpr4_vgpr5
	s_branch .LBB231_21
.LBB231_20:                             ;   in Loop: Header=BB231_21 Depth=1
	s_or_b64 exec, exec, s[14:15]
	s_add_i32 s3, s3, 4
	s_cmp_ge_i32 s3, s56
	v_lshl_add_u64 v[18:19], v[18:19], 0, s[44:45]
	s_cbranch_scc1 .LBB231_67
.LBB231_21:                             ; =>This Loop Header: Depth=1
                                        ;     Child Loop BB231_52 Depth 2
                                        ;     Child Loop BB231_55 Depth 2
                                        ; implicit-def: $vgpr21
                                        ; implicit-def: $vgpr40
                                        ; implicit-def: $vgpr41
	s_and_saveexec_b64 s[14:15], s[8:9]
	s_xor_b64 s[14:15], exec, s[14:15]
	s_cbranch_execnz .LBB231_48
; %bb.22:                               ;   in Loop: Header=BB231_21 Depth=1
	s_andn2_saveexec_b64 s[50:51], s[14:15]
	s_cbranch_execnz .LBB231_49
.LBB231_23:                             ;   in Loop: Header=BB231_21 Depth=1
	s_or_b64 exec, exec, s[50:51]
	s_and_saveexec_b64 s[14:15], s[0:1]
	s_cbranch_execz .LBB231_25
.LBB231_24:                             ;   in Loop: Header=BB231_21 Depth=1
	ds_write_b32 v37, v39
.LBB231_25:                             ;   in Loop: Header=BB231_21 Depth=1
	s_or_b64 exec, exec, s[14:15]
	ds_bpermute_b32 v22, v31, v41
	s_waitcnt lgkmcnt(0)
	s_barrier
	v_add_f32_e32 v22, v41, v22
	ds_bpermute_b32 v23, v32, v22
	s_waitcnt lgkmcnt(0)
	v_add_f32_e32 v22, v22, v23
	ds_bpermute_b32 v23, v33, v22
	s_waitcnt lgkmcnt(0)
	;; [unrolled: 3-line block ×4, first 2 shown]
	v_add_f32_e32 v22, v22, v23
	ds_bpermute_b32 v23, v36, v22
	s_and_saveexec_b64 s[14:15], s[12:13]
	s_cbranch_execz .LBB231_27
; %bb.26:                               ;   in Loop: Header=BB231_21 Depth=1
	s_waitcnt lgkmcnt(0)
	v_add_f32_e32 v22, v22, v23
	ds_write_b32 v38, v22
.LBB231_27:                             ;   in Loop: Header=BB231_21 Depth=1
	s_or_b64 exec, exec, s[14:15]
	v_mov_b32_e32 v22, 0
	s_waitcnt lgkmcnt(0)
	s_barrier
	s_and_saveexec_b64 s[14:15], s[4:5]
	s_cbranch_execnz .LBB231_57
; %bb.28:                               ;   in Loop: Header=BB231_21 Depth=1
	s_or_b64 exec, exec, s[14:15]
	s_and_saveexec_b64 s[14:15], s[0:1]
	s_cbranch_execnz .LBB231_58
.LBB231_29:                             ;   in Loop: Header=BB231_21 Depth=1
	s_or_b64 exec, exec, s[14:15]
	s_and_saveexec_b64 s[14:15], s[0:1]
	s_cbranch_execz .LBB231_31
.LBB231_30:                             ;   in Loop: Header=BB231_21 Depth=1
	ds_write_b32 v37, v39
.LBB231_31:                             ;   in Loop: Header=BB231_21 Depth=1
	s_or_b64 exec, exec, s[14:15]
	ds_bpermute_b32 v23, v31, v40
	s_waitcnt lgkmcnt(0)
	s_barrier
	v_add_f32_e32 v23, v40, v23
	ds_bpermute_b32 v40, v32, v23
	s_waitcnt lgkmcnt(0)
	v_add_f32_e32 v23, v23, v40
	ds_bpermute_b32 v40, v33, v23
	s_waitcnt lgkmcnt(0)
	;; [unrolled: 3-line block ×4, first 2 shown]
	v_add_f32_e32 v23, v23, v40
	ds_bpermute_b32 v40, v36, v23
	s_and_saveexec_b64 s[14:15], s[12:13]
	s_cbranch_execz .LBB231_33
; %bb.32:                               ;   in Loop: Header=BB231_21 Depth=1
	s_waitcnt lgkmcnt(0)
	v_add_f32_e32 v23, v23, v40
	ds_write_b32 v38, v23
.LBB231_33:                             ;   in Loop: Header=BB231_21 Depth=1
	s_or_b64 exec, exec, s[14:15]
	v_mov_b32_e32 v23, 0
	s_waitcnt lgkmcnt(0)
	s_barrier
	s_and_saveexec_b64 s[14:15], s[4:5]
	s_cbranch_execnz .LBB231_59
; %bb.34:                               ;   in Loop: Header=BB231_21 Depth=1
	s_or_b64 exec, exec, s[14:15]
	s_and_saveexec_b64 s[14:15], s[0:1]
	s_cbranch_execnz .LBB231_60
.LBB231_35:                             ;   in Loop: Header=BB231_21 Depth=1
	s_or_b64 exec, exec, s[14:15]
	s_and_saveexec_b64 s[14:15], s[0:1]
	s_cbranch_execz .LBB231_37
.LBB231_36:                             ;   in Loop: Header=BB231_21 Depth=1
	ds_write_b32 v37, v39
.LBB231_37:                             ;   in Loop: Header=BB231_21 Depth=1
	s_or_b64 exec, exec, s[14:15]
	ds_bpermute_b32 v40, v31, v20
	s_waitcnt lgkmcnt(0)
	s_barrier
	v_add_f32_e32 v20, v20, v40
	ds_bpermute_b32 v40, v32, v20
	s_waitcnt lgkmcnt(0)
	v_add_f32_e32 v20, v20, v40
	ds_bpermute_b32 v40, v33, v20
	s_waitcnt lgkmcnt(0)
	;; [unrolled: 3-line block ×4, first 2 shown]
	v_add_f32_e32 v20, v20, v40
	ds_bpermute_b32 v40, v36, v20
	s_and_saveexec_b64 s[14:15], s[12:13]
	s_cbranch_execz .LBB231_39
; %bb.38:                               ;   in Loop: Header=BB231_21 Depth=1
	s_waitcnt lgkmcnt(0)
	v_add_f32_e32 v20, v20, v40
	ds_write_b32 v38, v20
.LBB231_39:                             ;   in Loop: Header=BB231_21 Depth=1
	s_or_b64 exec, exec, s[14:15]
	v_mov_b32_e32 v20, 0
	s_waitcnt lgkmcnt(0)
	s_barrier
	s_and_saveexec_b64 s[14:15], s[4:5]
	s_cbranch_execnz .LBB231_61
; %bb.40:                               ;   in Loop: Header=BB231_21 Depth=1
	s_or_b64 exec, exec, s[14:15]
	s_and_saveexec_b64 s[14:15], s[0:1]
	s_cbranch_execnz .LBB231_62
.LBB231_41:                             ;   in Loop: Header=BB231_21 Depth=1
	s_or_b64 exec, exec, s[14:15]
	s_and_saveexec_b64 s[14:15], s[0:1]
	s_cbranch_execz .LBB231_43
.LBB231_42:                             ;   in Loop: Header=BB231_21 Depth=1
	ds_write_b32 v37, v39
.LBB231_43:                             ;   in Loop: Header=BB231_21 Depth=1
	s_or_b64 exec, exec, s[14:15]
	ds_bpermute_b32 v40, v31, v21
	s_waitcnt lgkmcnt(0)
	s_barrier
	v_add_f32_e32 v21, v21, v40
	ds_bpermute_b32 v40, v32, v21
	s_waitcnt lgkmcnt(0)
	v_add_f32_e32 v21, v21, v40
	ds_bpermute_b32 v40, v33, v21
	s_waitcnt lgkmcnt(0)
	;; [unrolled: 3-line block ×4, first 2 shown]
	v_add_f32_e32 v21, v21, v40
	ds_bpermute_b32 v40, v36, v21
	s_and_saveexec_b64 s[14:15], s[12:13]
	s_cbranch_execz .LBB231_45
; %bb.44:                               ;   in Loop: Header=BB231_21 Depth=1
	s_waitcnt lgkmcnt(0)
	v_add_f32_e32 v21, v21, v40
	ds_write_b32 v38, v21
.LBB231_45:                             ;   in Loop: Header=BB231_21 Depth=1
	s_or_b64 exec, exec, s[14:15]
	v_mov_b32_e32 v21, 0
	s_waitcnt lgkmcnt(0)
	s_barrier
	s_and_saveexec_b64 s[14:15], s[4:5]
	s_cbranch_execnz .LBB231_63
; %bb.46:                               ;   in Loop: Header=BB231_21 Depth=1
	s_or_b64 exec, exec, s[14:15]
	s_and_saveexec_b64 s[14:15], s[0:1]
	s_cbranch_execnz .LBB231_64
.LBB231_47:                             ;   in Loop: Header=BB231_21 Depth=1
	s_or_b64 exec, exec, s[14:15]
	s_and_saveexec_b64 s[14:15], s[6:7]
	s_cbranch_execz .LBB231_20
	s_branch .LBB231_65
.LBB231_48:                             ;   in Loop: Header=BB231_21 Depth=1
	s_mul_i32 s16, s3, s29
	s_mul_hi_u32 s17, s3, s28
	s_add_i32 s17, s17, s16
	s_mul_i32 s16, s3, s28
	v_lshl_add_u64 v[40:41], s[16:17], 2, v[6:7]
	s_or_b32 s16, s3, 1
	s_mul_i32 s17, s16, s29
	s_mul_hi_u32 s18, s16, s28
	s_add_i32 s17, s18, s17
	s_mul_i32 s16, s16, s28
	v_lshl_add_u64 v[44:45], s[16:17], 2, v[6:7]
	s_or_b32 s16, s3, 2
	s_mul_i32 s17, s16, s29
	s_mul_hi_u32 s18, s16, s28
	s_add_i32 s17, s18, s17
	s_mul_i32 s16, s16, s28
	s_waitcnt lgkmcnt(0)
	v_lshl_add_u64 v[20:21], s[16:17], 2, v[6:7]
	s_or_b32 s16, s3, 3
	s_mul_i32 s17, s16, s29
	s_mul_hi_u32 s18, s16, s28
	s_add_i32 s17, s18, s17
	s_mul_i32 s16, s16, s28
	v_lshl_add_u64 v[48:49], s[16:17], 2, v[6:7]
	flat_load_dword v3, v[12:13]
	flat_load_dword v4, v[14:15]
	flat_load_dword v2, v[10:11]
	flat_load_dword v5, v[16:17]
	s_nop 0
	flat_load_dwordx4 v[20:23], v[20:21]
	s_nop 0
	flat_load_dwordx4 v[40:43], v[40:41]
	s_waitcnt vmcnt(0) lgkmcnt(0)
	v_mul_f32_e32 v20, v2, v20
	flat_load_dwordx4 v[44:47], v[44:45]
	v_pk_mul_f32 v[40:41], v[2:3], v[40:41]
	flat_load_dwordx4 v[48:51], v[48:49]
	v_add_f32_e32 v40, 0, v40
	v_mul_f32_e32 v52, v3, v21
	v_pk_mul_f32 v[42:43], v[4:5], v[42:43]
	v_add_f32_e32 v40, v40, v41
	v_mul_f32_e32 v22, v4, v22
	v_mul_f32_e32 v54, v5, v23
	v_add_f32_e32 v40, v40, v42
	s_waitcnt vmcnt(0) lgkmcnt(0)
	v_pk_mul_f32 v[44:45], v[2:3], v[44:45]
	s_nop 0
	v_add_f32_e32 v41, 0, v44
	v_pk_mul_f32 v[48:49], v[2:3], v[48:49]
	v_pk_mul_f32 v[50:51], v[4:5], v[50:51]
	v_mov_b32_e32 v21, v48
	v_mov_b32_e32 v53, v49
	v_pk_add_f32 v[20:21], v[20:21], 0 op_sel_hi:[1,0]
	v_pk_mul_f32 v[46:47], v[4:5], v[46:47]
	v_mov_b32_e32 v23, v50
	v_add_f32_e32 v44, v41, v45
	v_pk_add_f32 v[20:21], v[20:21], v[52:53]
	v_add_f32_e32 v41, v40, v43
	v_add_f32_e32 v40, v44, v46
	v_pk_add_f32 v[20:21], v[20:21], v[22:23]
	v_mov_b32_e32 v55, v51
	v_add_f32_e32 v40, v40, v47
	v_pk_add_f32 v[20:21], v[20:21], v[54:55]
	s_andn2_saveexec_b64 s[50:51], s[14:15]
	s_cbranch_execz .LBB231_23
.LBB231_49:                             ;   in Loop: Header=BB231_21 Depth=1
	s_waitcnt lgkmcnt(0)
	v_mov_b32_e32 v21, 0
	v_mov_b32_e32 v20, 0
	;; [unrolled: 1-line block ×4, first 2 shown]
	s_and_saveexec_b64 s[52:53], s[10:11]
	s_cbranch_execz .LBB231_56
; %bb.50:                               ;   in Loop: Header=BB231_21 Depth=1
	v_cndmask_b32_e64 v20, 0, 1, s[38:39]
	v_cmp_ne_u32_e64 s[14:15], 1, v20
	s_andn2_b64 vcc, exec, s[38:39]
	s_cbranch_vccnz .LBB231_53
; %bb.51:                               ;   in Loop: Header=BB231_21 Depth=1
	s_mov_b64 s[54:55], 0
	v_mov_b64_e32 v[20:21], v[10:11]
.LBB231_52:                             ;   Parent Loop BB231_21 Depth=1
                                        ; =>  This Inner Loop Header: Depth=2
	flat_load_dword v22, v[20:21]
	s_cmp_eq_u32 s54, 3
	s_cselect_b64 vcc, -1, 0
	s_cmp_eq_u32 s54, 2
	s_cselect_b64 s[16:17], -1, 0
	s_cmp_eq_u32 s54, 1
	s_cselect_b64 s[18:19], -1, 0
	;; [unrolled: 2-line block ×3, first 2 shown]
	s_add_u32 s54, s54, 1
	s_addc_u32 s55, s55, 0
	v_lshl_add_u64 v[20:21], v[20:21], 0, s[40:41]
	s_cmp_eq_u32 s23, s54
	s_waitcnt vmcnt(0) lgkmcnt(0)
	v_cndmask_b32_e32 v5, v5, v22, vcc
	v_cndmask_b32_e64 v4, v4, v22, s[16:17]
	v_cndmask_b32_e64 v3, v3, v22, s[18:19]
	;; [unrolled: 1-line block ×3, first 2 shown]
	s_cbranch_scc0 .LBB231_52
.LBB231_53:                             ;   in Loop: Header=BB231_21 Depth=1
	s_and_b64 vcc, exec, s[14:15]
	v_mov_b32_e32 v21, 0
	v_mov_b32_e32 v20, 0
	;; [unrolled: 1-line block ×4, first 2 shown]
	s_cbranch_vccnz .LBB231_56
; %bb.54:                               ;   in Loop: Header=BB231_21 Depth=1
	v_mov_b32_e32 v41, 0
	s_mov_b64 s[14:15], 0
	v_mov_b64_e32 v[22:23], v[18:19]
	v_mov_b32_e32 v40, 0
	v_mov_b32_e32 v20, 0
	;; [unrolled: 1-line block ×3, first 2 shown]
.LBB231_55:                             ;   Parent Loop BB231_21 Depth=1
                                        ; =>  This Inner Loop Header: Depth=2
	v_lshl_add_u64 v[42:43], v[22:23], 0, s[48:49]
	v_lshl_add_u64 v[44:45], v[22:23], 0, s[46:47]
	flat_load_dword v48, v[22:23]
	v_lshl_add_u64 v[46:47], v[22:23], 0, s[42:43]
	flat_load_dword v42, v[42:43]
	s_nop 0
	flat_load_dword v43, v[44:45]
	s_nop 0
	flat_load_dword v44, v[46:47]
	s_cmp_eq_u32 s14, 1
	s_cselect_b64 vcc, -1, 0
	s_cmp_eq_u32 s14, 2
	v_cndmask_b32_e32 v45, v2, v3, vcc
	s_cselect_b64 vcc, -1, 0
	s_cmp_eq_u32 s14, 3
	v_cndmask_b32_e32 v45, v45, v4, vcc
	s_cselect_b64 vcc, -1, 0
	s_add_u32 s14, s14, 1
	v_cndmask_b32_e32 v45, v45, v5, vcc
	s_addc_u32 s15, s15, 0
	v_lshl_add_u64 v[22:23], v[22:23], 0, 4
	s_cmp_lg_u32 s23, s14
	s_waitcnt vmcnt(0) lgkmcnt(0)
	v_fmac_f32_e32 v40, v45, v42
	v_fmac_f32_e32 v41, v45, v48
	;; [unrolled: 1-line block ×4, first 2 shown]
	s_cbranch_scc1 .LBB231_55
.LBB231_56:                             ;   in Loop: Header=BB231_21 Depth=1
	s_or_b64 exec, exec, s[52:53]
	s_or_b64 exec, exec, s[50:51]
	s_and_saveexec_b64 s[14:15], s[0:1]
	s_cbranch_execnz .LBB231_24
	s_branch .LBB231_25
.LBB231_57:                             ;   in Loop: Header=BB231_21 Depth=1
	ds_read_b32 v22, v37
	s_or_b64 exec, exec, s[14:15]
	s_and_saveexec_b64 s[14:15], s[0:1]
	s_cbranch_execz .LBB231_29
.LBB231_58:                             ;   in Loop: Header=BB231_21 Depth=1
	s_waitcnt lgkmcnt(0)
	ds_bpermute_b32 v23, v35, v22
	s_waitcnt lgkmcnt(0)
	v_add_f32_e32 v22, v22, v23
	ds_bpermute_b32 v23, v36, v22
	s_waitcnt lgkmcnt(0)
	v_add_f32_e32 v22, v22, v23
	s_or_b64 exec, exec, s[14:15]
	s_and_saveexec_b64 s[14:15], s[0:1]
	s_cbranch_execnz .LBB231_30
	s_branch .LBB231_31
.LBB231_59:                             ;   in Loop: Header=BB231_21 Depth=1
	ds_read_b32 v23, v37
	s_or_b64 exec, exec, s[14:15]
	s_and_saveexec_b64 s[14:15], s[0:1]
	s_cbranch_execz .LBB231_35
.LBB231_60:                             ;   in Loop: Header=BB231_21 Depth=1
	s_waitcnt lgkmcnt(0)
	ds_bpermute_b32 v40, v35, v23
	s_waitcnt lgkmcnt(0)
	v_add_f32_e32 v23, v23, v40
	ds_bpermute_b32 v40, v36, v23
	s_waitcnt lgkmcnt(0)
	v_add_f32_e32 v23, v23, v40
	s_or_b64 exec, exec, s[14:15]
	s_and_saveexec_b64 s[14:15], s[0:1]
	s_cbranch_execnz .LBB231_36
	s_branch .LBB231_37
.LBB231_61:                             ;   in Loop: Header=BB231_21 Depth=1
	ds_read_b32 v20, v37
	s_or_b64 exec, exec, s[14:15]
	s_and_saveexec_b64 s[14:15], s[0:1]
	s_cbranch_execz .LBB231_41
.LBB231_62:                             ;   in Loop: Header=BB231_21 Depth=1
	s_waitcnt lgkmcnt(0)
	ds_bpermute_b32 v40, v35, v20
	s_waitcnt lgkmcnt(0)
	v_add_f32_e32 v20, v20, v40
	ds_bpermute_b32 v40, v36, v20
	s_waitcnt lgkmcnt(0)
	v_add_f32_e32 v20, v20, v40
	s_or_b64 exec, exec, s[14:15]
	s_and_saveexec_b64 s[14:15], s[0:1]
	s_cbranch_execnz .LBB231_42
	s_branch .LBB231_43
.LBB231_63:                             ;   in Loop: Header=BB231_21 Depth=1
	ds_read_b32 v21, v37
	s_or_b64 exec, exec, s[14:15]
	s_and_saveexec_b64 s[14:15], s[0:1]
	s_cbranch_execz .LBB231_47
.LBB231_64:                             ;   in Loop: Header=BB231_21 Depth=1
	s_waitcnt lgkmcnt(0)
	ds_bpermute_b32 v40, v35, v21
	s_waitcnt lgkmcnt(0)
	v_add_f32_e32 v21, v21, v40
	ds_bpermute_b32 v40, v36, v21
	s_waitcnt lgkmcnt(0)
	v_add_f32_e32 v21, v21, v40
	s_or_b64 exec, exec, s[14:15]
	s_and_saveexec_b64 s[14:15], s[6:7]
	s_cbranch_execz .LBB231_20
.LBB231_65:                             ;   in Loop: Header=BB231_21 Depth=1
	s_mul_hi_u32 s17, s3, s22
	s_mul_i32 s16, s3, s22
	s_lshl_b64 s[16:17], s[16:17], 2
	s_add_u32 s16, s57, s16
	v_mul_f32_e32 v22, s26, v22
	s_addc_u32 s17, s58, s17
	global_store_dword v39, v22, s[16:17]
	s_or_b32 s16, s3, 1
	s_mul_hi_u32 s17, s16, s22
	s_mul_i32 s16, s16, s22
	s_lshl_b64 s[16:17], s[16:17], 2
	s_add_u32 s16, s57, s16
	v_mul_f32_e32 v22, s26, v23
	s_addc_u32 s17, s58, s17
	global_store_dword v39, v22, s[16:17]
	s_or_b32 s16, s3, 2
	;; [unrolled: 8-line block ×3, first 2 shown]
	s_mul_hi_u32 s17, s16, s22
	s_mul_i32 s16, s16, s22
	s_lshl_b64 s[16:17], s[16:17], 2
	s_add_u32 s16, s57, s16
	s_waitcnt lgkmcnt(0)
	v_mul_f32_e32 v20, s26, v21
	s_addc_u32 s17, s58, s17
	global_store_dword v39, v20, s[16:17]
	s_branch .LBB231_20
.LBB231_66:
	s_mov_b32 s3, 0
                                        ; implicit-def: $vgpr2_vgpr3_vgpr4_vgpr5
.LBB231_67:
	s_cmp_ge_i32 s3, s25
	s_cbranch_scc1 .LBB231_91
; %bb.68:
	v_mbcnt_hi_u32_b32 v10, -1, v28
	v_and_b32_e32 v11, 63, v10
	v_cmp_gt_u32_e32 vcc, 32, v11
	s_mov_b32 s39, 0
	s_cmp_gt_i32 s23, 0
	v_cndmask_b32_e64 v12, 0, 1, vcc
	v_lshlrev_b32_e32 v12, 5, v12
	v_cmp_gt_u32_e32 vcc, 48, v11
	s_waitcnt lgkmcnt(0)
	v_add_lshl_u32 v21, v12, v10, 2
	s_mov_b32 s38, s2
	v_cndmask_b32_e64 v12, 0, 1, vcc
	v_lshlrev_b32_e32 v12, 4, v12
	v_cmp_gt_u32_e32 vcc, 56, v11
	v_add_lshl_u32 v22, v12, v10, 2
	s_cselect_b64 s[40:41], -1, 0
	v_cndmask_b32_e64 v12, 0, 1, vcc
	v_lshlrev_b32_e32 v12, 3, v12
	v_cmp_gt_u32_e32 vcc, 60, v11
	v_add_lshl_u32 v23, v12, v10, 2
	s_lshl_b64 s[14:15], s[38:39], 2
	v_cndmask_b32_e64 v12, 0, 1, vcc
	v_lshlrev_b32_e32 v12, 2, v12
	v_cmp_gt_u32_e32 vcc, 62, v11
	v_add_lshl_u32 v28, v12, v10, 2
	v_cmp_ge_i32_e64 s[0:1], s24, v29
	v_cndmask_b32_e64 v12, 0, 1, vcc
	v_lshlrev_b32_e32 v12, 1, v12
	v_cmp_ne_u32_e32 vcc, 63, v11
	v_add_lshl_u32 v29, v12, v10, 2
	s_add_u32 s2, s27, s14
	v_addc_co_u32_e32 v10, vcc, 0, v10, vcc
	v_cmp_ge_i32_e64 s[4:5], s24, v30
	v_cmp_gt_u32_e64 s[6:7], 64, v0
	v_lshlrev_b32_e32 v30, 2, v10
	v_cmp_gt_u32_e64 s[10:11], 4, v0
	v_cmp_eq_u32_e64 s[12:13], 0, v0
	s_addc_u32 s24, s33, s15
	v_mad_i64_i32 v[10:11], s[14:15], s36, v8, 0
	v_mad_i64_i32 v[12:13], s[14:15], s36, v25, 0
	;; [unrolled: 1-line block ×4, first 2 shown]
	s_mul_i32 s14, s29, s3
	s_mul_hi_u32 s15, s28, s3
	s_add_i32 s15, s15, s14
	s_mul_i32 s14, s28, s3
	v_lshl_add_u64 v[10:11], v[10:11], 2, s[34:35]
	v_lshl_add_u64 v[12:13], v[12:13], 2, s[34:35]
	;; [unrolled: 1-line block ×4, first 2 shown]
	s_lshl_b64 s[34:35], s[36:37], 2
	s_lshl_b64 s[14:15], s[14:15], 2
	s_add_u32 s14, s30, s14
	s_addc_u32 s15, s31, s15
	v_lshlrev_b32_e32 v20, 2, v26
	v_cmp_eq_u32_e64 s[8:9], 0, v26
	v_and_b32_e32 v26, 12, v27
	v_lshl_add_u64 v[8:9], v[8:9], 2, s[14:15]
	s_lshl_b64 s[30:31], s[28:29], 2
	v_mov_b32_e32 v1, 0
	s_branch .LBB231_70
.LBB231_69:                             ;   in Loop: Header=BB231_70 Depth=1
	s_or_b64 exec, exec, s[14:15]
	s_add_i32 s3, s3, 1
	s_cmp_ge_i32 s3, s25
	v_lshl_add_u64 v[8:9], v[8:9], 0, s[30:31]
	s_cbranch_scc1 .LBB231_91
.LBB231_70:                             ; =>This Loop Header: Depth=1
                                        ;     Child Loop BB231_83 Depth 2
                                        ;     Child Loop BB231_86 Depth 2
	s_waitcnt lgkmcnt(0)
	v_mov_b32_e32 v0, s39
	s_and_saveexec_b64 s[14:15], s[0:1]
	s_xor_b64 s[14:15], exec, s[14:15]
	s_cbranch_execnz .LBB231_79
; %bb.71:                               ;   in Loop: Header=BB231_70 Depth=1
	s_andn2_saveexec_b64 s[36:37], s[14:15]
	s_cbranch_execnz .LBB231_80
.LBB231_72:                             ;   in Loop: Header=BB231_70 Depth=1
	s_or_b64 exec, exec, s[36:37]
	s_and_saveexec_b64 s[14:15], s[6:7]
	s_cbranch_execz .LBB231_74
.LBB231_73:                             ;   in Loop: Header=BB231_70 Depth=1
	ds_write_b32 v20, v1
.LBB231_74:                             ;   in Loop: Header=BB231_70 Depth=1
	s_or_b64 exec, exec, s[14:15]
	ds_bpermute_b32 v18, v21, v0
	s_waitcnt lgkmcnt(0)
	s_barrier
	v_add_f32_e32 v0, v0, v18
	ds_bpermute_b32 v18, v22, v0
	s_waitcnt lgkmcnt(0)
	v_add_f32_e32 v0, v0, v18
	ds_bpermute_b32 v18, v23, v0
	s_waitcnt lgkmcnt(0)
	;; [unrolled: 3-line block ×4, first 2 shown]
	v_add_f32_e32 v0, v0, v18
	ds_bpermute_b32 v18, v30, v0
	s_and_saveexec_b64 s[14:15], s[8:9]
	s_cbranch_execz .LBB231_76
; %bb.75:                               ;   in Loop: Header=BB231_70 Depth=1
	s_waitcnt lgkmcnt(0)
	v_add_f32_e32 v0, v0, v18
	ds_write_b32 v26, v0
.LBB231_76:                             ;   in Loop: Header=BB231_70 Depth=1
	s_or_b64 exec, exec, s[14:15]
	v_mov_b32_e32 v0, 0
	s_waitcnt lgkmcnt(0)
	s_barrier
	s_and_saveexec_b64 s[14:15], s[10:11]
	s_cbranch_execnz .LBB231_88
; %bb.77:                               ;   in Loop: Header=BB231_70 Depth=1
	s_or_b64 exec, exec, s[14:15]
	s_and_saveexec_b64 s[14:15], s[6:7]
	s_cbranch_execnz .LBB231_89
.LBB231_78:                             ;   in Loop: Header=BB231_70 Depth=1
	s_or_b64 exec, exec, s[14:15]
	s_and_saveexec_b64 s[14:15], s[12:13]
	s_cbranch_execz .LBB231_69
	s_branch .LBB231_90
.LBB231_79:                             ;   in Loop: Header=BB231_70 Depth=1
	flat_load_dword v2, v[10:11]
	s_mul_i32 s16, s3, s29
	s_mul_hi_u32 s17, s3, s28
	s_add_i32 s17, s17, s16
	s_mul_i32 s16, s3, s28
	v_lshl_add_u64 v[18:19], s[16:17], 2, v[6:7]
	flat_load_dwordx4 v[32:35], v[18:19]
	flat_load_dword v3, v[12:13]
	flat_load_dword v4, v[14:15]
	;; [unrolled: 1-line block ×3, first 2 shown]
	s_waitcnt vmcnt(0) lgkmcnt(0)
	v_fma_f32 v0, v2, v32, 0
	v_fmac_f32_e32 v0, v3, v33
	v_fmac_f32_e32 v0, v4, v34
	;; [unrolled: 1-line block ×3, first 2 shown]
	s_andn2_saveexec_b64 s[36:37], s[14:15]
	s_cbranch_execz .LBB231_72
.LBB231_80:                             ;   in Loop: Header=BB231_70 Depth=1
	s_and_saveexec_b64 s[42:43], s[4:5]
	s_cbranch_execz .LBB231_87
; %bb.81:                               ;   in Loop: Header=BB231_70 Depth=1
	v_cndmask_b32_e64 v18, 0, 1, s[40:41]
	v_cmp_ne_u32_e64 s[14:15], 1, v18
	s_andn2_b64 vcc, exec, s[40:41]
	s_cbranch_vccnz .LBB231_84
; %bb.82:                               ;   in Loop: Header=BB231_70 Depth=1
	s_mov_b64 s[44:45], 0
	v_mov_b64_e32 v[18:19], v[10:11]
.LBB231_83:                             ;   Parent Loop BB231_70 Depth=1
                                        ; =>  This Inner Loop Header: Depth=2
	flat_load_dword v24, v[18:19]
	s_cmp_eq_u32 s44, 3
	s_cselect_b64 vcc, -1, 0
	s_cmp_eq_u32 s44, 2
	s_cselect_b64 s[16:17], -1, 0
	s_cmp_eq_u32 s44, 1
	s_cselect_b64 s[18:19], -1, 0
	;; [unrolled: 2-line block ×3, first 2 shown]
	s_add_u32 s44, s44, 1
	s_addc_u32 s45, s45, 0
	v_lshl_add_u64 v[18:19], v[18:19], 0, s[34:35]
	s_cmp_eq_u32 s23, s44
	s_waitcnt vmcnt(0) lgkmcnt(0)
	v_cndmask_b32_e32 v5, v5, v24, vcc
	v_cndmask_b32_e64 v4, v4, v24, s[16:17]
	v_cndmask_b32_e64 v3, v3, v24, s[18:19]
	;; [unrolled: 1-line block ×3, first 2 shown]
	s_cbranch_scc0 .LBB231_83
.LBB231_84:                             ;   in Loop: Header=BB231_70 Depth=1
	s_and_b64 vcc, exec, s[14:15]
	s_cbranch_vccnz .LBB231_87
; %bb.85:                               ;   in Loop: Header=BB231_70 Depth=1
	s_mov_b64 s[14:15], 0
	v_mov_b64_e32 v[18:19], v[8:9]
.LBB231_86:                             ;   Parent Loop BB231_70 Depth=1
                                        ; =>  This Inner Loop Header: Depth=2
	flat_load_dword v24, v[18:19]
	s_cmp_eq_u32 s14, 1
	s_cselect_b64 vcc, -1, 0
	s_cmp_eq_u32 s14, 2
	v_cndmask_b32_e32 v25, v2, v3, vcc
	s_cselect_b64 vcc, -1, 0
	s_cmp_eq_u32 s14, 3
	v_cndmask_b32_e32 v25, v25, v4, vcc
	s_cselect_b64 vcc, -1, 0
	s_add_u32 s14, s14, 1
	v_cndmask_b32_e32 v25, v25, v5, vcc
	s_addc_u32 s15, s15, 0
	v_lshl_add_u64 v[18:19], v[18:19], 0, 4
	s_cmp_lg_u32 s23, s14
	s_waitcnt vmcnt(0) lgkmcnt(0)
	v_fmac_f32_e32 v0, v25, v24
	s_cbranch_scc1 .LBB231_86
.LBB231_87:                             ;   in Loop: Header=BB231_70 Depth=1
	s_or_b64 exec, exec, s[42:43]
	s_or_b64 exec, exec, s[36:37]
	s_and_saveexec_b64 s[14:15], s[6:7]
	s_cbranch_execnz .LBB231_73
	s_branch .LBB231_74
.LBB231_88:                             ;   in Loop: Header=BB231_70 Depth=1
	ds_read_b32 v0, v20
	s_or_b64 exec, exec, s[14:15]
	s_and_saveexec_b64 s[14:15], s[6:7]
	s_cbranch_execz .LBB231_78
.LBB231_89:                             ;   in Loop: Header=BB231_70 Depth=1
	s_waitcnt lgkmcnt(0)
	ds_bpermute_b32 v18, v29, v0
	s_waitcnt lgkmcnt(0)
	v_add_f32_e32 v0, v0, v18
	ds_bpermute_b32 v18, v30, v0
	s_waitcnt lgkmcnt(0)
	v_add_f32_e32 v0, v0, v18
	s_or_b64 exec, exec, s[14:15]
	s_and_saveexec_b64 s[14:15], s[12:13]
	s_cbranch_execz .LBB231_69
.LBB231_90:                             ;   in Loop: Header=BB231_70 Depth=1
	s_mul_hi_u32 s17, s3, s22
	s_mul_i32 s16, s3, s22
	s_lshl_b64 s[16:17], s[16:17], 2
	s_add_u32 s16, s2, s16
	s_waitcnt lgkmcnt(0)
	v_mul_f32_e32 v0, s26, v0
	s_addc_u32 s17, s24, s17
	global_store_dword v1, v0, s[16:17]
	s_branch .LBB231_69
.LBB231_91:
	s_endpgm
	.section	.rodata,"a",@progbits
	.p2align	6, 0x0
	.amdhsa_kernel _ZL23rocblas_gemvt_sn_kernelILb1ELi256ELi4ElPKfffEviiT4_lPKT3_lilS5_lilPT5_i
		.amdhsa_group_segment_fixed_size 256
		.amdhsa_private_segment_fixed_size 0
		.amdhsa_kernarg_size 360
		.amdhsa_user_sgpr_count 2
		.amdhsa_user_sgpr_dispatch_ptr 0
		.amdhsa_user_sgpr_queue_ptr 0
		.amdhsa_user_sgpr_kernarg_segment_ptr 1
		.amdhsa_user_sgpr_dispatch_id 0
		.amdhsa_user_sgpr_kernarg_preload_length 0
		.amdhsa_user_sgpr_kernarg_preload_offset 0
		.amdhsa_user_sgpr_private_segment_size 0
		.amdhsa_uses_dynamic_stack 0
		.amdhsa_enable_private_segment 0
		.amdhsa_system_sgpr_workgroup_id_x 1
		.amdhsa_system_sgpr_workgroup_id_y 0
		.amdhsa_system_sgpr_workgroup_id_z 1
		.amdhsa_system_sgpr_workgroup_info 0
		.amdhsa_system_vgpr_workitem_id 0
		.amdhsa_next_free_vgpr 56
		.amdhsa_next_free_sgpr 59
		.amdhsa_accum_offset 56
		.amdhsa_reserve_vcc 1
		.amdhsa_float_round_mode_32 0
		.amdhsa_float_round_mode_16_64 0
		.amdhsa_float_denorm_mode_32 3
		.amdhsa_float_denorm_mode_16_64 3
		.amdhsa_dx10_clamp 1
		.amdhsa_ieee_mode 1
		.amdhsa_fp16_overflow 0
		.amdhsa_tg_split 0
		.amdhsa_exception_fp_ieee_invalid_op 0
		.amdhsa_exception_fp_denorm_src 0
		.amdhsa_exception_fp_ieee_div_zero 0
		.amdhsa_exception_fp_ieee_overflow 0
		.amdhsa_exception_fp_ieee_underflow 0
		.amdhsa_exception_fp_ieee_inexact 0
		.amdhsa_exception_int_div_zero 0
	.end_amdhsa_kernel
	.section	.text._ZL23rocblas_gemvt_sn_kernelILb1ELi256ELi4ElPKfffEviiT4_lPKT3_lilS5_lilPT5_i,"axG",@progbits,_ZL23rocblas_gemvt_sn_kernelILb1ELi256ELi4ElPKfffEviiT4_lPKT3_lilS5_lilPT5_i,comdat
.Lfunc_end231:
	.size	_ZL23rocblas_gemvt_sn_kernelILb1ELi256ELi4ElPKfffEviiT4_lPKT3_lilS5_lilPT5_i, .Lfunc_end231-_ZL23rocblas_gemvt_sn_kernelILb1ELi256ELi4ElPKfffEviiT4_lPKT3_lilS5_lilPT5_i
                                        ; -- End function
	.section	.AMDGPU.csdata,"",@progbits
; Kernel info:
; codeLenInByte = 3936
; NumSgprs: 65
; NumVgprs: 56
; NumAgprs: 0
; TotalNumVgprs: 56
; ScratchSize: 0
; MemoryBound: 0
; FloatMode: 240
; IeeeMode: 1
; LDSByteSize: 256 bytes/workgroup (compile time only)
; SGPRBlocks: 8
; VGPRBlocks: 6
; NumSGPRsForWavesPerEU: 65
; NumVGPRsForWavesPerEU: 56
; AccumOffset: 56
; Occupancy: 8
; WaveLimiterHint : 0
; COMPUTE_PGM_RSRC2:SCRATCH_EN: 0
; COMPUTE_PGM_RSRC2:USER_SGPR: 2
; COMPUTE_PGM_RSRC2:TRAP_HANDLER: 0
; COMPUTE_PGM_RSRC2:TGID_X_EN: 1
; COMPUTE_PGM_RSRC2:TGID_Y_EN: 0
; COMPUTE_PGM_RSRC2:TGID_Z_EN: 1
; COMPUTE_PGM_RSRC2:TIDIG_COMP_CNT: 0
; COMPUTE_PGM_RSRC3_GFX90A:ACCUM_OFFSET: 13
; COMPUTE_PGM_RSRC3_GFX90A:TG_SPLIT: 0
	.section	.text._ZL36rocblas_gemvt_double_buffered_kernelILb1ELi128ELi8ELi8EPKfS1_KPfEviiT4_lPKT3_lilS7_lilPT5_lili,"axG",@progbits,_ZL36rocblas_gemvt_double_buffered_kernelILb1ELi128ELi8ELi8EPKfS1_KPfEviiT4_lPKT3_lilS7_lilPT5_lili,comdat
	.globl	_ZL36rocblas_gemvt_double_buffered_kernelILb1ELi128ELi8ELi8EPKfS1_KPfEviiT4_lPKT3_lilS7_lilPT5_lili ; -- Begin function _ZL36rocblas_gemvt_double_buffered_kernelILb1ELi128ELi8ELi8EPKfS1_KPfEviiT4_lPKT3_lilS7_lilPT5_lili
	.p2align	8
	.type	_ZL36rocblas_gemvt_double_buffered_kernelILb1ELi128ELi8ELi8EPKfS1_KPfEviiT4_lPKT3_lilS7_lilPT5_lili,@function
_ZL36rocblas_gemvt_double_buffered_kernelILb1ELi128ELi8ELi8EPKfS1_KPfEviiT4_lPKT3_lilS7_lilPT5_lili: ; @_ZL36rocblas_gemvt_double_buffered_kernelILb1ELi128ELi8ELi8EPKfS1_KPfEviiT4_lPKT3_lilS7_lilPT5_lili
; %bb.0:
	s_load_dwordx8 s[8:15], s[0:1], 0x8
	s_waitcnt lgkmcnt(0)
	s_mul_i32 s5, s4, s11
	s_mul_hi_u32 s6, s4, s10
	s_add_i32 s7, s6, s5
	s_mul_i32 s6, s4, s10
	s_lshl_b64 s[6:7], s[6:7], 2
	s_add_u32 s6, s8, s6
	s_addc_u32 s7, s9, s7
	s_load_dword s22, s[6:7], 0x0
	s_waitcnt lgkmcnt(0)
	v_cmp_eq_f32_e64 s[6:7], s22, 0
	s_and_b64 vcc, exec, s[6:7]
	s_cbranch_vccnz .LBB232_10
; %bb.1:
	s_load_dword s5, s[0:1], 0x84
	s_load_dword s6, s[0:1], 0x0
	s_waitcnt lgkmcnt(0)
	v_cvt_f32_u32_e32 v1, s5
	s_ashr_i32 s7, s6, 31
	s_lshr_b32 s7, s7, 25
	s_sub_i32 s8, 0, s5
	v_rcp_iflag_f32_e32 v1, v1
	s_add_i32 s6, s6, s7
	s_ashr_i32 s6, s6, 7
	v_mul_f32_e32 v1, 0x4f7ffffe, v1
	v_cvt_u32_f32_e32 v1, v1
	s_nop 0
	v_readfirstlane_b32 s7, v1
	s_mul_i32 s8, s8, s7
	s_mul_hi_u32 s8, s7, s8
	s_add_i32 s7, s7, s8
	s_mul_hi_u32 s7, s6, s7
	s_mul_i32 s8, s7, s5
	s_sub_i32 s8, s6, s8
	s_add_i32 s9, s7, 1
	s_sub_i32 s10, s8, s5
	s_cmp_ge_u32 s8, s5
	s_cselect_b32 s7, s9, s7
	s_cselect_b32 s8, s10, s8
	s_add_i32 s9, s7, 1
	s_cmp_ge_u32 s8, s5
	s_cselect_b32 s25, s9, s7
	s_mul_i32 s5, s25, s5
	s_sub_i32 s24, s6, s5
	s_cmp_lt_u32 s3, s24
	s_cselect_b64 s[6:7], -1, 0
	s_cmp_lg_u64 s[6:7], 0
	s_addc_u32 s23, s25, 0
	s_cmp_eq_u32 s23, 0
	s_cbranch_scc1 .LBB232_10
; %bb.2:
	s_load_dwordx4 s[8:11], s[0:1], 0x58
	s_mov_b32 s5, 0
	s_lshl_b64 s[16:17], s[4:5], 3
	v_and_b32_e32 v26, 0x3ff, v0
	v_bfe_u32 v27, v0, 10, 10
	s_waitcnt lgkmcnt(0)
	s_add_u32 s6, s8, s16
	s_addc_u32 s7, s9, s17
	s_load_dwordx2 s[6:7], s[6:7], 0x0
	s_lshl_b32 s8, s2, 7
	v_lshl_add_u32 v4, v27, 7, v26
	v_and_b32_e32 v0, 63, v26
	s_ashr_i32 s9, s8, 31
	v_lshrrev_b32_e32 v28, 3, v4
	v_and_b32_e32 v29, 0x7ff8, v28
	s_cmp_lt_i32 s23, 1
	v_mov_b32_e32 v36, 0
	v_lshlrev_b32_e32 v2, 2, v0
	v_mov_b32_e32 v39, 0
	v_mov_b32_e32 v41, 0
	;; [unrolled: 1-line block ×7, first 2 shown]
	s_cbranch_scc1 .LBB232_8
; %bb.3:
	s_load_dword s20, s[0:1], 0x28
	s_load_dwordx4 s[28:31], s[0:1], 0x38
	s_load_dword s18, s[0:1], 0x48
	s_mul_i32 s25, s25, s3
	v_cvt_f64_i32_e32 v[10:11], s3
	s_waitcnt lgkmcnt(0)
	s_ashr_i32 s21, s20, 31
	s_add_u32 s12, s12, s16
	s_addc_u32 s13, s13, s17
	s_load_dwordx2 s[12:13], s[12:13], 0x0
	s_add_u32 s16, s28, s16
	s_addc_u32 s17, s29, s17
	v_cvt_f64_u32_e32 v[12:13], s24
	s_load_dwordx2 s[16:17], s[16:17], 0x0
	v_cvt_f64_u32_e32 v[8:9], s25
	v_min_f64 v[10:11], v[10:11], v[12:13]
	v_add_f64 v[8:9], v[10:11], v[8:9]
	s_ashr_i32 s19, s18, 31
	s_lshl_b64 s[14:15], s[14:15], 2
	v_cvt_i32_f64_e32 v3, v[8:9]
	s_waitcnt lgkmcnt(0)
	s_add_u32 s14, s12, s14
	v_lshlrev_b32_e32 v8, 7, v3
	s_addc_u32 s15, s13, s15
	s_lshl_b64 s[12:13], s[30:31], 2
	v_ashrrev_i32_e32 v9, 31, v8
	s_add_u32 s12, s16, s12
	s_mul_hi_i32 s3, s20, s8
	s_mul_i32 s2, s20, s8
	v_lshlrev_b64 v[20:21], 2, v[8:9]
	v_mov_b32_e32 v1, 0
	s_addc_u32 s13, s17, s13
	s_lshl_b64 s[2:3], s[2:3], 2
	v_lshl_add_u64 v[18:19], s[14:15], 0, v[20:21]
	v_mad_i64_i32 v[6:7], s[26:27], s20, v29, v[0:1]
	v_lshl_add_u64 v[8:9], v[18:19], 0, s[2:3]
	v_lshl_add_u64 v[6:7], v[6:7], 2, v[8:9]
	s_lshl_b64 s[2:3], s[20:21], 2
	v_lshl_add_u64 v[8:9], v[6:7], 0, s[2:3]
	global_load_dword v30, v[6:7], off
	global_load_dword v31, v[8:9], off
	v_lshl_add_u64 v[6:7], v[8:9], 0, s[2:3]
	global_load_dword v32, v[6:7], off
	v_lshl_add_u64 v[6:7], v[6:7], 0, s[2:3]
	;; [unrolled: 2-line block ×6, first 2 shown]
	global_load_dword v38, v[6:7], off
	v_lshrrev_b32_e32 v4, 1, v4
	v_and_b32_e32 v4, 0x1ffe0, v4
	v_mov_b32_e32 v5, v1
	v_lshl_add_u64 v[22:23], s[8:9], 2, v[4:5]
	v_lshl_add_u64 v[4:5], v[22:23], 0, 4
	v_mad_u64_u32 v[6:7], s[16:17], v4, s20, v[18:19]
	v_mul_lo_u32 v4, v4, s21
	v_mul_lo_u32 v5, v5, s20
	v_add3_u32 v7, v5, v7, v4
	s_mov_b64 s[16:17], 0x200
	v_lshl_add_u64 v[4:5], v[6:7], 0, s[16:17]
	v_lshl_add_u64 v[6:7], v[22:23], 0, 8
	v_mad_u64_u32 v[8:9], s[24:25], v6, s20, v[18:19]
	v_mul_lo_u32 v6, v6, s21
	v_mul_lo_u32 v7, v7, s20
	v_add3_u32 v9, v7, v9, v6
	v_lshl_add_u64 v[6:7], v[8:9], 0, s[16:17]
	v_lshl_add_u64 v[8:9], v[22:23], 0, 12
	v_mad_u64_u32 v[10:11], s[24:25], v8, s20, v[18:19]
	v_mul_lo_u32 v8, v8, s21
	v_mul_lo_u32 v9, v9, s20
	v_add3_u32 v11, v9, v11, v8
	;; [unrolled: 6-line block ×5, first 2 shown]
	v_lshl_add_u64 v[14:15], v[16:17], 0, s[16:17]
	v_lshl_add_u64 v[16:17], v[22:23], 0, 28
	v_mad_u64_u32 v[24:25], s[24:25], v16, s20, v[18:19]
	v_mul_lo_u32 v16, v16, s21
	v_mul_lo_u32 v17, v17, s20
	v_mad_u64_u32 v[18:19], s[24:25], v22, s20, v[18:19]
	v_mul_lo_u32 v22, v22, s21
	v_mul_lo_u32 v23, v23, s20
	v_add3_u32 v25, v17, v25, v16
	v_add3_u32 v19, v23, v19, v22
	v_or_b32_e32 v22, v20, v2
	v_lshl_add_u64 v[16:17], v[24:25], 0, s[16:17]
	v_mul_lo_u32 v24, v21, s18
	v_mul_lo_u32 v23, v22, s19
	v_mad_u64_u32 v[20:21], s[20:21], v22, s18, 0
	v_or_b32_e32 v22, 0x100, v22
	s_lshl_b64 s[14:15], s[18:19], 9
	v_add3_u32 v21, v21, v23, v24
	v_mul_lo_u32 v25, v22, s19
	v_mad_u64_u32 v[22:23], s[18:19], v22, s18, 0
	s_add_i32 s4, s23, -1
	v_mov_b32_e32 v3, v1
	v_add3_u32 v23, v23, v25, v24
	s_mov_b64 s[18:19], 0x100
	v_mov_b32_e32 v44, v1
	v_mov_b32_e32 v42, v1
	;; [unrolled: 1-line block ×7, first 2 shown]
	s_waitcnt vmcnt(7)
	v_mov_b32_e32 v45, v30
	s_waitcnt vmcnt(6)
	v_mov_b32_e32 v46, v31
	;; [unrolled: 2-line block ×8, first 2 shown]
.LBB232_4:                              ; =>This Inner Loop Header: Depth=1
	v_lshl_add_u64 v[24:25], v[18:19], 0, v[2:3]
	v_lshl_add_u64 v[54:55], v[24:25], 0, s[18:19]
	;; [unrolled: 1-line block ×6, first 2 shown]
	global_load_dword v53, v[24:25], off offset:256
	global_load_dword v54, v[56:57], off
	global_load_dword v55, v[58:59], off
                                        ; kill: killed $vgpr56_vgpr57
                                        ; kill: killed $vgpr58_vgpr59
	s_nop 0
	global_load_dword v56, v[60:61], off
	global_load_dword v57, v[62:63], off
	v_lshl_add_u64 v[60:61], v[62:63], 0, s[2:3]
	global_load_dword v58, v[60:61], off
	v_lshl_add_u64 v[60:61], v[60:61], 0, s[2:3]
	;; [unrolled: 2-line block ×3, first 2 shown]
	v_lshl_add_u64 v[62:63], s[12:13], 0, v[20:21]
	global_load_dword v60, v[60:61], off
	s_cmp_lg_u32 s4, s5
	global_load_dword v61, v[62:63], off
	s_cbranch_scc0 .LBB232_6
; %bb.5:                                ;   in Loop: Header=BB232_4 Depth=1
	global_load_dword v45, v[24:25], off offset:512
	v_lshl_add_u64 v[24:25], v[4:5], 0, v[2:3]
	global_load_dword v46, v[24:25], off
	v_lshl_add_u64 v[24:25], v[6:7], 0, v[2:3]
	global_load_dword v47, v[24:25], off
	;; [unrolled: 2-line block ×7, first 2 shown]
.LBB232_6:                              ;   in Loop: Header=BB232_4 Depth=1
	v_lshl_add_u64 v[24:25], s[12:13], 0, v[22:23]
	global_load_dword v24, v[24:25], off
	s_add_i32 s5, s5, 1
	s_add_u32 s12, s12, s14
	s_waitcnt vmcnt(1)
	v_fmac_f32_e32 v1, v30, v61
	v_fmac_f32_e32 v44, v31, v61
	;; [unrolled: 1-line block ×8, first 2 shown]
	s_addc_u32 s13, s13, s15
	v_lshl_add_u64 v[4:5], v[4:5], 0, s[16:17]
	v_lshl_add_u64 v[6:7], v[6:7], 0, s[16:17]
	;; [unrolled: 1-line block ×7, first 2 shown]
	s_cmp_ge_i32 s5, s23
	v_lshl_add_u64 v[18:19], v[18:19], 0, s[16:17]
	s_waitcnt vmcnt(0)
	v_fmac_f32_e32 v1, v53, v24
	v_fmac_f32_e32 v44, v54, v24
	;; [unrolled: 1-line block ×8, first 2 shown]
	s_cbranch_scc1 .LBB232_8
; %bb.7:                                ;   in Loop: Header=BB232_4 Depth=1
	v_mov_b32_e32 v30, v45
	v_mov_b32_e32 v31, v46
	;; [unrolled: 1-line block ×8, first 2 shown]
	s_branch .LBB232_4
.LBB232_8:
	v_lshl_or_b32 v3, v29, 8, v2
	ds_write2st64_b32 v3, v1, v44 offset1:1
	ds_write2st64_b32 v3, v42, v43 offset0:2 offset1:3
	ds_write2st64_b32 v3, v40, v41 offset0:4 offset1:5
	ds_write_b32 v3, v39 offset:1536
	v_lshlrev_b32_e32 v1, 8, v28
	s_movk_i32 s2, 0x700
	v_or3_b32 v1, v1, v2, s2
	v_cmp_eq_u32_e32 vcc, 0, v27
	ds_write_b32 v1, v36
	s_waitcnt lgkmcnt(0)
	s_barrier
	s_and_saveexec_b64 s[2:3], vcc
	s_cbranch_execz .LBB232_10
; %bb.9:
	v_lshlrev_b32_e32 v1, 6, v26
	v_add_u32_e32 v3, 1, v26
	v_add_u32_e32 v4, 2, v26
	;; [unrolled: 1-line block ×7, first 2 shown]
	v_or_b32_e32 v0, v0, v1
	v_and_or_b32 v3, v3, 63, v1
	v_and_or_b32 v4, v4, 63, v1
	v_and_or_b32 v5, v5, 63, v1
	v_and_or_b32 v6, v6, 63, v1
	v_and_or_b32 v7, v7, 63, v1
	v_and_or_b32 v8, v8, 63, v1
	v_and_or_b32 v9, v9, 63, v1
	v_lshlrev_b32_e32 v2, 2, v0
	v_lshlrev_b32_e32 v3, 2, v3
	v_lshlrev_b32_e32 v4, 2, v4
	v_lshlrev_b32_e32 v5, 2, v5
	v_lshlrev_b32_e32 v6, 2, v6
	v_lshlrev_b32_e32 v7, 2, v7
	v_lshlrev_b32_e32 v8, 2, v8
	v_lshlrev_b32_e32 v9, 2, v9
	ds_read_b32 v2, v2
	ds_read_b32 v3, v3
	ds_read_b32 v4, v4
	ds_read_b32 v5, v5
	ds_read_b32 v6, v6
	ds_read_b32 v7, v7
	ds_read_b32 v8, v8
	ds_read_b32 v9, v9
	s_waitcnt lgkmcnt(7)
	v_add_f32_e32 v2, 0, v2
	s_waitcnt lgkmcnt(6)
	v_add_f32_e32 v2, v2, v3
	s_waitcnt lgkmcnt(5)
	v_add_f32_e32 v2, v2, v4
	s_waitcnt lgkmcnt(4)
	v_add_f32_e32 v2, v2, v5
	s_waitcnt lgkmcnt(3)
	v_add_f32_e32 v2, v2, v6
	s_waitcnt lgkmcnt(2)
	v_add_f32_e32 v2, v2, v7
	s_waitcnt lgkmcnt(1)
	v_add_f32_e32 v2, v2, v8
	s_waitcnt lgkmcnt(0)
	v_add_f32_e32 v2, v2, v9
	v_add_u32_e32 v3, 8, v26
	v_add_u32_e32 v4, 9, v26
	v_add_u32_e32 v5, 10, v26
	v_add_u32_e32 v6, 11, v26
	v_add_u32_e32 v7, 12, v26
	v_add_u32_e32 v8, 13, v26
	v_add_u32_e32 v9, 14, v26
	v_add_u32_e32 v10, 15, v26
	v_and_or_b32 v3, v3, 63, v1
	v_and_or_b32 v4, v4, 63, v1
	v_and_or_b32 v5, v5, 63, v1
	v_and_or_b32 v6, v6, 63, v1
	v_and_or_b32 v7, v7, 63, v1
	v_and_or_b32 v8, v8, 63, v1
	v_and_or_b32 v9, v9, 63, v1
	v_and_or_b32 v10, v10, 63, v1
	v_lshlrev_b32_e32 v3, 2, v3
	v_lshlrev_b32_e32 v4, 2, v4
	v_lshlrev_b32_e32 v5, 2, v5
	v_lshlrev_b32_e32 v6, 2, v6
	v_lshlrev_b32_e32 v7, 2, v7
	v_lshlrev_b32_e32 v8, 2, v8
	v_lshlrev_b32_e32 v9, 2, v9
	v_lshlrev_b32_e32 v10, 2, v10
	ds_read_b32 v3, v3
	ds_read_b32 v4, v4
	ds_read_b32 v5, v5
	ds_read_b32 v6, v6
	ds_read_b32 v7, v7
	ds_read_b32 v8, v8
	ds_read_b32 v9, v9
	ds_read_b32 v10, v10
	s_waitcnt lgkmcnt(7)
	v_add_f32_e32 v2, v2, v3
	s_waitcnt lgkmcnt(6)
	v_add_f32_e32 v2, v2, v4
	s_waitcnt lgkmcnt(5)
	v_add_f32_e32 v2, v2, v5
	s_waitcnt lgkmcnt(4)
	v_add_f32_e32 v2, v2, v6
	s_waitcnt lgkmcnt(3)
	v_add_f32_e32 v2, v2, v7
	s_waitcnt lgkmcnt(2)
	v_add_f32_e32 v2, v2, v8
	s_waitcnt lgkmcnt(1)
	v_add_f32_e32 v2, v2, v9
	s_waitcnt lgkmcnt(0)
	v_add_f32_e32 v2, v2, v10
	v_add_u32_e32 v3, 16, v26
	v_add_u32_e32 v4, 17, v26
	v_add_u32_e32 v5, 18, v26
	v_add_u32_e32 v6, 19, v26
	v_add_u32_e32 v7, 20, v26
	v_add_u32_e32 v8, 21, v26
	v_add_u32_e32 v9, 22, v26
	v_add_u32_e32 v10, 23, v26
	v_and_or_b32 v3, v3, 63, v1
	;; [unrolled: 48-line block ×3, first 2 shown]
	v_and_or_b32 v4, v4, 63, v1
	v_and_or_b32 v5, v5, 63, v1
	;; [unrolled: 1-line block ×7, first 2 shown]
	v_lshlrev_b32_e32 v3, 2, v3
	v_lshlrev_b32_e32 v4, 2, v4
	;; [unrolled: 1-line block ×8, first 2 shown]
	ds_read_b32 v3, v3
	ds_read_b32 v4, v4
	;; [unrolled: 1-line block ×8, first 2 shown]
	s_waitcnt lgkmcnt(7)
	v_add_f32_e32 v2, v2, v3
	s_waitcnt lgkmcnt(6)
	v_add_f32_e32 v2, v2, v4
	;; [unrolled: 2-line block ×7, first 2 shown]
	v_add_u32_e32 v3, 33, v26
	v_add_u32_e32 v4, 34, v26
	;; [unrolled: 1-line block ×7, first 2 shown]
	v_xor_b32_e32 v0, 32, v0
	v_and_or_b32 v3, v3, 63, v1
	v_and_or_b32 v4, v4, 63, v1
	;; [unrolled: 1-line block ×7, first 2 shown]
	v_lshlrev_b32_e32 v0, 2, v0
	v_lshlrev_b32_e32 v3, 2, v3
	;; [unrolled: 1-line block ×8, first 2 shown]
	s_waitcnt lgkmcnt(0)
	v_add_f32_e32 v2, v2, v10
	ds_read_b32 v0, v0
	ds_read_b32 v3, v3
	;; [unrolled: 1-line block ×8, first 2 shown]
	s_waitcnt lgkmcnt(7)
	v_add_f32_e32 v0, v2, v0
	s_waitcnt lgkmcnt(6)
	v_add_f32_e32 v0, v0, v3
	;; [unrolled: 2-line block ×8, first 2 shown]
	v_add_u32_e32 v2, 40, v26
	v_add_u32_e32 v3, 41, v26
	;; [unrolled: 1-line block ×8, first 2 shown]
	v_and_or_b32 v2, v2, 63, v1
	v_and_or_b32 v3, v3, 63, v1
	;; [unrolled: 1-line block ×8, first 2 shown]
	v_lshlrev_b32_e32 v2, 2, v2
	v_lshlrev_b32_e32 v3, 2, v3
	;; [unrolled: 1-line block ×8, first 2 shown]
	ds_read_b32 v2, v2
	ds_read_b32 v3, v3
	;; [unrolled: 1-line block ×8, first 2 shown]
	s_waitcnt lgkmcnt(7)
	v_add_f32_e32 v0, v0, v2
	s_waitcnt lgkmcnt(6)
	v_add_f32_e32 v0, v0, v3
	;; [unrolled: 2-line block ×8, first 2 shown]
	v_add_u32_e32 v2, 48, v26
	v_add_u32_e32 v3, 49, v26
	;; [unrolled: 1-line block ×8, first 2 shown]
	v_and_or_b32 v2, v2, 63, v1
	v_and_or_b32 v3, v3, 63, v1
	;; [unrolled: 1-line block ×8, first 2 shown]
	v_lshlrev_b32_e32 v2, 2, v2
	v_lshlrev_b32_e32 v3, 2, v3
	;; [unrolled: 1-line block ×8, first 2 shown]
	ds_read_b32 v2, v2
	ds_read_b32 v3, v3
	;; [unrolled: 1-line block ×8, first 2 shown]
	s_waitcnt lgkmcnt(7)
	v_add_f32_e32 v0, v0, v2
	s_waitcnt lgkmcnt(6)
	v_add_f32_e32 v0, v0, v3
	;; [unrolled: 2-line block ×8, first 2 shown]
	v_add_u32_e32 v2, 56, v26
	v_add_u32_e32 v3, 57, v26
	;; [unrolled: 1-line block ×7, first 2 shown]
	v_add_u32_e32 v9, -1, v26
	v_and_or_b32 v2, v2, 63, v1
	v_and_or_b32 v3, v3, 63, v1
	;; [unrolled: 1-line block ×8, first 2 shown]
	s_load_dword s2, s[0:1], 0x68
	v_lshlrev_b32_e32 v2, 2, v2
	v_lshlrev_b32_e32 v3, 2, v3
	;; [unrolled: 1-line block ×8, first 2 shown]
	ds_read_b32 v2, v2
	ds_read_b32 v3, v3
	;; [unrolled: 1-line block ×8, first 2 shown]
	s_waitcnt lgkmcnt(0)
	v_add_f32_e32 v0, v0, v2
	v_add_f32_e32 v0, v0, v3
	s_lshl_b64 s[0:1], s[10:11], 2
	v_add_f32_e32 v0, v0, v4
	s_add_u32 s3, s6, s0
	v_add_f32_e32 v0, v0, v5
	s_addc_u32 s4, s7, s1
	s_mul_hi_i32 s1, s2, s8
	s_mul_i32 s0, s2, s8
	v_add_f32_e32 v0, v0, v6
	s_lshl_b64 s[0:1], s[0:1], 2
	v_add_f32_e32 v0, v0, v7
	s_add_u32 s0, s3, s0
	v_add_f32_e32 v0, v0, v8
	s_addc_u32 s1, s4, s1
	v_add_f32_e32 v2, v0, v1
	v_mad_i64_i32 v[0:1], s[2:3], s2, v26, 0
	v_lshl_add_u64 v[0:1], v[0:1], 2, s[0:1]
	v_mul_f32_e32 v2, s22, v2
	global_atomic_add_f32 v[0:1], v2, off
.LBB232_10:
	s_endpgm
	.section	.rodata,"a",@progbits
	.p2align	6, 0x0
	.amdhsa_kernel _ZL36rocblas_gemvt_double_buffered_kernelILb1ELi128ELi8ELi8EPKfS1_KPfEviiT4_lPKT3_lilS7_lilPT5_lili
		.amdhsa_group_segment_fixed_size 32768
		.amdhsa_private_segment_fixed_size 0
		.amdhsa_kernarg_size 384
		.amdhsa_user_sgpr_count 2
		.amdhsa_user_sgpr_dispatch_ptr 0
		.amdhsa_user_sgpr_queue_ptr 0
		.amdhsa_user_sgpr_kernarg_segment_ptr 1
		.amdhsa_user_sgpr_dispatch_id 0
		.amdhsa_user_sgpr_kernarg_preload_length 0
		.amdhsa_user_sgpr_kernarg_preload_offset 0
		.amdhsa_user_sgpr_private_segment_size 0
		.amdhsa_uses_dynamic_stack 0
		.amdhsa_enable_private_segment 0
		.amdhsa_system_sgpr_workgroup_id_x 1
		.amdhsa_system_sgpr_workgroup_id_y 1
		.amdhsa_system_sgpr_workgroup_id_z 1
		.amdhsa_system_sgpr_workgroup_info 0
		.amdhsa_system_vgpr_workitem_id 1
		.amdhsa_next_free_vgpr 64
		.amdhsa_next_free_sgpr 32
		.amdhsa_accum_offset 64
		.amdhsa_reserve_vcc 1
		.amdhsa_float_round_mode_32 0
		.amdhsa_float_round_mode_16_64 0
		.amdhsa_float_denorm_mode_32 3
		.amdhsa_float_denorm_mode_16_64 3
		.amdhsa_dx10_clamp 1
		.amdhsa_ieee_mode 1
		.amdhsa_fp16_overflow 0
		.amdhsa_tg_split 0
		.amdhsa_exception_fp_ieee_invalid_op 0
		.amdhsa_exception_fp_denorm_src 0
		.amdhsa_exception_fp_ieee_div_zero 0
		.amdhsa_exception_fp_ieee_overflow 0
		.amdhsa_exception_fp_ieee_underflow 0
		.amdhsa_exception_fp_ieee_inexact 0
		.amdhsa_exception_int_div_zero 0
	.end_amdhsa_kernel
	.section	.text._ZL36rocblas_gemvt_double_buffered_kernelILb1ELi128ELi8ELi8EPKfS1_KPfEviiT4_lPKT3_lilS7_lilPT5_lili,"axG",@progbits,_ZL36rocblas_gemvt_double_buffered_kernelILb1ELi128ELi8ELi8EPKfS1_KPfEviiT4_lPKT3_lilS7_lilPT5_lili,comdat
.Lfunc_end232:
	.size	_ZL36rocblas_gemvt_double_buffered_kernelILb1ELi128ELi8ELi8EPKfS1_KPfEviiT4_lPKT3_lilS7_lilPT5_lili, .Lfunc_end232-_ZL36rocblas_gemvt_double_buffered_kernelILb1ELi128ELi8ELi8EPKfS1_KPfEviiT4_lPKT3_lilS7_lilPT5_lili
                                        ; -- End function
	.section	.AMDGPU.csdata,"",@progbits
; Kernel info:
; codeLenInByte = 3908
; NumSgprs: 38
; NumVgprs: 64
; NumAgprs: 0
; TotalNumVgprs: 64
; ScratchSize: 0
; MemoryBound: 0
; FloatMode: 240
; IeeeMode: 1
; LDSByteSize: 32768 bytes/workgroup (compile time only)
; SGPRBlocks: 4
; VGPRBlocks: 7
; NumSGPRsForWavesPerEU: 38
; NumVGPRsForWavesPerEU: 64
; AccumOffset: 64
; Occupancy: 8
; WaveLimiterHint : 1
; COMPUTE_PGM_RSRC2:SCRATCH_EN: 0
; COMPUTE_PGM_RSRC2:USER_SGPR: 2
; COMPUTE_PGM_RSRC2:TRAP_HANDLER: 0
; COMPUTE_PGM_RSRC2:TGID_X_EN: 1
; COMPUTE_PGM_RSRC2:TGID_Y_EN: 1
; COMPUTE_PGM_RSRC2:TGID_Z_EN: 1
; COMPUTE_PGM_RSRC2:TIDIG_COMP_CNT: 1
; COMPUTE_PGM_RSRC3_GFX90A:ACCUM_OFFSET: 15
; COMPUTE_PGM_RSRC3_GFX90A:TG_SPLIT: 0
	.section	.text._ZL36rocblas_gemvt_double_buffered_kernelILb1ELi128ELi8ELi8EPKffKPfEviiT4_lPKT3_lilS7_lilPT5_lili,"axG",@progbits,_ZL36rocblas_gemvt_double_buffered_kernelILb1ELi128ELi8ELi8EPKffKPfEviiT4_lPKT3_lilS7_lilPT5_lili,comdat
	.globl	_ZL36rocblas_gemvt_double_buffered_kernelILb1ELi128ELi8ELi8EPKffKPfEviiT4_lPKT3_lilS7_lilPT5_lili ; -- Begin function _ZL36rocblas_gemvt_double_buffered_kernelILb1ELi128ELi8ELi8EPKffKPfEviiT4_lPKT3_lilS7_lilPT5_lili
	.p2align	8
	.type	_ZL36rocblas_gemvt_double_buffered_kernelILb1ELi128ELi8ELi8EPKffKPfEviiT4_lPKT3_lilS7_lilPT5_lili,@function
_ZL36rocblas_gemvt_double_buffered_kernelILb1ELi128ELi8ELi8EPKffKPfEviiT4_lPKT3_lilS7_lilPT5_lili: ; @_ZL36rocblas_gemvt_double_buffered_kernelILb1ELi128ELi8ELi8EPKffKPfEviiT4_lPKT3_lilS7_lilPT5_lili
; %bb.0:
	s_load_dword s22, s[0:1], 0x8
	s_waitcnt lgkmcnt(0)
	v_cmp_eq_f32_e64 s[6:7], s22, 0
	s_and_b64 vcc, exec, s[6:7]
	s_cbranch_vccnz .LBB233_10
; %bb.1:
	s_load_dword s5, s[0:1], 0x84
	s_load_dword s6, s[0:1], 0x0
	s_waitcnt lgkmcnt(0)
	v_cvt_f32_u32_e32 v1, s5
	s_ashr_i32 s7, s6, 31
	s_lshr_b32 s7, s7, 25
	s_sub_i32 s8, 0, s5
	v_rcp_iflag_f32_e32 v1, v1
	s_add_i32 s6, s6, s7
	s_ashr_i32 s6, s6, 7
	v_mul_f32_e32 v1, 0x4f7ffffe, v1
	v_cvt_u32_f32_e32 v1, v1
	s_nop 0
	v_readfirstlane_b32 s7, v1
	s_mul_i32 s8, s8, s7
	s_mul_hi_u32 s8, s7, s8
	s_add_i32 s7, s7, s8
	s_mul_hi_u32 s7, s6, s7
	s_mul_i32 s8, s7, s5
	s_sub_i32 s8, s6, s8
	s_add_i32 s9, s7, 1
	s_sub_i32 s10, s8, s5
	s_cmp_ge_u32 s8, s5
	s_cselect_b32 s7, s9, s7
	s_cselect_b32 s8, s10, s8
	s_add_i32 s9, s7, 1
	s_cmp_ge_u32 s8, s5
	s_cselect_b32 s15, s9, s7
	s_mul_i32 s5, s15, s5
	s_sub_i32 s14, s6, s5
	s_cmp_lt_u32 s3, s14
	s_cselect_b64 s[6:7], -1, 0
	s_cmp_lg_u64 s[6:7], 0
	s_addc_u32 s23, s15, 0
	s_cmp_eq_u32 s23, 0
	s_cbranch_scc1 .LBB233_10
; %bb.2:
	s_load_dwordx4 s[8:11], s[0:1], 0x58
	s_mov_b32 s5, 0
	s_lshl_b64 s[12:13], s[4:5], 3
	v_and_b32_e32 v26, 0x3ff, v0
	v_bfe_u32 v27, v0, 10, 10
	s_waitcnt lgkmcnt(0)
	s_add_u32 s6, s8, s12
	s_addc_u32 s7, s9, s13
	s_load_dwordx2 s[6:7], s[6:7], 0x0
	s_lshl_b32 s8, s2, 7
	v_lshl_add_u32 v4, v27, 7, v26
	v_and_b32_e32 v0, 63, v26
	s_ashr_i32 s9, s8, 31
	v_lshrrev_b32_e32 v28, 3, v4
	v_and_b32_e32 v29, 0x7ff8, v28
	s_cmp_lt_i32 s23, 1
	v_mov_b32_e32 v36, 0
	v_lshlrev_b32_e32 v2, 2, v0
	v_mov_b32_e32 v39, 0
	v_mov_b32_e32 v41, 0
	;; [unrolled: 1-line block ×7, first 2 shown]
	s_cbranch_scc1 .LBB233_8
; %bb.3:
	s_load_dword s20, s[0:1], 0x28
	s_load_dwordx4 s[24:27], s[0:1], 0x18
	s_load_dwordx4 s[28:31], s[0:1], 0x38
	s_load_dword s18, s[0:1], 0x48
	s_mul_i32 s15, s15, s3
	s_waitcnt lgkmcnt(0)
	s_ashr_i32 s21, s20, 31
	s_add_u32 s16, s24, s12
	s_addc_u32 s17, s25, s13
	s_load_dwordx2 s[16:17], s[16:17], 0x0
	s_add_u32 s12, s28, s12
	s_addc_u32 s13, s29, s13
	v_cvt_f64_i32_e32 v[10:11], s3
	v_cvt_f64_u32_e32 v[12:13], s14
	s_load_dwordx2 s[12:13], s[12:13], 0x0
	v_mov_b32_e32 v1, 0
	v_cvt_f64_u32_e32 v[8:9], s15
	v_min_f64 v[10:11], v[10:11], v[12:13]
	v_mad_i64_i32 v[6:7], s[24:25], s20, v29, v[0:1]
	v_add_f64 v[8:9], v[10:11], v[8:9]
	s_ashr_i32 s19, s18, 31
	s_lshl_b64 s[24:25], s[26:27], 2
	v_cvt_i32_f64_e32 v3, v[8:9]
	s_waitcnt lgkmcnt(0)
	s_add_u32 s16, s16, s24
	v_lshlrev_b32_e32 v8, 7, v3
	s_addc_u32 s17, s17, s25
	s_lshl_b64 s[24:25], s[30:31], 2
	v_ashrrev_i32_e32 v9, 31, v8
	s_add_u32 s12, s12, s24
	s_mul_hi_i32 s3, s20, s8
	s_mul_i32 s2, s20, s8
	v_lshlrev_b64 v[20:21], 2, v[8:9]
	s_addc_u32 s13, s13, s25
	s_lshl_b64 s[2:3], s[2:3], 2
	v_lshl_add_u64 v[18:19], s[16:17], 0, v[20:21]
	v_lshl_add_u64 v[8:9], v[18:19], 0, s[2:3]
	;; [unrolled: 1-line block ×3, first 2 shown]
	s_lshl_b64 s[2:3], s[20:21], 2
	v_lshl_add_u64 v[8:9], v[6:7], 0, s[2:3]
	global_load_dword v30, v[6:7], off
	global_load_dword v31, v[8:9], off
	v_lshl_add_u64 v[6:7], v[8:9], 0, s[2:3]
	global_load_dword v32, v[6:7], off
	v_lshl_add_u64 v[6:7], v[6:7], 0, s[2:3]
	;; [unrolled: 2-line block ×6, first 2 shown]
	global_load_dword v38, v[6:7], off
	v_lshrrev_b32_e32 v4, 1, v4
	v_and_b32_e32 v4, 0x1ffe0, v4
	v_mov_b32_e32 v5, v1
	v_lshl_add_u64 v[22:23], s[8:9], 2, v[4:5]
	v_lshl_add_u64 v[4:5], v[22:23], 0, 4
	v_mad_u64_u32 v[6:7], s[16:17], v4, s20, v[18:19]
	v_mul_lo_u32 v4, v4, s21
	v_mul_lo_u32 v5, v5, s20
	v_add3_u32 v7, v5, v7, v4
	s_mov_b64 s[16:17], 0x200
	v_lshl_add_u64 v[4:5], v[6:7], 0, s[16:17]
	v_lshl_add_u64 v[6:7], v[22:23], 0, 8
	v_mad_u64_u32 v[8:9], s[24:25], v6, s20, v[18:19]
	v_mul_lo_u32 v6, v6, s21
	v_mul_lo_u32 v7, v7, s20
	v_add3_u32 v9, v7, v9, v6
	v_lshl_add_u64 v[6:7], v[8:9], 0, s[16:17]
	v_lshl_add_u64 v[8:9], v[22:23], 0, 12
	v_mad_u64_u32 v[10:11], s[24:25], v8, s20, v[18:19]
	v_mul_lo_u32 v8, v8, s21
	v_mul_lo_u32 v9, v9, s20
	v_add3_u32 v11, v9, v11, v8
	;; [unrolled: 6-line block ×5, first 2 shown]
	v_lshl_add_u64 v[14:15], v[16:17], 0, s[16:17]
	v_lshl_add_u64 v[16:17], v[22:23], 0, 28
	v_mad_u64_u32 v[24:25], s[24:25], v16, s20, v[18:19]
	v_mul_lo_u32 v16, v16, s21
	v_mul_lo_u32 v17, v17, s20
	v_mad_u64_u32 v[18:19], s[24:25], v22, s20, v[18:19]
	v_mul_lo_u32 v22, v22, s21
	v_mul_lo_u32 v23, v23, s20
	v_add3_u32 v25, v17, v25, v16
	v_add3_u32 v19, v23, v19, v22
	v_or_b32_e32 v22, v20, v2
	v_lshl_add_u64 v[16:17], v[24:25], 0, s[16:17]
	v_mul_lo_u32 v24, v21, s18
	v_mul_lo_u32 v23, v22, s19
	v_mad_u64_u32 v[20:21], s[20:21], v22, s18, 0
	v_or_b32_e32 v22, 0x100, v22
	s_lshl_b64 s[14:15], s[18:19], 9
	v_add3_u32 v21, v21, v23, v24
	v_mul_lo_u32 v25, v22, s19
	v_mad_u64_u32 v[22:23], s[18:19], v22, s18, 0
	s_add_i32 s4, s23, -1
	v_mov_b32_e32 v3, v1
	v_add3_u32 v23, v23, v25, v24
	s_mov_b64 s[18:19], 0x100
	v_mov_b32_e32 v44, v1
	v_mov_b32_e32 v42, v1
	;; [unrolled: 1-line block ×7, first 2 shown]
	s_waitcnt vmcnt(7)
	v_mov_b32_e32 v45, v30
	s_waitcnt vmcnt(6)
	v_mov_b32_e32 v46, v31
	;; [unrolled: 2-line block ×8, first 2 shown]
.LBB233_4:                              ; =>This Inner Loop Header: Depth=1
	v_lshl_add_u64 v[24:25], v[18:19], 0, v[2:3]
	v_lshl_add_u64 v[54:55], v[24:25], 0, s[18:19]
	v_lshl_add_u64 v[56:57], v[54:55], 0, s[2:3]
	v_lshl_add_u64 v[58:59], v[56:57], 0, s[2:3]
	v_lshl_add_u64 v[60:61], v[58:59], 0, s[2:3]
	v_lshl_add_u64 v[62:63], v[60:61], 0, s[2:3]
	global_load_dword v53, v[24:25], off offset:256
	global_load_dword v54, v[56:57], off
	global_load_dword v55, v[58:59], off
                                        ; kill: killed $vgpr58_vgpr59
                                        ; kill: killed $vgpr56_vgpr57
	s_nop 0
	global_load_dword v56, v[60:61], off
	global_load_dword v57, v[62:63], off
	v_lshl_add_u64 v[60:61], v[62:63], 0, s[2:3]
	global_load_dword v58, v[60:61], off
	v_lshl_add_u64 v[60:61], v[60:61], 0, s[2:3]
	;; [unrolled: 2-line block ×3, first 2 shown]
	v_lshl_add_u64 v[62:63], s[12:13], 0, v[20:21]
	global_load_dword v60, v[60:61], off
	s_cmp_lg_u32 s4, s5
	global_load_dword v61, v[62:63], off
	s_cbranch_scc0 .LBB233_6
; %bb.5:                                ;   in Loop: Header=BB233_4 Depth=1
	global_load_dword v45, v[24:25], off offset:512
	v_lshl_add_u64 v[24:25], v[4:5], 0, v[2:3]
	global_load_dword v46, v[24:25], off
	v_lshl_add_u64 v[24:25], v[6:7], 0, v[2:3]
	global_load_dword v47, v[24:25], off
	v_lshl_add_u64 v[24:25], v[8:9], 0, v[2:3]
	global_load_dword v48, v[24:25], off
	v_lshl_add_u64 v[24:25], v[10:11], 0, v[2:3]
	global_load_dword v49, v[24:25], off
	v_lshl_add_u64 v[24:25], v[12:13], 0, v[2:3]
	global_load_dword v50, v[24:25], off
	v_lshl_add_u64 v[24:25], v[14:15], 0, v[2:3]
	global_load_dword v51, v[24:25], off
	v_lshl_add_u64 v[24:25], v[16:17], 0, v[2:3]
	global_load_dword v52, v[24:25], off
.LBB233_6:                              ;   in Loop: Header=BB233_4 Depth=1
	v_lshl_add_u64 v[24:25], s[12:13], 0, v[22:23]
	global_load_dword v24, v[24:25], off
	s_add_i32 s5, s5, 1
	s_add_u32 s12, s12, s14
	s_waitcnt vmcnt(1)
	v_fmac_f32_e32 v1, v30, v61
	v_fmac_f32_e32 v44, v31, v61
	;; [unrolled: 1-line block ×8, first 2 shown]
	s_addc_u32 s13, s13, s15
	v_lshl_add_u64 v[4:5], v[4:5], 0, s[16:17]
	v_lshl_add_u64 v[6:7], v[6:7], 0, s[16:17]
	;; [unrolled: 1-line block ×7, first 2 shown]
	s_cmp_ge_i32 s5, s23
	v_lshl_add_u64 v[18:19], v[18:19], 0, s[16:17]
	s_waitcnt vmcnt(0)
	v_fmac_f32_e32 v1, v53, v24
	v_fmac_f32_e32 v44, v54, v24
	;; [unrolled: 1-line block ×8, first 2 shown]
	s_cbranch_scc1 .LBB233_8
; %bb.7:                                ;   in Loop: Header=BB233_4 Depth=1
	v_mov_b32_e32 v30, v45
	v_mov_b32_e32 v31, v46
	;; [unrolled: 1-line block ×8, first 2 shown]
	s_branch .LBB233_4
.LBB233_8:
	v_lshl_or_b32 v3, v29, 8, v2
	ds_write2st64_b32 v3, v1, v44 offset1:1
	ds_write2st64_b32 v3, v42, v43 offset0:2 offset1:3
	ds_write2st64_b32 v3, v40, v41 offset0:4 offset1:5
	ds_write_b32 v3, v39 offset:1536
	v_lshlrev_b32_e32 v1, 8, v28
	s_movk_i32 s2, 0x700
	v_or3_b32 v1, v1, v2, s2
	v_cmp_eq_u32_e32 vcc, 0, v27
	ds_write_b32 v1, v36
	s_waitcnt lgkmcnt(0)
	s_barrier
	s_and_saveexec_b64 s[2:3], vcc
	s_cbranch_execz .LBB233_10
; %bb.9:
	v_lshlrev_b32_e32 v1, 6, v26
	v_add_u32_e32 v3, 1, v26
	v_add_u32_e32 v4, 2, v26
	;; [unrolled: 1-line block ×7, first 2 shown]
	v_or_b32_e32 v0, v0, v1
	v_and_or_b32 v3, v3, 63, v1
	v_and_or_b32 v4, v4, 63, v1
	v_and_or_b32 v5, v5, 63, v1
	v_and_or_b32 v6, v6, 63, v1
	v_and_or_b32 v7, v7, 63, v1
	v_and_or_b32 v8, v8, 63, v1
	v_and_or_b32 v9, v9, 63, v1
	v_lshlrev_b32_e32 v2, 2, v0
	v_lshlrev_b32_e32 v3, 2, v3
	v_lshlrev_b32_e32 v4, 2, v4
	v_lshlrev_b32_e32 v5, 2, v5
	v_lshlrev_b32_e32 v6, 2, v6
	v_lshlrev_b32_e32 v7, 2, v7
	v_lshlrev_b32_e32 v8, 2, v8
	v_lshlrev_b32_e32 v9, 2, v9
	ds_read_b32 v2, v2
	ds_read_b32 v3, v3
	ds_read_b32 v4, v4
	ds_read_b32 v5, v5
	ds_read_b32 v6, v6
	ds_read_b32 v7, v7
	ds_read_b32 v8, v8
	ds_read_b32 v9, v9
	s_waitcnt lgkmcnt(7)
	v_add_f32_e32 v2, 0, v2
	s_waitcnt lgkmcnt(6)
	v_add_f32_e32 v2, v2, v3
	s_waitcnt lgkmcnt(5)
	v_add_f32_e32 v2, v2, v4
	s_waitcnt lgkmcnt(4)
	v_add_f32_e32 v2, v2, v5
	s_waitcnt lgkmcnt(3)
	v_add_f32_e32 v2, v2, v6
	s_waitcnt lgkmcnt(2)
	v_add_f32_e32 v2, v2, v7
	s_waitcnt lgkmcnt(1)
	v_add_f32_e32 v2, v2, v8
	s_waitcnt lgkmcnt(0)
	v_add_f32_e32 v2, v2, v9
	v_add_u32_e32 v3, 8, v26
	v_add_u32_e32 v4, 9, v26
	v_add_u32_e32 v5, 10, v26
	v_add_u32_e32 v6, 11, v26
	v_add_u32_e32 v7, 12, v26
	v_add_u32_e32 v8, 13, v26
	v_add_u32_e32 v9, 14, v26
	v_add_u32_e32 v10, 15, v26
	v_and_or_b32 v3, v3, 63, v1
	v_and_or_b32 v4, v4, 63, v1
	v_and_or_b32 v5, v5, 63, v1
	v_and_or_b32 v6, v6, 63, v1
	v_and_or_b32 v7, v7, 63, v1
	v_and_or_b32 v8, v8, 63, v1
	v_and_or_b32 v9, v9, 63, v1
	v_and_or_b32 v10, v10, 63, v1
	v_lshlrev_b32_e32 v3, 2, v3
	v_lshlrev_b32_e32 v4, 2, v4
	v_lshlrev_b32_e32 v5, 2, v5
	v_lshlrev_b32_e32 v6, 2, v6
	v_lshlrev_b32_e32 v7, 2, v7
	v_lshlrev_b32_e32 v8, 2, v8
	v_lshlrev_b32_e32 v9, 2, v9
	v_lshlrev_b32_e32 v10, 2, v10
	ds_read_b32 v3, v3
	ds_read_b32 v4, v4
	ds_read_b32 v5, v5
	ds_read_b32 v6, v6
	ds_read_b32 v7, v7
	ds_read_b32 v8, v8
	ds_read_b32 v9, v9
	ds_read_b32 v10, v10
	s_waitcnt lgkmcnt(7)
	v_add_f32_e32 v2, v2, v3
	s_waitcnt lgkmcnt(6)
	v_add_f32_e32 v2, v2, v4
	s_waitcnt lgkmcnt(5)
	v_add_f32_e32 v2, v2, v5
	s_waitcnt lgkmcnt(4)
	v_add_f32_e32 v2, v2, v6
	s_waitcnt lgkmcnt(3)
	v_add_f32_e32 v2, v2, v7
	s_waitcnt lgkmcnt(2)
	v_add_f32_e32 v2, v2, v8
	s_waitcnt lgkmcnt(1)
	v_add_f32_e32 v2, v2, v9
	s_waitcnt lgkmcnt(0)
	v_add_f32_e32 v2, v2, v10
	v_add_u32_e32 v3, 16, v26
	v_add_u32_e32 v4, 17, v26
	v_add_u32_e32 v5, 18, v26
	v_add_u32_e32 v6, 19, v26
	v_add_u32_e32 v7, 20, v26
	v_add_u32_e32 v8, 21, v26
	v_add_u32_e32 v9, 22, v26
	v_add_u32_e32 v10, 23, v26
	v_and_or_b32 v3, v3, 63, v1
	;; [unrolled: 48-line block ×3, first 2 shown]
	v_and_or_b32 v4, v4, 63, v1
	v_and_or_b32 v5, v5, 63, v1
	;; [unrolled: 1-line block ×7, first 2 shown]
	v_lshlrev_b32_e32 v3, 2, v3
	v_lshlrev_b32_e32 v4, 2, v4
	;; [unrolled: 1-line block ×8, first 2 shown]
	ds_read_b32 v3, v3
	ds_read_b32 v4, v4
	;; [unrolled: 1-line block ×8, first 2 shown]
	s_waitcnt lgkmcnt(7)
	v_add_f32_e32 v2, v2, v3
	s_waitcnt lgkmcnt(6)
	v_add_f32_e32 v2, v2, v4
	;; [unrolled: 2-line block ×7, first 2 shown]
	v_add_u32_e32 v3, 33, v26
	v_add_u32_e32 v4, 34, v26
	;; [unrolled: 1-line block ×7, first 2 shown]
	v_xor_b32_e32 v0, 32, v0
	v_and_or_b32 v3, v3, 63, v1
	v_and_or_b32 v4, v4, 63, v1
	;; [unrolled: 1-line block ×7, first 2 shown]
	v_lshlrev_b32_e32 v0, 2, v0
	v_lshlrev_b32_e32 v3, 2, v3
	;; [unrolled: 1-line block ×8, first 2 shown]
	s_waitcnt lgkmcnt(0)
	v_add_f32_e32 v2, v2, v10
	ds_read_b32 v0, v0
	ds_read_b32 v3, v3
	;; [unrolled: 1-line block ×8, first 2 shown]
	s_waitcnt lgkmcnt(7)
	v_add_f32_e32 v0, v2, v0
	s_waitcnt lgkmcnt(6)
	v_add_f32_e32 v0, v0, v3
	s_waitcnt lgkmcnt(5)
	v_add_f32_e32 v0, v0, v4
	s_waitcnt lgkmcnt(4)
	v_add_f32_e32 v0, v0, v5
	s_waitcnt lgkmcnt(3)
	v_add_f32_e32 v0, v0, v6
	s_waitcnt lgkmcnt(2)
	v_add_f32_e32 v0, v0, v7
	s_waitcnt lgkmcnt(1)
	v_add_f32_e32 v0, v0, v8
	s_waitcnt lgkmcnt(0)
	v_add_f32_e32 v0, v0, v9
	v_add_u32_e32 v2, 40, v26
	v_add_u32_e32 v3, 41, v26
	;; [unrolled: 1-line block ×8, first 2 shown]
	v_and_or_b32 v2, v2, 63, v1
	v_and_or_b32 v3, v3, 63, v1
	;; [unrolled: 1-line block ×8, first 2 shown]
	v_lshlrev_b32_e32 v2, 2, v2
	v_lshlrev_b32_e32 v3, 2, v3
	;; [unrolled: 1-line block ×8, first 2 shown]
	ds_read_b32 v2, v2
	ds_read_b32 v3, v3
	;; [unrolled: 1-line block ×8, first 2 shown]
	s_waitcnt lgkmcnt(7)
	v_add_f32_e32 v0, v0, v2
	s_waitcnt lgkmcnt(6)
	v_add_f32_e32 v0, v0, v3
	;; [unrolled: 2-line block ×8, first 2 shown]
	v_add_u32_e32 v2, 48, v26
	v_add_u32_e32 v3, 49, v26
	;; [unrolled: 1-line block ×8, first 2 shown]
	v_and_or_b32 v2, v2, 63, v1
	v_and_or_b32 v3, v3, 63, v1
	;; [unrolled: 1-line block ×8, first 2 shown]
	v_lshlrev_b32_e32 v2, 2, v2
	v_lshlrev_b32_e32 v3, 2, v3
	;; [unrolled: 1-line block ×8, first 2 shown]
	ds_read_b32 v2, v2
	ds_read_b32 v3, v3
	;; [unrolled: 1-line block ×8, first 2 shown]
	s_waitcnt lgkmcnt(7)
	v_add_f32_e32 v0, v0, v2
	s_waitcnt lgkmcnt(6)
	v_add_f32_e32 v0, v0, v3
	;; [unrolled: 2-line block ×8, first 2 shown]
	v_add_u32_e32 v2, 56, v26
	v_add_u32_e32 v3, 57, v26
	;; [unrolled: 1-line block ×7, first 2 shown]
	v_add_u32_e32 v9, -1, v26
	v_and_or_b32 v2, v2, 63, v1
	v_and_or_b32 v3, v3, 63, v1
	v_and_or_b32 v4, v4, 63, v1
	v_and_or_b32 v5, v5, 63, v1
	v_and_or_b32 v6, v6, 63, v1
	v_and_or_b32 v7, v7, 63, v1
	v_and_or_b32 v8, v8, 63, v1
	v_and_or_b32 v1, v9, 63, v1
	s_load_dword s2, s[0:1], 0x68
	v_lshlrev_b32_e32 v2, 2, v2
	v_lshlrev_b32_e32 v3, 2, v3
	;; [unrolled: 1-line block ×8, first 2 shown]
	ds_read_b32 v2, v2
	ds_read_b32 v3, v3
	;; [unrolled: 1-line block ×8, first 2 shown]
	s_waitcnt lgkmcnt(0)
	v_add_f32_e32 v0, v0, v2
	v_add_f32_e32 v0, v0, v3
	s_lshl_b64 s[0:1], s[10:11], 2
	v_add_f32_e32 v0, v0, v4
	s_add_u32 s3, s6, s0
	v_add_f32_e32 v0, v0, v5
	s_addc_u32 s4, s7, s1
	s_mul_hi_i32 s1, s2, s8
	s_mul_i32 s0, s2, s8
	v_add_f32_e32 v0, v0, v6
	s_lshl_b64 s[0:1], s[0:1], 2
	v_add_f32_e32 v0, v0, v7
	s_add_u32 s0, s3, s0
	v_add_f32_e32 v0, v0, v8
	s_addc_u32 s1, s4, s1
	v_add_f32_e32 v2, v0, v1
	v_mad_i64_i32 v[0:1], s[2:3], s2, v26, 0
	v_lshl_add_u64 v[0:1], v[0:1], 2, s[0:1]
	v_mul_f32_e32 v2, s22, v2
	global_atomic_add_f32 v[0:1], v2, off
.LBB233_10:
	s_endpgm
	.section	.rodata,"a",@progbits
	.p2align	6, 0x0
	.amdhsa_kernel _ZL36rocblas_gemvt_double_buffered_kernelILb1ELi128ELi8ELi8EPKffKPfEviiT4_lPKT3_lilS7_lilPT5_lili
		.amdhsa_group_segment_fixed_size 32768
		.amdhsa_private_segment_fixed_size 0
		.amdhsa_kernarg_size 384
		.amdhsa_user_sgpr_count 2
		.amdhsa_user_sgpr_dispatch_ptr 0
		.amdhsa_user_sgpr_queue_ptr 0
		.amdhsa_user_sgpr_kernarg_segment_ptr 1
		.amdhsa_user_sgpr_dispatch_id 0
		.amdhsa_user_sgpr_kernarg_preload_length 0
		.amdhsa_user_sgpr_kernarg_preload_offset 0
		.amdhsa_user_sgpr_private_segment_size 0
		.amdhsa_uses_dynamic_stack 0
		.amdhsa_enable_private_segment 0
		.amdhsa_system_sgpr_workgroup_id_x 1
		.amdhsa_system_sgpr_workgroup_id_y 1
		.amdhsa_system_sgpr_workgroup_id_z 1
		.amdhsa_system_sgpr_workgroup_info 0
		.amdhsa_system_vgpr_workitem_id 1
		.amdhsa_next_free_vgpr 64
		.amdhsa_next_free_sgpr 32
		.amdhsa_accum_offset 64
		.amdhsa_reserve_vcc 1
		.amdhsa_float_round_mode_32 0
		.amdhsa_float_round_mode_16_64 0
		.amdhsa_float_denorm_mode_32 3
		.amdhsa_float_denorm_mode_16_64 3
		.amdhsa_dx10_clamp 1
		.amdhsa_ieee_mode 1
		.amdhsa_fp16_overflow 0
		.amdhsa_tg_split 0
		.amdhsa_exception_fp_ieee_invalid_op 0
		.amdhsa_exception_fp_denorm_src 0
		.amdhsa_exception_fp_ieee_div_zero 0
		.amdhsa_exception_fp_ieee_overflow 0
		.amdhsa_exception_fp_ieee_underflow 0
		.amdhsa_exception_fp_ieee_inexact 0
		.amdhsa_exception_int_div_zero 0
	.end_amdhsa_kernel
	.section	.text._ZL36rocblas_gemvt_double_buffered_kernelILb1ELi128ELi8ELi8EPKffKPfEviiT4_lPKT3_lilS7_lilPT5_lili,"axG",@progbits,_ZL36rocblas_gemvt_double_buffered_kernelILb1ELi128ELi8ELi8EPKffKPfEviiT4_lPKT3_lilS7_lilPT5_lili,comdat
.Lfunc_end233:
	.size	_ZL36rocblas_gemvt_double_buffered_kernelILb1ELi128ELi8ELi8EPKffKPfEviiT4_lPKT3_lilS7_lilPT5_lili, .Lfunc_end233-_ZL36rocblas_gemvt_double_buffered_kernelILb1ELi128ELi8ELi8EPKffKPfEviiT4_lPKT3_lilS7_lilPT5_lili
                                        ; -- End function
	.section	.AMDGPU.csdata,"",@progbits
; Kernel info:
; codeLenInByte = 3876
; NumSgprs: 38
; NumVgprs: 64
; NumAgprs: 0
; TotalNumVgprs: 64
; ScratchSize: 0
; MemoryBound: 0
; FloatMode: 240
; IeeeMode: 1
; LDSByteSize: 32768 bytes/workgroup (compile time only)
; SGPRBlocks: 4
; VGPRBlocks: 7
; NumSGPRsForWavesPerEU: 38
; NumVGPRsForWavesPerEU: 64
; AccumOffset: 64
; Occupancy: 8
; WaveLimiterHint : 1
; COMPUTE_PGM_RSRC2:SCRATCH_EN: 0
; COMPUTE_PGM_RSRC2:USER_SGPR: 2
; COMPUTE_PGM_RSRC2:TRAP_HANDLER: 0
; COMPUTE_PGM_RSRC2:TGID_X_EN: 1
; COMPUTE_PGM_RSRC2:TGID_Y_EN: 1
; COMPUTE_PGM_RSRC2:TGID_Z_EN: 1
; COMPUTE_PGM_RSRC2:TIDIG_COMP_CNT: 1
; COMPUTE_PGM_RSRC3_GFX90A:ACCUM_OFFSET: 15
; COMPUTE_PGM_RSRC3_GFX90A:TG_SPLIT: 0
	.section	.text._ZL20rocblas_gemvt_kernelILb1ELi256EPKfS1_KPfEviiT2_lPKT1_lilS7_lilS4_lPT3_lili,"axG",@progbits,_ZL20rocblas_gemvt_kernelILb1ELi256EPKfS1_KPfEviiT2_lPKT1_lilS7_lilS4_lPT3_lili,comdat
	.globl	_ZL20rocblas_gemvt_kernelILb1ELi256EPKfS1_KPfEviiT2_lPKT1_lilS7_lilS4_lPT3_lili ; -- Begin function _ZL20rocblas_gemvt_kernelILb1ELi256EPKfS1_KPfEviiT2_lPKT1_lilS7_lilS4_lPT3_lili
	.p2align	8
	.type	_ZL20rocblas_gemvt_kernelILb1ELi256EPKfS1_KPfEviiT2_lPKT1_lilS7_lilS4_lPT3_lili,@function
_ZL20rocblas_gemvt_kernelILb1ELi256EPKfS1_KPfEviiT2_lPKT1_lilS7_lilS4_lPT3_lili: ; @_ZL20rocblas_gemvt_kernelILb1ELi256EPKfS1_KPfEviiT2_lPKT1_lilS7_lilS4_lPT3_lili
; %bb.0:
	s_load_dwordx8 s[12:19], s[0:1], 0x8
	s_load_dwordx8 s[4:11], s[0:1], 0x58
	s_mov_b32 s20, s3
	s_waitcnt lgkmcnt(0)
	s_mul_i32 s3, s3, s15
	s_mul_hi_u32 s15, s20, s14
	s_add_i32 s15, s15, s3
	s_mul_i32 s14, s20, s14
	s_lshl_b64 s[14:15], s[14:15], 2
	s_add_u32 s12, s12, s14
	s_addc_u32 s13, s13, s15
	s_load_dword s3, s[12:13], 0x0
	s_mul_i32 s7, s20, s7
	s_mul_hi_u32 s12, s20, s6
	s_add_i32 s7, s12, s7
	s_mul_i32 s6, s20, s6
	s_lshl_b64 s[6:7], s[6:7], 2
	s_add_u32 s4, s4, s6
	s_addc_u32 s5, s5, s7
	s_load_dword s22, s[4:5], 0x0
	s_waitcnt lgkmcnt(0)
	v_cmp_eq_f32_e64 s[4:5], s3, 0
	v_cmp_eq_f32_e64 s[6:7], s22, 1.0
	s_and_b64 s[6:7], s[4:5], s[6:7]
	s_and_b64 vcc, exec, s[6:7]
	s_cbranch_vccnz .LBB234_40
; %bb.1:
	s_mov_b32 s21, 0
	v_cmp_neq_f32_e64 s[6:7], s3, 0
	s_mov_b64 s[12:13], 0
	s_and_b64 vcc, exec, s[4:5]
	s_mov_b64 s[14:15], 0
	s_cbranch_vccnz .LBB234_3
; %bb.2:
	s_lshl_b64 s[14:15], s[20:21], 3
	s_add_u32 s14, s16, s14
	s_addc_u32 s15, s17, s15
	s_load_dwordx2 s[14:15], s[14:15], 0x0
	s_lshl_b64 s[16:17], s[18:19], 2
	s_waitcnt lgkmcnt(0)
	s_add_u32 s14, s14, s16
	s_addc_u32 s15, s15, s17
.LBB234_3:
	s_andn2_b64 vcc, exec, s[6:7]
	s_cbranch_vccnz .LBB234_5
; %bb.4:
	s_load_dwordx4 s[16:19], s[0:1], 0x38
	s_lshl_b64 s[6:7], s[20:21], 3
	s_waitcnt lgkmcnt(0)
	s_add_u32 s6, s16, s6
	s_addc_u32 s7, s17, s7
	s_load_dwordx2 s[6:7], s[6:7], 0x0
	s_lshl_b64 s[12:13], s[18:19], 2
	s_waitcnt lgkmcnt(0)
	s_add_u32 s12, s6, s12
	s_addc_u32 s13, s7, s13
.LBB234_5:
	s_lshl_b64 s[6:7], s[20:21], 3
	s_add_u32 s6, s8, s6
	s_addc_u32 s7, s9, s7
	s_load_dwordx2 s[8:9], s[6:7], 0x0
	s_load_dword s20, s[0:1], 0x78
	s_lshl_b64 s[6:7], s[10:11], 2
	s_waitcnt lgkmcnt(0)
	s_add_u32 s18, s8, s6
	s_addc_u32 s19, s9, s7
	s_andn2_b64 vcc, exec, s[4:5]
	v_cmp_eq_u32_e64 s[4:5], 0, v0
	s_cbranch_vccnz .LBB234_10
; %bb.6:
	s_mov_b64 s[10:11], 0
	s_mov_b64 s[6:7], 0
                                        ; implicit-def: $vgpr1
                                        ; implicit-def: $sgpr8_sgpr9
	s_and_saveexec_b64 s[16:17], s[4:5]
	s_cbranch_execz .LBB234_11
; %bb.7:
	v_cmp_eq_f32_e64 s[4:5], s22, 0
	v_mov_b32_e32 v1, 0
	s_mul_hi_i32 s9, s20, s2
	s_mul_i32 s8, s20, s2
	s_and_b64 vcc, exec, s[4:5]
	s_cbranch_vccnz .LBB234_9
; %bb.8:
	s_lshl_b64 s[4:5], s[8:9], 2
	s_add_u32 s4, s18, s4
	s_addc_u32 s5, s19, s5
	s_load_dword s4, s[4:5], 0x0
	s_waitcnt lgkmcnt(0)
	v_mov_b32_e32 v1, s4
	v_mul_f32_e32 v1, s22, v1
.LBB234_9:
	s_mov_b64 s[6:7], exec
	s_or_b64 exec, exec, s[16:17]
	s_and_b64 vcc, exec, s[10:11]
	s_cbranch_vccnz .LBB234_12
	s_branch .LBB234_38
.LBB234_10:
	s_mov_b64 s[6:7], 0
                                        ; implicit-def: $vgpr1
                                        ; implicit-def: $sgpr8_sgpr9
	s_cbranch_execnz .LBB234_12
	s_branch .LBB234_38
.LBB234_11:
	s_or_b64 exec, exec, s[16:17]
	s_and_b64 vcc, exec, s[10:11]
	s_cbranch_vccz .LBB234_38
.LBB234_12:
	s_load_dword s16, s[0:1], 0x0
	s_load_dword s5, s[0:1], 0x28
	;; [unrolled: 1-line block ×3, first 2 shown]
	v_mov_b32_e32 v3, 0
	s_mov_b32 s1, 0
	s_waitcnt lgkmcnt(0)
	v_cmp_gt_i32_e32 vcc, s16, v0
	s_mul_hi_i32 s9, s5, s2
	s_mul_i32 s8, s5, s2
	s_lshl_b64 s[8:9], s[8:9], 2
	s_add_u32 s8, s8, s14
	s_addc_u32 s9, s9, s15
	s_ashr_i32 s0, s16, 31
	s_lshr_b32 s0, s0, 24
	v_cndmask_b32_e32 v1, 0, v0, vcc
	s_add_i32 s0, s16, s0
	v_lshlrev_b32_e32 v2, 2, v1
	s_and_b32 s0, s0, 0xffffff00
	s_cmpk_lt_i32 s16, 0x100
	v_lshl_add_u64 v[4:5], s[8:9], 0, v[2:3]
	s_cbranch_scc1 .LBB234_15
; %bb.13:
	s_ashr_i32 s5, s4, 31
	v_mad_i64_i32 v[2:3], s[8:9], s4, v0, 0
	v_lshl_add_u64 v[6:7], v[2:3], 2, s[12:13]
	s_lshl_b64 s[8:9], s[4:5], 10
	v_mov_b32_e32 v3, 0
	s_mov_b64 s[10:11], 0x400
	v_mov_b64_e32 v[8:9], v[4:5]
.LBB234_14:                             ; =>This Inner Loop Header: Depth=1
	flat_load_dword v1, v[8:9]
	flat_load_dword v2, v[6:7]
	s_addk_i32 s1, 0x100
	v_lshl_add_u64 v[6:7], v[6:7], 0, s[8:9]
	v_lshl_add_u64 v[8:9], v[8:9], 0, s[10:11]
	s_cmp_ge_i32 s1, s0
	s_waitcnt vmcnt(0) lgkmcnt(0)
	v_fmac_f32_e32 v3, v1, v2
	s_cbranch_scc0 .LBB234_14
.LBB234_15:
	v_add_u32_e32 v1, s0, v0
	v_cmp_gt_i32_e32 vcc, s16, v1
	s_and_saveexec_b64 s[8:9], vcc
	s_cbranch_execz .LBB234_17
; %bb.16:
	s_ashr_i32 s1, s0, 31
	v_lshl_add_u64 v[4:5], s[0:1], 2, v[4:5]
	flat_load_dword v2, v[4:5]
	v_mad_i64_i32 v[4:5], s[0:1], s4, v1, 0
	v_lshl_add_u64 v[4:5], v[4:5], 2, s[12:13]
	flat_load_dword v1, v[4:5]
	s_waitcnt vmcnt(0) lgkmcnt(0)
	v_fmac_f32_e32 v3, v2, v1
.LBB234_17:
	s_or_b64 exec, exec, s[8:9]
	s_movk_i32 s0, 0x80
	v_lshlrev_b32_e32 v1, 2, v0
	v_cmp_gt_u32_e32 vcc, s0, v0
	ds_write_b32 v1, v3
	s_waitcnt lgkmcnt(0)
	s_barrier
	s_and_saveexec_b64 s[0:1], vcc
	s_cbranch_execz .LBB234_19
; %bb.18:
	ds_read2st64_b32 v[2:3], v1 offset1:2
	s_waitcnt lgkmcnt(0)
	v_add_f32_e32 v2, v3, v2
	ds_write_b32 v1, v2
.LBB234_19:
	s_or_b64 exec, exec, s[0:1]
	v_cmp_gt_u32_e32 vcc, 64, v0
	s_waitcnt lgkmcnt(0)
	s_barrier
	s_and_saveexec_b64 s[0:1], vcc
	s_cbranch_execz .LBB234_21
; %bb.20:
	ds_read2st64_b32 v[2:3], v1 offset1:1
	s_waitcnt lgkmcnt(0)
	v_add_f32_e32 v2, v3, v2
	ds_write_b32 v1, v2
.LBB234_21:
	s_or_b64 exec, exec, s[0:1]
	v_cmp_gt_u32_e32 vcc, 32, v0
	s_waitcnt lgkmcnt(0)
	s_barrier
	s_and_saveexec_b64 s[0:1], vcc
	s_cbranch_execz .LBB234_23
; %bb.22:
	ds_read2_b32 v[2:3], v1 offset1:32
	s_waitcnt lgkmcnt(0)
	v_add_f32_e32 v2, v3, v2
	ds_write_b32 v1, v2
.LBB234_23:
	s_or_b64 exec, exec, s[0:1]
	v_cmp_gt_u32_e32 vcc, 16, v0
	s_waitcnt lgkmcnt(0)
	s_barrier
	s_and_saveexec_b64 s[0:1], vcc
	s_cbranch_execz .LBB234_25
; %bb.24:
	ds_read2_b32 v[2:3], v1 offset1:16
	s_waitcnt lgkmcnt(0)
	v_add_f32_e32 v2, v3, v2
	ds_write_b32 v1, v2
.LBB234_25:
	;; [unrolled: 12-line block ×5, first 2 shown]
	s_or_b64 exec, exec, s[0:1]
	v_cmp_eq_u32_e32 vcc, 0, v0
	s_waitcnt lgkmcnt(0)
	s_barrier
	s_and_saveexec_b64 s[0:1], vcc
	s_cbranch_execz .LBB234_33
; %bb.32:
	v_mov_b32_e32 v2, 0
	ds_read_b64 v[0:1], v2
	s_waitcnt lgkmcnt(0)
	v_add_f32_e32 v0, v1, v0
	ds_write_b32 v2, v0
.LBB234_33:
	s_or_b64 exec, exec, s[0:1]
	s_waitcnt lgkmcnt(0)
	s_barrier
	s_waitcnt lgkmcnt(0)
                                        ; implicit-def: $vgpr1
                                        ; implicit-def: $sgpr8_sgpr9
	s_and_saveexec_b64 s[0:1], vcc
	s_cbranch_execz .LBB234_37
; %bb.34:
	v_mov_b32_e32 v0, 0
	ds_read_b32 v0, v0
	v_cmp_eq_f32_e64 s[4:5], s22, 0
	s_mul_hi_i32 s9, s20, s2
	s_mul_i32 s8, s20, s2
	s_and_b64 vcc, exec, s[4:5]
	s_waitcnt lgkmcnt(0)
	v_mul_f32_e32 v1, s3, v0
	s_cbranch_vccnz .LBB234_36
; %bb.35:
	s_lshl_b64 s[2:3], s[8:9], 2
	s_add_u32 s2, s18, s2
	s_addc_u32 s3, s19, s3
	s_load_dword s2, s[2:3], 0x0
	s_waitcnt lgkmcnt(0)
	v_mov_b32_e32 v0, s2
	v_fmac_f32_e32 v1, s22, v0
.LBB234_36:
	s_or_b64 s[6:7], s[6:7], exec
.LBB234_37:
	s_or_b64 exec, exec, s[0:1]
.LBB234_38:
	s_and_saveexec_b64 s[0:1], s[6:7]
	s_cbranch_execz .LBB234_40
; %bb.39:
	s_lshl_b64 s[0:1], s[8:9], 2
	s_add_u32 s0, s18, s0
	s_addc_u32 s1, s19, s1
	v_mov_b32_e32 v0, 0
	global_store_dword v0, v1, s[0:1]
.LBB234_40:
	s_endpgm
	.section	.rodata,"a",@progbits
	.p2align	6, 0x0
	.amdhsa_kernel _ZL20rocblas_gemvt_kernelILb1ELi256EPKfS1_KPfEviiT2_lPKT1_lilS7_lilS4_lPT3_lili
		.amdhsa_group_segment_fixed_size 1024
		.amdhsa_private_segment_fixed_size 0
		.amdhsa_kernarg_size 140
		.amdhsa_user_sgpr_count 2
		.amdhsa_user_sgpr_dispatch_ptr 0
		.amdhsa_user_sgpr_queue_ptr 0
		.amdhsa_user_sgpr_kernarg_segment_ptr 1
		.amdhsa_user_sgpr_dispatch_id 0
		.amdhsa_user_sgpr_kernarg_preload_length 0
		.amdhsa_user_sgpr_kernarg_preload_offset 0
		.amdhsa_user_sgpr_private_segment_size 0
		.amdhsa_uses_dynamic_stack 0
		.amdhsa_enable_private_segment 0
		.amdhsa_system_sgpr_workgroup_id_x 1
		.amdhsa_system_sgpr_workgroup_id_y 0
		.amdhsa_system_sgpr_workgroup_id_z 1
		.amdhsa_system_sgpr_workgroup_info 0
		.amdhsa_system_vgpr_workitem_id 0
		.amdhsa_next_free_vgpr 10
		.amdhsa_next_free_sgpr 23
		.amdhsa_accum_offset 12
		.amdhsa_reserve_vcc 1
		.amdhsa_float_round_mode_32 0
		.amdhsa_float_round_mode_16_64 0
		.amdhsa_float_denorm_mode_32 3
		.amdhsa_float_denorm_mode_16_64 3
		.amdhsa_dx10_clamp 1
		.amdhsa_ieee_mode 1
		.amdhsa_fp16_overflow 0
		.amdhsa_tg_split 0
		.amdhsa_exception_fp_ieee_invalid_op 0
		.amdhsa_exception_fp_denorm_src 0
		.amdhsa_exception_fp_ieee_div_zero 0
		.amdhsa_exception_fp_ieee_overflow 0
		.amdhsa_exception_fp_ieee_underflow 0
		.amdhsa_exception_fp_ieee_inexact 0
		.amdhsa_exception_int_div_zero 0
	.end_amdhsa_kernel
	.section	.text._ZL20rocblas_gemvt_kernelILb1ELi256EPKfS1_KPfEviiT2_lPKT1_lilS7_lilS4_lPT3_lili,"axG",@progbits,_ZL20rocblas_gemvt_kernelILb1ELi256EPKfS1_KPfEviiT2_lPKT1_lilS7_lilS4_lPT3_lili,comdat
.Lfunc_end234:
	.size	_ZL20rocblas_gemvt_kernelILb1ELi256EPKfS1_KPfEviiT2_lPKT1_lilS7_lilS4_lPT3_lili, .Lfunc_end234-_ZL20rocblas_gemvt_kernelILb1ELi256EPKfS1_KPfEviiT2_lPKT1_lilS7_lilS4_lPT3_lili
                                        ; -- End function
	.section	.AMDGPU.csdata,"",@progbits
; Kernel info:
; codeLenInByte = 1240
; NumSgprs: 29
; NumVgprs: 10
; NumAgprs: 0
; TotalNumVgprs: 10
; ScratchSize: 0
; MemoryBound: 0
; FloatMode: 240
; IeeeMode: 1
; LDSByteSize: 1024 bytes/workgroup (compile time only)
; SGPRBlocks: 3
; VGPRBlocks: 1
; NumSGPRsForWavesPerEU: 29
; NumVGPRsForWavesPerEU: 10
; AccumOffset: 12
; Occupancy: 8
; WaveLimiterHint : 1
; COMPUTE_PGM_RSRC2:SCRATCH_EN: 0
; COMPUTE_PGM_RSRC2:USER_SGPR: 2
; COMPUTE_PGM_RSRC2:TRAP_HANDLER: 0
; COMPUTE_PGM_RSRC2:TGID_X_EN: 1
; COMPUTE_PGM_RSRC2:TGID_Y_EN: 0
; COMPUTE_PGM_RSRC2:TGID_Z_EN: 1
; COMPUTE_PGM_RSRC2:TIDIG_COMP_CNT: 0
; COMPUTE_PGM_RSRC3_GFX90A:ACCUM_OFFSET: 2
; COMPUTE_PGM_RSRC3_GFX90A:TG_SPLIT: 0
	.section	.text._ZL20rocblas_gemvt_kernelILb1ELi256EPKffKPfEviiT2_lPKT1_lilS7_lilS4_lPT3_lili,"axG",@progbits,_ZL20rocblas_gemvt_kernelILb1ELi256EPKffKPfEviiT2_lPKT1_lilS7_lilS4_lPT3_lili,comdat
	.globl	_ZL20rocblas_gemvt_kernelILb1ELi256EPKffKPfEviiT2_lPKT1_lilS7_lilS4_lPT3_lili ; -- Begin function _ZL20rocblas_gemvt_kernelILb1ELi256EPKffKPfEviiT2_lPKT1_lilS7_lilS4_lPT3_lili
	.p2align	8
	.type	_ZL20rocblas_gemvt_kernelILb1ELi256EPKffKPfEviiT2_lPKT1_lilS7_lilS4_lPT3_lili,@function
_ZL20rocblas_gemvt_kernelILb1ELi256EPKffKPfEviiT2_lPKT1_lilS7_lilS4_lPT3_lili: ; @_ZL20rocblas_gemvt_kernelILb1ELi256EPKffKPfEviiT2_lPKT1_lilS7_lilS4_lPT3_lili
; %bb.0:
	s_mov_b32 s12, s3
	s_load_dword s18, s[0:1], 0x8
	s_load_dword s3, s[0:1], 0x58
	s_waitcnt lgkmcnt(0)
	v_cmp_eq_f32_e64 s[4:5], s18, 0
	v_cmp_eq_f32_e64 s[6:7], s3, 1.0
	s_and_b64 s[6:7], s[4:5], s[6:7]
	s_and_b64 vcc, exec, s[6:7]
	s_cbranch_vccnz .LBB235_42
; %bb.1:
	v_cmp_neq_f32_e64 s[8:9], s18, 0
	s_mov_b32 s13, 0
	s_and_b64 vcc, exec, s[8:9]
	s_cbranch_vccnz .LBB235_3
; %bb.2:
	s_mov_b64 s[10:11], 0
	s_cbranch_execz .LBB235_4
	s_branch .LBB235_5
.LBB235_3:
                                        ; implicit-def: $sgpr10_sgpr11
.LBB235_4:
	s_load_dwordx4 s[20:23], s[0:1], 0x18
	s_lshl_b64 s[6:7], s[12:13], 3
	s_waitcnt lgkmcnt(0)
	s_add_u32 s6, s20, s6
	s_addc_u32 s7, s21, s7
	s_load_dwordx2 s[6:7], s[6:7], 0x0
	s_lshl_b64 s[10:11], s[22:23], 2
	s_waitcnt lgkmcnt(0)
	s_add_u32 s10, s6, s10
	s_addc_u32 s11, s7, s11
.LBB235_5:
	s_mov_b64 s[6:7], 0
	s_andn2_b64 vcc, exec, s[8:9]
	s_mov_b64 s[8:9], 0
	s_cbranch_vccnz .LBB235_7
; %bb.6:
	s_load_dwordx4 s[20:23], s[0:1], 0x38
	s_lshl_b64 s[8:9], s[12:13], 3
	s_waitcnt lgkmcnt(0)
	s_add_u32 s8, s20, s8
	s_addc_u32 s9, s21, s9
	s_load_dwordx2 s[8:9], s[8:9], 0x0
	s_lshl_b64 s[14:15], s[22:23], 2
	s_waitcnt lgkmcnt(0)
	s_add_u32 s8, s8, s14
	s_addc_u32 s9, s9, s15
.LBB235_7:
	s_load_dwordx4 s[24:27], s[0:1], 0x68
	s_load_dword s21, s[0:1], 0x78
	s_lshl_b64 s[12:13], s[12:13], 3
	s_waitcnt lgkmcnt(0)
	s_add_u32 s12, s24, s12
	s_addc_u32 s13, s25, s13
	s_load_dwordx2 s[12:13], s[12:13], 0x0
	s_lshl_b64 s[14:15], s[26:27], 2
	s_waitcnt lgkmcnt(0)
	s_add_u32 s19, s12, s14
	s_addc_u32 s20, s13, s15
	s_andn2_b64 vcc, exec, s[4:5]
	v_cmp_eq_u32_e64 s[4:5], 0, v0
	s_cbranch_vccnz .LBB235_12
; %bb.8:
	s_mov_b64 s[14:15], 0
                                        ; implicit-def: $vgpr1
                                        ; implicit-def: $sgpr12_sgpr13
	s_and_saveexec_b64 s[16:17], s[4:5]
	s_cbranch_execz .LBB235_13
; %bb.9:
	v_cmp_eq_f32_e64 s[4:5], s3, 0
	v_mov_b32_e32 v1, 0
	s_mul_hi_i32 s13, s21, s2
	s_mul_i32 s12, s21, s2
	s_and_b64 vcc, exec, s[4:5]
	s_cbranch_vccnz .LBB235_11
; %bb.10:
	s_lshl_b64 s[4:5], s[12:13], 2
	s_add_u32 s4, s19, s4
	s_addc_u32 s5, s20, s5
	s_load_dword s4, s[4:5], 0x0
	v_mov_b32_e32 v1, s3
	s_waitcnt lgkmcnt(0)
	v_mul_f32_e32 v1, s4, v1
.LBB235_11:
	s_mov_b64 s[6:7], exec
	s_or_b64 exec, exec, s[16:17]
	s_and_b64 vcc, exec, s[14:15]
	s_cbranch_vccnz .LBB235_14
	s_branch .LBB235_40
.LBB235_12:
                                        ; implicit-def: $vgpr1
                                        ; implicit-def: $sgpr12_sgpr13
	s_cbranch_execnz .LBB235_14
	s_branch .LBB235_40
.LBB235_13:
	s_or_b64 exec, exec, s[16:17]
	s_and_b64 vcc, exec, s[14:15]
	s_cbranch_vccz .LBB235_40
.LBB235_14:
	s_load_dword s14, s[0:1], 0x0
	s_load_dword s5, s[0:1], 0x28
	s_load_dword s4, s[0:1], 0x48
	v_mov_b32_e32 v3, 0
	s_mov_b32 s1, 0
	s_waitcnt lgkmcnt(0)
	v_cmp_gt_i32_e32 vcc, s14, v0
	s_mul_hi_i32 s13, s5, s2
	s_mul_i32 s12, s5, s2
	s_lshl_b64 s[12:13], s[12:13], 2
	s_add_u32 s10, s12, s10
	s_addc_u32 s11, s13, s11
	s_ashr_i32 s0, s14, 31
	s_lshr_b32 s0, s0, 24
	v_cndmask_b32_e32 v1, 0, v0, vcc
	s_add_i32 s0, s14, s0
	v_lshlrev_b32_e32 v2, 2, v1
	s_and_b32 s0, s0, 0xffffff00
	s_cmpk_lt_i32 s14, 0x100
	v_lshl_add_u64 v[4:5], s[10:11], 0, v[2:3]
	s_cbranch_scc1 .LBB235_17
; %bb.15:
	s_ashr_i32 s5, s4, 31
	v_mad_i64_i32 v[2:3], s[10:11], s4, v0, 0
	v_lshl_add_u64 v[6:7], v[2:3], 2, s[8:9]
	s_lshl_b64 s[10:11], s[4:5], 10
	v_mov_b32_e32 v3, 0
	s_mov_b64 s[12:13], 0x400
	v_mov_b64_e32 v[8:9], v[4:5]
.LBB235_16:                             ; =>This Inner Loop Header: Depth=1
	flat_load_dword v1, v[8:9]
	flat_load_dword v2, v[6:7]
	s_addk_i32 s1, 0x100
	v_lshl_add_u64 v[6:7], v[6:7], 0, s[10:11]
	v_lshl_add_u64 v[8:9], v[8:9], 0, s[12:13]
	s_cmp_ge_i32 s1, s0
	s_waitcnt vmcnt(0) lgkmcnt(0)
	v_fmac_f32_e32 v3, v1, v2
	s_cbranch_scc0 .LBB235_16
.LBB235_17:
	v_add_u32_e32 v1, s0, v0
	v_cmp_gt_i32_e32 vcc, s14, v1
	s_and_saveexec_b64 s[10:11], vcc
	s_cbranch_execz .LBB235_19
; %bb.18:
	s_ashr_i32 s1, s0, 31
	v_lshl_add_u64 v[4:5], s[0:1], 2, v[4:5]
	flat_load_dword v2, v[4:5]
	v_mad_i64_i32 v[4:5], s[0:1], s4, v1, 0
	v_lshl_add_u64 v[4:5], v[4:5], 2, s[8:9]
	flat_load_dword v1, v[4:5]
	s_waitcnt vmcnt(0) lgkmcnt(0)
	v_fmac_f32_e32 v3, v2, v1
.LBB235_19:
	s_or_b64 exec, exec, s[10:11]
	s_movk_i32 s0, 0x80
	v_lshlrev_b32_e32 v1, 2, v0
	v_cmp_gt_u32_e32 vcc, s0, v0
	ds_write_b32 v1, v3
	s_waitcnt lgkmcnt(0)
	s_barrier
	s_and_saveexec_b64 s[0:1], vcc
	s_cbranch_execz .LBB235_21
; %bb.20:
	ds_read2st64_b32 v[2:3], v1 offset1:2
	s_waitcnt lgkmcnt(0)
	v_add_f32_e32 v2, v3, v2
	ds_write_b32 v1, v2
.LBB235_21:
	s_or_b64 exec, exec, s[0:1]
	v_cmp_gt_u32_e32 vcc, 64, v0
	s_waitcnt lgkmcnt(0)
	s_barrier
	s_and_saveexec_b64 s[0:1], vcc
	s_cbranch_execz .LBB235_23
; %bb.22:
	ds_read2st64_b32 v[2:3], v1 offset1:1
	s_waitcnt lgkmcnt(0)
	v_add_f32_e32 v2, v3, v2
	ds_write_b32 v1, v2
.LBB235_23:
	s_or_b64 exec, exec, s[0:1]
	v_cmp_gt_u32_e32 vcc, 32, v0
	s_waitcnt lgkmcnt(0)
	s_barrier
	s_and_saveexec_b64 s[0:1], vcc
	s_cbranch_execz .LBB235_25
; %bb.24:
	ds_read2_b32 v[2:3], v1 offset1:32
	s_waitcnt lgkmcnt(0)
	v_add_f32_e32 v2, v3, v2
	ds_write_b32 v1, v2
.LBB235_25:
	s_or_b64 exec, exec, s[0:1]
	v_cmp_gt_u32_e32 vcc, 16, v0
	s_waitcnt lgkmcnt(0)
	s_barrier
	s_and_saveexec_b64 s[0:1], vcc
	s_cbranch_execz .LBB235_27
; %bb.26:
	ds_read2_b32 v[2:3], v1 offset1:16
	s_waitcnt lgkmcnt(0)
	v_add_f32_e32 v2, v3, v2
	ds_write_b32 v1, v2
.LBB235_27:
	;; [unrolled: 12-line block ×5, first 2 shown]
	s_or_b64 exec, exec, s[0:1]
	v_cmp_eq_u32_e32 vcc, 0, v0
	s_waitcnt lgkmcnt(0)
	s_barrier
	s_and_saveexec_b64 s[0:1], vcc
	s_cbranch_execz .LBB235_35
; %bb.34:
	v_mov_b32_e32 v2, 0
	ds_read_b64 v[0:1], v2
	s_waitcnt lgkmcnt(0)
	v_add_f32_e32 v0, v1, v0
	ds_write_b32 v2, v0
.LBB235_35:
	s_or_b64 exec, exec, s[0:1]
	s_waitcnt lgkmcnt(0)
	s_barrier
	s_waitcnt lgkmcnt(0)
                                        ; implicit-def: $vgpr1
                                        ; implicit-def: $sgpr12_sgpr13
	s_and_saveexec_b64 s[0:1], vcc
	s_cbranch_execz .LBB235_39
; %bb.36:
	v_mov_b32_e32 v0, 0
	ds_read_b32 v0, v0
	v_cmp_eq_f32_e64 s[4:5], s3, 0
	s_mul_hi_i32 s13, s21, s2
	s_mul_i32 s12, s21, s2
	s_and_b64 vcc, exec, s[4:5]
	s_waitcnt lgkmcnt(0)
	v_mul_f32_e32 v1, s18, v0
	s_cbranch_vccnz .LBB235_38
; %bb.37:
	s_lshl_b64 s[4:5], s[12:13], 2
	s_add_u32 s4, s19, s4
	s_addc_u32 s5, s20, s5
	s_load_dword s2, s[4:5], 0x0
	v_mov_b32_e32 v0, s3
	s_waitcnt lgkmcnt(0)
	v_fmac_f32_e32 v1, s2, v0
.LBB235_38:
	s_or_b64 s[6:7], s[6:7], exec
.LBB235_39:
	s_or_b64 exec, exec, s[0:1]
.LBB235_40:
	s_and_saveexec_b64 s[0:1], s[6:7]
	s_cbranch_execz .LBB235_42
; %bb.41:
	s_lshl_b64 s[0:1], s[12:13], 2
	s_add_u32 s0, s19, s0
	s_addc_u32 s1, s20, s1
	v_mov_b32_e32 v0, 0
	global_store_dword v0, v1, s[0:1]
.LBB235_42:
	s_endpgm
	.section	.rodata,"a",@progbits
	.p2align	6, 0x0
	.amdhsa_kernel _ZL20rocblas_gemvt_kernelILb1ELi256EPKffKPfEviiT2_lPKT1_lilS7_lilS4_lPT3_lili
		.amdhsa_group_segment_fixed_size 1024
		.amdhsa_private_segment_fixed_size 0
		.amdhsa_kernarg_size 140
		.amdhsa_user_sgpr_count 2
		.amdhsa_user_sgpr_dispatch_ptr 0
		.amdhsa_user_sgpr_queue_ptr 0
		.amdhsa_user_sgpr_kernarg_segment_ptr 1
		.amdhsa_user_sgpr_dispatch_id 0
		.amdhsa_user_sgpr_kernarg_preload_length 0
		.amdhsa_user_sgpr_kernarg_preload_offset 0
		.amdhsa_user_sgpr_private_segment_size 0
		.amdhsa_uses_dynamic_stack 0
		.amdhsa_enable_private_segment 0
		.amdhsa_system_sgpr_workgroup_id_x 1
		.amdhsa_system_sgpr_workgroup_id_y 0
		.amdhsa_system_sgpr_workgroup_id_z 1
		.amdhsa_system_sgpr_workgroup_info 0
		.amdhsa_system_vgpr_workitem_id 0
		.amdhsa_next_free_vgpr 10
		.amdhsa_next_free_sgpr 28
		.amdhsa_accum_offset 12
		.amdhsa_reserve_vcc 1
		.amdhsa_float_round_mode_32 0
		.amdhsa_float_round_mode_16_64 0
		.amdhsa_float_denorm_mode_32 3
		.amdhsa_float_denorm_mode_16_64 3
		.amdhsa_dx10_clamp 1
		.amdhsa_ieee_mode 1
		.amdhsa_fp16_overflow 0
		.amdhsa_tg_split 0
		.amdhsa_exception_fp_ieee_invalid_op 0
		.amdhsa_exception_fp_denorm_src 0
		.amdhsa_exception_fp_ieee_div_zero 0
		.amdhsa_exception_fp_ieee_overflow 0
		.amdhsa_exception_fp_ieee_underflow 0
		.amdhsa_exception_fp_ieee_inexact 0
		.amdhsa_exception_int_div_zero 0
	.end_amdhsa_kernel
	.section	.text._ZL20rocblas_gemvt_kernelILb1ELi256EPKffKPfEviiT2_lPKT1_lilS7_lilS4_lPT3_lili,"axG",@progbits,_ZL20rocblas_gemvt_kernelILb1ELi256EPKffKPfEviiT2_lPKT1_lilS7_lilS4_lPT3_lili,comdat
.Lfunc_end235:
	.size	_ZL20rocblas_gemvt_kernelILb1ELi256EPKffKPfEviiT2_lPKT1_lilS7_lilS4_lPT3_lili, .Lfunc_end235-_ZL20rocblas_gemvt_kernelILb1ELi256EPKffKPfEviiT2_lPKT1_lilS7_lilS4_lPT3_lili
                                        ; -- End function
	.section	.AMDGPU.csdata,"",@progbits
; Kernel info:
; codeLenInByte = 1192
; NumSgprs: 34
; NumVgprs: 10
; NumAgprs: 0
; TotalNumVgprs: 10
; ScratchSize: 0
; MemoryBound: 0
; FloatMode: 240
; IeeeMode: 1
; LDSByteSize: 1024 bytes/workgroup (compile time only)
; SGPRBlocks: 4
; VGPRBlocks: 1
; NumSGPRsForWavesPerEU: 34
; NumVGPRsForWavesPerEU: 10
; AccumOffset: 12
; Occupancy: 8
; WaveLimiterHint : 1
; COMPUTE_PGM_RSRC2:SCRATCH_EN: 0
; COMPUTE_PGM_RSRC2:USER_SGPR: 2
; COMPUTE_PGM_RSRC2:TRAP_HANDLER: 0
; COMPUTE_PGM_RSRC2:TGID_X_EN: 1
; COMPUTE_PGM_RSRC2:TGID_Y_EN: 0
; COMPUTE_PGM_RSRC2:TGID_Z_EN: 1
; COMPUTE_PGM_RSRC2:TIDIG_COMP_CNT: 0
; COMPUTE_PGM_RSRC3_GFX90A:ACCUM_OFFSET: 2
; COMPUTE_PGM_RSRC3_GFX90A:TG_SPLIT: 0
	.section	.text._ZL32rocblas_gemvt_warp_reduce_kernelILb1ELi1024EiPKfS1_KPfEviiT3_lPKT2_lT1_lS7_lS8_lS4_lPT4_lS8_li,"axG",@progbits,_ZL32rocblas_gemvt_warp_reduce_kernelILb1ELi1024EiPKfS1_KPfEviiT3_lPKT2_lT1_lS7_lS8_lS4_lPT4_lS8_li,comdat
	.globl	_ZL32rocblas_gemvt_warp_reduce_kernelILb1ELi1024EiPKfS1_KPfEviiT3_lPKT2_lT1_lS7_lS8_lS4_lPT4_lS8_li ; -- Begin function _ZL32rocblas_gemvt_warp_reduce_kernelILb1ELi1024EiPKfS1_KPfEviiT3_lPKT2_lT1_lS7_lS8_lS4_lPT4_lS8_li
	.p2align	8
	.type	_ZL32rocblas_gemvt_warp_reduce_kernelILb1ELi1024EiPKfS1_KPfEviiT3_lPKT2_lT1_lS7_lS8_lS4_lPT4_lS8_li,@function
_ZL32rocblas_gemvt_warp_reduce_kernelILb1ELi1024EiPKfS1_KPfEviiT3_lPKT2_lT1_lS7_lS8_lS4_lPT4_lS8_li: ; @_ZL32rocblas_gemvt_warp_reduce_kernelILb1ELi1024EiPKfS1_KPfEviiT3_lPKT2_lT1_lS7_lS8_lS4_lPT4_lS8_li
; %bb.0:
	s_load_dwordx8 s[12:19], s[0:1], 0x8
	s_load_dwordx8 s[4:11], s[0:1], 0x58
	s_mov_b32 s20, s3
	s_waitcnt lgkmcnt(0)
	s_mul_i32 s3, s3, s15
	s_mul_hi_u32 s15, s20, s14
	s_add_i32 s15, s15, s3
	s_mul_i32 s14, s20, s14
	s_lshl_b64 s[14:15], s[14:15], 2
	s_add_u32 s12, s12, s14
	s_mul_i32 s3, s20, s7
	s_mul_hi_u32 s7, s20, s6
	s_addc_u32 s13, s13, s15
	s_add_i32 s7, s7, s3
	s_mul_i32 s6, s20, s6
	s_lshl_b64 s[6:7], s[6:7], 2
	s_add_u32 s4, s4, s6
	s_addc_u32 s5, s5, s7
	s_load_dword s22, s[12:13], 0x0
	s_load_dword s3, s[4:5], 0x0
	s_waitcnt lgkmcnt(0)
	v_cmp_eq_f32_e64 s[4:5], s22, 0
	v_cmp_eq_f32_e64 s[6:7], s3, 1.0
	s_and_b64 s[6:7], s[4:5], s[6:7]
	s_and_b64 vcc, exec, s[6:7]
	s_cbranch_vccnz .LBB236_33
; %bb.1:
	s_mov_b32 s21, 0
	v_cmp_neq_f32_e64 s[6:7], s22, 0
	s_mov_b64 s[12:13], 0
	s_and_b64 vcc, exec, s[4:5]
	s_mov_b64 s[14:15], 0
	s_cbranch_vccnz .LBB236_3
; %bb.2:
	s_lshl_b64 s[14:15], s[20:21], 3
	s_add_u32 s14, s16, s14
	s_addc_u32 s15, s17, s15
	s_load_dwordx2 s[14:15], s[14:15], 0x0
	s_lshl_b64 s[16:17], s[18:19], 2
	s_waitcnt lgkmcnt(0)
	s_add_u32 s14, s14, s16
	s_addc_u32 s15, s15, s17
.LBB236_3:
	s_andn2_b64 vcc, exec, s[6:7]
	s_cbranch_vccnz .LBB236_5
; %bb.4:
	s_load_dwordx4 s[16:19], s[0:1], 0x38
	s_lshl_b64 s[6:7], s[20:21], 3
	s_waitcnt lgkmcnt(0)
	s_add_u32 s6, s16, s6
	s_addc_u32 s7, s17, s7
	s_load_dwordx2 s[6:7], s[6:7], 0x0
	s_lshl_b64 s[12:13], s[18:19], 2
	s_waitcnt lgkmcnt(0)
	s_add_u32 s12, s6, s12
	s_addc_u32 s13, s7, s13
.LBB236_5:
	s_lshl_b64 s[6:7], s[20:21], 3
	s_add_u32 s6, s8, s6
	s_addc_u32 s7, s9, s7
	s_load_dwordx2 s[8:9], s[6:7], 0x0
	s_load_dword s20, s[0:1], 0x78
	s_lshl_b64 s[6:7], s[10:11], 2
	s_waitcnt lgkmcnt(0)
	s_add_u32 s18, s8, s6
	s_addc_u32 s19, s9, s7
	s_andn2_b64 vcc, exec, s[4:5]
	v_cmp_eq_u32_e64 s[4:5], 0, v0
	s_cbranch_vccnz .LBB236_10
; %bb.6:
	s_mov_b64 s[10:11], 0
	s_mov_b64 s[6:7], 0
                                        ; implicit-def: $vgpr1
                                        ; implicit-def: $sgpr8_sgpr9
	s_and_saveexec_b64 s[16:17], s[4:5]
	s_cbranch_execz .LBB236_11
; %bb.7:
	v_cmp_eq_f32_e64 s[4:5], s3, 0
	s_mul_i32 s8, s2, s20
	v_mov_b32_e32 v1, 0
	s_ashr_i32 s9, s8, 31
	s_and_b64 vcc, exec, s[4:5]
	s_cbranch_vccnz .LBB236_9
; %bb.8:
	s_lshl_b64 s[4:5], s[8:9], 2
	s_add_u32 s4, s18, s4
	s_addc_u32 s5, s19, s5
	s_load_dword s4, s[4:5], 0x0
	s_waitcnt lgkmcnt(0)
	v_mov_b32_e32 v1, s4
	v_mul_f32_e32 v1, s3, v1
.LBB236_9:
	s_mov_b64 s[6:7], exec
	s_or_b64 exec, exec, s[16:17]
	s_and_b64 vcc, exec, s[10:11]
	s_cbranch_vccnz .LBB236_12
	s_branch .LBB236_31
.LBB236_10:
	s_mov_b64 s[6:7], 0
                                        ; implicit-def: $vgpr1
                                        ; implicit-def: $sgpr8_sgpr9
	s_cbranch_execnz .LBB236_12
	s_branch .LBB236_31
.LBB236_11:
	s_or_b64 exec, exec, s[16:17]
	s_and_b64 vcc, exec, s[10:11]
	s_cbranch_vccz .LBB236_31
.LBB236_12:
	s_load_dword s17, s[0:1], 0x0
	s_load_dword s4, s[0:1], 0x28
	;; [unrolled: 1-line block ×3, first 2 shown]
	v_mov_b32_e32 v3, 0
	s_waitcnt lgkmcnt(0)
	v_cmp_gt_i32_e32 vcc, s17, v0
	s_mul_i32 s0, s2, s4
	s_ashr_i32 s1, s0, 31
	s_lshl_b64 s[0:1], s[0:1], 2
	v_cndmask_b32_e32 v1, 0, v0, vcc
	s_add_u32 s0, s0, s14
	v_lshlrev_b32_e32 v2, 2, v1
	s_addc_u32 s1, s1, s15
	v_lshl_add_u64 v[4:5], s[0:1], 0, v[2:3]
	s_ashr_i32 s0, s17, 31
	s_lshr_b32 s0, s0, 22
	s_add_i32 s0, s17, s0
	s_and_b32 s0, s0, 0xfffffc00
	v_cmp_gt_i32_e32 vcc, s0, v0
	s_and_saveexec_b64 s[4:5], vcc
	s_cbranch_execz .LBB236_16
; %bb.13:
	v_mul_lo_u32 v6, v0, s16
	s_lshl_b32 s1, s16, 10
	s_mov_b64 s[8:9], 0
	v_mov_b32_e32 v3, 0
	s_mov_b64 s[10:11], 0x1000
	v_mov_b64_e32 v[8:9], v[4:5]
	v_mov_b32_e32 v1, v0
.LBB236_14:                             ; =>This Inner Loop Header: Depth=1
	v_ashrrev_i32_e32 v7, 31, v6
	v_lshl_add_u64 v[10:11], v[6:7], 2, s[12:13]
	flat_load_dword v2, v[8:9]
	flat_load_dword v7, v[10:11]
	v_add_u32_e32 v1, 0x400, v1
	v_cmp_le_i32_e32 vcc, s0, v1
	v_lshl_add_u64 v[8:9], v[8:9], 0, s[10:11]
	v_add_u32_e32 v6, s1, v6
	s_or_b64 s[8:9], vcc, s[8:9]
	s_waitcnt vmcnt(0) lgkmcnt(0)
	v_fmac_f32_e32 v3, v2, v7
	s_andn2_b64 exec, exec, s[8:9]
	s_cbranch_execnz .LBB236_14
; %bb.15:
	s_or_b64 exec, exec, s[8:9]
.LBB236_16:
	s_or_b64 exec, exec, s[4:5]
	v_or_b32_e32 v1, s0, v0
	v_cmp_gt_i32_e32 vcc, s17, v1
	s_and_saveexec_b64 s[4:5], vcc
	s_cbranch_execz .LBB236_18
; %bb.17:
	s_ashr_i32 s1, s0, 31
	v_lshl_add_u64 v[4:5], s[0:1], 2, v[4:5]
	flat_load_dword v2, v[4:5]
	v_mul_lo_u32 v4, v1, s16
	v_ashrrev_i32_e32 v5, 31, v4
	v_lshl_add_u64 v[4:5], v[4:5], 2, s[12:13]
	flat_load_dword v1, v[4:5]
	s_waitcnt vmcnt(0) lgkmcnt(0)
	v_fmac_f32_e32 v3, v2, v1
.LBB236_18:
	s_or_b64 exec, exec, s[4:5]
	v_and_b32_e32 v2, 63, v0
	v_cmp_gt_u32_e32 vcc, 64, v0
	v_lshlrev_b32_e32 v1, 2, v2
	s_and_saveexec_b64 s[0:1], vcc
	s_cbranch_execz .LBB236_20
; %bb.19:
	v_mov_b32_e32 v4, 0
	ds_write_b32 v1, v4
.LBB236_20:
	s_or_b64 exec, exec, s[0:1]
	v_mbcnt_lo_u32_b32 v4, -1, 0
	v_mbcnt_hi_u32_b32 v6, -1, v4
	v_and_b32_e32 v7, 63, v6
	v_cmp_gt_u32_e64 s[0:1], 32, v7
	s_waitcnt lgkmcnt(0)
	s_barrier
	v_cndmask_b32_e64 v4, 0, 1, s[0:1]
	v_lshlrev_b32_e32 v4, 5, v4
	v_add_lshl_u32 v4, v4, v6, 2
	ds_bpermute_b32 v4, v4, v3
	v_cmp_gt_u32_e64 s[0:1], 48, v7
	s_waitcnt lgkmcnt(0)
	v_add_f32_e32 v3, v3, v4
	v_cndmask_b32_e64 v5, 0, 1, s[0:1]
	v_lshlrev_b32_e32 v5, 4, v5
	v_add_lshl_u32 v4, v5, v6, 2
	ds_bpermute_b32 v4, v4, v3
	v_cmp_gt_u32_e64 s[0:1], 56, v7
	s_waitcnt lgkmcnt(0)
	v_add_f32_e32 v4, v3, v4
	;; [unrolled: 7-line block ×4, first 2 shown]
	v_cndmask_b32_e64 v9, 0, 1, s[0:1]
	v_lshlrev_b32_e32 v9, 1, v9
	v_add_lshl_u32 v5, v9, v6, 2
	ds_bpermute_b32 v9, v5, v8
	v_cmp_ne_u32_e64 s[0:1], 63, v7
	s_waitcnt lgkmcnt(0)
	v_add_f32_e32 v7, v8, v9
	v_addc_co_u32_e64 v6, s[0:1], 0, v6, s[0:1]
	v_lshlrev_b32_e32 v6, 2, v6
	ds_bpermute_b32 v8, v6, v7
	v_cmp_eq_u32_e64 s[0:1], 0, v2
	s_and_saveexec_b64 s[4:5], s[0:1]
	s_cbranch_execz .LBB236_22
; %bb.21:
	v_lshrrev_b32_e32 v2, 4, v0
	v_and_b32_e32 v2, 60, v2
	s_waitcnt lgkmcnt(0)
	v_add_f32_e32 v7, v7, v8
	ds_write_b32 v2, v7
.LBB236_22:
	s_or_b64 exec, exec, s[4:5]
	v_cmp_gt_u32_e64 s[0:1], 16, v0
	v_mov_b32_e32 v2, 0
	s_waitcnt lgkmcnt(0)
	s_barrier
	s_and_saveexec_b64 s[4:5], s[0:1]
	s_cbranch_execz .LBB236_24
; %bb.23:
	ds_read_b32 v2, v1
	s_or_b64 exec, exec, s[4:5]
	s_and_saveexec_b64 s[0:1], vcc
	s_cbranch_execz .LBB236_26
	s_branch .LBB236_25
.LBB236_24:
	s_or_b64 exec, exec, s[4:5]
	s_and_saveexec_b64 s[0:1], vcc
	s_cbranch_execz .LBB236_26
.LBB236_25:
	s_waitcnt lgkmcnt(0)
	ds_bpermute_b32 v1, v3, v2
	s_waitcnt lgkmcnt(0)
	v_add_f32_e32 v1, v2, v1
	ds_bpermute_b32 v2, v4, v1
	s_waitcnt lgkmcnt(0)
	v_add_f32_e32 v1, v1, v2
	;; [unrolled: 3-line block ×4, first 2 shown]
.LBB236_26:
	s_or_b64 exec, exec, s[0:1]
	v_cmp_eq_u32_e32 vcc, 0, v0
                                        ; implicit-def: $vgpr1
                                        ; implicit-def: $sgpr8_sgpr9
	s_and_saveexec_b64 s[0:1], vcc
	s_cbranch_execz .LBB236_30
; %bb.27:
	v_cmp_eq_f32_e64 s[4:5], s3, 0
	s_mul_i32 s8, s2, s20
	s_waitcnt lgkmcnt(0)
	v_mul_f32_e32 v1, s22, v2
	s_ashr_i32 s9, s8, 31
	s_and_b64 vcc, exec, s[4:5]
	s_cbranch_vccnz .LBB236_29
; %bb.28:
	s_lshl_b64 s[4:5], s[8:9], 2
	s_add_u32 s4, s18, s4
	s_addc_u32 s5, s19, s5
	s_load_dword s2, s[4:5], 0x0
	s_waitcnt lgkmcnt(0)
	v_mov_b32_e32 v0, s2
	v_fmac_f32_e32 v1, s3, v0
.LBB236_29:
	s_or_b64 s[6:7], s[6:7], exec
.LBB236_30:
	s_or_b64 exec, exec, s[0:1]
.LBB236_31:
	s_and_saveexec_b64 s[0:1], s[6:7]
	s_cbranch_execz .LBB236_33
; %bb.32:
	s_lshl_b64 s[0:1], s[8:9], 2
	s_add_u32 s0, s18, s0
	s_addc_u32 s1, s19, s1
	v_mov_b32_e32 v0, 0
	global_store_dword v0, v1, s[0:1]
.LBB236_33:
	s_endpgm
	.section	.rodata,"a",@progbits
	.p2align	6, 0x0
	.amdhsa_kernel _ZL32rocblas_gemvt_warp_reduce_kernelILb1ELi1024EiPKfS1_KPfEviiT3_lPKT2_lT1_lS7_lS8_lS4_lPT4_lS8_li
		.amdhsa_group_segment_fixed_size 256
		.amdhsa_private_segment_fixed_size 0
		.amdhsa_kernarg_size 140
		.amdhsa_user_sgpr_count 2
		.amdhsa_user_sgpr_dispatch_ptr 0
		.amdhsa_user_sgpr_queue_ptr 0
		.amdhsa_user_sgpr_kernarg_segment_ptr 1
		.amdhsa_user_sgpr_dispatch_id 0
		.amdhsa_user_sgpr_kernarg_preload_length 0
		.amdhsa_user_sgpr_kernarg_preload_offset 0
		.amdhsa_user_sgpr_private_segment_size 0
		.amdhsa_uses_dynamic_stack 0
		.amdhsa_enable_private_segment 0
		.amdhsa_system_sgpr_workgroup_id_x 1
		.amdhsa_system_sgpr_workgroup_id_y 0
		.amdhsa_system_sgpr_workgroup_id_z 1
		.amdhsa_system_sgpr_workgroup_info 0
		.amdhsa_system_vgpr_workitem_id 0
		.amdhsa_next_free_vgpr 12
		.amdhsa_next_free_sgpr 23
		.amdhsa_accum_offset 12
		.amdhsa_reserve_vcc 1
		.amdhsa_float_round_mode_32 0
		.amdhsa_float_round_mode_16_64 0
		.amdhsa_float_denorm_mode_32 3
		.amdhsa_float_denorm_mode_16_64 3
		.amdhsa_dx10_clamp 1
		.amdhsa_ieee_mode 1
		.amdhsa_fp16_overflow 0
		.amdhsa_tg_split 0
		.amdhsa_exception_fp_ieee_invalid_op 0
		.amdhsa_exception_fp_denorm_src 0
		.amdhsa_exception_fp_ieee_div_zero 0
		.amdhsa_exception_fp_ieee_overflow 0
		.amdhsa_exception_fp_ieee_underflow 0
		.amdhsa_exception_fp_ieee_inexact 0
		.amdhsa_exception_int_div_zero 0
	.end_amdhsa_kernel
	.section	.text._ZL32rocblas_gemvt_warp_reduce_kernelILb1ELi1024EiPKfS1_KPfEviiT3_lPKT2_lT1_lS7_lS8_lS4_lPT4_lS8_li,"axG",@progbits,_ZL32rocblas_gemvt_warp_reduce_kernelILb1ELi1024EiPKfS1_KPfEviiT3_lPKT2_lT1_lS7_lS8_lS4_lPT4_lS8_li,comdat
.Lfunc_end236:
	.size	_ZL32rocblas_gemvt_warp_reduce_kernelILb1ELi1024EiPKfS1_KPfEviiT3_lPKT2_lT1_lS7_lS8_lS4_lPT4_lS8_li, .Lfunc_end236-_ZL32rocblas_gemvt_warp_reduce_kernelILb1ELi1024EiPKfS1_KPfEviiT3_lPKT2_lT1_lS7_lS8_lS4_lPT4_lS8_li
                                        ; -- End function
	.section	.AMDGPU.csdata,"",@progbits
; Kernel info:
; codeLenInByte = 1336
; NumSgprs: 29
; NumVgprs: 12
; NumAgprs: 0
; TotalNumVgprs: 12
; ScratchSize: 0
; MemoryBound: 0
; FloatMode: 240
; IeeeMode: 1
; LDSByteSize: 256 bytes/workgroup (compile time only)
; SGPRBlocks: 3
; VGPRBlocks: 1
; NumSGPRsForWavesPerEU: 29
; NumVGPRsForWavesPerEU: 12
; AccumOffset: 12
; Occupancy: 8
; WaveLimiterHint : 1
; COMPUTE_PGM_RSRC2:SCRATCH_EN: 0
; COMPUTE_PGM_RSRC2:USER_SGPR: 2
; COMPUTE_PGM_RSRC2:TRAP_HANDLER: 0
; COMPUTE_PGM_RSRC2:TGID_X_EN: 1
; COMPUTE_PGM_RSRC2:TGID_Y_EN: 0
; COMPUTE_PGM_RSRC2:TGID_Z_EN: 1
; COMPUTE_PGM_RSRC2:TIDIG_COMP_CNT: 0
; COMPUTE_PGM_RSRC3_GFX90A:ACCUM_OFFSET: 2
; COMPUTE_PGM_RSRC3_GFX90A:TG_SPLIT: 0
	.section	.text._ZL32rocblas_gemvt_warp_reduce_kernelILb1ELi1024ElPKfS1_KPfEviiT3_lPKT2_lT1_lS7_lS8_lS4_lPT4_lS8_li,"axG",@progbits,_ZL32rocblas_gemvt_warp_reduce_kernelILb1ELi1024ElPKfS1_KPfEviiT3_lPKT2_lT1_lS7_lS8_lS4_lPT4_lS8_li,comdat
	.globl	_ZL32rocblas_gemvt_warp_reduce_kernelILb1ELi1024ElPKfS1_KPfEviiT3_lPKT2_lT1_lS7_lS8_lS4_lPT4_lS8_li ; -- Begin function _ZL32rocblas_gemvt_warp_reduce_kernelILb1ELi1024ElPKfS1_KPfEviiT3_lPKT2_lT1_lS7_lS8_lS4_lPT4_lS8_li
	.p2align	8
	.type	_ZL32rocblas_gemvt_warp_reduce_kernelILb1ELi1024ElPKfS1_KPfEviiT3_lPKT2_lT1_lS7_lS8_lS4_lPT4_lS8_li,@function
_ZL32rocblas_gemvt_warp_reduce_kernelILb1ELi1024ElPKfS1_KPfEviiT3_lPKT2_lT1_lS7_lS8_lS4_lPT4_lS8_li: ; @_ZL32rocblas_gemvt_warp_reduce_kernelILb1ELi1024ElPKfS1_KPfEviiT3_lPKT2_lT1_lS7_lS8_lS4_lPT4_lS8_li
; %bb.0:
	s_load_dwordx8 s[12:19], s[0:1], 0x8
	s_load_dwordx8 s[4:11], s[0:1], 0x58
	s_mov_b32 s24, s3
	s_waitcnt lgkmcnt(0)
	s_mul_i32 s3, s3, s15
	s_mul_hi_u32 s15, s24, s14
	s_add_i32 s15, s15, s3
	s_mul_i32 s14, s24, s14
	s_lshl_b64 s[14:15], s[14:15], 2
	s_add_u32 s12, s12, s14
	s_mul_i32 s3, s24, s7
	s_mul_hi_u32 s7, s24, s6
	s_addc_u32 s13, s13, s15
	s_add_i32 s7, s7, s3
	s_mul_i32 s6, s24, s6
	s_lshl_b64 s[6:7], s[6:7], 2
	s_add_u32 s4, s4, s6
	s_addc_u32 s5, s5, s7
	s_load_dword s30, s[12:13], 0x0
	s_load_dword s3, s[4:5], 0x0
	s_waitcnt lgkmcnt(0)
	v_cmp_eq_f32_e64 s[26:27], s30, 0
	v_cmp_eq_f32_e64 s[4:5], s3, 1.0
	s_and_b64 s[4:5], s[26:27], s[4:5]
	s_and_b64 vcc, exec, s[4:5]
	s_cbranch_vccnz .LBB237_33
; %bb.1:
	s_load_dwordx2 s[20:21], s[0:1], 0x28
	s_load_dwordx2 s[12:13], s[0:1], 0x78
	s_mov_b32 s25, 0
	v_cmp_neq_f32_e64 s[28:29], s30, 0
	s_mov_b64 s[14:15], 0
	s_and_b64 vcc, exec, s[26:27]
	s_mov_b64 s[22:23], 0
	s_cbranch_vccnz .LBB237_3
; %bb.2:
	s_lshl_b64 s[4:5], s[24:25], 3
	s_add_u32 s4, s16, s4
	s_addc_u32 s5, s17, s5
	s_load_dwordx2 s[4:5], s[4:5], 0x0
	s_lshl_b64 s[6:7], s[18:19], 2
	s_waitcnt lgkmcnt(0)
	s_add_u32 s22, s4, s6
	s_addc_u32 s23, s5, s7
.LBB237_3:
	s_load_dwordx4 s[4:7], s[0:1], 0x38
	s_load_dwordx2 s[16:17], s[0:1], 0x48
	s_andn2_b64 vcc, exec, s[28:29]
	s_cbranch_vccnz .LBB237_5
; %bb.4:
	s_lshl_b64 s[14:15], s[24:25], 3
	s_waitcnt lgkmcnt(0)
	s_add_u32 s4, s4, s14
	s_addc_u32 s5, s5, s15
	s_load_dwordx2 s[4:5], s[4:5], 0x0
	s_lshl_b64 s[6:7], s[6:7], 2
	s_waitcnt lgkmcnt(0)
	s_add_u32 s14, s4, s6
	s_addc_u32 s15, s5, s7
.LBB237_5:
	s_waitcnt lgkmcnt(0)
	s_lshl_b64 s[4:5], s[24:25], 3
	s_add_u32 s4, s8, s4
	s_addc_u32 s5, s9, s5
	s_load_dwordx2 s[4:5], s[4:5], 0x0
	s_lshl_b64 s[6:7], s[10:11], 2
	s_waitcnt lgkmcnt(0)
	s_add_u32 s24, s4, s6
	s_addc_u32 s25, s5, s7
	s_andn2_b64 vcc, exec, s[26:27]
	v_cmp_eq_u32_e64 s[4:5], 0, v0
	s_cbranch_vccnz .LBB237_10
; %bb.6:
	s_mov_b64 s[10:11], 0
	s_mov_b64 s[6:7], 0
                                        ; implicit-def: $vgpr1
                                        ; implicit-def: $sgpr8_sgpr9
	s_and_saveexec_b64 s[18:19], s[4:5]
	s_cbranch_execz .LBB237_11
; %bb.7:
	s_ashr_i32 s6, s2, 31
	s_mul_i32 s7, s2, s13
	s_mul_hi_u32 s8, s2, s12
	v_cmp_eq_f32_e64 s[4:5], s3, 0
	s_add_i32 s7, s8, s7
	s_mul_i32 s6, s6, s12
	v_mov_b32_e32 v1, 0
	s_add_i32 s9, s7, s6
	s_mul_i32 s8, s2, s12
	s_and_b64 vcc, exec, s[4:5]
	s_cbranch_vccnz .LBB237_9
; %bb.8:
	s_lshl_b64 s[4:5], s[8:9], 2
	s_add_u32 s4, s24, s4
	s_addc_u32 s5, s25, s5
	s_load_dword s4, s[4:5], 0x0
	s_waitcnt lgkmcnt(0)
	v_mov_b32_e32 v1, s4
	v_mul_f32_e32 v1, s3, v1
.LBB237_9:
	s_mov_b64 s[6:7], exec
	s_or_b64 exec, exec, s[18:19]
	s_and_b64 vcc, exec, s[10:11]
	s_cbranch_vccnz .LBB237_12
	s_branch .LBB237_31
.LBB237_10:
	s_mov_b64 s[6:7], 0
                                        ; implicit-def: $vgpr1
                                        ; implicit-def: $sgpr8_sgpr9
	s_cbranch_execnz .LBB237_12
	s_branch .LBB237_31
.LBB237_11:
	s_or_b64 exec, exec, s[18:19]
	s_and_b64 vcc, exec, s[10:11]
	s_cbranch_vccz .LBB237_31
.LBB237_12:
	s_load_dword s1, s[0:1], 0x0
	s_ashr_i32 s26, s2, 31
	s_mul_i32 s0, s2, s21
	s_mul_hi_u32 s4, s2, s20
	s_add_i32 s0, s4, s0
	s_mul_i32 s4, s26, s20
	s_add_i32 s5, s0, s4
	s_mul_i32 s4, s2, s20
	s_lshl_b64 s[4:5], s[4:5], 2
	s_add_u32 s4, s4, s22
	s_addc_u32 s5, s5, s23
	s_waitcnt lgkmcnt(0)
	s_ashr_i32 s0, s1, 31
	v_cmp_gt_i32_e32 vcc, s1, v0
	s_lshr_b32 s0, s0, 22
	s_add_i32 s0, s1, s0
	v_cndmask_b32_e32 v1, 0, v0, vcc
	v_mov_b32_e32 v3, 0
	v_lshlrev_b32_e32 v2, 2, v1
	s_and_b32 s0, s0, 0xfffffc00
	v_lshl_add_u64 v[4:5], s[4:5], 0, v[2:3]
	v_cmp_gt_i32_e32 vcc, s0, v0
	s_and_saveexec_b64 s[4:5], vcc
	s_cbranch_execz .LBB237_16
; %bb.13:
	v_mad_u64_u32 v[2:3], s[8:9], s16, v0, 0
	v_mov_b32_e32 v6, v3
	v_mad_u64_u32 v[6:7], s[8:9], s17, v0, v[6:7]
	v_mov_b32_e32 v3, v6
	v_lshl_add_u64 v[6:7], v[2:3], 2, s[14:15]
	s_lshl_b64 s[10:11], s[16:17], 12
	s_mov_b64 s[8:9], 0
	v_mov_b32_e32 v3, 0
	s_mov_b64 s[18:19], 0x1000
	v_mov_b64_e32 v[8:9], v[4:5]
	v_mov_b32_e32 v1, v0
.LBB237_14:                             ; =>This Inner Loop Header: Depth=1
	flat_load_dword v2, v[8:9]
	flat_load_dword v10, v[6:7]
	v_add_u32_e32 v1, 0x400, v1
	v_cmp_le_i32_e32 vcc, s0, v1
	v_lshl_add_u64 v[8:9], v[8:9], 0, s[18:19]
	v_lshl_add_u64 v[6:7], v[6:7], 0, s[10:11]
	s_or_b64 s[8:9], vcc, s[8:9]
	s_waitcnt vmcnt(0) lgkmcnt(0)
	v_fmac_f32_e32 v3, v2, v10
	s_andn2_b64 exec, exec, s[8:9]
	s_cbranch_execnz .LBB237_14
; %bb.15:
	s_or_b64 exec, exec, s[8:9]
.LBB237_16:
	s_or_b64 exec, exec, s[4:5]
	v_or_b32_e32 v1, s0, v0
	v_cmp_gt_i32_e32 vcc, s1, v1
	s_and_saveexec_b64 s[4:5], vcc
	s_cbranch_execz .LBB237_18
; %bb.17:
	s_ashr_i32 s1, s0, 31
	v_lshl_add_u64 v[4:5], s[0:1], 2, v[4:5]
	flat_load_dword v2, v[4:5]
	v_ashrrev_i32_e32 v4, 31, v1
	v_mul_lo_u32 v6, v1, s17
	v_mul_lo_u32 v7, v4, s16
	v_mad_u64_u32 v[4:5], s[0:1], v1, s16, 0
	v_add3_u32 v5, v5, v6, v7
	v_lshl_add_u64 v[4:5], v[4:5], 2, s[14:15]
	flat_load_dword v1, v[4:5]
	s_waitcnt vmcnt(0) lgkmcnt(0)
	v_fmac_f32_e32 v3, v2, v1
.LBB237_18:
	s_or_b64 exec, exec, s[4:5]
	v_and_b32_e32 v2, 63, v0
	v_cmp_gt_u32_e32 vcc, 64, v0
	v_lshlrev_b32_e32 v1, 2, v2
	s_and_saveexec_b64 s[0:1], vcc
	s_cbranch_execz .LBB237_20
; %bb.19:
	v_mov_b32_e32 v4, 0
	ds_write_b32 v1, v4
.LBB237_20:
	s_or_b64 exec, exec, s[0:1]
	v_mbcnt_lo_u32_b32 v4, -1, 0
	v_mbcnt_hi_u32_b32 v6, -1, v4
	v_and_b32_e32 v7, 63, v6
	v_cmp_gt_u32_e64 s[0:1], 32, v7
	s_waitcnt lgkmcnt(0)
	s_barrier
	v_cndmask_b32_e64 v4, 0, 1, s[0:1]
	v_lshlrev_b32_e32 v4, 5, v4
	v_add_lshl_u32 v4, v4, v6, 2
	ds_bpermute_b32 v4, v4, v3
	v_cmp_gt_u32_e64 s[0:1], 48, v7
	s_waitcnt lgkmcnt(0)
	v_add_f32_e32 v3, v3, v4
	v_cndmask_b32_e64 v5, 0, 1, s[0:1]
	v_lshlrev_b32_e32 v5, 4, v5
	v_add_lshl_u32 v4, v5, v6, 2
	ds_bpermute_b32 v4, v4, v3
	v_cmp_gt_u32_e64 s[0:1], 56, v7
	s_waitcnt lgkmcnt(0)
	v_add_f32_e32 v4, v3, v4
	;; [unrolled: 7-line block ×4, first 2 shown]
	v_cndmask_b32_e64 v9, 0, 1, s[0:1]
	v_lshlrev_b32_e32 v9, 1, v9
	v_add_lshl_u32 v5, v9, v6, 2
	ds_bpermute_b32 v9, v5, v8
	v_cmp_ne_u32_e64 s[0:1], 63, v7
	s_waitcnt lgkmcnt(0)
	v_add_f32_e32 v7, v8, v9
	v_addc_co_u32_e64 v6, s[0:1], 0, v6, s[0:1]
	v_lshlrev_b32_e32 v6, 2, v6
	ds_bpermute_b32 v8, v6, v7
	v_cmp_eq_u32_e64 s[0:1], 0, v2
	s_and_saveexec_b64 s[4:5], s[0:1]
	s_cbranch_execz .LBB237_22
; %bb.21:
	v_lshrrev_b32_e32 v2, 4, v0
	v_and_b32_e32 v2, 60, v2
	s_waitcnt lgkmcnt(0)
	v_add_f32_e32 v7, v7, v8
	ds_write_b32 v2, v7
.LBB237_22:
	s_or_b64 exec, exec, s[4:5]
	v_cmp_gt_u32_e64 s[0:1], 16, v0
	v_mov_b32_e32 v2, 0
	s_waitcnt lgkmcnt(0)
	s_barrier
	s_and_saveexec_b64 s[4:5], s[0:1]
	s_cbranch_execz .LBB237_24
; %bb.23:
	ds_read_b32 v2, v1
	s_or_b64 exec, exec, s[4:5]
	s_and_saveexec_b64 s[0:1], vcc
	s_cbranch_execz .LBB237_26
	s_branch .LBB237_25
.LBB237_24:
	s_or_b64 exec, exec, s[4:5]
	s_and_saveexec_b64 s[0:1], vcc
	s_cbranch_execz .LBB237_26
.LBB237_25:
	s_waitcnt lgkmcnt(0)
	ds_bpermute_b32 v1, v3, v2
	s_waitcnt lgkmcnt(0)
	v_add_f32_e32 v1, v2, v1
	ds_bpermute_b32 v2, v4, v1
	s_waitcnt lgkmcnt(0)
	v_add_f32_e32 v1, v1, v2
	;; [unrolled: 3-line block ×4, first 2 shown]
.LBB237_26:
	s_or_b64 exec, exec, s[0:1]
	v_cmp_eq_u32_e32 vcc, 0, v0
                                        ; implicit-def: $vgpr1
                                        ; implicit-def: $sgpr8_sgpr9
	s_and_saveexec_b64 s[0:1], vcc
	s_cbranch_execz .LBB237_30
; %bb.27:
	s_mul_i32 s8, s2, s13
	s_mul_hi_u32 s9, s2, s12
	v_cmp_eq_f32_e64 s[4:5], s3, 0
	s_add_i32 s8, s9, s8
	s_mul_i32 s9, s26, s12
	s_waitcnt lgkmcnt(0)
	v_mul_f32_e32 v1, s30, v2
	s_add_i32 s9, s8, s9
	s_mul_i32 s8, s2, s12
	s_and_b64 vcc, exec, s[4:5]
	s_cbranch_vccnz .LBB237_29
; %bb.28:
	s_lshl_b64 s[4:5], s[8:9], 2
	s_add_u32 s4, s24, s4
	s_addc_u32 s5, s25, s5
	s_load_dword s2, s[4:5], 0x0
	s_waitcnt lgkmcnt(0)
	v_mov_b32_e32 v0, s2
	v_fmac_f32_e32 v1, s3, v0
.LBB237_29:
	s_or_b64 s[6:7], s[6:7], exec
.LBB237_30:
	s_or_b64 exec, exec, s[0:1]
.LBB237_31:
	s_and_saveexec_b64 s[0:1], s[6:7]
	s_cbranch_execz .LBB237_33
; %bb.32:
	s_lshl_b64 s[0:1], s[8:9], 2
	s_add_u32 s0, s24, s0
	s_addc_u32 s1, s25, s1
	v_mov_b32_e32 v0, 0
	global_store_dword v0, v1, s[0:1]
.LBB237_33:
	s_endpgm
	.section	.rodata,"a",@progbits
	.p2align	6, 0x0
	.amdhsa_kernel _ZL32rocblas_gemvt_warp_reduce_kernelILb1ELi1024ElPKfS1_KPfEviiT3_lPKT2_lT1_lS7_lS8_lS4_lPT4_lS8_li
		.amdhsa_group_segment_fixed_size 256
		.amdhsa_private_segment_fixed_size 0
		.amdhsa_kernarg_size 140
		.amdhsa_user_sgpr_count 2
		.amdhsa_user_sgpr_dispatch_ptr 0
		.amdhsa_user_sgpr_queue_ptr 0
		.amdhsa_user_sgpr_kernarg_segment_ptr 1
		.amdhsa_user_sgpr_dispatch_id 0
		.amdhsa_user_sgpr_kernarg_preload_length 0
		.amdhsa_user_sgpr_kernarg_preload_offset 0
		.amdhsa_user_sgpr_private_segment_size 0
		.amdhsa_uses_dynamic_stack 0
		.amdhsa_enable_private_segment 0
		.amdhsa_system_sgpr_workgroup_id_x 1
		.amdhsa_system_sgpr_workgroup_id_y 0
		.amdhsa_system_sgpr_workgroup_id_z 1
		.amdhsa_system_sgpr_workgroup_info 0
		.amdhsa_system_vgpr_workitem_id 0
		.amdhsa_next_free_vgpr 11
		.amdhsa_next_free_sgpr 31
		.amdhsa_accum_offset 12
		.amdhsa_reserve_vcc 1
		.amdhsa_float_round_mode_32 0
		.amdhsa_float_round_mode_16_64 0
		.amdhsa_float_denorm_mode_32 3
		.amdhsa_float_denorm_mode_16_64 3
		.amdhsa_dx10_clamp 1
		.amdhsa_ieee_mode 1
		.amdhsa_fp16_overflow 0
		.amdhsa_tg_split 0
		.amdhsa_exception_fp_ieee_invalid_op 0
		.amdhsa_exception_fp_denorm_src 0
		.amdhsa_exception_fp_ieee_div_zero 0
		.amdhsa_exception_fp_ieee_overflow 0
		.amdhsa_exception_fp_ieee_underflow 0
		.amdhsa_exception_fp_ieee_inexact 0
		.amdhsa_exception_int_div_zero 0
	.end_amdhsa_kernel
	.section	.text._ZL32rocblas_gemvt_warp_reduce_kernelILb1ELi1024ElPKfS1_KPfEviiT3_lPKT2_lT1_lS7_lS8_lS4_lPT4_lS8_li,"axG",@progbits,_ZL32rocblas_gemvt_warp_reduce_kernelILb1ELi1024ElPKfS1_KPfEviiT3_lPKT2_lT1_lS7_lS8_lS4_lPT4_lS8_li,comdat
.Lfunc_end237:
	.size	_ZL32rocblas_gemvt_warp_reduce_kernelILb1ELi1024ElPKfS1_KPfEviiT3_lPKT2_lT1_lS7_lS8_lS4_lPT4_lS8_li, .Lfunc_end237-_ZL32rocblas_gemvt_warp_reduce_kernelILb1ELi1024ElPKfS1_KPfEviiT3_lPKT2_lT1_lS7_lS8_lS4_lPT4_lS8_li
                                        ; -- End function
	.section	.AMDGPU.csdata,"",@progbits
; Kernel info:
; codeLenInByte = 1436
; NumSgprs: 37
; NumVgprs: 11
; NumAgprs: 0
; TotalNumVgprs: 11
; ScratchSize: 0
; MemoryBound: 0
; FloatMode: 240
; IeeeMode: 1
; LDSByteSize: 256 bytes/workgroup (compile time only)
; SGPRBlocks: 4
; VGPRBlocks: 1
; NumSGPRsForWavesPerEU: 37
; NumVGPRsForWavesPerEU: 11
; AccumOffset: 12
; Occupancy: 8
; WaveLimiterHint : 1
; COMPUTE_PGM_RSRC2:SCRATCH_EN: 0
; COMPUTE_PGM_RSRC2:USER_SGPR: 2
; COMPUTE_PGM_RSRC2:TRAP_HANDLER: 0
; COMPUTE_PGM_RSRC2:TGID_X_EN: 1
; COMPUTE_PGM_RSRC2:TGID_Y_EN: 0
; COMPUTE_PGM_RSRC2:TGID_Z_EN: 1
; COMPUTE_PGM_RSRC2:TIDIG_COMP_CNT: 0
; COMPUTE_PGM_RSRC3_GFX90A:ACCUM_OFFSET: 2
; COMPUTE_PGM_RSRC3_GFX90A:TG_SPLIT: 0
	.section	.text._ZL32rocblas_gemvt_warp_reduce_kernelILb1ELi1024EiPKffKPfEviiT3_lPKT2_lT1_lS7_lS8_lS4_lPT4_lS8_li,"axG",@progbits,_ZL32rocblas_gemvt_warp_reduce_kernelILb1ELi1024EiPKffKPfEviiT3_lPKT2_lT1_lS7_lS8_lS4_lPT4_lS8_li,comdat
	.globl	_ZL32rocblas_gemvt_warp_reduce_kernelILb1ELi1024EiPKffKPfEviiT3_lPKT2_lT1_lS7_lS8_lS4_lPT4_lS8_li ; -- Begin function _ZL32rocblas_gemvt_warp_reduce_kernelILb1ELi1024EiPKffKPfEviiT3_lPKT2_lT1_lS7_lS8_lS4_lPT4_lS8_li
	.p2align	8
	.type	_ZL32rocblas_gemvt_warp_reduce_kernelILb1ELi1024EiPKffKPfEviiT3_lPKT2_lT1_lS7_lS8_lS4_lPT4_lS8_li,@function
_ZL32rocblas_gemvt_warp_reduce_kernelILb1ELi1024EiPKffKPfEviiT3_lPKT2_lT1_lS7_lS8_lS4_lPT4_lS8_li: ; @_ZL32rocblas_gemvt_warp_reduce_kernelILb1ELi1024EiPKffKPfEviiT3_lPKT2_lT1_lS7_lS8_lS4_lPT4_lS8_li
; %bb.0:
	s_mov_b32 s12, s3
	s_load_dword s18, s[0:1], 0x8
	s_load_dword s3, s[0:1], 0x58
	s_waitcnt lgkmcnt(0)
	v_cmp_eq_f32_e64 s[4:5], s18, 0
	v_cmp_eq_f32_e64 s[6:7], s3, 1.0
	s_and_b64 s[6:7], s[4:5], s[6:7]
	s_and_b64 vcc, exec, s[6:7]
	s_cbranch_vccnz .LBB238_35
; %bb.1:
	v_cmp_neq_f32_e64 s[8:9], s18, 0
	s_mov_b32 s13, 0
	s_and_b64 vcc, exec, s[8:9]
	s_cbranch_vccnz .LBB238_3
; %bb.2:
	s_mov_b64 s[10:11], 0
	s_cbranch_execz .LBB238_4
	s_branch .LBB238_5
.LBB238_3:
                                        ; implicit-def: $sgpr10_sgpr11
.LBB238_4:
	s_load_dwordx4 s[20:23], s[0:1], 0x18
	s_lshl_b64 s[6:7], s[12:13], 3
	s_waitcnt lgkmcnt(0)
	s_add_u32 s6, s20, s6
	s_addc_u32 s7, s21, s7
	s_load_dwordx2 s[6:7], s[6:7], 0x0
	s_lshl_b64 s[10:11], s[22:23], 2
	s_waitcnt lgkmcnt(0)
	s_add_u32 s10, s6, s10
	s_addc_u32 s11, s7, s11
.LBB238_5:
	s_mov_b64 s[6:7], 0
	s_andn2_b64 vcc, exec, s[8:9]
	s_mov_b64 s[8:9], 0
	s_cbranch_vccnz .LBB238_7
; %bb.6:
	s_load_dwordx4 s[20:23], s[0:1], 0x38
	s_lshl_b64 s[8:9], s[12:13], 3
	s_waitcnt lgkmcnt(0)
	s_add_u32 s8, s20, s8
	s_addc_u32 s9, s21, s9
	s_load_dwordx2 s[8:9], s[8:9], 0x0
	s_lshl_b64 s[14:15], s[22:23], 2
	s_waitcnt lgkmcnt(0)
	s_add_u32 s8, s8, s14
	s_addc_u32 s9, s9, s15
.LBB238_7:
	s_load_dwordx4 s[24:27], s[0:1], 0x68
	s_load_dword s21, s[0:1], 0x78
	s_lshl_b64 s[12:13], s[12:13], 3
	s_waitcnt lgkmcnt(0)
	s_add_u32 s12, s24, s12
	s_addc_u32 s13, s25, s13
	s_load_dwordx2 s[12:13], s[12:13], 0x0
	s_lshl_b64 s[14:15], s[26:27], 2
	s_waitcnt lgkmcnt(0)
	s_add_u32 s19, s12, s14
	s_addc_u32 s20, s13, s15
	s_andn2_b64 vcc, exec, s[4:5]
	v_cmp_eq_u32_e64 s[4:5], 0, v0
	s_cbranch_vccnz .LBB238_12
; %bb.8:
	s_mov_b64 s[14:15], 0
                                        ; implicit-def: $vgpr1
                                        ; implicit-def: $sgpr12_sgpr13
	s_and_saveexec_b64 s[16:17], s[4:5]
	s_cbranch_execz .LBB238_13
; %bb.9:
	v_cmp_eq_f32_e64 s[4:5], s3, 0
	s_mul_i32 s12, s2, s21
	v_mov_b32_e32 v1, 0
	s_ashr_i32 s13, s12, 31
	s_and_b64 vcc, exec, s[4:5]
	s_cbranch_vccnz .LBB238_11
; %bb.10:
	s_lshl_b64 s[4:5], s[12:13], 2
	s_add_u32 s4, s19, s4
	s_addc_u32 s5, s20, s5
	s_load_dword s4, s[4:5], 0x0
	v_mov_b32_e32 v1, s3
	s_waitcnt lgkmcnt(0)
	v_mul_f32_e32 v1, s4, v1
.LBB238_11:
	s_mov_b64 s[6:7], exec
	s_or_b64 exec, exec, s[16:17]
	s_and_b64 vcc, exec, s[14:15]
	s_cbranch_vccnz .LBB238_14
	s_branch .LBB238_33
.LBB238_12:
                                        ; implicit-def: $vgpr1
                                        ; implicit-def: $sgpr12_sgpr13
	s_cbranch_execnz .LBB238_14
	s_branch .LBB238_33
.LBB238_13:
	s_or_b64 exec, exec, s[16:17]
	s_and_b64 vcc, exec, s[14:15]
	s_cbranch_vccz .LBB238_33
.LBB238_14:
	s_load_dword s15, s[0:1], 0x0
	s_load_dword s4, s[0:1], 0x28
	;; [unrolled: 1-line block ×3, first 2 shown]
	v_mov_b32_e32 v3, 0
	s_waitcnt lgkmcnt(0)
	v_cmp_gt_i32_e32 vcc, s15, v0
	s_mul_i32 s0, s2, s4
	s_ashr_i32 s1, s0, 31
	s_lshl_b64 s[0:1], s[0:1], 2
	v_cndmask_b32_e32 v1, 0, v0, vcc
	s_add_u32 s0, s0, s10
	v_lshlrev_b32_e32 v2, 2, v1
	s_addc_u32 s1, s1, s11
	v_lshl_add_u64 v[4:5], s[0:1], 0, v[2:3]
	s_ashr_i32 s0, s15, 31
	s_lshr_b32 s0, s0, 22
	s_add_i32 s0, s15, s0
	s_and_b32 s0, s0, 0xfffffc00
	v_cmp_gt_i32_e32 vcc, s0, v0
	s_and_saveexec_b64 s[4:5], vcc
	s_cbranch_execz .LBB238_18
; %bb.15:
	v_mul_lo_u32 v6, v0, s14
	s_lshl_b32 s1, s14, 10
	s_mov_b64 s[10:11], 0
	v_mov_b32_e32 v3, 0
	s_mov_b64 s[12:13], 0x1000
	v_mov_b64_e32 v[8:9], v[4:5]
	v_mov_b32_e32 v1, v0
.LBB238_16:                             ; =>This Inner Loop Header: Depth=1
	v_ashrrev_i32_e32 v7, 31, v6
	v_lshl_add_u64 v[10:11], v[6:7], 2, s[8:9]
	flat_load_dword v2, v[8:9]
	flat_load_dword v7, v[10:11]
	v_add_u32_e32 v1, 0x400, v1
	v_cmp_le_i32_e32 vcc, s0, v1
	v_lshl_add_u64 v[8:9], v[8:9], 0, s[12:13]
	v_add_u32_e32 v6, s1, v6
	s_or_b64 s[10:11], vcc, s[10:11]
	s_waitcnt vmcnt(0) lgkmcnt(0)
	v_fmac_f32_e32 v3, v2, v7
	s_andn2_b64 exec, exec, s[10:11]
	s_cbranch_execnz .LBB238_16
; %bb.17:
	s_or_b64 exec, exec, s[10:11]
.LBB238_18:
	s_or_b64 exec, exec, s[4:5]
	v_or_b32_e32 v1, s0, v0
	v_cmp_gt_i32_e32 vcc, s15, v1
	s_and_saveexec_b64 s[4:5], vcc
	s_cbranch_execz .LBB238_20
; %bb.19:
	s_ashr_i32 s1, s0, 31
	v_lshl_add_u64 v[4:5], s[0:1], 2, v[4:5]
	flat_load_dword v2, v[4:5]
	v_mul_lo_u32 v4, v1, s14
	v_ashrrev_i32_e32 v5, 31, v4
	v_lshl_add_u64 v[4:5], v[4:5], 2, s[8:9]
	flat_load_dword v1, v[4:5]
	s_waitcnt vmcnt(0) lgkmcnt(0)
	v_fmac_f32_e32 v3, v2, v1
.LBB238_20:
	s_or_b64 exec, exec, s[4:5]
	v_and_b32_e32 v2, 63, v0
	v_cmp_gt_u32_e32 vcc, 64, v0
	v_lshlrev_b32_e32 v1, 2, v2
	s_and_saveexec_b64 s[0:1], vcc
	s_cbranch_execz .LBB238_22
; %bb.21:
	v_mov_b32_e32 v4, 0
	ds_write_b32 v1, v4
.LBB238_22:
	s_or_b64 exec, exec, s[0:1]
	v_mbcnt_lo_u32_b32 v4, -1, 0
	v_mbcnt_hi_u32_b32 v6, -1, v4
	v_and_b32_e32 v7, 63, v6
	v_cmp_gt_u32_e64 s[0:1], 32, v7
	s_waitcnt lgkmcnt(0)
	s_barrier
	v_cndmask_b32_e64 v4, 0, 1, s[0:1]
	v_lshlrev_b32_e32 v4, 5, v4
	v_add_lshl_u32 v4, v4, v6, 2
	ds_bpermute_b32 v4, v4, v3
	v_cmp_gt_u32_e64 s[0:1], 48, v7
	s_waitcnt lgkmcnt(0)
	v_add_f32_e32 v3, v3, v4
	v_cndmask_b32_e64 v5, 0, 1, s[0:1]
	v_lshlrev_b32_e32 v5, 4, v5
	v_add_lshl_u32 v4, v5, v6, 2
	ds_bpermute_b32 v4, v4, v3
	v_cmp_gt_u32_e64 s[0:1], 56, v7
	s_waitcnt lgkmcnt(0)
	v_add_f32_e32 v4, v3, v4
	;; [unrolled: 7-line block ×4, first 2 shown]
	v_cndmask_b32_e64 v9, 0, 1, s[0:1]
	v_lshlrev_b32_e32 v9, 1, v9
	v_add_lshl_u32 v5, v9, v6, 2
	ds_bpermute_b32 v9, v5, v8
	v_cmp_ne_u32_e64 s[0:1], 63, v7
	s_waitcnt lgkmcnt(0)
	v_add_f32_e32 v7, v8, v9
	v_addc_co_u32_e64 v6, s[0:1], 0, v6, s[0:1]
	v_lshlrev_b32_e32 v6, 2, v6
	ds_bpermute_b32 v8, v6, v7
	v_cmp_eq_u32_e64 s[0:1], 0, v2
	s_and_saveexec_b64 s[4:5], s[0:1]
	s_cbranch_execz .LBB238_24
; %bb.23:
	v_lshrrev_b32_e32 v2, 4, v0
	v_and_b32_e32 v2, 60, v2
	s_waitcnt lgkmcnt(0)
	v_add_f32_e32 v7, v7, v8
	ds_write_b32 v2, v7
.LBB238_24:
	s_or_b64 exec, exec, s[4:5]
	v_cmp_gt_u32_e64 s[0:1], 16, v0
	v_mov_b32_e32 v2, 0
	s_waitcnt lgkmcnt(0)
	s_barrier
	s_and_saveexec_b64 s[4:5], s[0:1]
	s_cbranch_execz .LBB238_26
; %bb.25:
	ds_read_b32 v2, v1
	s_or_b64 exec, exec, s[4:5]
	s_and_saveexec_b64 s[0:1], vcc
	s_cbranch_execz .LBB238_28
	s_branch .LBB238_27
.LBB238_26:
	s_or_b64 exec, exec, s[4:5]
	s_and_saveexec_b64 s[0:1], vcc
	s_cbranch_execz .LBB238_28
.LBB238_27:
	s_waitcnt lgkmcnt(0)
	ds_bpermute_b32 v1, v3, v2
	s_waitcnt lgkmcnt(0)
	v_add_f32_e32 v1, v2, v1
	ds_bpermute_b32 v2, v4, v1
	s_waitcnt lgkmcnt(0)
	v_add_f32_e32 v1, v1, v2
	;; [unrolled: 3-line block ×4, first 2 shown]
.LBB238_28:
	s_or_b64 exec, exec, s[0:1]
	v_cmp_eq_u32_e32 vcc, 0, v0
                                        ; implicit-def: $vgpr1
                                        ; implicit-def: $sgpr12_sgpr13
	s_and_saveexec_b64 s[0:1], vcc
	s_cbranch_execz .LBB238_32
; %bb.29:
	v_cmp_eq_f32_e64 s[4:5], s3, 0
	s_mul_i32 s12, s2, s21
	s_waitcnt lgkmcnt(0)
	v_mul_f32_e32 v1, s18, v2
	s_ashr_i32 s13, s12, 31
	s_and_b64 vcc, exec, s[4:5]
	s_cbranch_vccnz .LBB238_31
; %bb.30:
	s_lshl_b64 s[4:5], s[12:13], 2
	s_add_u32 s4, s19, s4
	s_addc_u32 s5, s20, s5
	s_load_dword s2, s[4:5], 0x0
	v_mov_b32_e32 v0, s3
	s_waitcnt lgkmcnt(0)
	v_fmac_f32_e32 v1, s2, v0
.LBB238_31:
	s_or_b64 s[6:7], s[6:7], exec
.LBB238_32:
	s_or_b64 exec, exec, s[0:1]
.LBB238_33:
	s_and_saveexec_b64 s[0:1], s[6:7]
	s_cbranch_execz .LBB238_35
; %bb.34:
	s_lshl_b64 s[0:1], s[12:13], 2
	s_add_u32 s0, s19, s0
	s_addc_u32 s1, s20, s1
	v_mov_b32_e32 v0, 0
	global_store_dword v0, v1, s[0:1]
.LBB238_35:
	s_endpgm
	.section	.rodata,"a",@progbits
	.p2align	6, 0x0
	.amdhsa_kernel _ZL32rocblas_gemvt_warp_reduce_kernelILb1ELi1024EiPKffKPfEviiT3_lPKT2_lT1_lS7_lS8_lS4_lPT4_lS8_li
		.amdhsa_group_segment_fixed_size 256
		.amdhsa_private_segment_fixed_size 0
		.amdhsa_kernarg_size 140
		.amdhsa_user_sgpr_count 2
		.amdhsa_user_sgpr_dispatch_ptr 0
		.amdhsa_user_sgpr_queue_ptr 0
		.amdhsa_user_sgpr_kernarg_segment_ptr 1
		.amdhsa_user_sgpr_dispatch_id 0
		.amdhsa_user_sgpr_kernarg_preload_length 0
		.amdhsa_user_sgpr_kernarg_preload_offset 0
		.amdhsa_user_sgpr_private_segment_size 0
		.amdhsa_uses_dynamic_stack 0
		.amdhsa_enable_private_segment 0
		.amdhsa_system_sgpr_workgroup_id_x 1
		.amdhsa_system_sgpr_workgroup_id_y 0
		.amdhsa_system_sgpr_workgroup_id_z 1
		.amdhsa_system_sgpr_workgroup_info 0
		.amdhsa_system_vgpr_workitem_id 0
		.amdhsa_next_free_vgpr 12
		.amdhsa_next_free_sgpr 28
		.amdhsa_accum_offset 12
		.amdhsa_reserve_vcc 1
		.amdhsa_float_round_mode_32 0
		.amdhsa_float_round_mode_16_64 0
		.amdhsa_float_denorm_mode_32 3
		.amdhsa_float_denorm_mode_16_64 3
		.amdhsa_dx10_clamp 1
		.amdhsa_ieee_mode 1
		.amdhsa_fp16_overflow 0
		.amdhsa_tg_split 0
		.amdhsa_exception_fp_ieee_invalid_op 0
		.amdhsa_exception_fp_denorm_src 0
		.amdhsa_exception_fp_ieee_div_zero 0
		.amdhsa_exception_fp_ieee_overflow 0
		.amdhsa_exception_fp_ieee_underflow 0
		.amdhsa_exception_fp_ieee_inexact 0
		.amdhsa_exception_int_div_zero 0
	.end_amdhsa_kernel
	.section	.text._ZL32rocblas_gemvt_warp_reduce_kernelILb1ELi1024EiPKffKPfEviiT3_lPKT2_lT1_lS7_lS8_lS4_lPT4_lS8_li,"axG",@progbits,_ZL32rocblas_gemvt_warp_reduce_kernelILb1ELi1024EiPKffKPfEviiT3_lPKT2_lT1_lS7_lS8_lS4_lPT4_lS8_li,comdat
.Lfunc_end238:
	.size	_ZL32rocblas_gemvt_warp_reduce_kernelILb1ELi1024EiPKffKPfEviiT3_lPKT2_lT1_lS7_lS8_lS4_lPT4_lS8_li, .Lfunc_end238-_ZL32rocblas_gemvt_warp_reduce_kernelILb1ELi1024EiPKffKPfEviiT3_lPKT2_lT1_lS7_lS8_lS4_lPT4_lS8_li
                                        ; -- End function
	.section	.AMDGPU.csdata,"",@progbits
; Kernel info:
; codeLenInByte = 1288
; NumSgprs: 34
; NumVgprs: 12
; NumAgprs: 0
; TotalNumVgprs: 12
; ScratchSize: 0
; MemoryBound: 0
; FloatMode: 240
; IeeeMode: 1
; LDSByteSize: 256 bytes/workgroup (compile time only)
; SGPRBlocks: 4
; VGPRBlocks: 1
; NumSGPRsForWavesPerEU: 34
; NumVGPRsForWavesPerEU: 12
; AccumOffset: 12
; Occupancy: 8
; WaveLimiterHint : 1
; COMPUTE_PGM_RSRC2:SCRATCH_EN: 0
; COMPUTE_PGM_RSRC2:USER_SGPR: 2
; COMPUTE_PGM_RSRC2:TRAP_HANDLER: 0
; COMPUTE_PGM_RSRC2:TGID_X_EN: 1
; COMPUTE_PGM_RSRC2:TGID_Y_EN: 0
; COMPUTE_PGM_RSRC2:TGID_Z_EN: 1
; COMPUTE_PGM_RSRC2:TIDIG_COMP_CNT: 0
; COMPUTE_PGM_RSRC3_GFX90A:ACCUM_OFFSET: 2
; COMPUTE_PGM_RSRC3_GFX90A:TG_SPLIT: 0
	.section	.text._ZL32rocblas_gemvt_warp_reduce_kernelILb1ELi1024ElPKffKPfEviiT3_lPKT2_lT1_lS7_lS8_lS4_lPT4_lS8_li,"axG",@progbits,_ZL32rocblas_gemvt_warp_reduce_kernelILb1ELi1024ElPKffKPfEviiT3_lPKT2_lT1_lS7_lS8_lS4_lPT4_lS8_li,comdat
	.globl	_ZL32rocblas_gemvt_warp_reduce_kernelILb1ELi1024ElPKffKPfEviiT3_lPKT2_lT1_lS7_lS8_lS4_lPT4_lS8_li ; -- Begin function _ZL32rocblas_gemvt_warp_reduce_kernelILb1ELi1024ElPKffKPfEviiT3_lPKT2_lT1_lS7_lS8_lS4_lPT4_lS8_li
	.p2align	8
	.type	_ZL32rocblas_gemvt_warp_reduce_kernelILb1ELi1024ElPKffKPfEviiT3_lPKT2_lT1_lS7_lS8_lS4_lPT4_lS8_li,@function
_ZL32rocblas_gemvt_warp_reduce_kernelILb1ELi1024ElPKffKPfEviiT3_lPKT2_lT1_lS7_lS8_lS4_lPT4_lS8_li: ; @_ZL32rocblas_gemvt_warp_reduce_kernelILb1ELi1024ElPKffKPfEviiT3_lPKT2_lT1_lS7_lS8_lS4_lPT4_lS8_li
; %bb.0:
	s_mov_b32 s20, s3
	s_load_dword s24, s[0:1], 0x8
	s_load_dword s3, s[0:1], 0x58
	s_waitcnt lgkmcnt(0)
	v_cmp_eq_f32_e64 s[18:19], s24, 0
	v_cmp_eq_f32_e64 s[4:5], s3, 1.0
	s_and_b64 s[4:5], s[18:19], s[4:5]
	s_and_b64 vcc, exec, s[4:5]
	s_cbranch_vccnz .LBB239_35
; %bb.1:
	s_load_dwordx4 s[4:7], s[0:1], 0x18
	s_load_dwordx2 s[14:15], s[0:1], 0x28
	v_cmp_neq_f32_e64 s[12:13], s24, 0
	s_mov_b32 s21, 0
	s_and_b64 vcc, exec, s[12:13]
	s_cbranch_vccnz .LBB239_3
; %bb.2:
	s_mov_b64 s[16:17], 0
	s_cbranch_execz .LBB239_4
	s_branch .LBB239_5
.LBB239_3:
                                        ; implicit-def: $sgpr16_sgpr17
.LBB239_4:
	s_lshl_b64 s[8:9], s[20:21], 3
	s_waitcnt lgkmcnt(0)
	s_add_u32 s4, s4, s8
	s_addc_u32 s5, s5, s9
	s_load_dwordx2 s[4:5], s[4:5], 0x0
	s_lshl_b64 s[6:7], s[6:7], 2
	s_waitcnt lgkmcnt(0)
	s_add_u32 s16, s4, s6
	s_addc_u32 s17, s5, s7
.LBB239_5:
	s_waitcnt lgkmcnt(0)
	s_load_dwordx4 s[4:7], s[0:1], 0x38
	s_load_dwordx2 s[10:11], s[0:1], 0x48
	s_mov_b64 s[8:9], 0
	s_andn2_b64 vcc, exec, s[12:13]
	s_mov_b64 s[12:13], 0
	s_cbranch_vccnz .LBB239_7
; %bb.6:
	s_lshl_b64 s[12:13], s[20:21], 3
	s_waitcnt lgkmcnt(0)
	s_add_u32 s4, s4, s12
	s_addc_u32 s5, s5, s13
	s_load_dwordx2 s[4:5], s[4:5], 0x0
	s_lshl_b64 s[6:7], s[6:7], 2
	s_waitcnt lgkmcnt(0)
	s_add_u32 s12, s4, s6
	s_addc_u32 s13, s5, s7
.LBB239_7:
	s_load_dwordx4 s[28:31], s[0:1], 0x68
	s_waitcnt lgkmcnt(0)
	s_load_dwordx2 s[6:7], s[0:1], 0x78
	s_lshl_b64 s[4:5], s[20:21], 3
	s_add_u32 s4, s28, s4
	s_addc_u32 s5, s29, s5
	s_load_dwordx2 s[4:5], s[4:5], 0x0
	s_lshl_b64 s[20:21], s[30:31], 2
	s_waitcnt lgkmcnt(0)
	s_add_u32 s25, s4, s20
	s_addc_u32 s26, s5, s21
	s_andn2_b64 vcc, exec, s[18:19]
	v_cmp_eq_u32_e64 s[4:5], 0, v0
	s_cbranch_vccnz .LBB239_12
; %bb.8:
	s_mov_b64 s[20:21], 0
                                        ; implicit-def: $vgpr1
                                        ; implicit-def: $sgpr18_sgpr19
	s_and_saveexec_b64 s[22:23], s[4:5]
	s_cbranch_execz .LBB239_13
; %bb.9:
	s_ashr_i32 s8, s2, 31
	s_mul_i32 s9, s2, s7
	s_mul_hi_u32 s18, s2, s6
	v_cmp_eq_f32_e64 s[4:5], s3, 0
	s_add_i32 s9, s18, s9
	s_mul_i32 s8, s8, s6
	v_mov_b32_e32 v1, 0
	s_add_i32 s19, s9, s8
	s_mul_i32 s18, s2, s6
	s_and_b64 vcc, exec, s[4:5]
	s_cbranch_vccnz .LBB239_11
; %bb.10:
	s_lshl_b64 s[4:5], s[18:19], 2
	s_add_u32 s4, s25, s4
	s_addc_u32 s5, s26, s5
	s_load_dword s4, s[4:5], 0x0
	v_mov_b32_e32 v1, s3
	s_waitcnt lgkmcnt(0)
	v_mul_f32_e32 v1, s4, v1
.LBB239_11:
	s_mov_b64 s[8:9], exec
	s_or_b64 exec, exec, s[22:23]
	s_and_b64 vcc, exec, s[20:21]
	s_cbranch_vccnz .LBB239_14
	s_branch .LBB239_33
.LBB239_12:
                                        ; implicit-def: $vgpr1
                                        ; implicit-def: $sgpr18_sgpr19
	s_cbranch_execnz .LBB239_14
	s_branch .LBB239_33
.LBB239_13:
	s_or_b64 exec, exec, s[22:23]
	s_and_b64 vcc, exec, s[20:21]
	s_cbranch_vccz .LBB239_33
.LBB239_14:
	s_load_dword s1, s[0:1], 0x0
	s_ashr_i32 s20, s2, 31
	s_mul_i32 s0, s2, s15
	s_mul_hi_u32 s4, s2, s14
	s_add_i32 s0, s4, s0
	s_mul_i32 s4, s20, s14
	s_add_i32 s5, s0, s4
	s_mul_i32 s4, s2, s14
	s_lshl_b64 s[4:5], s[4:5], 2
	s_add_u32 s4, s4, s16
	s_addc_u32 s5, s5, s17
	s_waitcnt lgkmcnt(0)
	s_ashr_i32 s0, s1, 31
	v_cmp_gt_i32_e32 vcc, s1, v0
	s_lshr_b32 s0, s0, 22
	s_add_i32 s0, s1, s0
	v_cndmask_b32_e32 v1, 0, v0, vcc
	v_mov_b32_e32 v3, 0
	v_lshlrev_b32_e32 v2, 2, v1
	s_and_b32 s0, s0, 0xfffffc00
	v_lshl_add_u64 v[4:5], s[4:5], 0, v[2:3]
	v_cmp_gt_i32_e32 vcc, s0, v0
	s_and_saveexec_b64 s[4:5], vcc
	s_cbranch_execz .LBB239_18
; %bb.15:
	v_mad_u64_u32 v[2:3], s[14:15], s10, v0, 0
	v_mov_b32_e32 v6, v3
	v_mad_u64_u32 v[6:7], s[14:15], s11, v0, v[6:7]
	v_mov_b32_e32 v3, v6
	v_lshl_add_u64 v[6:7], v[2:3], 2, s[12:13]
	s_lshl_b64 s[16:17], s[10:11], 12
	s_mov_b64 s[14:15], 0
	v_mov_b32_e32 v3, 0
	s_mov_b64 s[18:19], 0x1000
	v_mov_b64_e32 v[8:9], v[4:5]
	v_mov_b32_e32 v1, v0
.LBB239_16:                             ; =>This Inner Loop Header: Depth=1
	flat_load_dword v2, v[8:9]
	flat_load_dword v10, v[6:7]
	v_add_u32_e32 v1, 0x400, v1
	v_cmp_le_i32_e32 vcc, s0, v1
	v_lshl_add_u64 v[8:9], v[8:9], 0, s[18:19]
	v_lshl_add_u64 v[6:7], v[6:7], 0, s[16:17]
	s_or_b64 s[14:15], vcc, s[14:15]
	s_waitcnt vmcnt(0) lgkmcnt(0)
	v_fmac_f32_e32 v3, v2, v10
	s_andn2_b64 exec, exec, s[14:15]
	s_cbranch_execnz .LBB239_16
; %bb.17:
	s_or_b64 exec, exec, s[14:15]
.LBB239_18:
	s_or_b64 exec, exec, s[4:5]
	v_or_b32_e32 v1, s0, v0
	v_cmp_gt_i32_e32 vcc, s1, v1
	s_and_saveexec_b64 s[4:5], vcc
	s_cbranch_execz .LBB239_20
; %bb.19:
	s_ashr_i32 s1, s0, 31
	v_lshl_add_u64 v[4:5], s[0:1], 2, v[4:5]
	flat_load_dword v2, v[4:5]
	v_ashrrev_i32_e32 v4, 31, v1
	v_mul_lo_u32 v6, v1, s11
	v_mul_lo_u32 v7, v4, s10
	v_mad_u64_u32 v[4:5], s[0:1], v1, s10, 0
	v_add3_u32 v5, v5, v6, v7
	v_lshl_add_u64 v[4:5], v[4:5], 2, s[12:13]
	flat_load_dword v1, v[4:5]
	s_waitcnt vmcnt(0) lgkmcnt(0)
	v_fmac_f32_e32 v3, v2, v1
.LBB239_20:
	s_or_b64 exec, exec, s[4:5]
	v_and_b32_e32 v2, 63, v0
	v_cmp_gt_u32_e32 vcc, 64, v0
	v_lshlrev_b32_e32 v1, 2, v2
	s_and_saveexec_b64 s[0:1], vcc
	s_cbranch_execz .LBB239_22
; %bb.21:
	v_mov_b32_e32 v4, 0
	ds_write_b32 v1, v4
.LBB239_22:
	s_or_b64 exec, exec, s[0:1]
	v_mbcnt_lo_u32_b32 v4, -1, 0
	v_mbcnt_hi_u32_b32 v6, -1, v4
	v_and_b32_e32 v7, 63, v6
	v_cmp_gt_u32_e64 s[0:1], 32, v7
	s_waitcnt lgkmcnt(0)
	s_barrier
	v_cndmask_b32_e64 v4, 0, 1, s[0:1]
	v_lshlrev_b32_e32 v4, 5, v4
	v_add_lshl_u32 v4, v4, v6, 2
	ds_bpermute_b32 v4, v4, v3
	v_cmp_gt_u32_e64 s[0:1], 48, v7
	s_waitcnt lgkmcnt(0)
	v_add_f32_e32 v3, v3, v4
	v_cndmask_b32_e64 v5, 0, 1, s[0:1]
	v_lshlrev_b32_e32 v5, 4, v5
	v_add_lshl_u32 v4, v5, v6, 2
	ds_bpermute_b32 v4, v4, v3
	v_cmp_gt_u32_e64 s[0:1], 56, v7
	s_waitcnt lgkmcnt(0)
	v_add_f32_e32 v4, v3, v4
	;; [unrolled: 7-line block ×4, first 2 shown]
	v_cndmask_b32_e64 v9, 0, 1, s[0:1]
	v_lshlrev_b32_e32 v9, 1, v9
	v_add_lshl_u32 v5, v9, v6, 2
	ds_bpermute_b32 v9, v5, v8
	v_cmp_ne_u32_e64 s[0:1], 63, v7
	s_waitcnt lgkmcnt(0)
	v_add_f32_e32 v7, v8, v9
	v_addc_co_u32_e64 v6, s[0:1], 0, v6, s[0:1]
	v_lshlrev_b32_e32 v6, 2, v6
	ds_bpermute_b32 v8, v6, v7
	v_cmp_eq_u32_e64 s[0:1], 0, v2
	s_and_saveexec_b64 s[4:5], s[0:1]
	s_cbranch_execz .LBB239_24
; %bb.23:
	v_lshrrev_b32_e32 v2, 4, v0
	v_and_b32_e32 v2, 60, v2
	s_waitcnt lgkmcnt(0)
	v_add_f32_e32 v7, v7, v8
	ds_write_b32 v2, v7
.LBB239_24:
	s_or_b64 exec, exec, s[4:5]
	v_cmp_gt_u32_e64 s[0:1], 16, v0
	v_mov_b32_e32 v2, 0
	s_waitcnt lgkmcnt(0)
	s_barrier
	s_and_saveexec_b64 s[4:5], s[0:1]
	s_cbranch_execz .LBB239_26
; %bb.25:
	ds_read_b32 v2, v1
	s_or_b64 exec, exec, s[4:5]
	s_and_saveexec_b64 s[0:1], vcc
	s_cbranch_execz .LBB239_28
	s_branch .LBB239_27
.LBB239_26:
	s_or_b64 exec, exec, s[4:5]
	s_and_saveexec_b64 s[0:1], vcc
	s_cbranch_execz .LBB239_28
.LBB239_27:
	s_waitcnt lgkmcnt(0)
	ds_bpermute_b32 v1, v3, v2
	s_waitcnt lgkmcnt(0)
	v_add_f32_e32 v1, v2, v1
	ds_bpermute_b32 v2, v4, v1
	s_waitcnt lgkmcnt(0)
	v_add_f32_e32 v1, v1, v2
	;; [unrolled: 3-line block ×4, first 2 shown]
.LBB239_28:
	s_or_b64 exec, exec, s[0:1]
	v_cmp_eq_u32_e32 vcc, 0, v0
                                        ; implicit-def: $vgpr1
                                        ; implicit-def: $sgpr18_sgpr19
	s_and_saveexec_b64 s[0:1], vcc
	s_cbranch_execz .LBB239_32
; %bb.29:
	s_mul_i32 s7, s2, s7
	s_mul_hi_u32 s10, s2, s6
	v_cmp_eq_f32_e64 s[4:5], s3, 0
	s_add_i32 s7, s10, s7
	s_mul_i32 s10, s20, s6
	s_waitcnt lgkmcnt(0)
	v_mul_f32_e32 v1, s24, v2
	s_add_i32 s19, s7, s10
	s_mul_i32 s18, s2, s6
	s_and_b64 vcc, exec, s[4:5]
	s_cbranch_vccnz .LBB239_31
; %bb.30:
	s_lshl_b64 s[4:5], s[18:19], 2
	s_add_u32 s4, s25, s4
	s_addc_u32 s5, s26, s5
	s_load_dword s2, s[4:5], 0x0
	v_mov_b32_e32 v0, s3
	s_waitcnt lgkmcnt(0)
	v_fmac_f32_e32 v1, s2, v0
.LBB239_31:
	s_or_b64 s[8:9], s[8:9], exec
.LBB239_32:
	s_or_b64 exec, exec, s[0:1]
.LBB239_33:
	s_and_saveexec_b64 s[0:1], s[8:9]
	s_cbranch_execz .LBB239_35
; %bb.34:
	s_lshl_b64 s[0:1], s[18:19], 2
	s_add_u32 s0, s25, s0
	s_addc_u32 s1, s26, s1
	v_mov_b32_e32 v0, 0
	global_store_dword v0, v1, s[0:1]
.LBB239_35:
	s_endpgm
	.section	.rodata,"a",@progbits
	.p2align	6, 0x0
	.amdhsa_kernel _ZL32rocblas_gemvt_warp_reduce_kernelILb1ELi1024ElPKffKPfEviiT3_lPKT2_lT1_lS7_lS8_lS4_lPT4_lS8_li
		.amdhsa_group_segment_fixed_size 256
		.amdhsa_private_segment_fixed_size 0
		.amdhsa_kernarg_size 140
		.amdhsa_user_sgpr_count 2
		.amdhsa_user_sgpr_dispatch_ptr 0
		.amdhsa_user_sgpr_queue_ptr 0
		.amdhsa_user_sgpr_kernarg_segment_ptr 1
		.amdhsa_user_sgpr_dispatch_id 0
		.amdhsa_user_sgpr_kernarg_preload_length 0
		.amdhsa_user_sgpr_kernarg_preload_offset 0
		.amdhsa_user_sgpr_private_segment_size 0
		.amdhsa_uses_dynamic_stack 0
		.amdhsa_enable_private_segment 0
		.amdhsa_system_sgpr_workgroup_id_x 1
		.amdhsa_system_sgpr_workgroup_id_y 0
		.amdhsa_system_sgpr_workgroup_id_z 1
		.amdhsa_system_sgpr_workgroup_info 0
		.amdhsa_system_vgpr_workitem_id 0
		.amdhsa_next_free_vgpr 11
		.amdhsa_next_free_sgpr 32
		.amdhsa_accum_offset 12
		.amdhsa_reserve_vcc 1
		.amdhsa_float_round_mode_32 0
		.amdhsa_float_round_mode_16_64 0
		.amdhsa_float_denorm_mode_32 3
		.amdhsa_float_denorm_mode_16_64 3
		.amdhsa_dx10_clamp 1
		.amdhsa_ieee_mode 1
		.amdhsa_fp16_overflow 0
		.amdhsa_tg_split 0
		.amdhsa_exception_fp_ieee_invalid_op 0
		.amdhsa_exception_fp_denorm_src 0
		.amdhsa_exception_fp_ieee_div_zero 0
		.amdhsa_exception_fp_ieee_overflow 0
		.amdhsa_exception_fp_ieee_underflow 0
		.amdhsa_exception_fp_ieee_inexact 0
		.amdhsa_exception_int_div_zero 0
	.end_amdhsa_kernel
	.section	.text._ZL32rocblas_gemvt_warp_reduce_kernelILb1ELi1024ElPKffKPfEviiT3_lPKT2_lT1_lS7_lS8_lS4_lPT4_lS8_li,"axG",@progbits,_ZL32rocblas_gemvt_warp_reduce_kernelILb1ELi1024ElPKffKPfEviiT3_lPKT2_lT1_lS7_lS8_lS4_lPT4_lS8_li,comdat
.Lfunc_end239:
	.size	_ZL32rocblas_gemvt_warp_reduce_kernelILb1ELi1024ElPKffKPfEviiT3_lPKT2_lT1_lS7_lS8_lS4_lPT4_lS8_li, .Lfunc_end239-_ZL32rocblas_gemvt_warp_reduce_kernelILb1ELi1024ElPKffKPfEviiT3_lPKT2_lT1_lS7_lS8_lS4_lPT4_lS8_li
                                        ; -- End function
	.section	.AMDGPU.csdata,"",@progbits
; Kernel info:
; codeLenInByte = 1388
; NumSgprs: 38
; NumVgprs: 11
; NumAgprs: 0
; TotalNumVgprs: 11
; ScratchSize: 0
; MemoryBound: 0
; FloatMode: 240
; IeeeMode: 1
; LDSByteSize: 256 bytes/workgroup (compile time only)
; SGPRBlocks: 4
; VGPRBlocks: 1
; NumSGPRsForWavesPerEU: 38
; NumVGPRsForWavesPerEU: 11
; AccumOffset: 12
; Occupancy: 8
; WaveLimiterHint : 1
; COMPUTE_PGM_RSRC2:SCRATCH_EN: 0
; COMPUTE_PGM_RSRC2:USER_SGPR: 2
; COMPUTE_PGM_RSRC2:TRAP_HANDLER: 0
; COMPUTE_PGM_RSRC2:TGID_X_EN: 1
; COMPUTE_PGM_RSRC2:TGID_Y_EN: 0
; COMPUTE_PGM_RSRC2:TGID_Z_EN: 1
; COMPUTE_PGM_RSRC2:TIDIG_COMP_CNT: 0
; COMPUTE_PGM_RSRC3_GFX90A:ACCUM_OFFSET: 2
; COMPUTE_PGM_RSRC3_GFX90A:TG_SPLIT: 0
	.section	.text._ZL34rocblas_gemvn_sm_mn_batched_kernelILi32ELi24EPKdS1_KPdEviiT2_lPKT1_lilS7_lilS4_lPT3_lili,"axG",@progbits,_ZL34rocblas_gemvn_sm_mn_batched_kernelILi32ELi24EPKdS1_KPdEviiT2_lPKT1_lilS7_lilS4_lPT3_lili,comdat
	.globl	_ZL34rocblas_gemvn_sm_mn_batched_kernelILi32ELi24EPKdS1_KPdEviiT2_lPKT1_lilS7_lilS4_lPT3_lili ; -- Begin function _ZL34rocblas_gemvn_sm_mn_batched_kernelILi32ELi24EPKdS1_KPdEviiT2_lPKT1_lilS7_lilS4_lPT3_lili
	.p2align	8
	.type	_ZL34rocblas_gemvn_sm_mn_batched_kernelILi32ELi24EPKdS1_KPdEviiT2_lPKT1_lilS7_lilS4_lPT3_lili,@function
_ZL34rocblas_gemvn_sm_mn_batched_kernelILi32ELi24EPKdS1_KPdEviiT2_lPKT1_lilS7_lilS4_lPT3_lili: ; @_ZL34rocblas_gemvn_sm_mn_batched_kernelILi32ELi24EPKdS1_KPdEviiT2_lPKT1_lilS7_lilS4_lPT3_lili
; %bb.0:
	s_load_dword s3, s[0:1], 0x9c
	s_load_dword s4, s[0:1], 0x88
	v_bfe_u32 v1, v0, 10, 10
	s_waitcnt lgkmcnt(0)
	s_lshr_b32 s3, s3, 16
	s_mul_i32 s2, s2, s3
	v_add_u32_e32 v2, s2, v1
	v_cmp_gt_i32_e32 vcc, s4, v2
	s_and_saveexec_b64 s[2:3], vcc
	s_cbranch_execz .LBB240_119
; %bb.1:
	s_load_dwordx8 s[12:19], s[0:1], 0x8
	s_load_dwordx8 s[4:11], s[0:1], 0x58
	s_waitcnt lgkmcnt(0)
	v_mad_u64_u32 v[8:9], s[2:3], v2, s14, 0
	v_mov_b32_e32 v10, v9
	v_mad_u64_u32 v[10:11], s[2:3], v2, s15, v[10:11]
	v_mov_b32_e32 v4, s12
	v_mov_b32_e32 v5, s13
	;; [unrolled: 1-line block ×3, first 2 shown]
	v_lshl_add_u64 v[4:5], v[8:9], 3, v[4:5]
	v_mad_u64_u32 v[8:9], s[2:3], v2, s6, 0
	v_mov_b32_e32 v10, v9
	v_mad_u64_u32 v[10:11], s[2:3], v2, s7, v[10:11]
	v_mov_b32_e32 v6, s4
	v_mov_b32_e32 v7, s5
	;; [unrolled: 1-line block ×3, first 2 shown]
	v_lshl_add_u64 v[6:7], v[8:9], 3, v[6:7]
	global_load_dwordx2 v[4:5], v[4:5], off
	s_waitcnt vmcnt(0)
	v_cmp_neq_f64_e32 vcc, 0, v[4:5]
	global_load_dwordx2 v[6:7], v[6:7], off
	s_waitcnt vmcnt(0)
	v_cmp_neq_f64_e64 s[2:3], 1.0, v[6:7]
	s_or_b64 s[2:3], vcc, s[2:3]
	s_and_b64 exec, exec, s[2:3]
	s_cbranch_execz .LBB240_119
; %bb.2:
	v_mov_b64_e32 v[10:11], 0
	v_mov_b32_e32 v3, 0
	v_cmp_eq_f64_e32 vcc, 0, v[4:5]
	v_cmp_neq_f64_e64 s[2:3], 0, v[4:5]
	v_mov_b64_e32 v[8:9], v[10:11]
	s_and_saveexec_b64 s[4:5], s[2:3]
	s_cbranch_execz .LBB240_4
; %bb.3:
	v_mov_b32_e32 v8, s16
	v_mov_b32_e32 v9, s17
	v_lshl_add_u64 v[8:9], v[2:3], 3, v[8:9]
	global_load_dwordx2 v[8:9], v[8:9], off
	s_waitcnt vmcnt(0)
	v_lshl_add_u64 v[8:9], s[18:19], 3, v[8:9]
.LBB240_4:
	s_or_b64 exec, exec, s[4:5]
	s_and_saveexec_b64 s[4:5], s[2:3]
	s_cbranch_execz .LBB240_6
; %bb.5:
	s_load_dwordx4 s[12:15], s[0:1], 0x38
	s_waitcnt lgkmcnt(0)
	v_mov_b32_e32 v10, s12
	v_mov_b32_e32 v11, s13
	v_lshl_add_u64 v[10:11], v[2:3], 3, v[10:11]
	global_load_dwordx2 v[10:11], v[10:11], off
	s_waitcnt vmcnt(0)
	v_lshl_add_u64 v[10:11], s[14:15], 3, v[10:11]
.LBB240_6:
	s_or_b64 exec, exec, s[4:5]
	v_mov_b32_e32 v12, s8
	v_mov_b32_e32 v13, s9
	v_lshl_add_u64 v[2:3], v[2:3], 3, v[12:13]
	global_load_dwordx2 v[2:3], v[2:3], off
	s_load_dwordx2 s[4:5], s[0:1], 0x0
	s_load_dword s33, s[0:1], 0x78
	v_and_b32_e32 v72, 0x3ff, v0
	s_waitcnt vmcnt(0)
	v_lshl_add_u64 v[2:3], s[10:11], 3, v[2:3]
	s_and_saveexec_b64 s[2:3], vcc
	s_xor_b64 s[6:7], exec, s[2:3]
	s_cbranch_execz .LBB240_16
; %bb.7:
	v_cmp_eq_f64_e64 s[2:3], 0, v[6:7]
	s_waitcnt lgkmcnt(0)
	v_cmp_gt_i32_e32 vcc, s4, v72
	s_and_saveexec_b64 s[8:9], s[2:3]
	s_xor_b64 s[2:3], exec, s[8:9]
	s_cbranch_execz .LBB240_11
; %bb.8:
	s_and_saveexec_b64 s[8:9], vcc
	s_cbranch_execz .LBB240_10
; %bb.9:
	v_mad_i64_i32 v[0:1], s[10:11], s33, v72, 0
	v_lshl_add_u64 v[0:1], v[0:1], 3, v[2:3]
	v_mov_b32_e32 v2, 0
	v_mov_b32_e32 v3, v2
	global_store_dwordx2 v[0:1], v[2:3], off
.LBB240_10:
	s_or_b64 exec, exec, s[8:9]
                                        ; implicit-def: $vgpr72
                                        ; implicit-def: $vgpr2_vgpr3
                                        ; implicit-def: $vgpr6_vgpr7
.LBB240_11:
	s_andn2_saveexec_b64 s[2:3], s[2:3]
	s_cbranch_execz .LBB240_15
; %bb.12:
	s_and_saveexec_b64 s[8:9], vcc
	s_cbranch_execz .LBB240_14
; %bb.13:
	v_mad_i64_i32 v[0:1], s[10:11], s33, v72, 0
	v_lshl_add_u64 v[0:1], v[0:1], 3, v[2:3]
	global_load_dwordx2 v[2:3], v[0:1], off
	s_waitcnt vmcnt(0)
	v_mul_f64 v[2:3], v[6:7], v[2:3]
	global_store_dwordx2 v[0:1], v[2:3], off
.LBB240_14:
	s_or_b64 exec, exec, s[8:9]
.LBB240_15:
	s_or_b64 exec, exec, s[2:3]
                                        ; implicit-def: $vgpr72
                                        ; implicit-def: $vgpr2_vgpr3
                                        ; implicit-def: $vgpr1
                                        ; implicit-def: $vgpr10_vgpr11
                                        ; implicit-def: $vgpr4_vgpr5
                                        ; implicit-def: $vgpr8_vgpr9
                                        ; implicit-def: $vgpr6_vgpr7
.LBB240_16:
	s_andn2_saveexec_b64 s[2:3], s[6:7]
	s_cbranch_execz .LBB240_119
; %bb.17:
	v_lshlrev_b32_e32 v73, 8, v1
	s_waitcnt lgkmcnt(0)
	v_cmp_gt_i32_e32 vcc, s5, v72
	s_and_saveexec_b64 s[2:3], vcc
	s_cbranch_execz .LBB240_19
; %bb.18:
	s_load_dword s6, s[0:1], 0x48
	s_waitcnt lgkmcnt(0)
	v_mad_i64_i32 v[0:1], s[6:7], s6, v72, 0
	v_lshl_add_u64 v[0:1], v[0:1], 3, v[10:11]
	flat_load_dwordx2 v[0:1], v[0:1]
	s_waitcnt vmcnt(0) lgkmcnt(0)
	v_mul_f64 v[0:1], v[4:5], v[0:1]
	v_lshl_add_u32 v4, v72, 3, v73
	ds_write_b64 v4, v[0:1]
.LBB240_19:
	s_or_b64 exec, exec, s[2:3]
	v_cmp_gt_i32_e32 vcc, s4, v72
	s_waitcnt lgkmcnt(0)
	s_barrier
	s_and_saveexec_b64 s[2:3], vcc
	s_cbranch_execz .LBB240_119
; %bb.20:
	v_mov_b64_e32 v[4:5], 0
	v_cmp_neq_f64_e32 vcc, 0, v[6:7]
	v_mov_b32_e32 v11, 0
	v_mov_b64_e32 v[0:1], v[4:5]
	s_and_saveexec_b64 s[2:3], vcc
	s_cbranch_execz .LBB240_22
; %bb.21:
	v_mad_i64_i32 v[0:1], s[6:7], s33, v72, 0
	v_lshl_add_u64 v[0:1], v[0:1], 3, v[2:3]
	global_load_dwordx2 v[0:1], v[0:1], off
	s_waitcnt vmcnt(0)
	v_mul_f64 v[0:1], v[6:7], v[0:1]
.LBB240_22:
	s_or_b64 exec, exec, s[2:3]
	v_lshlrev_b32_e32 v10, 3, v72
	s_cmp_gt_i32 s5, 0
	v_lshl_add_u64 v[40:41], v[8:9], 0, v[10:11]
	s_cselect_b64 s[2:3], -1, 0
	s_cmp_lt_i32 s5, 1
	v_mov_b64_e32 v[20:21], v[4:5]
	s_cbranch_scc1 .LBB240_24
; %bb.23:
	flat_load_dwordx2 v[20:21], v[40:41]
.LBB240_24:
	s_load_dword s48, s[0:1], 0x28
	s_waitcnt lgkmcnt(0)
	s_ashr_i32 s49, s48, 31
	s_cmp_gt_i32 s5, 1
	s_cselect_b64 s[0:1], -1, 0
	s_cmp_lt_i32 s5, 2
	s_cbranch_scc1 .LBB240_26
; %bb.25:
	v_lshl_add_u64 v[4:5], s[48:49], 3, v[40:41]
	flat_load_dwordx2 v[4:5], v[4:5]
.LBB240_26:
	s_cmp_gt_i32 s5, 2
	v_mov_b64_e32 v[6:7], 0
	s_cselect_b64 s[6:7], -1, 0
	s_cmp_lt_i32 s5, 3
	v_mov_b64_e32 v[26:27], v[6:7]
	s_cbranch_scc1 .LBB240_28
; %bb.27:
	v_lshl_add_u64 v[8:9], s[48:49], 4, v[40:41]
	flat_load_dwordx2 v[26:27], v[8:9]
.LBB240_28:
	s_cmp_gt_i32 s5, 3
	s_cselect_b64 s[8:9], -1, 0
	s_cmp_lt_i32 s5, 4
	s_cbranch_scc1 .LBB240_30
; %bb.29:
	v_mad_i64_i32 v[6:7], s[10:11], s48, 24, v[40:41]
	flat_load_dwordx2 v[6:7], v[6:7]
.LBB240_30:
	s_cmp_gt_i32 s5, 4
	v_mov_b64_e32 v[8:9], 0
	s_cselect_b64 s[10:11], -1, 0
	s_cmp_lt_i32 s5, 5
	v_mov_b64_e32 v[28:29], v[8:9]
	s_cbranch_scc1 .LBB240_32
; %bb.31:
	s_lshl_b64 s[12:13], s[48:49], 5
	v_lshl_add_u64 v[10:11], v[40:41], 0, s[12:13]
	flat_load_dwordx2 v[28:29], v[10:11]
.LBB240_32:
	s_cmp_gt_i32 s5, 5
	s_cselect_b64 s[12:13], -1, 0
	s_cmp_lt_i32 s5, 6
	s_cbranch_scc1 .LBB240_34
; %bb.33:
	v_mad_i64_i32 v[8:9], s[14:15], s48, 40, v[40:41]
	flat_load_dwordx2 v[8:9], v[8:9]
.LBB240_34:
	s_cmp_gt_i32 s5, 6
	v_mov_b64_e32 v[10:11], 0
	s_cselect_b64 s[14:15], -1, 0
	s_cmp_lt_i32 s5, 7
	v_mov_b64_e32 v[30:31], v[10:11]
	s_cbranch_scc1 .LBB240_36
; %bb.35:
	v_mad_i64_i32 v[12:13], s[16:17], s48, 48, v[40:41]
	flat_load_dwordx2 v[30:31], v[12:13]
.LBB240_36:
	s_cmp_gt_i32 s5, 7
	s_cselect_b64 s[16:17], -1, 0
	s_cmp_lt_i32 s5, 8
	s_cbranch_scc1 .LBB240_38
; %bb.37:
	v_mad_i64_i32 v[10:11], s[18:19], s48, 56, v[40:41]
	flat_load_dwordx2 v[10:11], v[10:11]
.LBB240_38:
	s_cmp_gt_i32 s5, 8
	v_mov_b64_e32 v[12:13], 0
	s_cselect_b64 s[18:19], -1, 0
	s_cmp_lt_i32 s5, 9
	v_mov_b64_e32 v[34:35], v[12:13]
	s_cbranch_scc1 .LBB240_40
; %bb.39:
	s_lshl_b64 s[20:21], s[48:49], 6
	v_lshl_add_u64 v[14:15], v[40:41], 0, s[20:21]
	flat_load_dwordx2 v[34:35], v[14:15]
.LBB240_40:
	s_cmp_gt_i32 s5, 9
	s_cselect_b64 s[20:21], -1, 0
	s_cmp_lt_i32 s5, 10
	s_cbranch_scc1 .LBB240_42
; %bb.41:
	v_mov_b32_e32 v12, 0x48
	v_mad_i64_i32 v[12:13], s[22:23], s48, v12, v[40:41]
	flat_load_dwordx2 v[12:13], v[12:13]
.LBB240_42:
	s_cmp_gt_i32 s5, 10
	v_mov_b64_e32 v[14:15], 0
	s_cselect_b64 s[22:23], -1, 0
	s_cmp_lt_i32 s5, 11
	v_mov_b64_e32 v[38:39], v[14:15]
	s_cbranch_scc1 .LBB240_44
; %bb.43:
	v_mov_b32_e32 v16, 0x50
	v_mad_i64_i32 v[16:17], s[24:25], s48, v16, v[40:41]
	flat_load_dwordx2 v[38:39], v[16:17]
.LBB240_44:
	s_cmp_gt_i32 s5, 11
	s_cselect_b64 s[24:25], -1, 0
	s_cmp_lt_i32 s5, 12
	s_cbranch_scc1 .LBB240_46
; %bb.45:
	v_mov_b32_e32 v14, 0x58
	v_mad_i64_i32 v[14:15], s[26:27], s48, v14, v[40:41]
	flat_load_dwordx2 v[14:15], v[14:15]
.LBB240_46:
	s_cmp_gt_i32 s5, 12
	v_mov_b64_e32 v[16:17], 0
	s_cselect_b64 s[26:27], -1, 0
	s_cmp_lt_i32 s5, 13
	v_mov_b64_e32 v[44:45], v[16:17]
	s_cbranch_scc1 .LBB240_48
; %bb.47:
	v_mov_b32_e32 v18, 0x60
	v_mad_i64_i32 v[18:19], s[28:29], s48, v18, v[40:41]
	flat_load_dwordx2 v[44:45], v[18:19]
.LBB240_48:
	;; [unrolled: 20-line block ×3, first 2 shown]
	s_cmp_gt_i32 s5, 15
	s_cselect_b64 s[34:35], -1, 0
	s_cmp_lt_i32 s5, 16
	s_cbranch_scc1 .LBB240_54
; %bb.53:
	v_mov_b32_e32 v18, 0x78
	v_mad_i64_i32 v[18:19], s[36:37], s48, v18, v[40:41]
	flat_load_dwordx2 v[18:19], v[18:19]
.LBB240_54:
	s_cmp_gt_i32 s5, 16
	v_mov_b64_e32 v[22:23], 0
	s_cselect_b64 s[36:37], -1, 0
	s_cmp_lt_i32 s5, 17
	v_mov_b64_e32 v[52:53], v[22:23]
	s_cbranch_scc1 .LBB240_56
; %bb.55:
	s_lshl_b64 s[38:39], s[48:49], 7
	v_lshl_add_u64 v[24:25], v[40:41], 0, s[38:39]
	flat_load_dwordx2 v[52:53], v[24:25]
.LBB240_56:
	s_cmp_gt_i32 s5, 17
	s_cselect_b64 s[38:39], -1, 0
	s_cmp_lt_i32 s5, 18
	s_cbranch_scc1 .LBB240_58
; %bb.57:
	v_mov_b32_e32 v22, 0x88
	v_mad_i64_i32 v[22:23], s[40:41], s48, v22, v[40:41]
	flat_load_dwordx2 v[22:23], v[22:23]
.LBB240_58:
	s_cmp_gt_i32 s5, 18
	v_mov_b64_e32 v[24:25], 0
	s_cselect_b64 s[40:41], -1, 0
	s_cmp_lt_i32 s5, 19
	v_mov_b64_e32 v[56:57], v[24:25]
	s_cbranch_scc1 .LBB240_60
; %bb.59:
	v_mov_b32_e32 v32, 0x90
	v_mad_i64_i32 v[32:33], s[42:43], s48, v32, v[40:41]
	flat_load_dwordx2 v[56:57], v[32:33]
.LBB240_60:
	s_cmp_gt_i32 s5, 19
	s_cselect_b64 s[42:43], -1, 0
	s_cmp_lt_i32 s5, 20
	s_cbranch_scc1 .LBB240_62
; %bb.61:
	v_mov_b32_e32 v24, 0x98
	v_mad_i64_i32 v[24:25], s[44:45], s48, v24, v[40:41]
	flat_load_dwordx2 v[24:25], v[24:25]
.LBB240_62:
	s_cmp_gt_i32 s5, 20
	v_mov_b64_e32 v[32:33], 0
	s_cselect_b64 s[44:45], -1, 0
	s_cmp_lt_i32 s5, 21
	v_mov_b64_e32 v[58:59], v[32:33]
	s_cbranch_scc1 .LBB240_64
; %bb.63:
	v_mov_b32_e32 v36, 0xa0
	v_mad_i64_i32 v[36:37], s[46:47], s48, v36, v[40:41]
	flat_load_dwordx2 v[58:59], v[36:37]
.LBB240_64:
	;; [unrolled: 20-line block ×6, first 2 shown]
	s_cmp_gt_i32 s5, 29
	s_cselect_b64 s[64:65], -1, 0
	s_cmp_lt_i32 s5, 30
	s_cbranch_scc1 .LBB240_82
; %bb.81:
	v_mov_b32_e32 v50, 0xe8
	v_mad_i64_i32 v[50:51], s[66:67], s48, v50, v[40:41]
	flat_load_dwordx2 v[50:51], v[50:51]
.LBB240_82:
	s_cmp_gt_i32 s5, 30
	v_mov_b64_e32 v[54:55], 0
	s_cselect_b64 s[66:67], -1, 0
	s_cmp_lt_i32 s5, 31
	v_mov_b64_e32 v[68:69], v[54:55]
	s_cbranch_scc0 .LBB240_120
; %bb.83:
	s_cmp_gt_i32 s5, 31
	s_cselect_b64 s[68:69], -1, 0
	s_cmp_lt_i32 s5, 32
	s_cbranch_scc0 .LBB240_121
.LBB240_84:
	v_mov_b64_e32 v[40:41], 0
	s_andn2_b64 vcc, exec, s[2:3]
	v_mov_b64_e32 v[70:71], v[40:41]
	s_cbranch_vccnz .LBB240_86
.LBB240_85:
	ds_read_b64 v[70:71], v73
	s_waitcnt vmcnt(0) lgkmcnt(0)
	v_mul_f64 v[70:71], v[20:21], v[70:71]
.LBB240_86:
	s_andn2_b64 vcc, exec, s[0:1]
	s_cbranch_vccz .LBB240_122
; %bb.87:
	s_waitcnt vmcnt(0) lgkmcnt(0)
	v_mov_b64_e32 v[4:5], 0
	s_andn2_b64 vcc, exec, s[6:7]
	v_mov_b64_e32 v[20:21], v[4:5]
	s_cbranch_vccz .LBB240_123
.LBB240_88:
	s_andn2_b64 vcc, exec, s[8:9]
	s_cbranch_vccz .LBB240_124
.LBB240_89:
	v_mov_b64_e32 v[6:7], 0
	s_andn2_b64 vcc, exec, s[10:11]
	v_mov_b64_e32 v[26:27], v[6:7]
	s_cbranch_vccz .LBB240_125
.LBB240_90:
	s_andn2_b64 vcc, exec, s[12:13]
	s_cbranch_vccz .LBB240_126
.LBB240_91:
	v_mov_b64_e32 v[8:9], 0
	s_andn2_b64 vcc, exec, s[14:15]
	v_mov_b64_e32 v[28:29], v[8:9]
	s_cbranch_vccz .LBB240_127
.LBB240_92:
	s_andn2_b64 vcc, exec, s[16:17]
	s_cbranch_vccz .LBB240_128
.LBB240_93:
	v_mov_b64_e32 v[10:11], 0
	s_andn2_b64 vcc, exec, s[18:19]
	v_mov_b64_e32 v[30:31], v[10:11]
	s_cbranch_vccz .LBB240_129
.LBB240_94:
	s_andn2_b64 vcc, exec, s[20:21]
	s_cbranch_vccz .LBB240_130
.LBB240_95:
	v_mov_b64_e32 v[12:13], 0
	s_andn2_b64 vcc, exec, s[22:23]
	v_mov_b64_e32 v[34:35], v[12:13]
	s_cbranch_vccz .LBB240_131
.LBB240_96:
	s_andn2_b64 vcc, exec, s[24:25]
	s_cbranch_vccz .LBB240_132
.LBB240_97:
	v_mov_b64_e32 v[14:15], 0
	s_andn2_b64 vcc, exec, s[26:27]
	v_mov_b64_e32 v[38:39], v[14:15]
	s_cbranch_vccz .LBB240_133
.LBB240_98:
	s_andn2_b64 vcc, exec, s[28:29]
	s_cbranch_vccz .LBB240_134
.LBB240_99:
	v_mov_b64_e32 v[16:17], 0
	s_andn2_b64 vcc, exec, s[30:31]
	v_mov_b64_e32 v[44:45], v[16:17]
	s_cbranch_vccz .LBB240_135
.LBB240_100:
	s_andn2_b64 vcc, exec, s[34:35]
	s_cbranch_vccz .LBB240_136
.LBB240_101:
	v_mov_b64_e32 v[18:19], 0
	s_andn2_b64 vcc, exec, s[36:37]
	v_mov_b64_e32 v[48:49], v[18:19]
	s_cbranch_vccz .LBB240_137
.LBB240_102:
	s_andn2_b64 vcc, exec, s[38:39]
	s_cbranch_vccz .LBB240_138
.LBB240_103:
	v_mov_b64_e32 v[22:23], 0
	s_andn2_b64 vcc, exec, s[40:41]
	v_mov_b64_e32 v[52:53], v[22:23]
	s_cbranch_vccz .LBB240_139
.LBB240_104:
	s_andn2_b64 vcc, exec, s[42:43]
	s_cbranch_vccz .LBB240_140
.LBB240_105:
	v_mov_b64_e32 v[24:25], 0
	s_andn2_b64 vcc, exec, s[44:45]
	v_mov_b64_e32 v[56:57], v[24:25]
	s_cbranch_vccz .LBB240_141
.LBB240_106:
	s_andn2_b64 vcc, exec, s[46:47]
	s_cbranch_vccz .LBB240_142
.LBB240_107:
	v_mov_b64_e32 v[32:33], 0
	s_andn2_b64 vcc, exec, s[50:51]
	v_mov_b64_e32 v[58:59], v[32:33]
	s_cbranch_vccz .LBB240_143
.LBB240_108:
	s_andn2_b64 vcc, exec, s[52:53]
	s_cbranch_vccz .LBB240_144
.LBB240_109:
	v_mov_b64_e32 v[36:37], 0
	s_andn2_b64 vcc, exec, s[54:55]
	v_mov_b64_e32 v[60:61], v[36:37]
	s_cbranch_vccz .LBB240_145
.LBB240_110:
	s_andn2_b64 vcc, exec, s[56:57]
	s_cbranch_vccz .LBB240_146
.LBB240_111:
	v_mov_b64_e32 v[42:43], 0
	s_andn2_b64 vcc, exec, s[58:59]
	v_mov_b64_e32 v[62:63], v[42:43]
	s_cbranch_vccz .LBB240_147
.LBB240_112:
	s_andn2_b64 vcc, exec, s[60:61]
	s_cbranch_vccz .LBB240_148
.LBB240_113:
	v_mov_b64_e32 v[46:47], 0
	s_andn2_b64 vcc, exec, s[62:63]
	v_mov_b64_e32 v[64:65], v[46:47]
	s_cbranch_vccz .LBB240_149
.LBB240_114:
	s_andn2_b64 vcc, exec, s[64:65]
	s_cbranch_vccz .LBB240_150
.LBB240_115:
	v_mov_b64_e32 v[50:51], 0
	s_andn2_b64 vcc, exec, s[66:67]
	v_mov_b64_e32 v[66:67], v[50:51]
	s_cbranch_vccz .LBB240_151
.LBB240_116:
	s_andn2_b64 vcc, exec, s[68:69]
	s_cbranch_vccnz .LBB240_118
.LBB240_117:
	ds_read_b64 v[50:51], v73 offset:248
	s_waitcnt lgkmcnt(0)
	v_mul_f64 v[50:51], v[54:55], v[50:51]
.LBB240_118:
	v_add_f64 v[0:1], v[0:1], v[70:71]
	v_add_f64 v[0:1], v[0:1], v[40:41]
	;; [unrolled: 1-line block ×31, first 2 shown]
	v_mad_i64_i32 v[4:5], s[0:1], s33, v72, 0
	v_add_f64 v[0:1], v[0:1], v[50:51]
	v_lshl_add_u64 v[2:3], v[4:5], 3, v[2:3]
	global_store_dwordx2 v[2:3], v[0:1], off
.LBB240_119:
	s_endpgm
.LBB240_120:
	v_mov_b32_e32 v68, 0xf0
	v_mad_i64_i32 v[68:69], s[68:69], s48, v68, v[40:41]
	flat_load_dwordx2 v[68:69], v[68:69]
	s_cmp_gt_i32 s5, 31
	s_cselect_b64 s[68:69], -1, 0
	s_cmp_lt_i32 s5, 32
	s_cbranch_scc1 .LBB240_84
.LBB240_121:
	v_mov_b32_e32 v54, 0xf8
	v_mad_i64_i32 v[40:41], s[4:5], s48, v54, v[40:41]
	flat_load_dwordx2 v[54:55], v[40:41]
	v_mov_b64_e32 v[40:41], 0
	s_andn2_b64 vcc, exec, s[2:3]
	v_mov_b64_e32 v[70:71], v[40:41]
	s_cbranch_vccz .LBB240_85
	s_branch .LBB240_86
.LBB240_122:
	s_waitcnt vmcnt(0)
	ds_read_b64 v[20:21], v73 offset:8
	s_waitcnt lgkmcnt(0)
	v_mul_f64 v[40:41], v[4:5], v[20:21]
	v_mov_b64_e32 v[4:5], 0
	s_andn2_b64 vcc, exec, s[6:7]
	v_mov_b64_e32 v[20:21], v[4:5]
	s_cbranch_vccnz .LBB240_88
.LBB240_123:
	ds_read_b64 v[20:21], v73 offset:16
	s_waitcnt lgkmcnt(0)
	v_mul_f64 v[20:21], v[26:27], v[20:21]
	s_andn2_b64 vcc, exec, s[8:9]
	s_cbranch_vccnz .LBB240_89
.LBB240_124:
	ds_read_b64 v[4:5], v73 offset:24
	s_waitcnt lgkmcnt(0)
	v_mul_f64 v[4:5], v[6:7], v[4:5]
	v_mov_b64_e32 v[6:7], 0
	s_andn2_b64 vcc, exec, s[10:11]
	v_mov_b64_e32 v[26:27], v[6:7]
	s_cbranch_vccnz .LBB240_90
.LBB240_125:
	ds_read_b64 v[26:27], v73 offset:32
	s_waitcnt lgkmcnt(0)
	v_mul_f64 v[26:27], v[28:29], v[26:27]
	s_andn2_b64 vcc, exec, s[12:13]
	s_cbranch_vccnz .LBB240_91
.LBB240_126:
	ds_read_b64 v[6:7], v73 offset:40
	s_waitcnt lgkmcnt(0)
	v_mul_f64 v[6:7], v[8:9], v[6:7]
	v_mov_b64_e32 v[8:9], 0
	s_andn2_b64 vcc, exec, s[14:15]
	v_mov_b64_e32 v[28:29], v[8:9]
	s_cbranch_vccnz .LBB240_92
.LBB240_127:
	ds_read_b64 v[28:29], v73 offset:48
	s_waitcnt lgkmcnt(0)
	v_mul_f64 v[28:29], v[30:31], v[28:29]
	s_andn2_b64 vcc, exec, s[16:17]
	s_cbranch_vccnz .LBB240_93
.LBB240_128:
	ds_read_b64 v[8:9], v73 offset:56
	s_waitcnt lgkmcnt(0)
	v_mul_f64 v[8:9], v[10:11], v[8:9]
	v_mov_b64_e32 v[10:11], 0
	s_andn2_b64 vcc, exec, s[18:19]
	v_mov_b64_e32 v[30:31], v[10:11]
	s_cbranch_vccnz .LBB240_94
.LBB240_129:
	ds_read_b64 v[30:31], v73 offset:64
	s_waitcnt lgkmcnt(0)
	v_mul_f64 v[30:31], v[34:35], v[30:31]
	s_andn2_b64 vcc, exec, s[20:21]
	s_cbranch_vccnz .LBB240_95
.LBB240_130:
	ds_read_b64 v[10:11], v73 offset:72
	s_waitcnt lgkmcnt(0)
	v_mul_f64 v[10:11], v[12:13], v[10:11]
	v_mov_b64_e32 v[12:13], 0
	s_andn2_b64 vcc, exec, s[22:23]
	v_mov_b64_e32 v[34:35], v[12:13]
	s_cbranch_vccnz .LBB240_96
.LBB240_131:
	ds_read_b64 v[34:35], v73 offset:80
	s_waitcnt lgkmcnt(0)
	v_mul_f64 v[34:35], v[38:39], v[34:35]
	s_andn2_b64 vcc, exec, s[24:25]
	s_cbranch_vccnz .LBB240_97
.LBB240_132:
	ds_read_b64 v[12:13], v73 offset:88
	s_waitcnt lgkmcnt(0)
	v_mul_f64 v[12:13], v[14:15], v[12:13]
	v_mov_b64_e32 v[14:15], 0
	s_andn2_b64 vcc, exec, s[26:27]
	v_mov_b64_e32 v[38:39], v[14:15]
	s_cbranch_vccnz .LBB240_98
.LBB240_133:
	ds_read_b64 v[38:39], v73 offset:96
	s_waitcnt lgkmcnt(0)
	v_mul_f64 v[38:39], v[44:45], v[38:39]
	s_andn2_b64 vcc, exec, s[28:29]
	s_cbranch_vccnz .LBB240_99
.LBB240_134:
	ds_read_b64 v[14:15], v73 offset:104
	s_waitcnt lgkmcnt(0)
	v_mul_f64 v[14:15], v[16:17], v[14:15]
	v_mov_b64_e32 v[16:17], 0
	s_andn2_b64 vcc, exec, s[30:31]
	v_mov_b64_e32 v[44:45], v[16:17]
	s_cbranch_vccnz .LBB240_100
.LBB240_135:
	ds_read_b64 v[44:45], v73 offset:112
	s_waitcnt lgkmcnt(0)
	v_mul_f64 v[44:45], v[48:49], v[44:45]
	s_andn2_b64 vcc, exec, s[34:35]
	s_cbranch_vccnz .LBB240_101
.LBB240_136:
	ds_read_b64 v[16:17], v73 offset:120
	s_waitcnt lgkmcnt(0)
	v_mul_f64 v[16:17], v[18:19], v[16:17]
	v_mov_b64_e32 v[18:19], 0
	s_andn2_b64 vcc, exec, s[36:37]
	v_mov_b64_e32 v[48:49], v[18:19]
	s_cbranch_vccnz .LBB240_102
.LBB240_137:
	ds_read_b64 v[48:49], v73 offset:128
	s_waitcnt lgkmcnt(0)
	v_mul_f64 v[48:49], v[52:53], v[48:49]
	s_andn2_b64 vcc, exec, s[38:39]
	s_cbranch_vccnz .LBB240_103
.LBB240_138:
	ds_read_b64 v[18:19], v73 offset:136
	s_waitcnt lgkmcnt(0)
	v_mul_f64 v[18:19], v[22:23], v[18:19]
	v_mov_b64_e32 v[22:23], 0
	s_andn2_b64 vcc, exec, s[40:41]
	v_mov_b64_e32 v[52:53], v[22:23]
	s_cbranch_vccnz .LBB240_104
.LBB240_139:
	ds_read_b64 v[52:53], v73 offset:144
	s_waitcnt lgkmcnt(0)
	v_mul_f64 v[52:53], v[56:57], v[52:53]
	s_andn2_b64 vcc, exec, s[42:43]
	s_cbranch_vccnz .LBB240_105
.LBB240_140:
	ds_read_b64 v[22:23], v73 offset:152
	s_waitcnt lgkmcnt(0)
	v_mul_f64 v[22:23], v[24:25], v[22:23]
	v_mov_b64_e32 v[24:25], 0
	s_andn2_b64 vcc, exec, s[44:45]
	v_mov_b64_e32 v[56:57], v[24:25]
	s_cbranch_vccnz .LBB240_106
.LBB240_141:
	ds_read_b64 v[56:57], v73 offset:160
	s_waitcnt lgkmcnt(0)
	v_mul_f64 v[56:57], v[58:59], v[56:57]
	s_andn2_b64 vcc, exec, s[46:47]
	s_cbranch_vccnz .LBB240_107
.LBB240_142:
	ds_read_b64 v[24:25], v73 offset:168
	s_waitcnt lgkmcnt(0)
	v_mul_f64 v[24:25], v[32:33], v[24:25]
	v_mov_b64_e32 v[32:33], 0
	s_andn2_b64 vcc, exec, s[50:51]
	v_mov_b64_e32 v[58:59], v[32:33]
	s_cbranch_vccnz .LBB240_108
.LBB240_143:
	ds_read_b64 v[58:59], v73 offset:176
	s_waitcnt lgkmcnt(0)
	v_mul_f64 v[58:59], v[60:61], v[58:59]
	s_andn2_b64 vcc, exec, s[52:53]
	s_cbranch_vccnz .LBB240_109
.LBB240_144:
	ds_read_b64 v[32:33], v73 offset:184
	s_waitcnt lgkmcnt(0)
	v_mul_f64 v[32:33], v[36:37], v[32:33]
	v_mov_b64_e32 v[36:37], 0
	s_andn2_b64 vcc, exec, s[54:55]
	v_mov_b64_e32 v[60:61], v[36:37]
	s_cbranch_vccnz .LBB240_110
.LBB240_145:
	ds_read_b64 v[60:61], v73 offset:192
	s_waitcnt lgkmcnt(0)
	v_mul_f64 v[60:61], v[62:63], v[60:61]
	s_andn2_b64 vcc, exec, s[56:57]
	s_cbranch_vccnz .LBB240_111
.LBB240_146:
	ds_read_b64 v[36:37], v73 offset:200
	s_waitcnt lgkmcnt(0)
	v_mul_f64 v[36:37], v[42:43], v[36:37]
	v_mov_b64_e32 v[42:43], 0
	s_andn2_b64 vcc, exec, s[58:59]
	v_mov_b64_e32 v[62:63], v[42:43]
	s_cbranch_vccnz .LBB240_112
.LBB240_147:
	ds_read_b64 v[62:63], v73 offset:208
	s_waitcnt lgkmcnt(0)
	v_mul_f64 v[62:63], v[64:65], v[62:63]
	s_andn2_b64 vcc, exec, s[60:61]
	s_cbranch_vccnz .LBB240_113
.LBB240_148:
	ds_read_b64 v[42:43], v73 offset:216
	s_waitcnt lgkmcnt(0)
	v_mul_f64 v[42:43], v[46:47], v[42:43]
	v_mov_b64_e32 v[46:47], 0
	s_andn2_b64 vcc, exec, s[62:63]
	v_mov_b64_e32 v[64:65], v[46:47]
	s_cbranch_vccnz .LBB240_114
.LBB240_149:
	ds_read_b64 v[64:65], v73 offset:224
	s_waitcnt lgkmcnt(0)
	v_mul_f64 v[64:65], v[66:67], v[64:65]
	s_andn2_b64 vcc, exec, s[64:65]
	s_cbranch_vccnz .LBB240_115
.LBB240_150:
	ds_read_b64 v[46:47], v73 offset:232
	s_waitcnt lgkmcnt(0)
	v_mul_f64 v[46:47], v[50:51], v[46:47]
	v_mov_b64_e32 v[50:51], 0
	s_andn2_b64 vcc, exec, s[66:67]
	v_mov_b64_e32 v[66:67], v[50:51]
	s_cbranch_vccnz .LBB240_116
.LBB240_151:
	ds_read_b64 v[66:67], v73 offset:240
	s_waitcnt lgkmcnt(0)
	v_mul_f64 v[66:67], v[68:69], v[66:67]
	s_andn2_b64 vcc, exec, s[68:69]
	s_cbranch_vccz .LBB240_117
	s_branch .LBB240_118
	.section	.rodata,"a",@progbits
	.p2align	6, 0x0
	.amdhsa_kernel _ZL34rocblas_gemvn_sm_mn_batched_kernelILi32ELi24EPKdS1_KPdEviiT2_lPKT1_lilS7_lilS4_lPT3_lili
		.amdhsa_group_segment_fixed_size 6144
		.amdhsa_private_segment_fixed_size 0
		.amdhsa_kernarg_size 400
		.amdhsa_user_sgpr_count 2
		.amdhsa_user_sgpr_dispatch_ptr 0
		.amdhsa_user_sgpr_queue_ptr 0
		.amdhsa_user_sgpr_kernarg_segment_ptr 1
		.amdhsa_user_sgpr_dispatch_id 0
		.amdhsa_user_sgpr_kernarg_preload_length 0
		.amdhsa_user_sgpr_kernarg_preload_offset 0
		.amdhsa_user_sgpr_private_segment_size 0
		.amdhsa_uses_dynamic_stack 0
		.amdhsa_enable_private_segment 0
		.amdhsa_system_sgpr_workgroup_id_x 1
		.amdhsa_system_sgpr_workgroup_id_y 0
		.amdhsa_system_sgpr_workgroup_id_z 0
		.amdhsa_system_sgpr_workgroup_info 0
		.amdhsa_system_vgpr_workitem_id 1
		.amdhsa_next_free_vgpr 74
		.amdhsa_next_free_sgpr 70
		.amdhsa_accum_offset 76
		.amdhsa_reserve_vcc 1
		.amdhsa_float_round_mode_32 0
		.amdhsa_float_round_mode_16_64 0
		.amdhsa_float_denorm_mode_32 3
		.amdhsa_float_denorm_mode_16_64 3
		.amdhsa_dx10_clamp 1
		.amdhsa_ieee_mode 1
		.amdhsa_fp16_overflow 0
		.amdhsa_tg_split 0
		.amdhsa_exception_fp_ieee_invalid_op 0
		.amdhsa_exception_fp_denorm_src 0
		.amdhsa_exception_fp_ieee_div_zero 0
		.amdhsa_exception_fp_ieee_overflow 0
		.amdhsa_exception_fp_ieee_underflow 0
		.amdhsa_exception_fp_ieee_inexact 0
		.amdhsa_exception_int_div_zero 0
	.end_amdhsa_kernel
	.section	.text._ZL34rocblas_gemvn_sm_mn_batched_kernelILi32ELi24EPKdS1_KPdEviiT2_lPKT1_lilS7_lilS4_lPT3_lili,"axG",@progbits,_ZL34rocblas_gemvn_sm_mn_batched_kernelILi32ELi24EPKdS1_KPdEviiT2_lPKT1_lilS7_lilS4_lPT3_lili,comdat
.Lfunc_end240:
	.size	_ZL34rocblas_gemvn_sm_mn_batched_kernelILi32ELi24EPKdS1_KPdEviiT2_lPKT1_lilS7_lilS4_lPT3_lili, .Lfunc_end240-_ZL34rocblas_gemvn_sm_mn_batched_kernelILi32ELi24EPKdS1_KPdEviiT2_lPKT1_lilS7_lilS4_lPT3_lili
                                        ; -- End function
	.section	.AMDGPU.csdata,"",@progbits
; Kernel info:
; codeLenInByte = 3796
; NumSgprs: 76
; NumVgprs: 74
; NumAgprs: 0
; TotalNumVgprs: 74
; ScratchSize: 0
; MemoryBound: 0
; FloatMode: 240
; IeeeMode: 1
; LDSByteSize: 6144 bytes/workgroup (compile time only)
; SGPRBlocks: 9
; VGPRBlocks: 9
; NumSGPRsForWavesPerEU: 76
; NumVGPRsForWavesPerEU: 74
; AccumOffset: 76
; Occupancy: 6
; WaveLimiterHint : 1
; COMPUTE_PGM_RSRC2:SCRATCH_EN: 0
; COMPUTE_PGM_RSRC2:USER_SGPR: 2
; COMPUTE_PGM_RSRC2:TRAP_HANDLER: 0
; COMPUTE_PGM_RSRC2:TGID_X_EN: 1
; COMPUTE_PGM_RSRC2:TGID_Y_EN: 0
; COMPUTE_PGM_RSRC2:TGID_Z_EN: 0
; COMPUTE_PGM_RSRC2:TIDIG_COMP_CNT: 1
; COMPUTE_PGM_RSRC3_GFX90A:ACCUM_OFFSET: 18
; COMPUTE_PGM_RSRC3_GFX90A:TG_SPLIT: 0
	.section	.text._ZL34rocblas_gemvn_sm_mn_batched_kernelILi32ELi24EPKddKPdEviiT2_lPKT1_lilS7_lilS4_lPT3_lili,"axG",@progbits,_ZL34rocblas_gemvn_sm_mn_batched_kernelILi32ELi24EPKddKPdEviiT2_lPKT1_lilS7_lilS4_lPT3_lili,comdat
	.globl	_ZL34rocblas_gemvn_sm_mn_batched_kernelILi32ELi24EPKddKPdEviiT2_lPKT1_lilS7_lilS4_lPT3_lili ; -- Begin function _ZL34rocblas_gemvn_sm_mn_batched_kernelILi32ELi24EPKddKPdEviiT2_lPKT1_lilS7_lilS4_lPT3_lili
	.p2align	8
	.type	_ZL34rocblas_gemvn_sm_mn_batched_kernelILi32ELi24EPKddKPdEviiT2_lPKT1_lilS7_lilS4_lPT3_lili,@function
_ZL34rocblas_gemvn_sm_mn_batched_kernelILi32ELi24EPKddKPdEviiT2_lPKT1_lilS7_lilS4_lPT3_lili: ; @_ZL34rocblas_gemvn_sm_mn_batched_kernelILi32ELi24EPKddKPdEviiT2_lPKT1_lilS7_lilS4_lPT3_lili
; %bb.0:
	s_load_dword s3, s[0:1], 0x9c
	s_load_dword s4, s[0:1], 0x88
	v_bfe_u32 v8, v0, 10, 10
	s_waitcnt lgkmcnt(0)
	s_lshr_b32 s3, s3, 16
	s_mul_i32 s2, s2, s3
	v_add_u32_e32 v4, s2, v8
	v_cmp_gt_i32_e32 vcc, s4, v4
	s_and_saveexec_b64 s[2:3], vcc
	s_cbranch_execz .LBB241_122
; %bb.1:
	s_load_dwordx2 s[8:9], s[0:1], 0x8
	s_load_dwordx2 s[6:7], s[0:1], 0x58
	s_waitcnt lgkmcnt(0)
	v_cmp_eq_f64_e64 s[2:3], s[8:9], 0
	v_cmp_eq_f64_e64 s[4:5], s[6:7], 1.0
	s_and_b64 s[4:5], s[2:3], s[4:5]
	s_and_b64 vcc, exec, s[4:5]
	s_cbranch_vccnz .LBB241_122
; %bb.2:
	v_cmp_neq_f64_e64 s[4:5], s[8:9], 0
	s_mov_b64 s[10:11], 0
	s_and_b64 vcc, exec, s[4:5]
	s_cbranch_vccnz .LBB241_4
; %bb.3:
	v_mov_b32_e32 v5, 0
	s_mov_b64 s[12:13], 0
	s_andn2_b64 vcc, exec, s[10:11]
	v_mov_b64_e32 v[6:7], s[12:13]
	s_cbranch_vccz .LBB241_5
	s_branch .LBB241_6
.LBB241_4:
                                        ; implicit-def: $sgpr12_sgpr13
	v_mov_b64_e32 v[6:7], s[12:13]
.LBB241_5:
	s_load_dwordx4 s[12:15], s[0:1], 0x18
	v_mov_b32_e32 v5, 0
	s_waitcnt lgkmcnt(0)
	v_mov_b32_e32 v2, s12
	v_mov_b32_e32 v3, s13
	v_lshl_add_u64 v[2:3], v[4:5], 3, v[2:3]
	global_load_dwordx2 v[2:3], v[2:3], off
	s_waitcnt vmcnt(0)
	v_lshl_add_u64 v[6:7], s[14:15], 3, v[2:3]
.LBB241_6:
	s_andn2_b64 vcc, exec, s[4:5]
	s_cbranch_vccnz .LBB241_8
; %bb.7:
	s_load_dwordx4 s[12:15], s[0:1], 0x38
	s_waitcnt lgkmcnt(0)
	v_mov_b32_e32 v2, s12
	v_mov_b32_e32 v3, s13
	v_lshl_add_u64 v[2:3], v[4:5], 3, v[2:3]
	global_load_dwordx2 v[2:3], v[2:3], off
	s_waitcnt vmcnt(0)
	v_lshl_add_u64 v[2:3], s[14:15], 3, v[2:3]
	s_branch .LBB241_9
.LBB241_8:
	v_mov_b64_e32 v[2:3], 0
.LBB241_9:
	s_load_dwordx4 s[12:15], s[0:1], 0x68
	v_and_b32_e32 v72, 0x3ff, v0
	s_mov_b64 s[10:11], -1
	s_andn2_b64 vcc, exec, s[2:3]
	s_waitcnt lgkmcnt(0)
	v_mov_b32_e32 v10, s12
	v_mov_b32_e32 v11, s13
	v_lshl_add_u64 v[4:5], v[4:5], 3, v[10:11]
	global_load_dwordx2 v[4:5], v[4:5], off
	s_load_dwordx2 s[4:5], s[0:1], 0x0
	s_load_dword s33, s[0:1], 0x78
	s_waitcnt lgkmcnt(0)
	v_cmp_gt_i32_e64 s[2:3], s4, v72
	s_waitcnt vmcnt(0)
	v_lshl_add_u64 v[0:1], s[14:15], 3, v[4:5]
	s_cbranch_vccnz .LBB241_19
; %bb.10:
	v_cmp_eq_f64_e64 s[10:11], s[6:7], 0
	s_and_b64 vcc, exec, s[10:11]
	s_cbranch_vccz .LBB241_14
; %bb.11:
	s_and_saveexec_b64 s[10:11], s[2:3]
	s_cbranch_execz .LBB241_13
; %bb.12:
	v_mad_i64_i32 v[4:5], s[12:13], s33, v72, 0
	v_mov_b32_e32 v10, 0
	v_lshl_add_u64 v[4:5], v[4:5], 3, v[0:1]
	v_mov_b32_e32 v11, v10
	global_store_dwordx2 v[4:5], v[10:11], off
.LBB241_13:
	s_or_b64 exec, exec, s[10:11]
	s_cbranch_execz .LBB241_15
	s_branch .LBB241_18
.LBB241_14:
.LBB241_15:
	s_and_saveexec_b64 s[10:11], s[2:3]
	s_cbranch_execz .LBB241_17
; %bb.16:
	v_mad_i64_i32 v[4:5], s[2:3], s33, v72, 0
	v_lshl_add_u64 v[4:5], v[4:5], 3, v[0:1]
	global_load_dwordx2 v[10:11], v[4:5], off
	s_waitcnt vmcnt(0)
	v_mul_f64 v[10:11], v[10:11], s[6:7]
	global_store_dwordx2 v[4:5], v[10:11], off
.LBB241_17:
	s_or_b64 exec, exec, s[10:11]
.LBB241_18:
	s_mov_b64 s[10:11], 0
.LBB241_19:
	s_andn2_b64 vcc, exec, s[10:11]
	s_cbranch_vccnz .LBB241_122
; %bb.20:
	v_lshlrev_b32_e32 v73, 8, v8
	v_cmp_gt_i32_e32 vcc, s5, v72
	s_and_saveexec_b64 s[2:3], vcc
	s_cbranch_execz .LBB241_22
; %bb.21:
	s_load_dword s10, s[0:1], 0x48
	s_waitcnt lgkmcnt(0)
	v_mad_i64_i32 v[4:5], s[10:11], s10, v72, 0
	v_lshl_add_u64 v[2:3], v[4:5], 3, v[2:3]
	flat_load_dwordx2 v[2:3], v[2:3]
	v_lshl_add_u32 v4, v72, 3, v73
	s_waitcnt vmcnt(0) lgkmcnt(0)
	v_mul_f64 v[2:3], v[2:3], s[8:9]
	ds_write_b64 v4, v[2:3]
.LBB241_22:
	s_or_b64 exec, exec, s[2:3]
	v_cmp_gt_i32_e32 vcc, s4, v72
	s_waitcnt lgkmcnt(0)
	s_barrier
	s_and_b64 exec, exec, vcc
	s_cbranch_execz .LBB241_122
; %bb.23:
	v_mov_b64_e32 v[4:5], 0
	v_cmp_eq_f64_e64 s[2:3], s[6:7], 0
	v_mov_b32_e32 v9, 0
	s_and_b64 vcc, exec, s[2:3]
	v_mov_b64_e32 v[2:3], v[4:5]
	s_cbranch_vccnz .LBB241_25
; %bb.24:
	v_mad_i64_i32 v[2:3], s[2:3], s33, v72, 0
	v_lshl_add_u64 v[2:3], v[2:3], 3, v[0:1]
	global_load_dwordx2 v[2:3], v[2:3], off
	s_waitcnt vmcnt(0)
	v_mul_f64 v[2:3], v[2:3], s[6:7]
.LBB241_25:
	v_lshlrev_b32_e32 v8, 3, v72
	s_cmp_gt_i32 s5, 0
	v_lshl_add_u64 v[40:41], v[6:7], 0, v[8:9]
	s_cselect_b64 s[2:3], -1, 0
	s_cmp_lt_i32 s5, 1
	v_mov_b64_e32 v[20:21], v[4:5]
	s_cbranch_scc1 .LBB241_27
; %bb.26:
	flat_load_dwordx2 v[20:21], v[40:41]
.LBB241_27:
	s_load_dword s48, s[0:1], 0x28
	s_waitcnt lgkmcnt(0)
	s_ashr_i32 s49, s48, 31
	s_cmp_gt_i32 s5, 1
	s_cselect_b64 s[0:1], -1, 0
	s_cmp_lt_i32 s5, 2
	s_cbranch_scc1 .LBB241_29
; %bb.28:
	v_lshl_add_u64 v[4:5], s[48:49], 3, v[40:41]
	flat_load_dwordx2 v[4:5], v[4:5]
.LBB241_29:
	s_cmp_gt_i32 s5, 2
	v_mov_b64_e32 v[6:7], 0
	s_cselect_b64 s[6:7], -1, 0
	s_cmp_lt_i32 s5, 3
	v_mov_b64_e32 v[26:27], v[6:7]
	s_cbranch_scc1 .LBB241_31
; %bb.30:
	v_lshl_add_u64 v[8:9], s[48:49], 4, v[40:41]
	flat_load_dwordx2 v[26:27], v[8:9]
.LBB241_31:
	s_cmp_gt_i32 s5, 3
	s_cselect_b64 s[8:9], -1, 0
	s_cmp_lt_i32 s5, 4
	s_cbranch_scc1 .LBB241_33
; %bb.32:
	v_mad_i64_i32 v[6:7], s[10:11], s48, 24, v[40:41]
	flat_load_dwordx2 v[6:7], v[6:7]
.LBB241_33:
	s_cmp_gt_i32 s5, 4
	v_mov_b64_e32 v[8:9], 0
	s_cselect_b64 s[10:11], -1, 0
	s_cmp_lt_i32 s5, 5
	v_mov_b64_e32 v[28:29], v[8:9]
	s_cbranch_scc1 .LBB241_35
; %bb.34:
	s_lshl_b64 s[12:13], s[48:49], 5
	v_lshl_add_u64 v[10:11], v[40:41], 0, s[12:13]
	flat_load_dwordx2 v[28:29], v[10:11]
.LBB241_35:
	s_cmp_gt_i32 s5, 5
	s_cselect_b64 s[12:13], -1, 0
	s_cmp_lt_i32 s5, 6
	s_cbranch_scc1 .LBB241_37
; %bb.36:
	v_mad_i64_i32 v[8:9], s[14:15], s48, 40, v[40:41]
	flat_load_dwordx2 v[8:9], v[8:9]
.LBB241_37:
	s_cmp_gt_i32 s5, 6
	v_mov_b64_e32 v[10:11], 0
	s_cselect_b64 s[14:15], -1, 0
	s_cmp_lt_i32 s5, 7
	v_mov_b64_e32 v[30:31], v[10:11]
	s_cbranch_scc1 .LBB241_39
; %bb.38:
	v_mad_i64_i32 v[12:13], s[16:17], s48, 48, v[40:41]
	flat_load_dwordx2 v[30:31], v[12:13]
.LBB241_39:
	s_cmp_gt_i32 s5, 7
	s_cselect_b64 s[16:17], -1, 0
	s_cmp_lt_i32 s5, 8
	s_cbranch_scc1 .LBB241_41
; %bb.40:
	v_mad_i64_i32 v[10:11], s[18:19], s48, 56, v[40:41]
	flat_load_dwordx2 v[10:11], v[10:11]
.LBB241_41:
	s_cmp_gt_i32 s5, 8
	v_mov_b64_e32 v[12:13], 0
	s_cselect_b64 s[18:19], -1, 0
	s_cmp_lt_i32 s5, 9
	v_mov_b64_e32 v[34:35], v[12:13]
	s_cbranch_scc1 .LBB241_43
; %bb.42:
	s_lshl_b64 s[20:21], s[48:49], 6
	v_lshl_add_u64 v[14:15], v[40:41], 0, s[20:21]
	flat_load_dwordx2 v[34:35], v[14:15]
.LBB241_43:
	s_cmp_gt_i32 s5, 9
	s_cselect_b64 s[20:21], -1, 0
	s_cmp_lt_i32 s5, 10
	s_cbranch_scc1 .LBB241_45
; %bb.44:
	v_mov_b32_e32 v12, 0x48
	v_mad_i64_i32 v[12:13], s[22:23], s48, v12, v[40:41]
	flat_load_dwordx2 v[12:13], v[12:13]
.LBB241_45:
	s_cmp_gt_i32 s5, 10
	v_mov_b64_e32 v[14:15], 0
	s_cselect_b64 s[22:23], -1, 0
	s_cmp_lt_i32 s5, 11
	v_mov_b64_e32 v[38:39], v[14:15]
	s_cbranch_scc1 .LBB241_47
; %bb.46:
	v_mov_b32_e32 v16, 0x50
	v_mad_i64_i32 v[16:17], s[24:25], s48, v16, v[40:41]
	flat_load_dwordx2 v[38:39], v[16:17]
.LBB241_47:
	s_cmp_gt_i32 s5, 11
	s_cselect_b64 s[24:25], -1, 0
	s_cmp_lt_i32 s5, 12
	s_cbranch_scc1 .LBB241_49
; %bb.48:
	v_mov_b32_e32 v14, 0x58
	v_mad_i64_i32 v[14:15], s[26:27], s48, v14, v[40:41]
	flat_load_dwordx2 v[14:15], v[14:15]
.LBB241_49:
	s_cmp_gt_i32 s5, 12
	v_mov_b64_e32 v[16:17], 0
	s_cselect_b64 s[26:27], -1, 0
	s_cmp_lt_i32 s5, 13
	v_mov_b64_e32 v[44:45], v[16:17]
	s_cbranch_scc1 .LBB241_51
; %bb.50:
	v_mov_b32_e32 v18, 0x60
	v_mad_i64_i32 v[18:19], s[28:29], s48, v18, v[40:41]
	flat_load_dwordx2 v[44:45], v[18:19]
.LBB241_51:
	;; [unrolled: 20-line block ×3, first 2 shown]
	s_cmp_gt_i32 s5, 15
	s_cselect_b64 s[34:35], -1, 0
	s_cmp_lt_i32 s5, 16
	s_cbranch_scc1 .LBB241_57
; %bb.56:
	v_mov_b32_e32 v18, 0x78
	v_mad_i64_i32 v[18:19], s[36:37], s48, v18, v[40:41]
	flat_load_dwordx2 v[18:19], v[18:19]
.LBB241_57:
	s_cmp_gt_i32 s5, 16
	v_mov_b64_e32 v[22:23], 0
	s_cselect_b64 s[36:37], -1, 0
	s_cmp_lt_i32 s5, 17
	v_mov_b64_e32 v[52:53], v[22:23]
	s_cbranch_scc1 .LBB241_59
; %bb.58:
	s_lshl_b64 s[38:39], s[48:49], 7
	v_lshl_add_u64 v[24:25], v[40:41], 0, s[38:39]
	flat_load_dwordx2 v[52:53], v[24:25]
.LBB241_59:
	s_cmp_gt_i32 s5, 17
	s_cselect_b64 s[38:39], -1, 0
	s_cmp_lt_i32 s5, 18
	s_cbranch_scc1 .LBB241_61
; %bb.60:
	v_mov_b32_e32 v22, 0x88
	v_mad_i64_i32 v[22:23], s[40:41], s48, v22, v[40:41]
	flat_load_dwordx2 v[22:23], v[22:23]
.LBB241_61:
	s_cmp_gt_i32 s5, 18
	v_mov_b64_e32 v[24:25], 0
	s_cselect_b64 s[40:41], -1, 0
	s_cmp_lt_i32 s5, 19
	v_mov_b64_e32 v[56:57], v[24:25]
	s_cbranch_scc1 .LBB241_63
; %bb.62:
	v_mov_b32_e32 v32, 0x90
	v_mad_i64_i32 v[32:33], s[42:43], s48, v32, v[40:41]
	flat_load_dwordx2 v[56:57], v[32:33]
.LBB241_63:
	s_cmp_gt_i32 s5, 19
	s_cselect_b64 s[42:43], -1, 0
	s_cmp_lt_i32 s5, 20
	s_cbranch_scc1 .LBB241_65
; %bb.64:
	v_mov_b32_e32 v24, 0x98
	v_mad_i64_i32 v[24:25], s[44:45], s48, v24, v[40:41]
	flat_load_dwordx2 v[24:25], v[24:25]
.LBB241_65:
	s_cmp_gt_i32 s5, 20
	v_mov_b64_e32 v[32:33], 0
	s_cselect_b64 s[44:45], -1, 0
	s_cmp_lt_i32 s5, 21
	v_mov_b64_e32 v[58:59], v[32:33]
	s_cbranch_scc1 .LBB241_67
; %bb.66:
	v_mov_b32_e32 v36, 0xa0
	v_mad_i64_i32 v[36:37], s[46:47], s48, v36, v[40:41]
	flat_load_dwordx2 v[58:59], v[36:37]
.LBB241_67:
	;; [unrolled: 20-line block ×6, first 2 shown]
	s_cmp_gt_i32 s5, 29
	s_cselect_b64 s[64:65], -1, 0
	s_cmp_lt_i32 s5, 30
	s_cbranch_scc1 .LBB241_85
; %bb.84:
	v_mov_b32_e32 v50, 0xe8
	v_mad_i64_i32 v[50:51], s[66:67], s48, v50, v[40:41]
	flat_load_dwordx2 v[50:51], v[50:51]
.LBB241_85:
	s_cmp_gt_i32 s5, 30
	v_mov_b64_e32 v[54:55], 0
	s_cselect_b64 s[66:67], -1, 0
	s_cmp_lt_i32 s5, 31
	v_mov_b64_e32 v[68:69], v[54:55]
	s_cbranch_scc0 .LBB241_123
; %bb.86:
	s_cmp_gt_i32 s5, 31
	s_cselect_b64 s[68:69], -1, 0
	s_cmp_lt_i32 s5, 32
	s_cbranch_scc0 .LBB241_124
.LBB241_87:
	v_mov_b64_e32 v[40:41], 0
	s_andn2_b64 vcc, exec, s[2:3]
	v_mov_b64_e32 v[70:71], v[40:41]
	s_cbranch_vccnz .LBB241_89
.LBB241_88:
	ds_read_b64 v[70:71], v73
	s_waitcnt vmcnt(0) lgkmcnt(0)
	v_mul_f64 v[70:71], v[20:21], v[70:71]
.LBB241_89:
	s_andn2_b64 vcc, exec, s[0:1]
	s_cbranch_vccz .LBB241_125
; %bb.90:
	s_waitcnt vmcnt(0) lgkmcnt(0)
	v_mov_b64_e32 v[4:5], 0
	s_andn2_b64 vcc, exec, s[6:7]
	v_mov_b64_e32 v[20:21], v[4:5]
	s_cbranch_vccz .LBB241_126
.LBB241_91:
	s_andn2_b64 vcc, exec, s[8:9]
	s_cbranch_vccz .LBB241_127
.LBB241_92:
	v_mov_b64_e32 v[6:7], 0
	s_andn2_b64 vcc, exec, s[10:11]
	v_mov_b64_e32 v[26:27], v[6:7]
	s_cbranch_vccz .LBB241_128
.LBB241_93:
	s_andn2_b64 vcc, exec, s[12:13]
	s_cbranch_vccz .LBB241_129
.LBB241_94:
	v_mov_b64_e32 v[8:9], 0
	s_andn2_b64 vcc, exec, s[14:15]
	v_mov_b64_e32 v[28:29], v[8:9]
	s_cbranch_vccz .LBB241_130
.LBB241_95:
	s_andn2_b64 vcc, exec, s[16:17]
	s_cbranch_vccz .LBB241_131
.LBB241_96:
	v_mov_b64_e32 v[10:11], 0
	s_andn2_b64 vcc, exec, s[18:19]
	v_mov_b64_e32 v[30:31], v[10:11]
	s_cbranch_vccz .LBB241_132
.LBB241_97:
	s_andn2_b64 vcc, exec, s[20:21]
	s_cbranch_vccz .LBB241_133
.LBB241_98:
	v_mov_b64_e32 v[12:13], 0
	s_andn2_b64 vcc, exec, s[22:23]
	v_mov_b64_e32 v[34:35], v[12:13]
	s_cbranch_vccz .LBB241_134
.LBB241_99:
	s_andn2_b64 vcc, exec, s[24:25]
	s_cbranch_vccz .LBB241_135
.LBB241_100:
	v_mov_b64_e32 v[14:15], 0
	s_andn2_b64 vcc, exec, s[26:27]
	v_mov_b64_e32 v[38:39], v[14:15]
	s_cbranch_vccz .LBB241_136
.LBB241_101:
	s_andn2_b64 vcc, exec, s[28:29]
	s_cbranch_vccz .LBB241_137
.LBB241_102:
	v_mov_b64_e32 v[16:17], 0
	s_andn2_b64 vcc, exec, s[30:31]
	v_mov_b64_e32 v[44:45], v[16:17]
	s_cbranch_vccz .LBB241_138
.LBB241_103:
	s_andn2_b64 vcc, exec, s[34:35]
	s_cbranch_vccz .LBB241_139
.LBB241_104:
	v_mov_b64_e32 v[18:19], 0
	s_andn2_b64 vcc, exec, s[36:37]
	v_mov_b64_e32 v[48:49], v[18:19]
	s_cbranch_vccz .LBB241_140
.LBB241_105:
	s_andn2_b64 vcc, exec, s[38:39]
	s_cbranch_vccz .LBB241_141
.LBB241_106:
	v_mov_b64_e32 v[22:23], 0
	s_andn2_b64 vcc, exec, s[40:41]
	v_mov_b64_e32 v[52:53], v[22:23]
	s_cbranch_vccz .LBB241_142
.LBB241_107:
	s_andn2_b64 vcc, exec, s[42:43]
	s_cbranch_vccz .LBB241_143
.LBB241_108:
	v_mov_b64_e32 v[24:25], 0
	s_andn2_b64 vcc, exec, s[44:45]
	v_mov_b64_e32 v[56:57], v[24:25]
	s_cbranch_vccz .LBB241_144
.LBB241_109:
	s_andn2_b64 vcc, exec, s[46:47]
	s_cbranch_vccz .LBB241_145
.LBB241_110:
	v_mov_b64_e32 v[32:33], 0
	s_andn2_b64 vcc, exec, s[50:51]
	v_mov_b64_e32 v[58:59], v[32:33]
	s_cbranch_vccz .LBB241_146
.LBB241_111:
	s_andn2_b64 vcc, exec, s[52:53]
	s_cbranch_vccz .LBB241_147
.LBB241_112:
	v_mov_b64_e32 v[36:37], 0
	s_andn2_b64 vcc, exec, s[54:55]
	v_mov_b64_e32 v[60:61], v[36:37]
	s_cbranch_vccz .LBB241_148
.LBB241_113:
	s_andn2_b64 vcc, exec, s[56:57]
	s_cbranch_vccz .LBB241_149
.LBB241_114:
	v_mov_b64_e32 v[42:43], 0
	s_andn2_b64 vcc, exec, s[58:59]
	v_mov_b64_e32 v[62:63], v[42:43]
	s_cbranch_vccz .LBB241_150
.LBB241_115:
	s_andn2_b64 vcc, exec, s[60:61]
	s_cbranch_vccz .LBB241_151
.LBB241_116:
	v_mov_b64_e32 v[46:47], 0
	s_andn2_b64 vcc, exec, s[62:63]
	v_mov_b64_e32 v[64:65], v[46:47]
	s_cbranch_vccz .LBB241_152
.LBB241_117:
	s_andn2_b64 vcc, exec, s[64:65]
	s_cbranch_vccz .LBB241_153
.LBB241_118:
	v_mov_b64_e32 v[50:51], 0
	s_andn2_b64 vcc, exec, s[66:67]
	v_mov_b64_e32 v[66:67], v[50:51]
	s_cbranch_vccz .LBB241_154
.LBB241_119:
	s_andn2_b64 vcc, exec, s[68:69]
	s_cbranch_vccnz .LBB241_121
.LBB241_120:
	ds_read_b64 v[50:51], v73 offset:248
	s_waitcnt lgkmcnt(0)
	v_mul_f64 v[50:51], v[54:55], v[50:51]
.LBB241_121:
	v_add_f64 v[2:3], v[2:3], v[70:71]
	v_add_f64 v[2:3], v[2:3], v[40:41]
	;; [unrolled: 1-line block ×31, first 2 shown]
	v_mad_i64_i32 v[4:5], s[0:1], s33, v72, 0
	v_add_f64 v[2:3], v[2:3], v[50:51]
	v_lshl_add_u64 v[0:1], v[4:5], 3, v[0:1]
	global_store_dwordx2 v[0:1], v[2:3], off
.LBB241_122:
	s_endpgm
.LBB241_123:
	v_mov_b32_e32 v68, 0xf0
	v_mad_i64_i32 v[68:69], s[68:69], s48, v68, v[40:41]
	flat_load_dwordx2 v[68:69], v[68:69]
	s_cmp_gt_i32 s5, 31
	s_cselect_b64 s[68:69], -1, 0
	s_cmp_lt_i32 s5, 32
	s_cbranch_scc1 .LBB241_87
.LBB241_124:
	v_mov_b32_e32 v54, 0xf8
	v_mad_i64_i32 v[40:41], s[4:5], s48, v54, v[40:41]
	flat_load_dwordx2 v[54:55], v[40:41]
	v_mov_b64_e32 v[40:41], 0
	s_andn2_b64 vcc, exec, s[2:3]
	v_mov_b64_e32 v[70:71], v[40:41]
	s_cbranch_vccz .LBB241_88
	s_branch .LBB241_89
.LBB241_125:
	s_waitcnt vmcnt(0)
	ds_read_b64 v[20:21], v73 offset:8
	s_waitcnt lgkmcnt(0)
	v_mul_f64 v[40:41], v[4:5], v[20:21]
	v_mov_b64_e32 v[4:5], 0
	s_andn2_b64 vcc, exec, s[6:7]
	v_mov_b64_e32 v[20:21], v[4:5]
	s_cbranch_vccnz .LBB241_91
.LBB241_126:
	ds_read_b64 v[20:21], v73 offset:16
	s_waitcnt lgkmcnt(0)
	v_mul_f64 v[20:21], v[26:27], v[20:21]
	s_andn2_b64 vcc, exec, s[8:9]
	s_cbranch_vccnz .LBB241_92
.LBB241_127:
	ds_read_b64 v[4:5], v73 offset:24
	s_waitcnt lgkmcnt(0)
	v_mul_f64 v[4:5], v[6:7], v[4:5]
	v_mov_b64_e32 v[6:7], 0
	s_andn2_b64 vcc, exec, s[10:11]
	v_mov_b64_e32 v[26:27], v[6:7]
	s_cbranch_vccnz .LBB241_93
.LBB241_128:
	ds_read_b64 v[26:27], v73 offset:32
	s_waitcnt lgkmcnt(0)
	v_mul_f64 v[26:27], v[28:29], v[26:27]
	s_andn2_b64 vcc, exec, s[12:13]
	s_cbranch_vccnz .LBB241_94
.LBB241_129:
	ds_read_b64 v[6:7], v73 offset:40
	s_waitcnt lgkmcnt(0)
	v_mul_f64 v[6:7], v[8:9], v[6:7]
	v_mov_b64_e32 v[8:9], 0
	s_andn2_b64 vcc, exec, s[14:15]
	v_mov_b64_e32 v[28:29], v[8:9]
	s_cbranch_vccnz .LBB241_95
.LBB241_130:
	ds_read_b64 v[28:29], v73 offset:48
	s_waitcnt lgkmcnt(0)
	v_mul_f64 v[28:29], v[30:31], v[28:29]
	s_andn2_b64 vcc, exec, s[16:17]
	s_cbranch_vccnz .LBB241_96
.LBB241_131:
	ds_read_b64 v[8:9], v73 offset:56
	s_waitcnt lgkmcnt(0)
	v_mul_f64 v[8:9], v[10:11], v[8:9]
	v_mov_b64_e32 v[10:11], 0
	s_andn2_b64 vcc, exec, s[18:19]
	v_mov_b64_e32 v[30:31], v[10:11]
	s_cbranch_vccnz .LBB241_97
.LBB241_132:
	ds_read_b64 v[30:31], v73 offset:64
	s_waitcnt lgkmcnt(0)
	v_mul_f64 v[30:31], v[34:35], v[30:31]
	s_andn2_b64 vcc, exec, s[20:21]
	s_cbranch_vccnz .LBB241_98
.LBB241_133:
	ds_read_b64 v[10:11], v73 offset:72
	s_waitcnt lgkmcnt(0)
	v_mul_f64 v[10:11], v[12:13], v[10:11]
	v_mov_b64_e32 v[12:13], 0
	s_andn2_b64 vcc, exec, s[22:23]
	v_mov_b64_e32 v[34:35], v[12:13]
	s_cbranch_vccnz .LBB241_99
.LBB241_134:
	ds_read_b64 v[34:35], v73 offset:80
	s_waitcnt lgkmcnt(0)
	v_mul_f64 v[34:35], v[38:39], v[34:35]
	s_andn2_b64 vcc, exec, s[24:25]
	s_cbranch_vccnz .LBB241_100
.LBB241_135:
	ds_read_b64 v[12:13], v73 offset:88
	s_waitcnt lgkmcnt(0)
	v_mul_f64 v[12:13], v[14:15], v[12:13]
	v_mov_b64_e32 v[14:15], 0
	s_andn2_b64 vcc, exec, s[26:27]
	v_mov_b64_e32 v[38:39], v[14:15]
	s_cbranch_vccnz .LBB241_101
.LBB241_136:
	ds_read_b64 v[38:39], v73 offset:96
	s_waitcnt lgkmcnt(0)
	v_mul_f64 v[38:39], v[44:45], v[38:39]
	s_andn2_b64 vcc, exec, s[28:29]
	s_cbranch_vccnz .LBB241_102
.LBB241_137:
	ds_read_b64 v[14:15], v73 offset:104
	s_waitcnt lgkmcnt(0)
	v_mul_f64 v[14:15], v[16:17], v[14:15]
	v_mov_b64_e32 v[16:17], 0
	s_andn2_b64 vcc, exec, s[30:31]
	v_mov_b64_e32 v[44:45], v[16:17]
	s_cbranch_vccnz .LBB241_103
.LBB241_138:
	ds_read_b64 v[44:45], v73 offset:112
	s_waitcnt lgkmcnt(0)
	v_mul_f64 v[44:45], v[48:49], v[44:45]
	s_andn2_b64 vcc, exec, s[34:35]
	s_cbranch_vccnz .LBB241_104
.LBB241_139:
	ds_read_b64 v[16:17], v73 offset:120
	s_waitcnt lgkmcnt(0)
	v_mul_f64 v[16:17], v[18:19], v[16:17]
	v_mov_b64_e32 v[18:19], 0
	s_andn2_b64 vcc, exec, s[36:37]
	v_mov_b64_e32 v[48:49], v[18:19]
	s_cbranch_vccnz .LBB241_105
.LBB241_140:
	ds_read_b64 v[48:49], v73 offset:128
	s_waitcnt lgkmcnt(0)
	v_mul_f64 v[48:49], v[52:53], v[48:49]
	s_andn2_b64 vcc, exec, s[38:39]
	s_cbranch_vccnz .LBB241_106
.LBB241_141:
	ds_read_b64 v[18:19], v73 offset:136
	s_waitcnt lgkmcnt(0)
	v_mul_f64 v[18:19], v[22:23], v[18:19]
	v_mov_b64_e32 v[22:23], 0
	s_andn2_b64 vcc, exec, s[40:41]
	v_mov_b64_e32 v[52:53], v[22:23]
	s_cbranch_vccnz .LBB241_107
.LBB241_142:
	ds_read_b64 v[52:53], v73 offset:144
	s_waitcnt lgkmcnt(0)
	v_mul_f64 v[52:53], v[56:57], v[52:53]
	s_andn2_b64 vcc, exec, s[42:43]
	s_cbranch_vccnz .LBB241_108
.LBB241_143:
	ds_read_b64 v[22:23], v73 offset:152
	s_waitcnt lgkmcnt(0)
	v_mul_f64 v[22:23], v[24:25], v[22:23]
	v_mov_b64_e32 v[24:25], 0
	s_andn2_b64 vcc, exec, s[44:45]
	v_mov_b64_e32 v[56:57], v[24:25]
	s_cbranch_vccnz .LBB241_109
.LBB241_144:
	ds_read_b64 v[56:57], v73 offset:160
	s_waitcnt lgkmcnt(0)
	v_mul_f64 v[56:57], v[58:59], v[56:57]
	s_andn2_b64 vcc, exec, s[46:47]
	s_cbranch_vccnz .LBB241_110
.LBB241_145:
	ds_read_b64 v[24:25], v73 offset:168
	s_waitcnt lgkmcnt(0)
	v_mul_f64 v[24:25], v[32:33], v[24:25]
	v_mov_b64_e32 v[32:33], 0
	s_andn2_b64 vcc, exec, s[50:51]
	v_mov_b64_e32 v[58:59], v[32:33]
	s_cbranch_vccnz .LBB241_111
.LBB241_146:
	ds_read_b64 v[58:59], v73 offset:176
	s_waitcnt lgkmcnt(0)
	v_mul_f64 v[58:59], v[60:61], v[58:59]
	s_andn2_b64 vcc, exec, s[52:53]
	s_cbranch_vccnz .LBB241_112
.LBB241_147:
	ds_read_b64 v[32:33], v73 offset:184
	s_waitcnt lgkmcnt(0)
	v_mul_f64 v[32:33], v[36:37], v[32:33]
	v_mov_b64_e32 v[36:37], 0
	s_andn2_b64 vcc, exec, s[54:55]
	v_mov_b64_e32 v[60:61], v[36:37]
	s_cbranch_vccnz .LBB241_113
.LBB241_148:
	ds_read_b64 v[60:61], v73 offset:192
	s_waitcnt lgkmcnt(0)
	v_mul_f64 v[60:61], v[62:63], v[60:61]
	s_andn2_b64 vcc, exec, s[56:57]
	s_cbranch_vccnz .LBB241_114
.LBB241_149:
	ds_read_b64 v[36:37], v73 offset:200
	s_waitcnt lgkmcnt(0)
	v_mul_f64 v[36:37], v[42:43], v[36:37]
	v_mov_b64_e32 v[42:43], 0
	s_andn2_b64 vcc, exec, s[58:59]
	v_mov_b64_e32 v[62:63], v[42:43]
	s_cbranch_vccnz .LBB241_115
.LBB241_150:
	ds_read_b64 v[62:63], v73 offset:208
	s_waitcnt lgkmcnt(0)
	v_mul_f64 v[62:63], v[64:65], v[62:63]
	s_andn2_b64 vcc, exec, s[60:61]
	s_cbranch_vccnz .LBB241_116
.LBB241_151:
	ds_read_b64 v[42:43], v73 offset:216
	s_waitcnt lgkmcnt(0)
	v_mul_f64 v[42:43], v[46:47], v[42:43]
	v_mov_b64_e32 v[46:47], 0
	s_andn2_b64 vcc, exec, s[62:63]
	v_mov_b64_e32 v[64:65], v[46:47]
	s_cbranch_vccnz .LBB241_117
.LBB241_152:
	ds_read_b64 v[64:65], v73 offset:224
	s_waitcnt lgkmcnt(0)
	v_mul_f64 v[64:65], v[66:67], v[64:65]
	s_andn2_b64 vcc, exec, s[64:65]
	s_cbranch_vccnz .LBB241_118
.LBB241_153:
	ds_read_b64 v[46:47], v73 offset:232
	s_waitcnt lgkmcnt(0)
	v_mul_f64 v[46:47], v[50:51], v[46:47]
	v_mov_b64_e32 v[50:51], 0
	s_andn2_b64 vcc, exec, s[66:67]
	v_mov_b64_e32 v[66:67], v[50:51]
	s_cbranch_vccnz .LBB241_119
.LBB241_154:
	ds_read_b64 v[66:67], v73 offset:240
	s_waitcnt lgkmcnt(0)
	v_mul_f64 v[66:67], v[68:69], v[66:67]
	s_andn2_b64 vcc, exec, s[68:69]
	s_cbranch_vccz .LBB241_120
	s_branch .LBB241_121
	.section	.rodata,"a",@progbits
	.p2align	6, 0x0
	.amdhsa_kernel _ZL34rocblas_gemvn_sm_mn_batched_kernelILi32ELi24EPKddKPdEviiT2_lPKT1_lilS7_lilS4_lPT3_lili
		.amdhsa_group_segment_fixed_size 6144
		.amdhsa_private_segment_fixed_size 0
		.amdhsa_kernarg_size 400
		.amdhsa_user_sgpr_count 2
		.amdhsa_user_sgpr_dispatch_ptr 0
		.amdhsa_user_sgpr_queue_ptr 0
		.amdhsa_user_sgpr_kernarg_segment_ptr 1
		.amdhsa_user_sgpr_dispatch_id 0
		.amdhsa_user_sgpr_kernarg_preload_length 0
		.amdhsa_user_sgpr_kernarg_preload_offset 0
		.amdhsa_user_sgpr_private_segment_size 0
		.amdhsa_uses_dynamic_stack 0
		.amdhsa_enable_private_segment 0
		.amdhsa_system_sgpr_workgroup_id_x 1
		.amdhsa_system_sgpr_workgroup_id_y 0
		.amdhsa_system_sgpr_workgroup_id_z 0
		.amdhsa_system_sgpr_workgroup_info 0
		.amdhsa_system_vgpr_workitem_id 1
		.amdhsa_next_free_vgpr 74
		.amdhsa_next_free_sgpr 70
		.amdhsa_accum_offset 76
		.amdhsa_reserve_vcc 1
		.amdhsa_float_round_mode_32 0
		.amdhsa_float_round_mode_16_64 0
		.amdhsa_float_denorm_mode_32 3
		.amdhsa_float_denorm_mode_16_64 3
		.amdhsa_dx10_clamp 1
		.amdhsa_ieee_mode 1
		.amdhsa_fp16_overflow 0
		.amdhsa_tg_split 0
		.amdhsa_exception_fp_ieee_invalid_op 0
		.amdhsa_exception_fp_denorm_src 0
		.amdhsa_exception_fp_ieee_div_zero 0
		.amdhsa_exception_fp_ieee_overflow 0
		.amdhsa_exception_fp_ieee_underflow 0
		.amdhsa_exception_fp_ieee_inexact 0
		.amdhsa_exception_int_div_zero 0
	.end_amdhsa_kernel
	.section	.text._ZL34rocblas_gemvn_sm_mn_batched_kernelILi32ELi24EPKddKPdEviiT2_lPKT1_lilS7_lilS4_lPT3_lili,"axG",@progbits,_ZL34rocblas_gemvn_sm_mn_batched_kernelILi32ELi24EPKddKPdEviiT2_lPKT1_lilS7_lilS4_lPT3_lili,comdat
.Lfunc_end241:
	.size	_ZL34rocblas_gemvn_sm_mn_batched_kernelILi32ELi24EPKddKPdEviiT2_lPKT1_lilS7_lilS4_lPT3_lili, .Lfunc_end241-_ZL34rocblas_gemvn_sm_mn_batched_kernelILi32ELi24EPKddKPdEviiT2_lPKT1_lilS7_lilS4_lPT3_lili
                                        ; -- End function
	.section	.AMDGPU.csdata,"",@progbits
; Kernel info:
; codeLenInByte = 3736
; NumSgprs: 76
; NumVgprs: 74
; NumAgprs: 0
; TotalNumVgprs: 74
; ScratchSize: 0
; MemoryBound: 0
; FloatMode: 240
; IeeeMode: 1
; LDSByteSize: 6144 bytes/workgroup (compile time only)
; SGPRBlocks: 9
; VGPRBlocks: 9
; NumSGPRsForWavesPerEU: 76
; NumVGPRsForWavesPerEU: 74
; AccumOffset: 76
; Occupancy: 6
; WaveLimiterHint : 1
; COMPUTE_PGM_RSRC2:SCRATCH_EN: 0
; COMPUTE_PGM_RSRC2:USER_SGPR: 2
; COMPUTE_PGM_RSRC2:TRAP_HANDLER: 0
; COMPUTE_PGM_RSRC2:TGID_X_EN: 1
; COMPUTE_PGM_RSRC2:TGID_Y_EN: 0
; COMPUTE_PGM_RSRC2:TGID_Z_EN: 0
; COMPUTE_PGM_RSRC2:TIDIG_COMP_CNT: 1
; COMPUTE_PGM_RSRC3_GFX90A:ACCUM_OFFSET: 18
; COMPUTE_PGM_RSRC3_GFX90A:TG_SPLIT: 0
	.section	.text._ZL20rocblas_gemvn_kernelILi64ELi4EiPKdS1_KPdEviiT3_lPKT2_lT1_lS7_lS8_lS4_lPT4_lS8_li,"axG",@progbits,_ZL20rocblas_gemvn_kernelILi64ELi4EiPKdS1_KPdEviiT3_lPKT2_lT1_lS7_lS8_lS4_lPT4_lS8_li,comdat
	.globl	_ZL20rocblas_gemvn_kernelILi64ELi4EiPKdS1_KPdEviiT3_lPKT2_lT1_lS7_lS8_lS4_lPT4_lS8_li ; -- Begin function _ZL20rocblas_gemvn_kernelILi64ELi4EiPKdS1_KPdEviiT3_lPKT2_lT1_lS7_lS8_lS4_lPT4_lS8_li
	.p2align	8
	.type	_ZL20rocblas_gemvn_kernelILi64ELi4EiPKdS1_KPdEviiT3_lPKT2_lT1_lS7_lS8_lS4_lPT4_lS8_li,@function
_ZL20rocblas_gemvn_kernelILi64ELi4EiPKdS1_KPdEviiT3_lPKT2_lT1_lS7_lS8_lS4_lPT4_lS8_li: ; @_ZL20rocblas_gemvn_kernelILi64ELi4EiPKdS1_KPdEviiT3_lPKT2_lT1_lS7_lS8_lS4_lPT4_lS8_li
; %bb.0:
	s_load_dwordx2 s[4:5], s[0:1], 0x9c
	s_mov_b32 s24, s3
	s_waitcnt lgkmcnt(0)
	s_and_b32 s3, s5, 0xffff
	s_lshr_b32 s5, s4, 16
	s_and_b32 s4, s4, 0xffff
	s_mul_i32 s4, s5, s4
	s_mul_i32 s4, s4, s3
	s_cmpk_lg_i32 s4, 0x100
	s_cbranch_scc1 .LBB242_54
; %bb.1:
	s_load_dwordx8 s[12:19], s[0:1], 0x8
	s_load_dwordx8 s[4:11], s[0:1], 0x58
	s_waitcnt lgkmcnt(0)
	s_mul_i32 s3, s24, s15
	s_mul_hi_u32 s15, s24, s14
	s_mul_i32 s14, s24, s14
	s_add_i32 s15, s15, s3
	s_lshl_b64 s[14:15], s[14:15], 3
	s_mul_i32 s7, s24, s7
	s_add_u32 s12, s12, s14
	s_mul_hi_u32 s3, s24, s6
	s_addc_u32 s13, s13, s15
	s_add_i32 s7, s3, s7
	s_mul_i32 s6, s24, s6
	s_lshl_b64 s[6:7], s[6:7], 3
	s_add_u32 s4, s4, s6
	s_addc_u32 s5, s5, s7
	s_load_dwordx2 s[14:15], s[12:13], 0x0
	s_nop 0
	s_load_dwordx2 s[12:13], s[4:5], 0x0
	s_waitcnt lgkmcnt(0)
	v_cmp_eq_f64_e64 s[4:5], s[14:15], 0
	v_cmp_eq_f64_e64 s[6:7], s[12:13], 1.0
	s_and_b64 s[6:7], s[4:5], s[6:7]
	s_and_b64 vcc, exec, s[6:7]
	s_cbranch_vccnz .LBB242_54
; %bb.2:
	s_mov_b32 s25, 0
	s_mov_b64 s[22:23], 0
	v_cmp_neq_f64_e64 s[6:7], s[14:15], 0
	s_and_b64 vcc, exec, s[4:5]
	s_mov_b64 s[20:21], 0
	s_cbranch_vccnz .LBB242_4
; %bb.3:
	s_lshl_b64 s[20:21], s[24:25], 3
	s_add_u32 s16, s16, s20
	s_addc_u32 s17, s17, s21
	s_load_dwordx2 s[16:17], s[16:17], 0x0
	s_lshl_b64 s[18:19], s[18:19], 3
	s_waitcnt lgkmcnt(0)
	s_add_u32 s20, s16, s18
	s_addc_u32 s21, s17, s19
.LBB242_4:
	s_andn2_b64 vcc, exec, s[6:7]
	s_cbranch_vccnz .LBB242_6
; %bb.5:
	s_load_dwordx4 s[16:19], s[0:1], 0x38
	s_lshl_b64 s[6:7], s[24:25], 3
	s_waitcnt lgkmcnt(0)
	s_add_u32 s6, s16, s6
	s_addc_u32 s7, s17, s7
	s_load_dwordx2 s[6:7], s[6:7], 0x0
	s_lshl_b64 s[16:17], s[18:19], 3
	s_waitcnt lgkmcnt(0)
	s_add_u32 s22, s6, s16
	s_addc_u32 s23, s7, s17
.LBB242_6:
	s_lshl_b64 s[6:7], s[24:25], 3
	s_add_u32 s6, s8, s6
	s_addc_u32 s7, s9, s7
	s_load_dwordx2 s[8:9], s[6:7], 0x0
	s_load_dwordx2 s[16:17], s[0:1], 0x0
	s_load_dword s33, s[0:1], 0x78
	s_lshl_b64 s[6:7], s[10:11], 3
	v_and_b32_e32 v2, 0x3ff, v0
	s_waitcnt lgkmcnt(0)
	s_add_u32 s8, s8, s6
	v_bfe_u32 v54, v0, 10, 10
	s_addc_u32 s9, s9, s7
	s_andn2_b64 vcc, exec, s[4:5]
	v_lshl_add_u32 v3, v54, 6, v2
	s_cbranch_vccnz .LBB242_13
; %bb.7:
	s_movk_i32 s3, 0x100
	v_cmp_gt_u32_e32 vcc, s3, v3
	s_mov_b64 s[4:5], 0
	s_mov_b64 s[10:11], 0
                                        ; implicit-def: $vgpr0_vgpr1
                                        ; implicit-def: $vgpr4_vgpr5
	s_and_saveexec_b64 s[6:7], vcc
	s_cbranch_execz .LBB242_14
; %bb.8:
	v_lshl_or_b32 v6, s2, 8, v3
	v_mov_b32_e32 v7, 0
	s_ashr_i32 s11, s16, 31
	s_mov_b32 s10, s16
	v_cmp_gt_i64_e32 vcc, s[10:11], v[6:7]
	s_mov_b64 s[18:19], 0
                                        ; implicit-def: $vgpr0_vgpr1
                                        ; implicit-def: $vgpr4_vgpr5
	s_and_saveexec_b64 s[10:11], vcc
	s_cbranch_execz .LBB242_12
; %bb.9:
	v_mad_u64_u32 v[4:5], s[24:25], s33, v6, 0
	s_ashr_i32 s3, s33, 31
	v_mov_b32_e32 v8, v5
	v_cmp_eq_f64_e64 s[18:19], s[12:13], 0
	v_mad_u64_u32 v[6:7], s[24:25], s3, v6, v[8:9]
	v_mov_b64_e32 v[0:1], 0
	v_mov_b32_e32 v5, v6
	s_and_b64 vcc, exec, s[18:19]
	s_cbranch_vccnz .LBB242_11
; %bb.10:
	v_lshl_add_u64 v[0:1], v[4:5], 3, s[8:9]
	global_load_dwordx2 v[0:1], v[0:1], off
	s_waitcnt vmcnt(0)
	v_mul_f64 v[0:1], s[12:13], v[0:1]
.LBB242_11:
	s_mov_b64 s[18:19], exec
.LBB242_12:
	s_or_b64 exec, exec, s[10:11]
	s_and_b64 s[10:11], s[18:19], exec
	s_or_b64 exec, exec, s[6:7]
	s_and_b64 vcc, exec, s[4:5]
	s_cbranch_vccnz .LBB242_15
	s_branch .LBB242_52
.LBB242_13:
	s_mov_b64 s[10:11], 0
                                        ; implicit-def: $vgpr0_vgpr1
                                        ; implicit-def: $vgpr4_vgpr5
	s_cbranch_execnz .LBB242_15
	s_branch .LBB242_52
.LBB242_14:
	s_or_b64 exec, exec, s[6:7]
	s_and_b64 vcc, exec, s[4:5]
	s_cbranch_vccz .LBB242_52
.LBB242_15:
	s_load_dword s35, s[0:1], 0x28
	s_load_dword s36, s[0:1], 0x48
	s_ashr_i32 s0, s17, 31
	s_lshr_b32 s0, s0, 28
	s_add_i32 s0, s17, s0
	s_lshl_b32 s34, s2, 8
	s_and_b32 s37, s0, -16
	v_lshlrev_b32_e32 v56, 2, v54
	v_mov_b64_e32 v[0:1], 0
	v_add_u32_e32 v55, s34, v2
	v_cmp_gt_i32_e32 vcc, s37, v56
	v_mov_b64_e32 v[4:5], v[0:1]
	v_mov_b64_e32 v[6:7], v[0:1]
	;; [unrolled: 1-line block ×3, first 2 shown]
	s_and_saveexec_b64 s[18:19], vcc
	s_cbranch_execz .LBB242_27
; %bb.16:
	v_add_u32_e32 v0, 64, v55
	v_cmp_gt_i32_e64 s[0:1], s16, v0
	v_add_u32_e32 v0, 0x80, v55
	v_cmp_gt_i32_e64 s[2:3], s16, v0
	v_add_u32_e32 v0, 0xc0, v55
	v_cmp_gt_i32_e64 s[4:5], s16, v0
	s_waitcnt lgkmcnt(0)
	v_mul_lo_u32 v0, s35, v56
	v_add3_u32 v57, v0, s35, v2
	v_add_u32_e32 v0, 2, v56
	v_mad_u64_u32 v[10:11], s[6:7], s35, v0, v[2:3]
	v_add_u32_e32 v1, 3, v56
	v_mul_lo_u32 v4, v54, s35
	v_mul_lo_u32 v58, s36, v0
	;; [unrolled: 1-line block ×3, first 2 shown]
	v_mad_u64_u32 v[12:13], s[6:7], s35, v1, v[2:3]
	v_lshl_add_u32 v11, v4, 2, v2
	v_mul_lo_u32 v4, s36, v56
	v_mul_lo_u32 v59, s36, v1
	v_lshlrev_b32_e32 v60, 2, v0
	v_mov_b64_e32 v[0:1], 0
	v_cmp_gt_i32_e32 vcc, s16, v55
	s_lshl_b32 s38, s35, 4
	v_add_u32_e32 v13, s36, v4
	s_lshl_b32 s39, s36, 4
	s_mov_b64 s[24:25], 0
	s_mov_b32 s40, 0
	v_mov_b64_e32 v[4:5], v[0:1]
	v_mov_b64_e32 v[6:7], v[0:1]
	;; [unrolled: 1-line block ×3, first 2 shown]
	s_branch .LBB242_21
.LBB242_17:                             ;   in Loop: Header=BB242_21 Depth=1
	s_or_b64 exec, exec, s[30:31]
	s_waitcnt vmcnt(0) lgkmcnt(0)
	v_fmac_f64_e32 v[6:7], v[20:21], v[52:53]
	v_fmac_f64_e32 v[6:7], v[18:19], v[50:51]
	;; [unrolled: 1-line block ×4, first 2 shown]
.LBB242_18:                             ;   in Loop: Header=BB242_21 Depth=1
	s_or_b64 exec, exec, s[28:29]
	s_waitcnt vmcnt(0) lgkmcnt(0)
	v_fmac_f64_e32 v[4:5], v[20:21], v[38:39]
	v_fmac_f64_e32 v[4:5], v[18:19], v[36:37]
	;; [unrolled: 1-line block ×4, first 2 shown]
.LBB242_19:                             ;   in Loop: Header=BB242_21 Depth=1
	s_or_b64 exec, exec, s[26:27]
	s_waitcnt vmcnt(0) lgkmcnt(0)
	v_fmac_f64_e32 v[0:1], v[20:21], v[28:29]
	v_fmac_f64_e32 v[0:1], v[18:19], v[26:27]
	;; [unrolled: 1-line block ×4, first 2 shown]
.LBB242_20:                             ;   in Loop: Header=BB242_21 Depth=1
	s_or_b64 exec, exec, s[6:7]
	v_add_u32_e32 v56, 16, v56
	s_add_i32 s40, s40, s39
	v_cmp_le_i32_e64 s[6:7], s37, v56
	v_add_u32_e32 v57, s38, v57
	v_add_u32_e32 v10, s38, v10
	;; [unrolled: 1-line block ×3, first 2 shown]
	s_or_b64 s[24:25], s[6:7], s[24:25]
	v_add_u32_e32 v11, s38, v11
	s_andn2_b64 exec, exec, s[24:25]
	s_cbranch_execz .LBB242_26
.LBB242_21:                             ; =>This Inner Loop Header: Depth=1
	s_and_saveexec_b64 s[6:7], vcc
	s_cbranch_execz .LBB242_20
; %bb.22:                               ;   in Loop: Header=BB242_21 Depth=1
	v_add_u32_e32 v14, s40, v60
	v_ashrrev_i32_e32 v15, 31, v14
	v_lshl_add_u64 v[22:23], v[14:15], 3, s[22:23]
	v_add_u32_e32 v14, s40, v13
	v_ashrrev_i32_e32 v15, 31, v14
	v_lshl_add_u64 v[24:25], v[14:15], 3, s[22:23]
	;; [unrolled: 3-line block ×4, first 2 shown]
	flat_load_dwordx2 v[20:21], v[22:23]
	flat_load_dwordx2 v[18:19], v[24:25]
	;; [unrolled: 1-line block ×4, first 2 shown]
	v_add_u32_e32 v22, s34, v11
	v_ashrrev_i32_e32 v23, 31, v22
	v_lshl_add_u64 v[30:31], v[22:23], 3, s[20:21]
	v_add_u32_e32 v22, s34, v57
	v_ashrrev_i32_e32 v23, 31, v22
	v_lshl_add_u64 v[40:41], v[22:23], 3, s[20:21]
	v_add_u32_e32 v22, s34, v10
	v_ashrrev_i32_e32 v23, 31, v22
	v_lshl_add_u64 v[42:43], v[22:23], 3, s[20:21]
	v_add_u32_e32 v22, s34, v12
	v_ashrrev_i32_e32 v23, 31, v22
	v_lshl_add_u64 v[44:45], v[22:23], 3, s[20:21]
	flat_load_dwordx2 v[28:29], v[30:31]
	flat_load_dwordx2 v[26:27], v[40:41]
	;; [unrolled: 1-line block ×4, first 2 shown]
	s_and_saveexec_b64 s[26:27], s[0:1]
	s_cbranch_execz .LBB242_19
; %bb.23:                               ;   in Loop: Header=BB242_21 Depth=1
	flat_load_dwordx2 v[38:39], v[30:31] offset:512
	flat_load_dwordx2 v[36:37], v[40:41] offset:512
	flat_load_dwordx2 v[34:35], v[42:43] offset:512
	flat_load_dwordx2 v[32:33], v[44:45] offset:512
	s_and_saveexec_b64 s[28:29], s[2:3]
	s_cbranch_execz .LBB242_18
; %bb.24:                               ;   in Loop: Header=BB242_21 Depth=1
	flat_load_dwordx2 v[52:53], v[30:31] offset:1024
	flat_load_dwordx2 v[50:51], v[40:41] offset:1024
	flat_load_dwordx2 v[48:49], v[42:43] offset:1024
	flat_load_dwordx2 v[46:47], v[44:45] offset:1024
	;; [unrolled: 7-line block ×3, first 2 shown]
	s_waitcnt vmcnt(0) lgkmcnt(0)
	v_fmac_f64_e32 v[8:9], v[20:21], v[62:63]
	v_fmac_f64_e32 v[8:9], v[18:19], v[64:65]
	;; [unrolled: 1-line block ×4, first 2 shown]
	s_branch .LBB242_17
.LBB242_26:
	s_or_b64 exec, exec, s[24:25]
.LBB242_27:
	s_or_b64 exec, exec, s[18:19]
	s_sub_i32 s0, s17, s37
	s_cmp_lt_i32 s0, 1
	s_cbranch_scc1 .LBB242_45
; %bb.28:
	v_mov_b64_e32 v[10:11], 0
	v_cmp_gt_i32_e32 vcc, s17, v56
	v_or_b32_e32 v20, 1, v56
	v_mov_b64_e32 v[16:17], v[10:11]
	v_mov_b64_e32 v[14:15], v[10:11]
	;; [unrolled: 1-line block ×3, first 2 shown]
	s_and_saveexec_b64 s[2:3], vcc
	s_cbranch_execz .LBB242_36
; %bb.29:
	s_waitcnt lgkmcnt(0)
	v_mul_lo_u32 v10, v56, s36
	v_ashrrev_i32_e32 v11, 31, v10
	v_lshl_add_u64 v[10:11], v[10:11], 3, s[22:23]
	flat_load_dwordx2 v[12:13], v[10:11]
	v_mov_b64_e32 v[14:15], 0
	v_cmp_gt_i32_e64 s[0:1], s17, v20
	v_mov_b64_e32 v[16:17], v[14:15]
	v_mov_b64_e32 v[10:11], v[14:15]
	s_and_saveexec_b64 s[4:5], s[0:1]
	s_cbranch_execz .LBB242_35
; %bb.30:
	v_mul_lo_u32 v10, v20, s36
	v_ashrrev_i32_e32 v11, 31, v10
	v_lshl_add_u64 v[10:11], v[10:11], 3, s[22:23]
	flat_load_dwordx2 v[14:15], v[10:11]
	v_or_b32_e32 v18, 2, v56
	v_mov_b64_e32 v[16:17], 0
	v_cmp_gt_i32_e64 s[0:1], s17, v18
	v_mov_b64_e32 v[10:11], v[16:17]
	s_and_saveexec_b64 s[6:7], s[0:1]
	s_cbranch_execz .LBB242_34
; %bb.31:
	v_mul_lo_u32 v10, v18, s36
	v_ashrrev_i32_e32 v11, 31, v10
	v_lshl_add_u64 v[10:11], v[10:11], 3, s[22:23]
	flat_load_dwordx2 v[16:17], v[10:11]
	v_or_b32_e32 v18, 3, v56
	v_cmp_gt_i32_e64 s[0:1], s17, v18
	v_mov_b64_e32 v[10:11], 0
	s_and_saveexec_b64 s[18:19], s[0:1]
	s_cbranch_execz .LBB242_33
; %bb.32:
	v_mul_lo_u32 v10, v18, s36
	v_ashrrev_i32_e32 v11, 31, v10
	v_lshl_add_u64 v[10:11], v[10:11], 3, s[22:23]
	flat_load_dwordx2 v[10:11], v[10:11]
.LBB242_33:
	s_or_b64 exec, exec, s[18:19]
.LBB242_34:
	s_or_b64 exec, exec, s[6:7]
.LBB242_35:
	s_or_b64 exec, exec, s[4:5]
.LBB242_36:
	s_or_b64 exec, exec, s[2:3]
	v_cmp_gt_i32_e64 s[0:1], s16, v55
	s_and_saveexec_b64 s[2:3], s[0:1]
	s_cbranch_execz .LBB242_44
; %bb.37:
	s_waitcnt lgkmcnt(0)
	v_mul_lo_u32 v18, v56, s35
	v_cndmask_b32_e32 v18, 0, v18, vcc
	v_mul_lo_u32 v21, v20, s35
	v_cmp_gt_i32_e32 vcc, s17, v20
	v_add_u32_e32 v18, v18, v55
	v_ashrrev_i32_e32 v19, 31, v18
	v_cndmask_b32_e32 v20, 0, v21, vcc
	v_add_u32_e32 v20, v20, v55
	v_ashrrev_i32_e32 v21, 31, v20
	v_lshl_add_u64 v[22:23], v[20:21], 3, s[20:21]
	v_or_b32_e32 v20, 2, v56
	v_mul_lo_u32 v21, v20, s35
	v_cmp_gt_i32_e32 vcc, s17, v20
	v_lshl_add_u64 v[18:19], v[18:19], 3, s[20:21]
	v_add_u32_e32 v34, 64, v55
	v_cndmask_b32_e32 v20, 0, v21, vcc
	v_add_u32_e32 v20, v20, v55
	v_ashrrev_i32_e32 v21, 31, v20
	v_lshl_add_u64 v[24:25], v[20:21], 3, s[20:21]
	v_or_b32_e32 v20, 3, v56
	v_mul_lo_u32 v21, v20, s35
	v_cmp_gt_i32_e32 vcc, s17, v20
	flat_load_dwordx2 v[28:29], v[18:19]
	flat_load_dwordx2 v[30:31], v[22:23]
	;; [unrolled: 1-line block ×3, first 2 shown]
	v_cndmask_b32_e32 v20, 0, v21, vcc
	v_add_u32_e32 v20, v20, v55
	v_ashrrev_i32_e32 v21, 31, v20
	v_lshl_add_u64 v[26:27], v[20:21], 3, s[20:21]
	flat_load_dwordx2 v[20:21], v[26:27]
	v_cmp_gt_i32_e32 vcc, s16, v34
	s_waitcnt vmcnt(0) lgkmcnt(0)
	v_fmac_f64_e32 v[0:1], v[12:13], v[28:29]
	v_fmac_f64_e32 v[0:1], v[14:15], v[30:31]
	;; [unrolled: 1-line block ×3, first 2 shown]
	s_and_saveexec_b64 s[0:1], vcc
	s_cbranch_execz .LBB242_43
; %bb.38:
	flat_load_dwordx2 v[30:31], v[18:19] offset:512
	flat_load_dwordx2 v[32:33], v[22:23] offset:512
	;; [unrolled: 1-line block ×4, first 2 shown]
	v_add_u32_e32 v36, 0x80, v55
	v_cmp_gt_i32_e32 vcc, s16, v36
	s_waitcnt vmcnt(0) lgkmcnt(0)
	v_fmac_f64_e32 v[4:5], v[12:13], v[30:31]
	v_fmac_f64_e32 v[4:5], v[14:15], v[32:33]
	;; [unrolled: 1-line block ×3, first 2 shown]
	s_and_saveexec_b64 s[4:5], vcc
	s_cbranch_execz .LBB242_42
; %bb.39:
	flat_load_dwordx2 v[32:33], v[18:19] offset:1024
	flat_load_dwordx2 v[34:35], v[22:23] offset:1024
	;; [unrolled: 1-line block ×4, first 2 shown]
	v_add_u32_e32 v38, 0xc0, v55
	v_cmp_gt_i32_e32 vcc, s16, v38
	s_waitcnt vmcnt(0) lgkmcnt(0)
	v_fmac_f64_e32 v[6:7], v[12:13], v[32:33]
	v_fmac_f64_e32 v[6:7], v[14:15], v[34:35]
	;; [unrolled: 1-line block ×3, first 2 shown]
	s_and_saveexec_b64 s[6:7], vcc
	s_cbranch_execz .LBB242_41
; %bb.40:
	flat_load_dwordx2 v[32:33], v[18:19] offset:1536
	flat_load_dwordx2 v[34:35], v[22:23] offset:1536
	;; [unrolled: 1-line block ×4, first 2 shown]
	s_waitcnt vmcnt(0) lgkmcnt(0)
	v_fmac_f64_e32 v[8:9], v[12:13], v[32:33]
	v_fmac_f64_e32 v[8:9], v[14:15], v[34:35]
	;; [unrolled: 1-line block ×4, first 2 shown]
.LBB242_41:
	s_or_b64 exec, exec, s[6:7]
	v_fmac_f64_e32 v[6:7], v[10:11], v[30:31]
.LBB242_42:
	s_or_b64 exec, exec, s[4:5]
	v_fmac_f64_e32 v[4:5], v[10:11], v[28:29]
.LBB242_43:
	s_or_b64 exec, exec, s[0:1]
	v_fmac_f64_e32 v[0:1], v[10:11], v[20:21]
.LBB242_44:
	s_or_b64 exec, exec, s[2:3]
.LBB242_45:
	s_waitcnt vmcnt(0) lgkmcnt(0)
	v_lshlrev_b32_e32 v10, 8, v54
	s_movk_i32 s0, 0x100
	v_add_lshl_u32 v2, v10, v2, 3
	v_cmp_gt_u32_e32 vcc, s0, v3
	ds_write2st64_b64 v2, v[0:1], v[4:5] offset1:1
	ds_write2st64_b64 v2, v[6:7], v[8:9] offset0:2 offset1:3
	s_waitcnt lgkmcnt(0)
	s_barrier
	s_waitcnt lgkmcnt(0)
                                        ; implicit-def: $vgpr0_vgpr1
                                        ; implicit-def: $vgpr4_vgpr5
	s_and_saveexec_b64 s[0:1], vcc
	s_cbranch_execz .LBB242_51
; %bb.46:
	v_lshlrev_b32_e32 v4, 3, v3
	ds_read2st64_b64 v[8:11], v4 offset1:4
	ds_read2st64_b64 v[12:15], v4 offset0:8 offset1:12
	v_or_b32_e32 v6, s34, v3
	v_cmp_gt_i32_e32 vcc, s16, v6
	s_mov_b64 s[4:5], s[10:11]
	s_waitcnt lgkmcnt(1)
	v_add_f64 v[0:1], v[8:9], v[10:11]
	s_waitcnt lgkmcnt(0)
	v_add_f64 v[0:1], v[12:13], v[0:1]
	v_add_f64 v[2:3], v[14:15], v[0:1]
	ds_write_b64 v4, v[2:3]
                                        ; implicit-def: $vgpr0_vgpr1
                                        ; implicit-def: $vgpr4_vgpr5
	s_and_saveexec_b64 s[2:3], vcc
	s_cbranch_execz .LBB242_50
; %bb.47:
	v_cmp_eq_f64_e64 s[4:5], s[12:13], 0
	v_mul_lo_u32 v4, v6, s33
	v_mul_f64 v[0:1], s[14:15], v[2:3]
	v_ashrrev_i32_e32 v5, 31, v4
	s_and_b64 vcc, exec, s[4:5]
	s_cbranch_vccnz .LBB242_49
; %bb.48:
	v_lshl_add_u64 v[2:3], v[4:5], 3, s[8:9]
	global_load_dwordx2 v[2:3], v[2:3], off
	s_waitcnt vmcnt(0)
	v_fmac_f64_e32 v[0:1], s[12:13], v[2:3]
.LBB242_49:
	s_or_b64 s[4:5], s[10:11], exec
.LBB242_50:
	s_or_b64 exec, exec, s[2:3]
	s_andn2_b64 s[2:3], s[10:11], exec
	s_and_b64 s[4:5], s[4:5], exec
	s_or_b64 s[10:11], s[2:3], s[4:5]
.LBB242_51:
	s_or_b64 exec, exec, s[0:1]
.LBB242_52:
	s_and_saveexec_b64 s[0:1], s[10:11]
	s_cbranch_execz .LBB242_54
; %bb.53:
	v_lshl_add_u64 v[2:3], v[4:5], 3, s[8:9]
	global_store_dwordx2 v[2:3], v[0:1], off
.LBB242_54:
	s_endpgm
	.section	.rodata,"a",@progbits
	.p2align	6, 0x0
	.amdhsa_kernel _ZL20rocblas_gemvn_kernelILi64ELi4EiPKdS1_KPdEviiT3_lPKT2_lT1_lS7_lS8_lS4_lPT4_lS8_li
		.amdhsa_group_segment_fixed_size 8192
		.amdhsa_private_segment_fixed_size 0
		.amdhsa_kernarg_size 400
		.amdhsa_user_sgpr_count 2
		.amdhsa_user_sgpr_dispatch_ptr 0
		.amdhsa_user_sgpr_queue_ptr 0
		.amdhsa_user_sgpr_kernarg_segment_ptr 1
		.amdhsa_user_sgpr_dispatch_id 0
		.amdhsa_user_sgpr_kernarg_preload_length 0
		.amdhsa_user_sgpr_kernarg_preload_offset 0
		.amdhsa_user_sgpr_private_segment_size 0
		.amdhsa_uses_dynamic_stack 0
		.amdhsa_enable_private_segment 0
		.amdhsa_system_sgpr_workgroup_id_x 1
		.amdhsa_system_sgpr_workgroup_id_y 0
		.amdhsa_system_sgpr_workgroup_id_z 1
		.amdhsa_system_sgpr_workgroup_info 0
		.amdhsa_system_vgpr_workitem_id 1
		.amdhsa_next_free_vgpr 70
		.amdhsa_next_free_sgpr 41
		.amdhsa_accum_offset 72
		.amdhsa_reserve_vcc 1
		.amdhsa_float_round_mode_32 0
		.amdhsa_float_round_mode_16_64 0
		.amdhsa_float_denorm_mode_32 3
		.amdhsa_float_denorm_mode_16_64 3
		.amdhsa_dx10_clamp 1
		.amdhsa_ieee_mode 1
		.amdhsa_fp16_overflow 0
		.amdhsa_tg_split 0
		.amdhsa_exception_fp_ieee_invalid_op 0
		.amdhsa_exception_fp_denorm_src 0
		.amdhsa_exception_fp_ieee_div_zero 0
		.amdhsa_exception_fp_ieee_overflow 0
		.amdhsa_exception_fp_ieee_underflow 0
		.amdhsa_exception_fp_ieee_inexact 0
		.amdhsa_exception_int_div_zero 0
	.end_amdhsa_kernel
	.section	.text._ZL20rocblas_gemvn_kernelILi64ELi4EiPKdS1_KPdEviiT3_lPKT2_lT1_lS7_lS8_lS4_lPT4_lS8_li,"axG",@progbits,_ZL20rocblas_gemvn_kernelILi64ELi4EiPKdS1_KPdEviiT3_lPKT2_lT1_lS7_lS8_lS4_lPT4_lS8_li,comdat
.Lfunc_end242:
	.size	_ZL20rocblas_gemvn_kernelILi64ELi4EiPKdS1_KPdEviiT3_lPKT2_lT1_lS7_lS8_lS4_lPT4_lS8_li, .Lfunc_end242-_ZL20rocblas_gemvn_kernelILi64ELi4EiPKdS1_KPdEviiT3_lPKT2_lT1_lS7_lS8_lS4_lPT4_lS8_li
                                        ; -- End function
	.section	.AMDGPU.csdata,"",@progbits
; Kernel info:
; codeLenInByte = 2240
; NumSgprs: 47
; NumVgprs: 70
; NumAgprs: 0
; TotalNumVgprs: 70
; ScratchSize: 0
; MemoryBound: 0
; FloatMode: 240
; IeeeMode: 1
; LDSByteSize: 8192 bytes/workgroup (compile time only)
; SGPRBlocks: 5
; VGPRBlocks: 8
; NumSGPRsForWavesPerEU: 47
; NumVGPRsForWavesPerEU: 70
; AccumOffset: 72
; Occupancy: 7
; WaveLimiterHint : 1
; COMPUTE_PGM_RSRC2:SCRATCH_EN: 0
; COMPUTE_PGM_RSRC2:USER_SGPR: 2
; COMPUTE_PGM_RSRC2:TRAP_HANDLER: 0
; COMPUTE_PGM_RSRC2:TGID_X_EN: 1
; COMPUTE_PGM_RSRC2:TGID_Y_EN: 0
; COMPUTE_PGM_RSRC2:TGID_Z_EN: 1
; COMPUTE_PGM_RSRC2:TIDIG_COMP_CNT: 1
; COMPUTE_PGM_RSRC3_GFX90A:ACCUM_OFFSET: 17
; COMPUTE_PGM_RSRC3_GFX90A:TG_SPLIT: 0
	.section	.text._ZL20rocblas_gemvn_kernelILi64ELi4ElPKdS1_KPdEviiT3_lPKT2_lT1_lS7_lS8_lS4_lPT4_lS8_li,"axG",@progbits,_ZL20rocblas_gemvn_kernelILi64ELi4ElPKdS1_KPdEviiT3_lPKT2_lT1_lS7_lS8_lS4_lPT4_lS8_li,comdat
	.globl	_ZL20rocblas_gemvn_kernelILi64ELi4ElPKdS1_KPdEviiT3_lPKT2_lT1_lS7_lS8_lS4_lPT4_lS8_li ; -- Begin function _ZL20rocblas_gemvn_kernelILi64ELi4ElPKdS1_KPdEviiT3_lPKT2_lT1_lS7_lS8_lS4_lPT4_lS8_li
	.p2align	8
	.type	_ZL20rocblas_gemvn_kernelILi64ELi4ElPKdS1_KPdEviiT3_lPKT2_lT1_lS7_lS8_lS4_lPT4_lS8_li,@function
_ZL20rocblas_gemvn_kernelILi64ELi4ElPKdS1_KPdEviiT3_lPKT2_lT1_lS7_lS8_lS4_lPT4_lS8_li: ; @_ZL20rocblas_gemvn_kernelILi64ELi4ElPKdS1_KPdEviiT3_lPKT2_lT1_lS7_lS8_lS4_lPT4_lS8_li
; %bb.0:
	s_load_dwordx2 s[4:5], s[0:1], 0x9c
	s_mov_b32 s28, s3
	s_waitcnt lgkmcnt(0)
	s_and_b32 s3, s5, 0xffff
	s_lshr_b32 s5, s4, 16
	s_and_b32 s4, s4, 0xffff
	s_mul_i32 s4, s5, s4
	s_mul_i32 s4, s4, s3
	s_cmpk_lg_i32 s4, 0x100
	s_cbranch_scc1 .LBB243_54
; %bb.1:
	s_load_dwordx8 s[12:19], s[0:1], 0x8
	s_load_dwordx8 s[4:11], s[0:1], 0x58
	s_waitcnt lgkmcnt(0)
	s_mul_i32 s3, s28, s15
	s_mul_hi_u32 s15, s28, s14
	s_mul_i32 s14, s28, s14
	s_add_i32 s15, s15, s3
	s_lshl_b64 s[14:15], s[14:15], 3
	s_mul_i32 s7, s28, s7
	s_add_u32 s12, s12, s14
	s_mul_hi_u32 s3, s28, s6
	s_addc_u32 s13, s13, s15
	s_add_i32 s7, s3, s7
	s_mul_i32 s6, s28, s6
	s_lshl_b64 s[6:7], s[6:7], 3
	s_add_u32 s4, s4, s6
	s_addc_u32 s5, s5, s7
	s_load_dwordx2 s[14:15], s[12:13], 0x0
	s_waitcnt lgkmcnt(0)
	v_cmp_eq_f64_e64 s[30:31], s[14:15], 0
	s_load_dwordx2 s[12:13], s[4:5], 0x0
	s_waitcnt lgkmcnt(0)
	v_cmp_eq_f64_e64 s[4:5], s[12:13], 1.0
	s_and_b64 s[4:5], s[30:31], s[4:5]
	s_and_b64 vcc, exec, s[4:5]
	s_cbranch_vccnz .LBB243_54
; %bb.2:
	s_load_dwordx2 s[22:23], s[0:1], 0x28
	s_load_dwordx2 s[20:21], s[0:1], 0x78
	s_mov_b32 s29, 0
	s_mov_b64 s[26:27], 0
	v_cmp_neq_f64_e64 s[34:35], s[14:15], 0
	s_and_b64 vcc, exec, s[30:31]
	s_mov_b64 s[24:25], 0
	s_cbranch_vccnz .LBB243_4
; %bb.3:
	s_lshl_b64 s[4:5], s[28:29], 3
	s_add_u32 s4, s16, s4
	s_addc_u32 s5, s17, s5
	s_load_dwordx2 s[4:5], s[4:5], 0x0
	s_lshl_b64 s[6:7], s[18:19], 3
	s_waitcnt lgkmcnt(0)
	s_add_u32 s24, s4, s6
	s_addc_u32 s25, s5, s7
.LBB243_4:
	s_load_dwordx4 s[4:7], s[0:1], 0x38
	s_load_dwordx2 s[18:19], s[0:1], 0x48
	s_andn2_b64 vcc, exec, s[34:35]
	s_cbranch_vccnz .LBB243_6
; %bb.5:
	s_lshl_b64 s[16:17], s[28:29], 3
	s_waitcnt lgkmcnt(0)
	s_add_u32 s4, s4, s16
	s_addc_u32 s5, s5, s17
	s_load_dwordx2 s[4:5], s[4:5], 0x0
	s_lshl_b64 s[6:7], s[6:7], 3
	s_waitcnt lgkmcnt(0)
	s_add_u32 s26, s4, s6
	s_addc_u32 s27, s5, s7
.LBB243_6:
	s_waitcnt lgkmcnt(0)
	s_lshl_b64 s[4:5], s[28:29], 3
	s_add_u32 s4, s8, s4
	s_addc_u32 s5, s9, s5
	s_load_dwordx2 s[6:7], s[4:5], 0x0
	s_load_dwordx2 s[16:17], s[0:1], 0x0
	s_lshl_b64 s[0:1], s[10:11], 3
	v_and_b32_e32 v69, 0x3ff, v0
	v_bfe_u32 v70, v0, 10, 10
	s_waitcnt lgkmcnt(0)
	s_add_u32 s8, s6, s0
	s_addc_u32 s9, s7, s1
	s_andn2_b64 vcc, exec, s[30:31]
	v_lshl_add_u32 v68, v70, 6, v69
	s_cbranch_vccnz .LBB243_13
; %bb.7:
	s_movk_i32 s0, 0x100
	v_cmp_gt_u32_e32 vcc, s0, v68
	s_mov_b64 s[0:1], 0
	s_mov_b64 s[10:11], 0
                                        ; implicit-def: $vgpr0_vgpr1
                                        ; implicit-def: $vgpr2_vgpr3
	s_and_saveexec_b64 s[4:5], vcc
	s_cbranch_execz .LBB243_14
; %bb.8:
	v_lshl_or_b32 v4, s2, 8, v68
	v_mov_b32_e32 v5, 0
	s_ashr_i32 s7, s16, 31
	s_mov_b32 s6, s16
	v_cmp_gt_i64_e32 vcc, s[6:7], v[4:5]
                                        ; implicit-def: $vgpr0_vgpr1
                                        ; implicit-def: $vgpr2_vgpr3
	s_and_saveexec_b64 s[6:7], vcc
	s_cbranch_execz .LBB243_12
; %bb.9:
	v_mad_u64_u32 v[2:3], s[28:29], v4, s20, 0
	v_mov_b32_e32 v6, v3
	v_cmp_eq_f64_e64 s[10:11], s[12:13], 0
	v_mad_u64_u32 v[4:5], s[28:29], v4, s21, v[6:7]
	v_mov_b64_e32 v[0:1], 0
	v_mov_b32_e32 v3, v4
	s_and_b64 vcc, exec, s[10:11]
	s_cbranch_vccnz .LBB243_11
; %bb.10:
	v_lshl_add_u64 v[0:1], v[2:3], 3, s[8:9]
	global_load_dwordx2 v[0:1], v[0:1], off
	s_waitcnt vmcnt(0)
	v_mul_f64 v[0:1], s[12:13], v[0:1]
.LBB243_11:
	s_mov_b64 s[10:11], exec
.LBB243_12:
	s_or_b64 exec, exec, s[6:7]
	s_and_b64 s[10:11], s[10:11], exec
	s_or_b64 exec, exec, s[4:5]
	s_and_b64 vcc, exec, s[0:1]
	s_cbranch_vccnz .LBB243_15
	s_branch .LBB243_52
.LBB243_13:
	s_mov_b64 s[10:11], 0
                                        ; implicit-def: $vgpr0_vgpr1
                                        ; implicit-def: $vgpr2_vgpr3
	s_cbranch_execnz .LBB243_15
	s_branch .LBB243_52
.LBB243_14:
	s_or_b64 exec, exec, s[4:5]
	s_and_b64 vcc, exec, s[0:1]
	s_cbranch_vccz .LBB243_52
.LBB243_15:
	s_ashr_i32 s0, s17, 31
	s_lshr_b32 s0, s0, 28
	s_add_i32 s0, s17, s0
	s_lshl_b32 s33, s2, 8
	s_and_b32 s46, s0, -16
	v_lshlrev_b32_e32 v71, 2, v70
	v_mov_b64_e32 v[0:1], 0
	v_add_u32_e32 v2, s33, v69
	v_cmp_gt_i32_e32 vcc, s46, v71
	v_mov_b64_e32 v[4:5], v[0:1]
	v_mov_b64_e32 v[6:7], v[0:1]
	;; [unrolled: 1-line block ×3, first 2 shown]
	s_and_saveexec_b64 s[28:29], vcc
	s_cbranch_execz .LBB243_27
; %bb.16:
	v_ashrrev_i32_e32 v3, 31, v2
	v_add_u32_e32 v0, 64, v2
	v_cmp_gt_i32_e64 s[0:1], s16, v0
	v_add_u32_e32 v0, 0x80, v2
	v_lshlrev_b64 v[10:11], 3, v[2:3]
	v_lshlrev_b32_e32 v3, 2, v70
	v_cmp_gt_i32_e64 s[2:3], s16, v0
	v_add_u32_e32 v0, 0xc0, v2
	v_or_b32_e32 v6, 3, v3
	v_cmp_gt_i32_e64 s[4:5], s16, v0
	v_mad_u64_u32 v[0:1], s[6:7], s22, v6, 0
	v_mov_b32_e32 v4, v1
	v_mad_u64_u32 v[4:5], s[6:7], s23, v6, v[4:5]
	v_mov_b32_e32 v1, v4
	v_lshl_add_u64 v[12:13], v[0:1], 3, s[24:25]
	v_mad_u64_u32 v[0:1], s[6:7], s18, v70, 0
	v_mov_b32_e32 v4, v1
	v_mad_u64_u32 v[4:5], s[6:7], s19, v70, v[4:5]
	v_mov_b32_e32 v1, v4
	v_lshlrev_b64 v[14:15], 5, v[0:1]
	v_mad_u64_u32 v[0:1], s[6:7], s22, v70, 0
	v_mov_b32_e32 v4, v1
	v_mad_u64_u32 v[4:5], s[6:7], s23, v70, v[4:5]
	v_mov_b32_e32 v1, v4
	v_lshlrev_b64 v[0:1], 5, v[0:1]
	v_lshl_add_u64 v[16:17], s[24:25], 0, v[0:1]
	v_mov_b64_e32 v[0:1], s[18:19]
	v_mad_u64_u32 v[0:1], s[6:7], s18, v3, v[0:1]
	v_mov_b32_e32 v4, v1
	v_mad_u64_u32 v[4:5], s[6:7], s19, v3, v[4:5]
	v_mov_b32_e32 v1, v4
	v_lshlrev_b64 v[18:19], 3, v[0:1]
	v_mad_u64_u32 v[0:1], s[6:7], s18, v6, 0
	v_mov_b32_e32 v4, v1
	v_mad_u64_u32 v[4:5], s[6:7], s19, v6, v[4:5]
	v_mov_b32_e32 v1, v4
	v_or_b32_e32 v6, 2, v3
	v_lshlrev_b64 v[20:21], 3, v[0:1]
	v_mad_u64_u32 v[0:1], s[6:7], s22, v6, 0
	v_mov_b32_e32 v4, v1
	v_mad_u64_u32 v[4:5], s[6:7], s23, v6, v[4:5]
	v_mov_b32_e32 v1, v4
	v_lshl_add_u64 v[22:23], v[0:1], 3, s[24:25]
	v_mov_b64_e32 v[0:1], s[22:23]
	v_mad_u64_u32 v[0:1], s[6:7], s22, v3, v[0:1]
	v_mov_b32_e32 v4, v1
	v_mad_u64_u32 v[4:5], s[6:7], s23, v3, v[4:5]
	v_mov_b32_e32 v1, v4
	v_lshl_add_u64 v[24:25], v[0:1], 3, s[24:25]
	v_mad_u64_u32 v[0:1], s[6:7], s18, v6, 0
	v_mov_b32_e32 v4, v1
	v_mad_u64_u32 v[4:5], s[6:7], s19, v6, v[4:5]
	v_mov_b32_e32 v1, v4
	v_lshlrev_b64 v[26:27], 3, v[0:1]
	v_mov_b64_e32 v[0:1], 0
	v_cmp_gt_i32_e32 vcc, s16, v2
	s_lshl_b64 s[30:31], s[22:23], 7
	s_lshl_b64 s[34:35], s[18:19], 7
	s_mov_b64 s[36:37], 0
	s_mov_b64 s[38:39], s[26:27]
	v_mov_b64_e32 v[4:5], v[0:1]
	v_mov_b64_e32 v[6:7], v[0:1]
	;; [unrolled: 1-line block ×3, first 2 shown]
	s_branch .LBB243_21
.LBB243_17:                             ;   in Loop: Header=BB243_21 Depth=1
	s_or_b64 exec, exec, s[44:45]
	s_waitcnt vmcnt(0) lgkmcnt(0)
	v_fmac_f64_e32 v[6:7], v[34:35], v[66:67]
	v_fmac_f64_e32 v[6:7], v[32:33], v[64:65]
	;; [unrolled: 1-line block ×4, first 2 shown]
.LBB243_18:                             ;   in Loop: Header=BB243_21 Depth=1
	s_or_b64 exec, exec, s[42:43]
	s_waitcnt vmcnt(0) lgkmcnt(0)
	v_fmac_f64_e32 v[4:5], v[34:35], v[50:51]
	v_fmac_f64_e32 v[4:5], v[32:33], v[48:49]
	;; [unrolled: 1-line block ×4, first 2 shown]
.LBB243_19:                             ;   in Loop: Header=BB243_21 Depth=1
	s_or_b64 exec, exec, s[40:41]
	s_waitcnt vmcnt(0) lgkmcnt(0)
	v_fmac_f64_e32 v[0:1], v[34:35], v[36:37]
	v_fmac_f64_e32 v[0:1], v[32:33], v[38:39]
	;; [unrolled: 1-line block ×4, first 2 shown]
.LBB243_20:                             ;   in Loop: Header=BB243_21 Depth=1
	s_or_b64 exec, exec, s[6:7]
	v_add_u32_e32 v71, 16, v71
	s_add_u32 s38, s38, s34
	s_addc_u32 s39, s39, s35
	v_cmp_le_i32_e64 s[6:7], s46, v71
	v_lshl_add_u64 v[12:13], v[12:13], 0, s[30:31]
	v_lshl_add_u64 v[16:17], v[16:17], 0, s[30:31]
	;; [unrolled: 1-line block ×3, first 2 shown]
	s_or_b64 s[36:37], s[6:7], s[36:37]
	v_lshl_add_u64 v[24:25], v[24:25], 0, s[30:31]
	s_andn2_b64 exec, exec, s[36:37]
	s_cbranch_execz .LBB243_26
.LBB243_21:                             ; =>This Inner Loop Header: Depth=1
	s_and_saveexec_b64 s[6:7], vcc
	s_cbranch_execz .LBB243_20
; %bb.22:                               ;   in Loop: Header=BB243_21 Depth=1
	v_lshl_add_u64 v[36:37], s[38:39], 0, v[14:15]
	v_lshl_add_u64 v[38:39], s[38:39], 0, v[18:19]
	;; [unrolled: 1-line block ×4, first 2 shown]
	flat_load_dwordx2 v[34:35], v[36:37]
	flat_load_dwordx2 v[32:33], v[38:39]
	;; [unrolled: 1-line block ×4, first 2 shown]
	v_lshl_add_u64 v[52:53], v[16:17], 0, v[10:11]
	v_lshl_add_u64 v[54:55], v[24:25], 0, v[10:11]
	;; [unrolled: 1-line block ×4, first 2 shown]
	flat_load_dwordx2 v[36:37], v[52:53]
	flat_load_dwordx2 v[38:39], v[54:55]
	;; [unrolled: 1-line block ×4, first 2 shown]
	s_and_saveexec_b64 s[40:41], s[0:1]
	s_cbranch_execz .LBB243_19
; %bb.23:                               ;   in Loop: Header=BB243_21 Depth=1
	flat_load_dwordx2 v[50:51], v[52:53] offset:512
	flat_load_dwordx2 v[48:49], v[54:55] offset:512
	flat_load_dwordx2 v[46:47], v[56:57] offset:512
	flat_load_dwordx2 v[44:45], v[58:59] offset:512
	s_and_saveexec_b64 s[42:43], s[2:3]
	s_cbranch_execz .LBB243_18
; %bb.24:                               ;   in Loop: Header=BB243_21 Depth=1
	flat_load_dwordx2 v[66:67], v[52:53] offset:1024
	flat_load_dwordx2 v[64:65], v[54:55] offset:1024
	flat_load_dwordx2 v[62:63], v[56:57] offset:1024
	flat_load_dwordx2 v[60:61], v[58:59] offset:1024
	s_and_saveexec_b64 s[44:45], s[4:5]
	s_cbranch_execz .LBB243_17
; %bb.25:                               ;   in Loop: Header=BB243_21 Depth=1
	flat_load_dwordx2 v[72:73], v[52:53] offset:1536
	flat_load_dwordx2 v[74:75], v[54:55] offset:1536
	flat_load_dwordx2 v[76:77], v[56:57] offset:1536
	flat_load_dwordx2 v[78:79], v[58:59] offset:1536
	s_waitcnt vmcnt(0) lgkmcnt(0)
	v_fmac_f64_e32 v[8:9], v[34:35], v[72:73]
	v_fmac_f64_e32 v[8:9], v[32:33], v[74:75]
	;; [unrolled: 1-line block ×4, first 2 shown]
	s_branch .LBB243_17
.LBB243_26:
	s_or_b64 exec, exec, s[36:37]
.LBB243_27:
	s_or_b64 exec, exec, s[28:29]
	s_sub_i32 s0, s17, s46
	s_cmp_lt_i32 s0, 1
	s_cbranch_scc1 .LBB243_45
; %bb.28:
	v_mov_b64_e32 v[12:13], 0
	v_cmp_gt_i32_e32 vcc, s17, v71
	v_or_b32_e32 v20, 1, v71
	v_mov_b64_e32 v[16:17], v[12:13]
	v_mov_b64_e32 v[14:15], v[12:13]
	v_mov_b64_e32 v[10:11], v[12:13]
	s_and_saveexec_b64 s[2:3], vcc
	s_cbranch_execz .LBB243_36
; %bb.29:
	v_mad_u64_u32 v[10:11], s[0:1], v71, s18, 0
	v_mov_b32_e32 v12, v11
	v_mad_u64_u32 v[12:13], s[0:1], v71, s19, v[12:13]
	v_mov_b32_e32 v11, v12
	v_lshl_add_u64 v[10:11], v[10:11], 3, s[26:27]
	flat_load_dwordx2 v[10:11], v[10:11]
	v_mov_b64_e32 v[14:15], 0
	v_cmp_gt_i32_e64 s[0:1], s17, v20
	v_mov_b64_e32 v[16:17], v[14:15]
	v_mov_b64_e32 v[12:13], v[14:15]
	s_and_saveexec_b64 s[4:5], s[0:1]
	s_cbranch_execz .LBB243_35
; %bb.30:
	v_mad_u64_u32 v[12:13], s[0:1], v20, s18, 0
	v_mov_b32_e32 v14, v13
	v_mad_u64_u32 v[14:15], s[0:1], v20, s19, v[14:15]
	v_mov_b32_e32 v13, v14
	v_lshl_add_u64 v[12:13], v[12:13], 3, s[26:27]
	flat_load_dwordx2 v[14:15], v[12:13]
	v_or_b32_e32 v3, 2, v71
	v_mov_b64_e32 v[16:17], 0
	v_cmp_gt_i32_e64 s[0:1], s17, v3
	v_mov_b64_e32 v[12:13], v[16:17]
	s_and_saveexec_b64 s[6:7], s[0:1]
	s_cbranch_execz .LBB243_34
; %bb.31:
	v_mad_u64_u32 v[12:13], s[0:1], v3, s18, 0
	v_mov_b32_e32 v16, v13
	v_mad_u64_u32 v[16:17], s[0:1], v3, s19, v[16:17]
	v_mov_b32_e32 v13, v16
	v_lshl_add_u64 v[12:13], v[12:13], 3, s[26:27]
	flat_load_dwordx2 v[16:17], v[12:13]
	v_or_b32_e32 v3, 3, v71
	v_cmp_gt_i32_e64 s[0:1], s17, v3
	v_mov_b64_e32 v[12:13], 0
	s_and_saveexec_b64 s[28:29], s[0:1]
	s_cbranch_execz .LBB243_33
; %bb.32:
	v_mad_u64_u32 v[12:13], s[0:1], v3, s18, 0
	v_mov_b32_e32 v18, v13
	v_mad_u64_u32 v[18:19], s[0:1], v3, s19, v[18:19]
	v_mov_b32_e32 v13, v18
	v_lshl_add_u64 v[12:13], v[12:13], 3, s[26:27]
	flat_load_dwordx2 v[12:13], v[12:13]
.LBB243_33:
	s_or_b64 exec, exec, s[28:29]
.LBB243_34:
	s_or_b64 exec, exec, s[6:7]
.LBB243_35:
	s_or_b64 exec, exec, s[4:5]
.LBB243_36:
	s_or_b64 exec, exec, s[2:3]
	v_cmp_gt_i32_e64 s[0:1], s16, v2
	s_and_saveexec_b64 s[2:3], s[0:1]
	s_cbranch_execz .LBB243_44
; %bb.37:
	v_mad_u64_u32 v[18:19], s[0:1], v71, s22, 0
	v_mov_b32_e32 v22, v19
	v_ashrrev_i32_e32 v3, 31, v2
	v_mad_u64_u32 v[22:23], s[0:1], v71, s23, v[22:23]
	v_mad_u64_u32 v[24:25], s[0:1], v20, s22, 0
	v_cndmask_b32_e32 v18, 0, v18, vcc
	v_cndmask_b32_e32 v19, 0, v22, vcc
	v_lshlrev_b64 v[22:23], 3, v[2:3]
	v_mov_b32_e32 v26, v25
	v_cmp_gt_i32_e32 vcc, s17, v20
	v_or_b32_e32 v3, 2, v71
	v_mad_u64_u32 v[26:27], s[0:1], v20, s23, v[26:27]
	v_cndmask_b32_e32 v20, 0, v24, vcc
	v_mad_u64_u32 v[24:25], s[0:1], v3, s22, 0
	v_cndmask_b32_e32 v21, 0, v26, vcc
	v_mov_b32_e32 v26, v25
	v_mad_u64_u32 v[26:27], s[0:1], v3, s23, v[26:27]
	v_cmp_gt_i32_e32 vcc, s17, v3
	v_or_b32_e32 v3, 3, v71
	v_lshl_add_u64 v[18:19], v[18:19], 3, s[24:25]
	v_cndmask_b32_e32 v25, 0, v26, vcc
	v_mad_u64_u32 v[26:27], s[0:1], v3, s22, 0
	v_mov_b32_e32 v28, v27
	v_cndmask_b32_e32 v24, 0, v24, vcc
	v_mad_u64_u32 v[28:29], s[0:1], v3, s23, v[28:29]
	v_cmp_gt_i32_e32 vcc, s17, v3
	v_lshl_add_u64 v[18:19], v[18:19], 0, v[22:23]
	v_lshl_add_u64 v[20:21], v[20:21], 3, s[24:25]
	v_cndmask_b32_e32 v26, 0, v26, vcc
	v_cndmask_b32_e32 v27, 0, v28, vcc
	v_lshl_add_u64 v[24:25], v[24:25], 3, s[24:25]
	v_lshl_add_u64 v[26:27], v[26:27], 3, s[24:25]
	;; [unrolled: 1-line block ×4, first 2 shown]
	flat_load_dwordx2 v[28:29], v[18:19]
	flat_load_dwordx2 v[30:31], v[20:21]
	;; [unrolled: 1-line block ×3, first 2 shown]
	v_lshl_add_u64 v[26:27], v[26:27], 0, v[22:23]
	flat_load_dwordx2 v[22:23], v[26:27]
	v_add_u32_e32 v3, 64, v2
	v_cmp_gt_i32_e32 vcc, s16, v3
	s_waitcnt vmcnt(0) lgkmcnt(0)
	v_fmac_f64_e32 v[0:1], v[10:11], v[28:29]
	v_fmac_f64_e32 v[0:1], v[14:15], v[30:31]
	v_fmac_f64_e32 v[0:1], v[16:17], v[32:33]
	s_and_saveexec_b64 s[0:1], vcc
	s_cbranch_execz .LBB243_43
; %bb.38:
	flat_load_dwordx2 v[30:31], v[18:19] offset:512
	flat_load_dwordx2 v[32:33], v[20:21] offset:512
	flat_load_dwordx2 v[34:35], v[24:25] offset:512
	flat_load_dwordx2 v[28:29], v[26:27] offset:512
	v_add_u32_e32 v3, 0x80, v2
	v_cmp_gt_i32_e32 vcc, s16, v3
	s_waitcnt vmcnt(0) lgkmcnt(0)
	v_fmac_f64_e32 v[4:5], v[10:11], v[30:31]
	v_fmac_f64_e32 v[4:5], v[14:15], v[32:33]
	v_fmac_f64_e32 v[4:5], v[16:17], v[34:35]
	s_and_saveexec_b64 s[4:5], vcc
	s_cbranch_execz .LBB243_42
; %bb.39:
	flat_load_dwordx2 v[32:33], v[18:19] offset:1024
	flat_load_dwordx2 v[34:35], v[20:21] offset:1024
	flat_load_dwordx2 v[36:37], v[24:25] offset:1024
	flat_load_dwordx2 v[30:31], v[26:27] offset:1024
	;; [unrolled: 13-line block ×3, first 2 shown]
	s_waitcnt vmcnt(0) lgkmcnt(0)
	v_fmac_f64_e32 v[8:9], v[10:11], v[2:3]
	v_fmac_f64_e32 v[8:9], v[14:15], v[32:33]
	;; [unrolled: 1-line block ×4, first 2 shown]
.LBB243_41:
	s_or_b64 exec, exec, s[6:7]
	v_fmac_f64_e32 v[6:7], v[12:13], v[30:31]
.LBB243_42:
	s_or_b64 exec, exec, s[4:5]
	v_fmac_f64_e32 v[4:5], v[12:13], v[28:29]
.LBB243_43:
	s_or_b64 exec, exec, s[0:1]
	v_fmac_f64_e32 v[0:1], v[12:13], v[22:23]
.LBB243_44:
	s_or_b64 exec, exec, s[2:3]
.LBB243_45:
	v_lshlrev_b32_e32 v2, 8, v70
	s_movk_i32 s0, 0x100
	v_add_lshl_u32 v2, v2, v69, 3
	v_cmp_gt_u32_e32 vcc, s0, v68
	ds_write2st64_b64 v2, v[0:1], v[4:5] offset1:1
	ds_write2st64_b64 v2, v[6:7], v[8:9] offset0:2 offset1:3
	s_waitcnt lgkmcnt(0)
	s_barrier
	s_waitcnt lgkmcnt(0)
                                        ; implicit-def: $vgpr0_vgpr1
                                        ; implicit-def: $vgpr2_vgpr3
	s_and_saveexec_b64 s[0:1], vcc
	s_cbranch_execz .LBB243_51
; %bb.46:
	v_lshlrev_b32_e32 v7, 3, v68
	ds_read2st64_b64 v[0:3], v7 offset1:4
	s_waitcnt vmcnt(0)
	ds_read2st64_b64 v[8:11], v7 offset0:8 offset1:12
	v_or_b32_e32 v6, s33, v68
	v_cmp_gt_i32_e32 vcc, s16, v6
	s_mov_b64 s[4:5], s[10:11]
	s_waitcnt lgkmcnt(1)
	v_add_f64 v[0:1], v[0:1], v[2:3]
	s_waitcnt lgkmcnt(0)
	v_add_f64 v[0:1], v[8:9], v[0:1]
	v_add_f64 v[4:5], v[10:11], v[0:1]
	ds_write_b64 v7, v[4:5]
                                        ; implicit-def: $vgpr0_vgpr1
                                        ; implicit-def: $vgpr2_vgpr3
	s_and_saveexec_b64 s[2:3], vcc
	s_cbranch_execz .LBB243_50
; %bb.47:
	v_ashrrev_i32_e32 v2, 31, v6
	v_cmp_eq_f64_e64 s[4:5], s[12:13], 0
	v_mul_f64 v[0:1], s[14:15], v[4:5]
	v_mul_lo_u32 v4, v6, s21
	v_mul_lo_u32 v5, v2, s20
	v_mad_u64_u32 v[2:3], s[6:7], v6, s20, 0
	v_add3_u32 v3, v3, v4, v5
	s_and_b64 vcc, exec, s[4:5]
	s_cbranch_vccnz .LBB243_49
; %bb.48:
	v_lshl_add_u64 v[4:5], v[2:3], 3, s[8:9]
	global_load_dwordx2 v[4:5], v[4:5], off
	s_waitcnt vmcnt(0)
	v_fmac_f64_e32 v[0:1], s[12:13], v[4:5]
.LBB243_49:
	s_or_b64 s[4:5], s[10:11], exec
.LBB243_50:
	s_or_b64 exec, exec, s[2:3]
	s_andn2_b64 s[2:3], s[10:11], exec
	s_and_b64 s[4:5], s[4:5], exec
	s_or_b64 s[10:11], s[2:3], s[4:5]
.LBB243_51:
	s_or_b64 exec, exec, s[0:1]
.LBB243_52:
	s_and_saveexec_b64 s[0:1], s[10:11]
	s_cbranch_execz .LBB243_54
; %bb.53:
	v_lshl_add_u64 v[2:3], v[2:3], 3, s[8:9]
	global_store_dwordx2 v[2:3], v[0:1], off
.LBB243_54:
	s_endpgm
	.section	.rodata,"a",@progbits
	.p2align	6, 0x0
	.amdhsa_kernel _ZL20rocblas_gemvn_kernelILi64ELi4ElPKdS1_KPdEviiT3_lPKT2_lT1_lS7_lS8_lS4_lPT4_lS8_li
		.amdhsa_group_segment_fixed_size 8192
		.amdhsa_private_segment_fixed_size 0
		.amdhsa_kernarg_size 400
		.amdhsa_user_sgpr_count 2
		.amdhsa_user_sgpr_dispatch_ptr 0
		.amdhsa_user_sgpr_queue_ptr 0
		.amdhsa_user_sgpr_kernarg_segment_ptr 1
		.amdhsa_user_sgpr_dispatch_id 0
		.amdhsa_user_sgpr_kernarg_preload_length 0
		.amdhsa_user_sgpr_kernarg_preload_offset 0
		.amdhsa_user_sgpr_private_segment_size 0
		.amdhsa_uses_dynamic_stack 0
		.amdhsa_enable_private_segment 0
		.amdhsa_system_sgpr_workgroup_id_x 1
		.amdhsa_system_sgpr_workgroup_id_y 0
		.amdhsa_system_sgpr_workgroup_id_z 1
		.amdhsa_system_sgpr_workgroup_info 0
		.amdhsa_system_vgpr_workitem_id 1
		.amdhsa_next_free_vgpr 80
		.amdhsa_next_free_sgpr 47
		.amdhsa_accum_offset 80
		.amdhsa_reserve_vcc 1
		.amdhsa_float_round_mode_32 0
		.amdhsa_float_round_mode_16_64 0
		.amdhsa_float_denorm_mode_32 3
		.amdhsa_float_denorm_mode_16_64 3
		.amdhsa_dx10_clamp 1
		.amdhsa_ieee_mode 1
		.amdhsa_fp16_overflow 0
		.amdhsa_tg_split 0
		.amdhsa_exception_fp_ieee_invalid_op 0
		.amdhsa_exception_fp_denorm_src 0
		.amdhsa_exception_fp_ieee_div_zero 0
		.amdhsa_exception_fp_ieee_overflow 0
		.amdhsa_exception_fp_ieee_underflow 0
		.amdhsa_exception_fp_ieee_inexact 0
		.amdhsa_exception_int_div_zero 0
	.end_amdhsa_kernel
	.section	.text._ZL20rocblas_gemvn_kernelILi64ELi4ElPKdS1_KPdEviiT3_lPKT2_lT1_lS7_lS8_lS4_lPT4_lS8_li,"axG",@progbits,_ZL20rocblas_gemvn_kernelILi64ELi4ElPKdS1_KPdEviiT3_lPKT2_lT1_lS7_lS8_lS4_lPT4_lS8_li,comdat
.Lfunc_end243:
	.size	_ZL20rocblas_gemvn_kernelILi64ELi4ElPKdS1_KPdEviiT3_lPKT2_lT1_lS7_lS8_lS4_lPT4_lS8_li, .Lfunc_end243-_ZL20rocblas_gemvn_kernelILi64ELi4ElPKdS1_KPdEviiT3_lPKT2_lT1_lS7_lS8_lS4_lPT4_lS8_li
                                        ; -- End function
	.section	.AMDGPU.csdata,"",@progbits
; Kernel info:
; codeLenInByte = 2528
; NumSgprs: 53
; NumVgprs: 80
; NumAgprs: 0
; TotalNumVgprs: 80
; ScratchSize: 0
; MemoryBound: 1
; FloatMode: 240
; IeeeMode: 1
; LDSByteSize: 8192 bytes/workgroup (compile time only)
; SGPRBlocks: 6
; VGPRBlocks: 9
; NumSGPRsForWavesPerEU: 53
; NumVGPRsForWavesPerEU: 80
; AccumOffset: 80
; Occupancy: 6
; WaveLimiterHint : 1
; COMPUTE_PGM_RSRC2:SCRATCH_EN: 0
; COMPUTE_PGM_RSRC2:USER_SGPR: 2
; COMPUTE_PGM_RSRC2:TRAP_HANDLER: 0
; COMPUTE_PGM_RSRC2:TGID_X_EN: 1
; COMPUTE_PGM_RSRC2:TGID_Y_EN: 0
; COMPUTE_PGM_RSRC2:TGID_Z_EN: 1
; COMPUTE_PGM_RSRC2:TIDIG_COMP_CNT: 1
; COMPUTE_PGM_RSRC3_GFX90A:ACCUM_OFFSET: 19
; COMPUTE_PGM_RSRC3_GFX90A:TG_SPLIT: 0
	.section	.text._ZL20rocblas_gemvn_kernelILi64ELi4EiPKddKPdEviiT3_lPKT2_lT1_lS7_lS8_lS4_lPT4_lS8_li,"axG",@progbits,_ZL20rocblas_gemvn_kernelILi64ELi4EiPKddKPdEviiT3_lPKT2_lT1_lS7_lS8_lS4_lPT4_lS8_li,comdat
	.globl	_ZL20rocblas_gemvn_kernelILi64ELi4EiPKddKPdEviiT3_lPKT2_lT1_lS7_lS8_lS4_lPT4_lS8_li ; -- Begin function _ZL20rocblas_gemvn_kernelILi64ELi4EiPKddKPdEviiT3_lPKT2_lT1_lS7_lS8_lS4_lPT4_lS8_li
	.p2align	8
	.type	_ZL20rocblas_gemvn_kernelILi64ELi4EiPKddKPdEviiT3_lPKT2_lT1_lS7_lS8_lS4_lPT4_lS8_li,@function
_ZL20rocblas_gemvn_kernelILi64ELi4EiPKddKPdEviiT3_lPKT2_lT1_lS7_lS8_lS4_lPT4_lS8_li: ; @_ZL20rocblas_gemvn_kernelILi64ELi4EiPKddKPdEviiT3_lPKT2_lT1_lS7_lS8_lS4_lPT4_lS8_li
; %bb.0:
	s_load_dwordx2 s[4:5], s[0:1], 0x9c
	s_mov_b32 s6, s3
	s_waitcnt lgkmcnt(0)
	s_and_b32 s3, s5, 0xffff
	s_lshr_b32 s5, s4, 16
	s_and_b32 s4, s4, 0xffff
	s_mul_i32 s4, s5, s4
	s_mul_i32 s4, s4, s3
	s_cmpk_lg_i32 s4, 0x100
	s_cbranch_scc1 .LBB244_56
; %bb.1:
	s_load_dwordx2 s[10:11], s[0:1], 0x8
	s_load_dwordx2 s[8:9], s[0:1], 0x58
	s_waitcnt lgkmcnt(0)
	v_cmp_eq_f64_e64 s[4:5], s[10:11], 0
	v_cmp_eq_f64_e64 s[12:13], s[8:9], 1.0
	s_and_b64 s[12:13], s[4:5], s[12:13]
	s_and_b64 vcc, exec, s[12:13]
	s_cbranch_vccnz .LBB244_56
; %bb.2:
	v_cmp_neq_f64_e64 s[12:13], s[10:11], 0
	s_mov_b64 s[14:15], 0
	s_and_b64 vcc, exec, s[12:13]
	s_cbranch_vccnz .LBB244_4
; %bb.3:
	s_mov_b32 s7, 0
	s_mov_b64 s[18:19], 0
	s_andn2_b64 vcc, exec, s[14:15]
	s_cbranch_vccz .LBB244_5
	s_branch .LBB244_6
.LBB244_4:
                                        ; implicit-def: $sgpr18_sgpr19
.LBB244_5:
	s_load_dwordx4 s[16:19], s[0:1], 0x18
	s_mov_b32 s7, 0
	s_lshl_b64 s[14:15], s[6:7], 3
	s_waitcnt lgkmcnt(0)
	s_add_u32 s14, s16, s14
	s_addc_u32 s15, s17, s15
	s_load_dwordx2 s[14:15], s[14:15], 0x0
	s_lshl_b64 s[16:17], s[18:19], 3
	s_waitcnt lgkmcnt(0)
	s_add_u32 s18, s14, s16
	s_addc_u32 s19, s15, s17
.LBB244_6:
	s_mov_b64 s[14:15], 0
	s_andn2_b64 vcc, exec, s[12:13]
	s_mov_b64 s[20:21], 0
	s_cbranch_vccnz .LBB244_8
; %bb.7:
	s_load_dwordx4 s[20:23], s[0:1], 0x38
	s_lshl_b64 s[12:13], s[6:7], 3
	s_waitcnt lgkmcnt(0)
	s_add_u32 s12, s20, s12
	s_addc_u32 s13, s21, s13
	s_load_dwordx2 s[12:13], s[12:13], 0x0
	s_lshl_b64 s[16:17], s[22:23], 3
	s_waitcnt lgkmcnt(0)
	s_add_u32 s20, s12, s16
	s_addc_u32 s21, s13, s17
.LBB244_8:
	s_load_dwordx4 s[24:27], s[0:1], 0x68
	s_load_dwordx2 s[16:17], s[0:1], 0x0
	s_load_dword s33, s[0:1], 0x78
	s_lshl_b64 s[6:7], s[6:7], 3
	v_and_b32_e32 v2, 0x3ff, v0
	s_waitcnt lgkmcnt(0)
	s_add_u32 s6, s24, s6
	s_addc_u32 s7, s25, s7
	s_load_dwordx2 s[6:7], s[6:7], 0x0
	s_lshl_b64 s[12:13], s[26:27], 3
	v_bfe_u32 v54, v0, 10, 10
	v_lshl_add_u32 v3, v54, 6, v2
	s_waitcnt lgkmcnt(0)
	s_add_u32 s12, s6, s12
	s_addc_u32 s13, s7, s13
	s_andn2_b64 vcc, exec, s[4:5]
	s_cbranch_vccnz .LBB244_15
; %bb.9:
	s_movk_i32 s3, 0x100
	v_cmp_gt_u32_e32 vcc, s3, v3
	s_mov_b64 s[4:5], 0
                                        ; implicit-def: $vgpr0_vgpr1
                                        ; implicit-def: $vgpr4_vgpr5
	s_and_saveexec_b64 s[6:7], vcc
	s_cbranch_execz .LBB244_16
; %bb.10:
	v_lshl_or_b32 v6, s2, 8, v3
	v_mov_b32_e32 v7, 0
	s_ashr_i32 s15, s16, 31
	s_mov_b32 s14, s16
	v_cmp_gt_i64_e32 vcc, s[14:15], v[6:7]
	s_mov_b64 s[22:23], 0
                                        ; implicit-def: $vgpr0_vgpr1
                                        ; implicit-def: $vgpr4_vgpr5
	s_and_saveexec_b64 s[14:15], vcc
	s_cbranch_execz .LBB244_14
; %bb.11:
	v_mad_u64_u32 v[4:5], s[24:25], s33, v6, 0
	s_ashr_i32 s3, s33, 31
	v_mov_b32_e32 v8, v5
	v_cmp_eq_f64_e64 s[22:23], s[8:9], 0
	v_mad_u64_u32 v[6:7], s[24:25], s3, v6, v[8:9]
	v_mov_b64_e32 v[0:1], 0
	v_mov_b32_e32 v5, v6
	s_and_b64 vcc, exec, s[22:23]
	s_cbranch_vccnz .LBB244_13
; %bb.12:
	v_lshl_add_u64 v[0:1], v[4:5], 3, s[12:13]
	global_load_dwordx2 v[0:1], v[0:1], off
	s_waitcnt vmcnt(0)
	v_mul_f64 v[0:1], v[0:1], s[8:9]
.LBB244_13:
	s_mov_b64 s[22:23], exec
.LBB244_14:
	s_or_b64 exec, exec, s[14:15]
	s_and_b64 s[14:15], s[22:23], exec
	s_or_b64 exec, exec, s[6:7]
	s_and_b64 vcc, exec, s[4:5]
	s_cbranch_vccnz .LBB244_17
	s_branch .LBB244_54
.LBB244_15:
                                        ; implicit-def: $vgpr0_vgpr1
                                        ; implicit-def: $vgpr4_vgpr5
	s_cbranch_execnz .LBB244_17
	s_branch .LBB244_54
.LBB244_16:
	s_or_b64 exec, exec, s[6:7]
	s_and_b64 vcc, exec, s[4:5]
	s_cbranch_vccz .LBB244_54
.LBB244_17:
	s_load_dword s35, s[0:1], 0x28
	s_load_dword s36, s[0:1], 0x48
	s_ashr_i32 s0, s17, 31
	s_lshr_b32 s0, s0, 28
	s_add_i32 s0, s17, s0
	s_lshl_b32 s34, s2, 8
	s_and_b32 s37, s0, -16
	v_lshlrev_b32_e32 v56, 2, v54
	v_mov_b64_e32 v[0:1], 0
	v_add_u32_e32 v55, s34, v2
	v_cmp_gt_i32_e32 vcc, s37, v56
	v_mov_b64_e32 v[4:5], v[0:1]
	v_mov_b64_e32 v[6:7], v[0:1]
	v_mov_b64_e32 v[8:9], v[0:1]
	s_and_saveexec_b64 s[22:23], vcc
	s_cbranch_execz .LBB244_29
; %bb.18:
	v_add_u32_e32 v0, 64, v55
	v_cmp_gt_i32_e64 s[0:1], s16, v0
	v_add_u32_e32 v0, 0x80, v55
	v_cmp_gt_i32_e64 s[2:3], s16, v0
	;; [unrolled: 2-line block ×3, first 2 shown]
	s_waitcnt lgkmcnt(0)
	v_mul_lo_u32 v0, s35, v56
	v_add3_u32 v57, v0, s35, v2
	v_add_u32_e32 v0, 2, v56
	v_mad_u64_u32 v[10:11], s[6:7], s35, v0, v[2:3]
	v_add_u32_e32 v1, 3, v56
	v_mul_lo_u32 v4, v54, s35
	v_mul_lo_u32 v58, s36, v0
	;; [unrolled: 1-line block ×3, first 2 shown]
	v_mad_u64_u32 v[12:13], s[6:7], s35, v1, v[2:3]
	v_lshl_add_u32 v11, v4, 2, v2
	v_mul_lo_u32 v4, s36, v56
	v_mul_lo_u32 v59, s36, v1
	v_lshlrev_b32_e32 v60, 2, v0
	v_mov_b64_e32 v[0:1], 0
	v_cmp_gt_i32_e32 vcc, s16, v55
	s_lshl_b32 s38, s35, 4
	v_add_u32_e32 v13, s36, v4
	s_lshl_b32 s39, s36, 4
	s_mov_b64 s[24:25], 0
	s_mov_b32 s40, 0
	v_mov_b64_e32 v[4:5], v[0:1]
	v_mov_b64_e32 v[6:7], v[0:1]
	;; [unrolled: 1-line block ×3, first 2 shown]
	s_branch .LBB244_23
.LBB244_19:                             ;   in Loop: Header=BB244_23 Depth=1
	s_or_b64 exec, exec, s[30:31]
	s_waitcnt vmcnt(0) lgkmcnt(0)
	v_fmac_f64_e32 v[6:7], v[20:21], v[52:53]
	v_fmac_f64_e32 v[6:7], v[18:19], v[50:51]
	;; [unrolled: 1-line block ×4, first 2 shown]
.LBB244_20:                             ;   in Loop: Header=BB244_23 Depth=1
	s_or_b64 exec, exec, s[28:29]
	s_waitcnt vmcnt(0) lgkmcnt(0)
	v_fmac_f64_e32 v[4:5], v[20:21], v[38:39]
	v_fmac_f64_e32 v[4:5], v[18:19], v[36:37]
	;; [unrolled: 1-line block ×4, first 2 shown]
.LBB244_21:                             ;   in Loop: Header=BB244_23 Depth=1
	s_or_b64 exec, exec, s[26:27]
	s_waitcnt vmcnt(0) lgkmcnt(0)
	v_fmac_f64_e32 v[0:1], v[20:21], v[28:29]
	v_fmac_f64_e32 v[0:1], v[18:19], v[26:27]
	;; [unrolled: 1-line block ×4, first 2 shown]
.LBB244_22:                             ;   in Loop: Header=BB244_23 Depth=1
	s_or_b64 exec, exec, s[6:7]
	v_add_u32_e32 v56, 16, v56
	s_add_i32 s40, s40, s39
	v_cmp_le_i32_e64 s[6:7], s37, v56
	v_add_u32_e32 v57, s38, v57
	v_add_u32_e32 v10, s38, v10
	;; [unrolled: 1-line block ×3, first 2 shown]
	s_or_b64 s[24:25], s[6:7], s[24:25]
	v_add_u32_e32 v11, s38, v11
	s_andn2_b64 exec, exec, s[24:25]
	s_cbranch_execz .LBB244_28
.LBB244_23:                             ; =>This Inner Loop Header: Depth=1
	s_and_saveexec_b64 s[6:7], vcc
	s_cbranch_execz .LBB244_22
; %bb.24:                               ;   in Loop: Header=BB244_23 Depth=1
	v_add_u32_e32 v14, s40, v60
	v_ashrrev_i32_e32 v15, 31, v14
	v_lshl_add_u64 v[22:23], v[14:15], 3, s[20:21]
	v_add_u32_e32 v14, s40, v13
	v_ashrrev_i32_e32 v15, 31, v14
	v_lshl_add_u64 v[24:25], v[14:15], 3, s[20:21]
	;; [unrolled: 3-line block ×4, first 2 shown]
	flat_load_dwordx2 v[20:21], v[22:23]
	flat_load_dwordx2 v[18:19], v[24:25]
	;; [unrolled: 1-line block ×4, first 2 shown]
	v_add_u32_e32 v22, s34, v11
	v_ashrrev_i32_e32 v23, 31, v22
	v_lshl_add_u64 v[30:31], v[22:23], 3, s[18:19]
	v_add_u32_e32 v22, s34, v57
	v_ashrrev_i32_e32 v23, 31, v22
	v_lshl_add_u64 v[40:41], v[22:23], 3, s[18:19]
	;; [unrolled: 3-line block ×4, first 2 shown]
	flat_load_dwordx2 v[28:29], v[30:31]
	flat_load_dwordx2 v[26:27], v[40:41]
	;; [unrolled: 1-line block ×4, first 2 shown]
	s_and_saveexec_b64 s[26:27], s[0:1]
	s_cbranch_execz .LBB244_21
; %bb.25:                               ;   in Loop: Header=BB244_23 Depth=1
	flat_load_dwordx2 v[38:39], v[30:31] offset:512
	flat_load_dwordx2 v[36:37], v[40:41] offset:512
	flat_load_dwordx2 v[34:35], v[42:43] offset:512
	flat_load_dwordx2 v[32:33], v[44:45] offset:512
	s_and_saveexec_b64 s[28:29], s[2:3]
	s_cbranch_execz .LBB244_20
; %bb.26:                               ;   in Loop: Header=BB244_23 Depth=1
	flat_load_dwordx2 v[52:53], v[30:31] offset:1024
	flat_load_dwordx2 v[50:51], v[40:41] offset:1024
	flat_load_dwordx2 v[48:49], v[42:43] offset:1024
	flat_load_dwordx2 v[46:47], v[44:45] offset:1024
	;; [unrolled: 7-line block ×3, first 2 shown]
	s_waitcnt vmcnt(0) lgkmcnt(0)
	v_fmac_f64_e32 v[8:9], v[20:21], v[62:63]
	v_fmac_f64_e32 v[8:9], v[18:19], v[64:65]
	;; [unrolled: 1-line block ×4, first 2 shown]
	s_branch .LBB244_19
.LBB244_28:
	s_or_b64 exec, exec, s[24:25]
.LBB244_29:
	s_or_b64 exec, exec, s[22:23]
	s_sub_i32 s0, s17, s37
	s_cmp_lt_i32 s0, 1
	s_cbranch_scc1 .LBB244_47
; %bb.30:
	v_mov_b64_e32 v[10:11], 0
	v_cmp_gt_i32_e32 vcc, s17, v56
	v_or_b32_e32 v20, 1, v56
	v_mov_b64_e32 v[16:17], v[10:11]
	v_mov_b64_e32 v[14:15], v[10:11]
	;; [unrolled: 1-line block ×3, first 2 shown]
	s_and_saveexec_b64 s[2:3], vcc
	s_cbranch_execz .LBB244_38
; %bb.31:
	s_waitcnt lgkmcnt(0)
	v_mul_lo_u32 v10, v56, s36
	v_ashrrev_i32_e32 v11, 31, v10
	v_lshl_add_u64 v[10:11], v[10:11], 3, s[20:21]
	flat_load_dwordx2 v[12:13], v[10:11]
	v_mov_b64_e32 v[14:15], 0
	v_cmp_gt_i32_e64 s[0:1], s17, v20
	v_mov_b64_e32 v[16:17], v[14:15]
	v_mov_b64_e32 v[10:11], v[14:15]
	s_and_saveexec_b64 s[4:5], s[0:1]
	s_cbranch_execz .LBB244_37
; %bb.32:
	v_mul_lo_u32 v10, v20, s36
	v_ashrrev_i32_e32 v11, 31, v10
	v_lshl_add_u64 v[10:11], v[10:11], 3, s[20:21]
	flat_load_dwordx2 v[14:15], v[10:11]
	v_or_b32_e32 v18, 2, v56
	v_mov_b64_e32 v[16:17], 0
	v_cmp_gt_i32_e64 s[0:1], s17, v18
	v_mov_b64_e32 v[10:11], v[16:17]
	s_and_saveexec_b64 s[6:7], s[0:1]
	s_cbranch_execz .LBB244_36
; %bb.33:
	v_mul_lo_u32 v10, v18, s36
	v_ashrrev_i32_e32 v11, 31, v10
	v_lshl_add_u64 v[10:11], v[10:11], 3, s[20:21]
	flat_load_dwordx2 v[16:17], v[10:11]
	v_or_b32_e32 v18, 3, v56
	v_cmp_gt_i32_e64 s[0:1], s17, v18
	v_mov_b64_e32 v[10:11], 0
	s_and_saveexec_b64 s[22:23], s[0:1]
	s_cbranch_execz .LBB244_35
; %bb.34:
	v_mul_lo_u32 v10, v18, s36
	v_ashrrev_i32_e32 v11, 31, v10
	v_lshl_add_u64 v[10:11], v[10:11], 3, s[20:21]
	flat_load_dwordx2 v[10:11], v[10:11]
.LBB244_35:
	s_or_b64 exec, exec, s[22:23]
.LBB244_36:
	s_or_b64 exec, exec, s[6:7]
.LBB244_37:
	s_or_b64 exec, exec, s[4:5]
.LBB244_38:
	s_or_b64 exec, exec, s[2:3]
	v_cmp_gt_i32_e64 s[0:1], s16, v55
	s_and_saveexec_b64 s[2:3], s[0:1]
	s_cbranch_execz .LBB244_46
; %bb.39:
	s_waitcnt lgkmcnt(0)
	v_mul_lo_u32 v18, v56, s35
	v_cndmask_b32_e32 v18, 0, v18, vcc
	v_mul_lo_u32 v21, v20, s35
	v_cmp_gt_i32_e32 vcc, s17, v20
	v_add_u32_e32 v18, v18, v55
	v_ashrrev_i32_e32 v19, 31, v18
	v_cndmask_b32_e32 v20, 0, v21, vcc
	v_add_u32_e32 v20, v20, v55
	v_ashrrev_i32_e32 v21, 31, v20
	v_lshl_add_u64 v[22:23], v[20:21], 3, s[18:19]
	v_or_b32_e32 v20, 2, v56
	v_mul_lo_u32 v21, v20, s35
	v_cmp_gt_i32_e32 vcc, s17, v20
	v_lshl_add_u64 v[18:19], v[18:19], 3, s[18:19]
	v_add_u32_e32 v34, 64, v55
	v_cndmask_b32_e32 v20, 0, v21, vcc
	v_add_u32_e32 v20, v20, v55
	v_ashrrev_i32_e32 v21, 31, v20
	v_lshl_add_u64 v[24:25], v[20:21], 3, s[18:19]
	v_or_b32_e32 v20, 3, v56
	v_mul_lo_u32 v21, v20, s35
	v_cmp_gt_i32_e32 vcc, s17, v20
	flat_load_dwordx2 v[28:29], v[18:19]
	flat_load_dwordx2 v[30:31], v[22:23]
	;; [unrolled: 1-line block ×3, first 2 shown]
	v_cndmask_b32_e32 v20, 0, v21, vcc
	v_add_u32_e32 v20, v20, v55
	v_ashrrev_i32_e32 v21, 31, v20
	v_lshl_add_u64 v[26:27], v[20:21], 3, s[18:19]
	flat_load_dwordx2 v[20:21], v[26:27]
	v_cmp_gt_i32_e32 vcc, s16, v34
	s_waitcnt vmcnt(0) lgkmcnt(0)
	v_fmac_f64_e32 v[0:1], v[12:13], v[28:29]
	v_fmac_f64_e32 v[0:1], v[14:15], v[30:31]
	;; [unrolled: 1-line block ×3, first 2 shown]
	s_and_saveexec_b64 s[0:1], vcc
	s_cbranch_execz .LBB244_45
; %bb.40:
	flat_load_dwordx2 v[30:31], v[18:19] offset:512
	flat_load_dwordx2 v[32:33], v[22:23] offset:512
	;; [unrolled: 1-line block ×4, first 2 shown]
	v_add_u32_e32 v36, 0x80, v55
	v_cmp_gt_i32_e32 vcc, s16, v36
	s_waitcnt vmcnt(0) lgkmcnt(0)
	v_fmac_f64_e32 v[4:5], v[12:13], v[30:31]
	v_fmac_f64_e32 v[4:5], v[14:15], v[32:33]
	;; [unrolled: 1-line block ×3, first 2 shown]
	s_and_saveexec_b64 s[4:5], vcc
	s_cbranch_execz .LBB244_44
; %bb.41:
	flat_load_dwordx2 v[32:33], v[18:19] offset:1024
	flat_load_dwordx2 v[34:35], v[22:23] offset:1024
	;; [unrolled: 1-line block ×4, first 2 shown]
	v_add_u32_e32 v38, 0xc0, v55
	v_cmp_gt_i32_e32 vcc, s16, v38
	s_waitcnt vmcnt(0) lgkmcnt(0)
	v_fmac_f64_e32 v[6:7], v[12:13], v[32:33]
	v_fmac_f64_e32 v[6:7], v[14:15], v[34:35]
	;; [unrolled: 1-line block ×3, first 2 shown]
	s_and_saveexec_b64 s[6:7], vcc
	s_cbranch_execz .LBB244_43
; %bb.42:
	flat_load_dwordx2 v[32:33], v[18:19] offset:1536
	flat_load_dwordx2 v[34:35], v[22:23] offset:1536
	;; [unrolled: 1-line block ×4, first 2 shown]
	s_waitcnt vmcnt(0) lgkmcnt(0)
	v_fmac_f64_e32 v[8:9], v[12:13], v[32:33]
	v_fmac_f64_e32 v[8:9], v[14:15], v[34:35]
	;; [unrolled: 1-line block ×4, first 2 shown]
.LBB244_43:
	s_or_b64 exec, exec, s[6:7]
	v_fmac_f64_e32 v[6:7], v[10:11], v[30:31]
.LBB244_44:
	s_or_b64 exec, exec, s[4:5]
	v_fmac_f64_e32 v[4:5], v[10:11], v[28:29]
.LBB244_45:
	s_or_b64 exec, exec, s[0:1]
	v_fmac_f64_e32 v[0:1], v[10:11], v[20:21]
.LBB244_46:
	s_or_b64 exec, exec, s[2:3]
.LBB244_47:
	s_waitcnt vmcnt(0) lgkmcnt(0)
	v_lshlrev_b32_e32 v10, 8, v54
	s_movk_i32 s0, 0x100
	v_add_lshl_u32 v2, v10, v2, 3
	v_cmp_gt_u32_e32 vcc, s0, v3
	ds_write2st64_b64 v2, v[0:1], v[4:5] offset1:1
	ds_write2st64_b64 v2, v[6:7], v[8:9] offset0:2 offset1:3
	s_waitcnt lgkmcnt(0)
	s_barrier
	s_waitcnt lgkmcnt(0)
                                        ; implicit-def: $vgpr0_vgpr1
                                        ; implicit-def: $vgpr4_vgpr5
	s_and_saveexec_b64 s[0:1], vcc
	s_cbranch_execz .LBB244_53
; %bb.48:
	v_lshlrev_b32_e32 v4, 3, v3
	ds_read2st64_b64 v[8:11], v4 offset1:4
	ds_read2st64_b64 v[12:15], v4 offset0:8 offset1:12
	v_or_b32_e32 v6, s34, v3
	v_cmp_gt_i32_e32 vcc, s16, v6
	s_mov_b64 s[4:5], s[14:15]
	s_waitcnt lgkmcnt(1)
	v_add_f64 v[0:1], v[8:9], v[10:11]
	s_waitcnt lgkmcnt(0)
	v_add_f64 v[0:1], v[12:13], v[0:1]
	v_add_f64 v[2:3], v[14:15], v[0:1]
	ds_write_b64 v4, v[2:3]
                                        ; implicit-def: $vgpr0_vgpr1
                                        ; implicit-def: $vgpr4_vgpr5
	s_and_saveexec_b64 s[2:3], vcc
	s_cbranch_execz .LBB244_52
; %bb.49:
	v_cmp_eq_f64_e64 s[4:5], s[8:9], 0
	v_mul_lo_u32 v4, v6, s33
	v_mul_f64 v[0:1], v[2:3], s[10:11]
	v_ashrrev_i32_e32 v5, 31, v4
	s_and_b64 vcc, exec, s[4:5]
	s_cbranch_vccnz .LBB244_51
; %bb.50:
	v_lshl_add_u64 v[2:3], v[4:5], 3, s[12:13]
	global_load_dwordx2 v[2:3], v[2:3], off
	s_waitcnt vmcnt(0)
	v_fmac_f64_e32 v[0:1], s[8:9], v[2:3]
.LBB244_51:
	s_or_b64 s[4:5], s[14:15], exec
.LBB244_52:
	s_or_b64 exec, exec, s[2:3]
	s_andn2_b64 s[2:3], s[14:15], exec
	s_and_b64 s[4:5], s[4:5], exec
	s_or_b64 s[14:15], s[2:3], s[4:5]
.LBB244_53:
	s_or_b64 exec, exec, s[0:1]
.LBB244_54:
	s_and_saveexec_b64 s[0:1], s[14:15]
	s_cbranch_execz .LBB244_56
; %bb.55:
	v_lshl_add_u64 v[2:3], v[4:5], 3, s[12:13]
	global_store_dwordx2 v[2:3], v[0:1], off
.LBB244_56:
	s_endpgm
	.section	.rodata,"a",@progbits
	.p2align	6, 0x0
	.amdhsa_kernel _ZL20rocblas_gemvn_kernelILi64ELi4EiPKddKPdEviiT3_lPKT2_lT1_lS7_lS8_lS4_lPT4_lS8_li
		.amdhsa_group_segment_fixed_size 8192
		.amdhsa_private_segment_fixed_size 0
		.amdhsa_kernarg_size 400
		.amdhsa_user_sgpr_count 2
		.amdhsa_user_sgpr_dispatch_ptr 0
		.amdhsa_user_sgpr_queue_ptr 0
		.amdhsa_user_sgpr_kernarg_segment_ptr 1
		.amdhsa_user_sgpr_dispatch_id 0
		.amdhsa_user_sgpr_kernarg_preload_length 0
		.amdhsa_user_sgpr_kernarg_preload_offset 0
		.amdhsa_user_sgpr_private_segment_size 0
		.amdhsa_uses_dynamic_stack 0
		.amdhsa_enable_private_segment 0
		.amdhsa_system_sgpr_workgroup_id_x 1
		.amdhsa_system_sgpr_workgroup_id_y 0
		.amdhsa_system_sgpr_workgroup_id_z 1
		.amdhsa_system_sgpr_workgroup_info 0
		.amdhsa_system_vgpr_workitem_id 1
		.amdhsa_next_free_vgpr 70
		.amdhsa_next_free_sgpr 41
		.amdhsa_accum_offset 72
		.amdhsa_reserve_vcc 1
		.amdhsa_float_round_mode_32 0
		.amdhsa_float_round_mode_16_64 0
		.amdhsa_float_denorm_mode_32 3
		.amdhsa_float_denorm_mode_16_64 3
		.amdhsa_dx10_clamp 1
		.amdhsa_ieee_mode 1
		.amdhsa_fp16_overflow 0
		.amdhsa_tg_split 0
		.amdhsa_exception_fp_ieee_invalid_op 0
		.amdhsa_exception_fp_denorm_src 0
		.amdhsa_exception_fp_ieee_div_zero 0
		.amdhsa_exception_fp_ieee_overflow 0
		.amdhsa_exception_fp_ieee_underflow 0
		.amdhsa_exception_fp_ieee_inexact 0
		.amdhsa_exception_int_div_zero 0
	.end_amdhsa_kernel
	.section	.text._ZL20rocblas_gemvn_kernelILi64ELi4EiPKddKPdEviiT3_lPKT2_lT1_lS7_lS8_lS4_lPT4_lS8_li,"axG",@progbits,_ZL20rocblas_gemvn_kernelILi64ELi4EiPKddKPdEviiT3_lPKT2_lT1_lS7_lS8_lS4_lPT4_lS8_li,comdat
.Lfunc_end244:
	.size	_ZL20rocblas_gemvn_kernelILi64ELi4EiPKddKPdEviiT3_lPKT2_lT1_lS7_lS8_lS4_lPT4_lS8_li, .Lfunc_end244-_ZL20rocblas_gemvn_kernelILi64ELi4EiPKddKPdEviiT3_lPKT2_lT1_lS7_lS8_lS4_lPT4_lS8_li
                                        ; -- End function
	.section	.AMDGPU.csdata,"",@progbits
; Kernel info:
; codeLenInByte = 2200
; NumSgprs: 47
; NumVgprs: 70
; NumAgprs: 0
; TotalNumVgprs: 70
; ScratchSize: 0
; MemoryBound: 0
; FloatMode: 240
; IeeeMode: 1
; LDSByteSize: 8192 bytes/workgroup (compile time only)
; SGPRBlocks: 5
; VGPRBlocks: 8
; NumSGPRsForWavesPerEU: 47
; NumVGPRsForWavesPerEU: 70
; AccumOffset: 72
; Occupancy: 7
; WaveLimiterHint : 1
; COMPUTE_PGM_RSRC2:SCRATCH_EN: 0
; COMPUTE_PGM_RSRC2:USER_SGPR: 2
; COMPUTE_PGM_RSRC2:TRAP_HANDLER: 0
; COMPUTE_PGM_RSRC2:TGID_X_EN: 1
; COMPUTE_PGM_RSRC2:TGID_Y_EN: 0
; COMPUTE_PGM_RSRC2:TGID_Z_EN: 1
; COMPUTE_PGM_RSRC2:TIDIG_COMP_CNT: 1
; COMPUTE_PGM_RSRC3_GFX90A:ACCUM_OFFSET: 17
; COMPUTE_PGM_RSRC3_GFX90A:TG_SPLIT: 0
	.section	.text._ZL20rocblas_gemvn_kernelILi64ELi4ElPKddKPdEviiT3_lPKT2_lT1_lS7_lS8_lS4_lPT4_lS8_li,"axG",@progbits,_ZL20rocblas_gemvn_kernelILi64ELi4ElPKddKPdEviiT3_lPKT2_lT1_lS7_lS8_lS4_lPT4_lS8_li,comdat
	.globl	_ZL20rocblas_gemvn_kernelILi64ELi4ElPKddKPdEviiT3_lPKT2_lT1_lS7_lS8_lS4_lPT4_lS8_li ; -- Begin function _ZL20rocblas_gemvn_kernelILi64ELi4ElPKddKPdEviiT3_lPKT2_lT1_lS7_lS8_lS4_lPT4_lS8_li
	.p2align	8
	.type	_ZL20rocblas_gemvn_kernelILi64ELi4ElPKddKPdEviiT3_lPKT2_lT1_lS7_lS8_lS4_lPT4_lS8_li,@function
_ZL20rocblas_gemvn_kernelILi64ELi4ElPKddKPdEviiT3_lPKT2_lT1_lS7_lS8_lS4_lPT4_lS8_li: ; @_ZL20rocblas_gemvn_kernelILi64ELi4ElPKddKPdEviiT3_lPKT2_lT1_lS7_lS8_lS4_lPT4_lS8_li
; %bb.0:
	s_load_dwordx2 s[4:5], s[0:1], 0x9c
	s_mov_b32 s12, s3
	s_waitcnt lgkmcnt(0)
	s_and_b32 s3, s5, 0xffff
	s_lshr_b32 s5, s4, 16
	s_and_b32 s4, s4, 0xffff
	s_mul_i32 s4, s5, s4
	s_mul_i32 s4, s4, s3
	s_cmpk_lg_i32 s4, 0x100
	s_cbranch_scc1 .LBB245_56
; %bb.1:
	s_load_dwordx2 s[10:11], s[0:1], 0x8
	s_load_dwordx2 s[8:9], s[0:1], 0x58
	s_waitcnt lgkmcnt(0)
	v_cmp_eq_f64_e64 s[28:29], s[10:11], 0
	v_cmp_eq_f64_e64 s[4:5], s[8:9], 1.0
	s_and_b64 s[4:5], s[28:29], s[4:5]
	s_and_b64 vcc, exec, s[4:5]
	s_cbranch_vccnz .LBB245_56
; %bb.2:
	s_load_dwordx4 s[4:7], s[0:1], 0x18
	s_load_dwordx2 s[20:21], s[0:1], 0x28
	v_cmp_neq_f64_e64 s[16:17], s[10:11], 0
	s_mov_b64 s[14:15], 0
	s_and_b64 vcc, exec, s[16:17]
	s_cbranch_vccnz .LBB245_4
; %bb.3:
	s_mov_b32 s13, 0
	s_mov_b64 s[22:23], 0
	s_andn2_b64 vcc, exec, s[14:15]
	s_cbranch_vccz .LBB245_5
	s_branch .LBB245_6
.LBB245_4:
                                        ; implicit-def: $sgpr22_sgpr23
.LBB245_5:
	s_mov_b32 s13, 0
	s_lshl_b64 s[14:15], s[12:13], 3
	s_waitcnt lgkmcnt(0)
	s_add_u32 s4, s4, s14
	s_addc_u32 s5, s5, s15
	s_load_dwordx2 s[4:5], s[4:5], 0x0
	s_lshl_b64 s[6:7], s[6:7], 3
	s_waitcnt lgkmcnt(0)
	s_add_u32 s22, s4, s6
	s_addc_u32 s23, s5, s7
.LBB245_6:
	s_waitcnt lgkmcnt(0)
	s_load_dwordx4 s[4:7], s[0:1], 0x38
	s_load_dwordx2 s[24:25], s[0:1], 0x48
	s_mov_b64 s[14:15], 0
	s_andn2_b64 vcc, exec, s[16:17]
	s_mov_b64 s[26:27], 0
	s_cbranch_vccnz .LBB245_8
; %bb.7:
	s_lshl_b64 s[16:17], s[12:13], 3
	s_waitcnt lgkmcnt(0)
	s_add_u32 s4, s4, s16
	s_addc_u32 s5, s5, s17
	s_load_dwordx2 s[4:5], s[4:5], 0x0
	s_lshl_b64 s[6:7], s[6:7], 3
	s_waitcnt lgkmcnt(0)
	s_add_u32 s26, s4, s6
	s_addc_u32 s27, s5, s7
.LBB245_8:
	s_waitcnt lgkmcnt(0)
	s_load_dwordx4 s[4:7], s[0:1], 0x68
	s_load_dwordx2 s[18:19], s[0:1], 0x0
	s_load_dwordx2 s[16:17], s[0:1], 0x78
	s_lshl_b64 s[0:1], s[12:13], 3
	v_and_b32_e32 v69, 0x3ff, v0
	s_waitcnt lgkmcnt(0)
	s_add_u32 s0, s4, s0
	s_addc_u32 s1, s5, s1
	s_load_dwordx2 s[0:1], s[0:1], 0x0
	s_lshl_b64 s[4:5], s[6:7], 3
	v_bfe_u32 v70, v0, 10, 10
	v_lshl_add_u32 v68, v70, 6, v69
	s_waitcnt lgkmcnt(0)
	s_add_u32 s12, s0, s4
	s_addc_u32 s13, s1, s5
	s_andn2_b64 vcc, exec, s[28:29]
	s_cbranch_vccnz .LBB245_15
; %bb.9:
	s_movk_i32 s0, 0x100
	v_cmp_gt_u32_e32 vcc, s0, v68
	s_mov_b64 s[0:1], 0
                                        ; implicit-def: $vgpr0_vgpr1
                                        ; implicit-def: $vgpr2_vgpr3
	s_and_saveexec_b64 s[4:5], vcc
	s_cbranch_execz .LBB245_16
; %bb.10:
	v_lshl_or_b32 v4, s2, 8, v68
	v_mov_b32_e32 v5, 0
	s_ashr_i32 s7, s18, 31
	s_mov_b32 s6, s18
	v_cmp_gt_i64_e32 vcc, s[6:7], v[4:5]
                                        ; implicit-def: $vgpr0_vgpr1
                                        ; implicit-def: $vgpr2_vgpr3
	s_and_saveexec_b64 s[6:7], vcc
	s_cbranch_execz .LBB245_14
; %bb.11:
	v_mad_u64_u32 v[2:3], s[28:29], v4, s16, 0
	v_mov_b32_e32 v6, v3
	v_cmp_eq_f64_e64 s[14:15], s[8:9], 0
	v_mad_u64_u32 v[4:5], s[28:29], v4, s17, v[6:7]
	v_mov_b64_e32 v[0:1], 0
	v_mov_b32_e32 v3, v4
	s_and_b64 vcc, exec, s[14:15]
	s_cbranch_vccnz .LBB245_13
; %bb.12:
	v_lshl_add_u64 v[0:1], v[2:3], 3, s[12:13]
	global_load_dwordx2 v[0:1], v[0:1], off
	s_waitcnt vmcnt(0)
	v_mul_f64 v[0:1], v[0:1], s[8:9]
.LBB245_13:
	s_mov_b64 s[14:15], exec
.LBB245_14:
	s_or_b64 exec, exec, s[6:7]
	s_and_b64 s[14:15], s[14:15], exec
	s_or_b64 exec, exec, s[4:5]
	s_and_b64 vcc, exec, s[0:1]
	s_cbranch_vccnz .LBB245_17
	s_branch .LBB245_54
.LBB245_15:
                                        ; implicit-def: $vgpr0_vgpr1
                                        ; implicit-def: $vgpr2_vgpr3
	s_cbranch_execnz .LBB245_17
	s_branch .LBB245_54
.LBB245_16:
	s_or_b64 exec, exec, s[4:5]
	s_and_b64 vcc, exec, s[0:1]
	s_cbranch_vccz .LBB245_54
.LBB245_17:
	s_ashr_i32 s0, s19, 31
	s_lshr_b32 s0, s0, 28
	s_add_i32 s0, s19, s0
	s_lshl_b32 s33, s2, 8
	s_and_b32 s46, s0, -16
	v_lshlrev_b32_e32 v71, 2, v70
	v_mov_b64_e32 v[0:1], 0
	v_add_u32_e32 v2, s33, v69
	v_cmp_gt_i32_e32 vcc, s46, v71
	v_mov_b64_e32 v[4:5], v[0:1]
	v_mov_b64_e32 v[6:7], v[0:1]
	v_mov_b64_e32 v[8:9], v[0:1]
	s_and_saveexec_b64 s[28:29], vcc
	s_cbranch_execz .LBB245_29
; %bb.18:
	v_ashrrev_i32_e32 v3, 31, v2
	v_add_u32_e32 v0, 64, v2
	v_cmp_gt_i32_e64 s[0:1], s18, v0
	v_add_u32_e32 v0, 0x80, v2
	v_lshlrev_b64 v[10:11], 3, v[2:3]
	v_lshlrev_b32_e32 v3, 2, v70
	v_cmp_gt_i32_e64 s[2:3], s18, v0
	v_add_u32_e32 v0, 0xc0, v2
	v_or_b32_e32 v6, 3, v3
	v_cmp_gt_i32_e64 s[4:5], s18, v0
	v_mad_u64_u32 v[0:1], s[6:7], s20, v6, 0
	v_mov_b32_e32 v4, v1
	v_mad_u64_u32 v[4:5], s[6:7], s21, v6, v[4:5]
	v_mov_b32_e32 v1, v4
	v_lshl_add_u64 v[12:13], v[0:1], 3, s[22:23]
	v_mad_u64_u32 v[0:1], s[6:7], s24, v70, 0
	v_mov_b32_e32 v4, v1
	v_mad_u64_u32 v[4:5], s[6:7], s25, v70, v[4:5]
	v_mov_b32_e32 v1, v4
	v_lshlrev_b64 v[14:15], 5, v[0:1]
	v_mad_u64_u32 v[0:1], s[6:7], s20, v70, 0
	v_mov_b32_e32 v4, v1
	v_mad_u64_u32 v[4:5], s[6:7], s21, v70, v[4:5]
	v_mov_b32_e32 v1, v4
	v_lshlrev_b64 v[0:1], 5, v[0:1]
	v_lshl_add_u64 v[16:17], s[22:23], 0, v[0:1]
	v_mov_b64_e32 v[0:1], s[24:25]
	v_mad_u64_u32 v[0:1], s[6:7], s24, v3, v[0:1]
	v_mov_b32_e32 v4, v1
	v_mad_u64_u32 v[4:5], s[6:7], s25, v3, v[4:5]
	v_mov_b32_e32 v1, v4
	v_lshlrev_b64 v[18:19], 3, v[0:1]
	v_mad_u64_u32 v[0:1], s[6:7], s24, v6, 0
	v_mov_b32_e32 v4, v1
	v_mad_u64_u32 v[4:5], s[6:7], s25, v6, v[4:5]
	v_mov_b32_e32 v1, v4
	v_or_b32_e32 v6, 2, v3
	v_lshlrev_b64 v[20:21], 3, v[0:1]
	v_mad_u64_u32 v[0:1], s[6:7], s20, v6, 0
	v_mov_b32_e32 v4, v1
	v_mad_u64_u32 v[4:5], s[6:7], s21, v6, v[4:5]
	v_mov_b32_e32 v1, v4
	v_lshl_add_u64 v[22:23], v[0:1], 3, s[22:23]
	v_mov_b64_e32 v[0:1], s[20:21]
	v_mad_u64_u32 v[0:1], s[6:7], s20, v3, v[0:1]
	v_mov_b32_e32 v4, v1
	v_mad_u64_u32 v[4:5], s[6:7], s21, v3, v[4:5]
	v_mov_b32_e32 v1, v4
	v_lshl_add_u64 v[24:25], v[0:1], 3, s[22:23]
	v_mad_u64_u32 v[0:1], s[6:7], s24, v6, 0
	v_mov_b32_e32 v4, v1
	v_mad_u64_u32 v[4:5], s[6:7], s25, v6, v[4:5]
	v_mov_b32_e32 v1, v4
	v_lshlrev_b64 v[26:27], 3, v[0:1]
	v_mov_b64_e32 v[0:1], 0
	v_cmp_gt_i32_e32 vcc, s18, v2
	s_lshl_b64 s[30:31], s[20:21], 7
	s_lshl_b64 s[34:35], s[24:25], 7
	s_mov_b64 s[36:37], 0
	s_mov_b64 s[38:39], s[26:27]
	v_mov_b64_e32 v[4:5], v[0:1]
	v_mov_b64_e32 v[6:7], v[0:1]
	;; [unrolled: 1-line block ×3, first 2 shown]
	s_branch .LBB245_23
.LBB245_19:                             ;   in Loop: Header=BB245_23 Depth=1
	s_or_b64 exec, exec, s[44:45]
	s_waitcnt vmcnt(0) lgkmcnt(0)
	v_fmac_f64_e32 v[6:7], v[34:35], v[66:67]
	v_fmac_f64_e32 v[6:7], v[32:33], v[64:65]
	v_fmac_f64_e32 v[6:7], v[30:31], v[62:63]
	v_fmac_f64_e32 v[6:7], v[28:29], v[60:61]
.LBB245_20:                             ;   in Loop: Header=BB245_23 Depth=1
	s_or_b64 exec, exec, s[42:43]
	s_waitcnt vmcnt(0) lgkmcnt(0)
	v_fmac_f64_e32 v[4:5], v[34:35], v[50:51]
	v_fmac_f64_e32 v[4:5], v[32:33], v[48:49]
	;; [unrolled: 1-line block ×4, first 2 shown]
.LBB245_21:                             ;   in Loop: Header=BB245_23 Depth=1
	s_or_b64 exec, exec, s[40:41]
	s_waitcnt vmcnt(0) lgkmcnt(0)
	v_fmac_f64_e32 v[0:1], v[34:35], v[36:37]
	v_fmac_f64_e32 v[0:1], v[32:33], v[38:39]
	;; [unrolled: 1-line block ×4, first 2 shown]
.LBB245_22:                             ;   in Loop: Header=BB245_23 Depth=1
	s_or_b64 exec, exec, s[6:7]
	v_add_u32_e32 v71, 16, v71
	s_add_u32 s38, s38, s34
	s_addc_u32 s39, s39, s35
	v_cmp_le_i32_e64 s[6:7], s46, v71
	v_lshl_add_u64 v[12:13], v[12:13], 0, s[30:31]
	v_lshl_add_u64 v[16:17], v[16:17], 0, s[30:31]
	v_lshl_add_u64 v[22:23], v[22:23], 0, s[30:31]
	s_or_b64 s[36:37], s[6:7], s[36:37]
	v_lshl_add_u64 v[24:25], v[24:25], 0, s[30:31]
	s_andn2_b64 exec, exec, s[36:37]
	s_cbranch_execz .LBB245_28
.LBB245_23:                             ; =>This Inner Loop Header: Depth=1
	s_and_saveexec_b64 s[6:7], vcc
	s_cbranch_execz .LBB245_22
; %bb.24:                               ;   in Loop: Header=BB245_23 Depth=1
	v_lshl_add_u64 v[36:37], s[38:39], 0, v[14:15]
	v_lshl_add_u64 v[38:39], s[38:39], 0, v[18:19]
	;; [unrolled: 1-line block ×4, first 2 shown]
	flat_load_dwordx2 v[34:35], v[36:37]
	flat_load_dwordx2 v[32:33], v[38:39]
	flat_load_dwordx2 v[30:31], v[40:41]
	flat_load_dwordx2 v[28:29], v[42:43]
	v_lshl_add_u64 v[52:53], v[16:17], 0, v[10:11]
	v_lshl_add_u64 v[54:55], v[24:25], 0, v[10:11]
	;; [unrolled: 1-line block ×4, first 2 shown]
	flat_load_dwordx2 v[36:37], v[52:53]
	flat_load_dwordx2 v[38:39], v[54:55]
	;; [unrolled: 1-line block ×4, first 2 shown]
	s_and_saveexec_b64 s[40:41], s[0:1]
	s_cbranch_execz .LBB245_21
; %bb.25:                               ;   in Loop: Header=BB245_23 Depth=1
	flat_load_dwordx2 v[50:51], v[52:53] offset:512
	flat_load_dwordx2 v[48:49], v[54:55] offset:512
	flat_load_dwordx2 v[46:47], v[56:57] offset:512
	flat_load_dwordx2 v[44:45], v[58:59] offset:512
	s_and_saveexec_b64 s[42:43], s[2:3]
	s_cbranch_execz .LBB245_20
; %bb.26:                               ;   in Loop: Header=BB245_23 Depth=1
	flat_load_dwordx2 v[66:67], v[52:53] offset:1024
	flat_load_dwordx2 v[64:65], v[54:55] offset:1024
	flat_load_dwordx2 v[62:63], v[56:57] offset:1024
	flat_load_dwordx2 v[60:61], v[58:59] offset:1024
	;; [unrolled: 7-line block ×3, first 2 shown]
	s_waitcnt vmcnt(0) lgkmcnt(0)
	v_fmac_f64_e32 v[8:9], v[34:35], v[72:73]
	v_fmac_f64_e32 v[8:9], v[32:33], v[74:75]
	;; [unrolled: 1-line block ×4, first 2 shown]
	s_branch .LBB245_19
.LBB245_28:
	s_or_b64 exec, exec, s[36:37]
.LBB245_29:
	s_or_b64 exec, exec, s[28:29]
	s_sub_i32 s0, s19, s46
	s_cmp_lt_i32 s0, 1
	s_cbranch_scc1 .LBB245_47
; %bb.30:
	v_mov_b64_e32 v[12:13], 0
	v_cmp_gt_i32_e32 vcc, s19, v71
	v_or_b32_e32 v20, 1, v71
	v_mov_b64_e32 v[16:17], v[12:13]
	v_mov_b64_e32 v[14:15], v[12:13]
	v_mov_b64_e32 v[10:11], v[12:13]
	s_and_saveexec_b64 s[2:3], vcc
	s_cbranch_execz .LBB245_38
; %bb.31:
	v_mad_u64_u32 v[10:11], s[0:1], v71, s24, 0
	v_mov_b32_e32 v12, v11
	v_mad_u64_u32 v[12:13], s[0:1], v71, s25, v[12:13]
	v_mov_b32_e32 v11, v12
	v_lshl_add_u64 v[10:11], v[10:11], 3, s[26:27]
	flat_load_dwordx2 v[10:11], v[10:11]
	v_mov_b64_e32 v[14:15], 0
	v_cmp_gt_i32_e64 s[0:1], s19, v20
	v_mov_b64_e32 v[16:17], v[14:15]
	v_mov_b64_e32 v[12:13], v[14:15]
	s_and_saveexec_b64 s[4:5], s[0:1]
	s_cbranch_execz .LBB245_37
; %bb.32:
	v_mad_u64_u32 v[12:13], s[0:1], v20, s24, 0
	v_mov_b32_e32 v14, v13
	v_mad_u64_u32 v[14:15], s[0:1], v20, s25, v[14:15]
	v_mov_b32_e32 v13, v14
	v_lshl_add_u64 v[12:13], v[12:13], 3, s[26:27]
	flat_load_dwordx2 v[14:15], v[12:13]
	v_or_b32_e32 v3, 2, v71
	v_mov_b64_e32 v[16:17], 0
	v_cmp_gt_i32_e64 s[0:1], s19, v3
	v_mov_b64_e32 v[12:13], v[16:17]
	s_and_saveexec_b64 s[6:7], s[0:1]
	s_cbranch_execz .LBB245_36
; %bb.33:
	v_mad_u64_u32 v[12:13], s[0:1], v3, s24, 0
	v_mov_b32_e32 v16, v13
	v_mad_u64_u32 v[16:17], s[0:1], v3, s25, v[16:17]
	v_mov_b32_e32 v13, v16
	v_lshl_add_u64 v[12:13], v[12:13], 3, s[26:27]
	flat_load_dwordx2 v[16:17], v[12:13]
	v_or_b32_e32 v3, 3, v71
	v_cmp_gt_i32_e64 s[0:1], s19, v3
	v_mov_b64_e32 v[12:13], 0
	s_and_saveexec_b64 s[28:29], s[0:1]
	s_cbranch_execz .LBB245_35
; %bb.34:
	v_mad_u64_u32 v[12:13], s[0:1], v3, s24, 0
	v_mov_b32_e32 v18, v13
	v_mad_u64_u32 v[18:19], s[0:1], v3, s25, v[18:19]
	v_mov_b32_e32 v13, v18
	v_lshl_add_u64 v[12:13], v[12:13], 3, s[26:27]
	flat_load_dwordx2 v[12:13], v[12:13]
.LBB245_35:
	s_or_b64 exec, exec, s[28:29]
.LBB245_36:
	s_or_b64 exec, exec, s[6:7]
.LBB245_37:
	s_or_b64 exec, exec, s[4:5]
.LBB245_38:
	s_or_b64 exec, exec, s[2:3]
	v_cmp_gt_i32_e64 s[0:1], s18, v2
	s_and_saveexec_b64 s[2:3], s[0:1]
	s_cbranch_execz .LBB245_46
; %bb.39:
	v_mad_u64_u32 v[18:19], s[0:1], v71, s20, 0
	v_mov_b32_e32 v22, v19
	v_ashrrev_i32_e32 v3, 31, v2
	v_mad_u64_u32 v[22:23], s[0:1], v71, s21, v[22:23]
	v_mad_u64_u32 v[24:25], s[0:1], v20, s20, 0
	v_cndmask_b32_e32 v18, 0, v18, vcc
	v_cndmask_b32_e32 v19, 0, v22, vcc
	v_lshlrev_b64 v[22:23], 3, v[2:3]
	v_mov_b32_e32 v26, v25
	v_cmp_gt_i32_e32 vcc, s19, v20
	v_or_b32_e32 v3, 2, v71
	v_mad_u64_u32 v[26:27], s[0:1], v20, s21, v[26:27]
	v_cndmask_b32_e32 v20, 0, v24, vcc
	v_mad_u64_u32 v[24:25], s[0:1], v3, s20, 0
	v_cndmask_b32_e32 v21, 0, v26, vcc
	v_mov_b32_e32 v26, v25
	v_mad_u64_u32 v[26:27], s[0:1], v3, s21, v[26:27]
	v_cmp_gt_i32_e32 vcc, s19, v3
	v_or_b32_e32 v3, 3, v71
	v_lshl_add_u64 v[18:19], v[18:19], 3, s[22:23]
	v_cndmask_b32_e32 v25, 0, v26, vcc
	v_mad_u64_u32 v[26:27], s[0:1], v3, s20, 0
	v_mov_b32_e32 v28, v27
	v_cndmask_b32_e32 v24, 0, v24, vcc
	v_mad_u64_u32 v[28:29], s[0:1], v3, s21, v[28:29]
	v_cmp_gt_i32_e32 vcc, s19, v3
	v_lshl_add_u64 v[18:19], v[18:19], 0, v[22:23]
	v_lshl_add_u64 v[20:21], v[20:21], 3, s[22:23]
	v_cndmask_b32_e32 v26, 0, v26, vcc
	v_cndmask_b32_e32 v27, 0, v28, vcc
	v_lshl_add_u64 v[24:25], v[24:25], 3, s[22:23]
	v_lshl_add_u64 v[26:27], v[26:27], 3, s[22:23]
	;; [unrolled: 1-line block ×4, first 2 shown]
	flat_load_dwordx2 v[28:29], v[18:19]
	flat_load_dwordx2 v[30:31], v[20:21]
	;; [unrolled: 1-line block ×3, first 2 shown]
	v_lshl_add_u64 v[26:27], v[26:27], 0, v[22:23]
	flat_load_dwordx2 v[22:23], v[26:27]
	v_add_u32_e32 v3, 64, v2
	v_cmp_gt_i32_e32 vcc, s18, v3
	s_waitcnt vmcnt(0) lgkmcnt(0)
	v_fmac_f64_e32 v[0:1], v[10:11], v[28:29]
	v_fmac_f64_e32 v[0:1], v[14:15], v[30:31]
	v_fmac_f64_e32 v[0:1], v[16:17], v[32:33]
	s_and_saveexec_b64 s[0:1], vcc
	s_cbranch_execz .LBB245_45
; %bb.40:
	flat_load_dwordx2 v[30:31], v[18:19] offset:512
	flat_load_dwordx2 v[32:33], v[20:21] offset:512
	flat_load_dwordx2 v[34:35], v[24:25] offset:512
	flat_load_dwordx2 v[28:29], v[26:27] offset:512
	v_add_u32_e32 v3, 0x80, v2
	v_cmp_gt_i32_e32 vcc, s18, v3
	s_waitcnt vmcnt(0) lgkmcnt(0)
	v_fmac_f64_e32 v[4:5], v[10:11], v[30:31]
	v_fmac_f64_e32 v[4:5], v[14:15], v[32:33]
	v_fmac_f64_e32 v[4:5], v[16:17], v[34:35]
	s_and_saveexec_b64 s[4:5], vcc
	s_cbranch_execz .LBB245_44
; %bb.41:
	flat_load_dwordx2 v[32:33], v[18:19] offset:1024
	flat_load_dwordx2 v[34:35], v[20:21] offset:1024
	flat_load_dwordx2 v[36:37], v[24:25] offset:1024
	flat_load_dwordx2 v[30:31], v[26:27] offset:1024
	;; [unrolled: 13-line block ×3, first 2 shown]
	s_waitcnt vmcnt(0) lgkmcnt(0)
	v_fmac_f64_e32 v[8:9], v[10:11], v[2:3]
	v_fmac_f64_e32 v[8:9], v[14:15], v[32:33]
	;; [unrolled: 1-line block ×4, first 2 shown]
.LBB245_43:
	s_or_b64 exec, exec, s[6:7]
	v_fmac_f64_e32 v[6:7], v[12:13], v[30:31]
.LBB245_44:
	s_or_b64 exec, exec, s[4:5]
	v_fmac_f64_e32 v[4:5], v[12:13], v[28:29]
.LBB245_45:
	s_or_b64 exec, exec, s[0:1]
	v_fmac_f64_e32 v[0:1], v[12:13], v[22:23]
.LBB245_46:
	s_or_b64 exec, exec, s[2:3]
.LBB245_47:
	v_lshlrev_b32_e32 v2, 8, v70
	s_movk_i32 s0, 0x100
	v_add_lshl_u32 v2, v2, v69, 3
	v_cmp_gt_u32_e32 vcc, s0, v68
	ds_write2st64_b64 v2, v[0:1], v[4:5] offset1:1
	ds_write2st64_b64 v2, v[6:7], v[8:9] offset0:2 offset1:3
	s_waitcnt lgkmcnt(0)
	s_barrier
	s_waitcnt lgkmcnt(0)
                                        ; implicit-def: $vgpr0_vgpr1
                                        ; implicit-def: $vgpr2_vgpr3
	s_and_saveexec_b64 s[0:1], vcc
	s_cbranch_execz .LBB245_53
; %bb.48:
	v_lshlrev_b32_e32 v7, 3, v68
	ds_read2st64_b64 v[0:3], v7 offset1:4
	s_waitcnt vmcnt(0)
	ds_read2st64_b64 v[8:11], v7 offset0:8 offset1:12
	v_or_b32_e32 v6, s33, v68
	v_cmp_gt_i32_e32 vcc, s18, v6
	s_mov_b64 s[4:5], s[14:15]
	s_waitcnt lgkmcnt(1)
	v_add_f64 v[0:1], v[0:1], v[2:3]
	s_waitcnt lgkmcnt(0)
	v_add_f64 v[0:1], v[8:9], v[0:1]
	v_add_f64 v[4:5], v[10:11], v[0:1]
	ds_write_b64 v7, v[4:5]
                                        ; implicit-def: $vgpr0_vgpr1
                                        ; implicit-def: $vgpr2_vgpr3
	s_and_saveexec_b64 s[2:3], vcc
	s_cbranch_execz .LBB245_52
; %bb.49:
	v_ashrrev_i32_e32 v2, 31, v6
	v_cmp_eq_f64_e64 s[4:5], s[8:9], 0
	v_mul_f64 v[0:1], v[4:5], s[10:11]
	v_mul_lo_u32 v4, v6, s17
	v_mul_lo_u32 v5, v2, s16
	v_mad_u64_u32 v[2:3], s[6:7], v6, s16, 0
	v_add3_u32 v3, v3, v4, v5
	s_and_b64 vcc, exec, s[4:5]
	s_cbranch_vccnz .LBB245_51
; %bb.50:
	v_lshl_add_u64 v[4:5], v[2:3], 3, s[12:13]
	global_load_dwordx2 v[4:5], v[4:5], off
	s_waitcnt vmcnt(0)
	v_fmac_f64_e32 v[0:1], s[8:9], v[4:5]
.LBB245_51:
	s_or_b64 s[4:5], s[14:15], exec
.LBB245_52:
	s_or_b64 exec, exec, s[2:3]
	s_andn2_b64 s[2:3], s[14:15], exec
	s_and_b64 s[4:5], s[4:5], exec
	s_or_b64 s[14:15], s[2:3], s[4:5]
.LBB245_53:
	s_or_b64 exec, exec, s[0:1]
.LBB245_54:
	s_and_saveexec_b64 s[0:1], s[14:15]
	s_cbranch_execz .LBB245_56
; %bb.55:
	v_lshl_add_u64 v[2:3], v[2:3], 3, s[12:13]
	global_store_dwordx2 v[2:3], v[0:1], off
.LBB245_56:
	s_endpgm
	.section	.rodata,"a",@progbits
	.p2align	6, 0x0
	.amdhsa_kernel _ZL20rocblas_gemvn_kernelILi64ELi4ElPKddKPdEviiT3_lPKT2_lT1_lS7_lS8_lS4_lPT4_lS8_li
		.amdhsa_group_segment_fixed_size 8192
		.amdhsa_private_segment_fixed_size 0
		.amdhsa_kernarg_size 400
		.amdhsa_user_sgpr_count 2
		.amdhsa_user_sgpr_dispatch_ptr 0
		.amdhsa_user_sgpr_queue_ptr 0
		.amdhsa_user_sgpr_kernarg_segment_ptr 1
		.amdhsa_user_sgpr_dispatch_id 0
		.amdhsa_user_sgpr_kernarg_preload_length 0
		.amdhsa_user_sgpr_kernarg_preload_offset 0
		.amdhsa_user_sgpr_private_segment_size 0
		.amdhsa_uses_dynamic_stack 0
		.amdhsa_enable_private_segment 0
		.amdhsa_system_sgpr_workgroup_id_x 1
		.amdhsa_system_sgpr_workgroup_id_y 0
		.amdhsa_system_sgpr_workgroup_id_z 1
		.amdhsa_system_sgpr_workgroup_info 0
		.amdhsa_system_vgpr_workitem_id 1
		.amdhsa_next_free_vgpr 80
		.amdhsa_next_free_sgpr 47
		.amdhsa_accum_offset 80
		.amdhsa_reserve_vcc 1
		.amdhsa_float_round_mode_32 0
		.amdhsa_float_round_mode_16_64 0
		.amdhsa_float_denorm_mode_32 3
		.amdhsa_float_denorm_mode_16_64 3
		.amdhsa_dx10_clamp 1
		.amdhsa_ieee_mode 1
		.amdhsa_fp16_overflow 0
		.amdhsa_tg_split 0
		.amdhsa_exception_fp_ieee_invalid_op 0
		.amdhsa_exception_fp_denorm_src 0
		.amdhsa_exception_fp_ieee_div_zero 0
		.amdhsa_exception_fp_ieee_overflow 0
		.amdhsa_exception_fp_ieee_underflow 0
		.amdhsa_exception_fp_ieee_inexact 0
		.amdhsa_exception_int_div_zero 0
	.end_amdhsa_kernel
	.section	.text._ZL20rocblas_gemvn_kernelILi64ELi4ElPKddKPdEviiT3_lPKT2_lT1_lS7_lS8_lS4_lPT4_lS8_li,"axG",@progbits,_ZL20rocblas_gemvn_kernelILi64ELi4ElPKddKPdEviiT3_lPKT2_lT1_lS7_lS8_lS4_lPT4_lS8_li,comdat
.Lfunc_end245:
	.size	_ZL20rocblas_gemvn_kernelILi64ELi4ElPKddKPdEviiT3_lPKT2_lT1_lS7_lS8_lS4_lPT4_lS8_li, .Lfunc_end245-_ZL20rocblas_gemvn_kernelILi64ELi4ElPKddKPdEviiT3_lPKT2_lT1_lS7_lS8_lS4_lPT4_lS8_li
                                        ; -- End function
	.section	.AMDGPU.csdata,"",@progbits
; Kernel info:
; codeLenInByte = 2492
; NumSgprs: 53
; NumVgprs: 80
; NumAgprs: 0
; TotalNumVgprs: 80
; ScratchSize: 0
; MemoryBound: 1
; FloatMode: 240
; IeeeMode: 1
; LDSByteSize: 8192 bytes/workgroup (compile time only)
; SGPRBlocks: 6
; VGPRBlocks: 9
; NumSGPRsForWavesPerEU: 53
; NumVGPRsForWavesPerEU: 80
; AccumOffset: 80
; Occupancy: 6
; WaveLimiterHint : 1
; COMPUTE_PGM_RSRC2:SCRATCH_EN: 0
; COMPUTE_PGM_RSRC2:USER_SGPR: 2
; COMPUTE_PGM_RSRC2:TRAP_HANDLER: 0
; COMPUTE_PGM_RSRC2:TGID_X_EN: 1
; COMPUTE_PGM_RSRC2:TGID_Y_EN: 0
; COMPUTE_PGM_RSRC2:TGID_Z_EN: 1
; COMPUTE_PGM_RSRC2:TIDIG_COMP_CNT: 1
; COMPUTE_PGM_RSRC3_GFX90A:ACCUM_OFFSET: 19
; COMPUTE_PGM_RSRC3_GFX90A:TG_SPLIT: 0
	.section	.text._ZL24rocblas_gemv_scal_kernelILi256EPKdPKPdEviT0_lT1_lili,"axG",@progbits,_ZL24rocblas_gemv_scal_kernelILi256EPKdPKPdEviT0_lT1_lili,comdat
	.globl	_ZL24rocblas_gemv_scal_kernelILi256EPKdPKPdEviT0_lT1_lili ; -- Begin function _ZL24rocblas_gemv_scal_kernelILi256EPKdPKPdEviT0_lT1_lili
	.p2align	8
	.type	_ZL24rocblas_gemv_scal_kernelILi256EPKdPKPdEviT0_lT1_lili,@function
_ZL24rocblas_gemv_scal_kernelILi256EPKdPKPdEviT0_lT1_lili: ; @_ZL24rocblas_gemv_scal_kernelILi256EPKdPKPdEviT0_lT1_lili
; %bb.0:
	s_load_dwordx8 s[4:11], s[0:1], 0x8
	s_mov_b32 s12, s3
	s_waitcnt lgkmcnt(0)
	s_mul_i32 s3, s3, s7
	s_mul_hi_u32 s7, s12, s6
	s_add_i32 s7, s7, s3
	s_mul_i32 s6, s12, s6
	s_lshl_b64 s[6:7], s[6:7], 3
	s_add_u32 s4, s4, s6
	s_addc_u32 s5, s5, s7
	s_load_dwordx2 s[4:5], s[4:5], 0x0
	s_waitcnt lgkmcnt(0)
	v_cmp_eq_f64_e64 s[6:7], s[4:5], 1.0
	s_and_b64 vcc, exec, s[6:7]
	s_cbranch_vccnz .LBB246_5
; %bb.1:
	s_load_dword s6, s[0:1], 0x0
	s_load_dword s3, s[0:1], 0x4c
	v_mov_b32_e32 v1, 0
	s_waitcnt lgkmcnt(0)
	s_ashr_i32 s7, s6, 31
	s_and_b32 s3, s3, 0xffff
	s_mul_i32 s2, s2, s3
	v_add_u32_e32 v0, s2, v0
	v_cmp_gt_i64_e32 vcc, s[6:7], v[0:1]
	s_and_saveexec_b64 s[2:3], vcc
	s_cbranch_execz .LBB246_5
; %bb.2:
	s_mov_b32 s13, 0
	s_lshl_b64 s[2:3], s[12:13], 3
	s_add_u32 s2, s8, s2
	s_addc_u32 s3, s9, s3
	s_load_dword s8, s[0:1], 0x28
	s_load_dwordx2 s[6:7], s[2:3], 0x0
	s_lshl_b64 s[0:1], s[10:11], 3
	v_cmp_eq_f64_e64 s[2:3], s[4:5], 0
	v_mov_b64_e32 v[2:3], 0
	s_waitcnt lgkmcnt(0)
	s_ashr_i32 s9, s8, 31
	s_add_u32 s0, s6, s0
	s_addc_u32 s1, s7, s1
	v_mad_u64_u32 v[4:5], s[6:7], v0, s8, 0
	v_mov_b32_e32 v6, v5
	v_mad_u64_u32 v[0:1], s[6:7], v0, s9, v[6:7]
	v_mov_b32_e32 v5, v0
	v_lshl_add_u64 v[0:1], v[4:5], 3, s[0:1]
	s_and_b64 vcc, exec, s[2:3]
	s_cbranch_vccnz .LBB246_4
; %bb.3:
	global_load_dwordx2 v[2:3], v[0:1], off
	s_waitcnt vmcnt(0)
	v_mul_f64 v[2:3], s[4:5], v[2:3]
.LBB246_4:
	global_store_dwordx2 v[0:1], v[2:3], off
.LBB246_5:
	s_endpgm
	.section	.rodata,"a",@progbits
	.p2align	6, 0x0
	.amdhsa_kernel _ZL24rocblas_gemv_scal_kernelILi256EPKdPKPdEviT0_lT1_lili
		.amdhsa_group_segment_fixed_size 0
		.amdhsa_private_segment_fixed_size 0
		.amdhsa_kernarg_size 320
		.amdhsa_user_sgpr_count 2
		.amdhsa_user_sgpr_dispatch_ptr 0
		.amdhsa_user_sgpr_queue_ptr 0
		.amdhsa_user_sgpr_kernarg_segment_ptr 1
		.amdhsa_user_sgpr_dispatch_id 0
		.amdhsa_user_sgpr_kernarg_preload_length 0
		.amdhsa_user_sgpr_kernarg_preload_offset 0
		.amdhsa_user_sgpr_private_segment_size 0
		.amdhsa_uses_dynamic_stack 0
		.amdhsa_enable_private_segment 0
		.amdhsa_system_sgpr_workgroup_id_x 1
		.amdhsa_system_sgpr_workgroup_id_y 0
		.amdhsa_system_sgpr_workgroup_id_z 1
		.amdhsa_system_sgpr_workgroup_info 0
		.amdhsa_system_vgpr_workitem_id 0
		.amdhsa_next_free_vgpr 8
		.amdhsa_next_free_sgpr 14
		.amdhsa_accum_offset 8
		.amdhsa_reserve_vcc 1
		.amdhsa_float_round_mode_32 0
		.amdhsa_float_round_mode_16_64 0
		.amdhsa_float_denorm_mode_32 3
		.amdhsa_float_denorm_mode_16_64 3
		.amdhsa_dx10_clamp 1
		.amdhsa_ieee_mode 1
		.amdhsa_fp16_overflow 0
		.amdhsa_tg_split 0
		.amdhsa_exception_fp_ieee_invalid_op 0
		.amdhsa_exception_fp_denorm_src 0
		.amdhsa_exception_fp_ieee_div_zero 0
		.amdhsa_exception_fp_ieee_overflow 0
		.amdhsa_exception_fp_ieee_underflow 0
		.amdhsa_exception_fp_ieee_inexact 0
		.amdhsa_exception_int_div_zero 0
	.end_amdhsa_kernel
	.section	.text._ZL24rocblas_gemv_scal_kernelILi256EPKdPKPdEviT0_lT1_lili,"axG",@progbits,_ZL24rocblas_gemv_scal_kernelILi256EPKdPKPdEviT0_lT1_lili,comdat
.Lfunc_end246:
	.size	_ZL24rocblas_gemv_scal_kernelILi256EPKdPKPdEviT0_lT1_lili, .Lfunc_end246-_ZL24rocblas_gemv_scal_kernelILi256EPKdPKPdEviT0_lT1_lili
                                        ; -- End function
	.section	.AMDGPU.csdata,"",@progbits
; Kernel info:
; codeLenInByte = 264
; NumSgprs: 20
; NumVgprs: 8
; NumAgprs: 0
; TotalNumVgprs: 8
; ScratchSize: 0
; MemoryBound: 1
; FloatMode: 240
; IeeeMode: 1
; LDSByteSize: 0 bytes/workgroup (compile time only)
; SGPRBlocks: 2
; VGPRBlocks: 0
; NumSGPRsForWavesPerEU: 20
; NumVGPRsForWavesPerEU: 8
; AccumOffset: 8
; Occupancy: 8
; WaveLimiterHint : 1
; COMPUTE_PGM_RSRC2:SCRATCH_EN: 0
; COMPUTE_PGM_RSRC2:USER_SGPR: 2
; COMPUTE_PGM_RSRC2:TRAP_HANDLER: 0
; COMPUTE_PGM_RSRC2:TGID_X_EN: 1
; COMPUTE_PGM_RSRC2:TGID_Y_EN: 0
; COMPUTE_PGM_RSRC2:TGID_Z_EN: 1
; COMPUTE_PGM_RSRC2:TIDIG_COMP_CNT: 0
; COMPUTE_PGM_RSRC3_GFX90A:ACCUM_OFFSET: 1
; COMPUTE_PGM_RSRC3_GFX90A:TG_SPLIT: 0
	.section	.text._ZL24rocblas_gemv_scal_kernelILi256EdPKPdEviT0_lT1_lili,"axG",@progbits,_ZL24rocblas_gemv_scal_kernelILi256EdPKPdEviT0_lT1_lili,comdat
	.globl	_ZL24rocblas_gemv_scal_kernelILi256EdPKPdEviT0_lT1_lili ; -- Begin function _ZL24rocblas_gemv_scal_kernelILi256EdPKPdEviT0_lT1_lili
	.p2align	8
	.type	_ZL24rocblas_gemv_scal_kernelILi256EdPKPdEviT0_lT1_lili,@function
_ZL24rocblas_gemv_scal_kernelILi256EdPKPdEviT0_lT1_lili: ; @_ZL24rocblas_gemv_scal_kernelILi256EdPKPdEviT0_lT1_lili
; %bb.0:
	s_load_dwordx2 s[4:5], s[0:1], 0x8
	s_waitcnt lgkmcnt(0)
	v_cmp_eq_f64_e64 s[8:9], s[4:5], 1.0
	s_and_b64 vcc, exec, s[8:9]
	s_cbranch_vccnz .LBB247_5
; %bb.1:
	s_mov_b32 s6, s3
	s_load_dword s8, s[0:1], 0x0
	s_load_dword s3, s[0:1], 0x4c
	v_mov_b32_e32 v1, 0
	s_waitcnt lgkmcnt(0)
	s_ashr_i32 s9, s8, 31
	s_and_b32 s3, s3, 0xffff
	s_mul_i32 s2, s2, s3
	v_add_u32_e32 v0, s2, v0
	v_cmp_gt_i64_e32 vcc, s[8:9], v[0:1]
	s_and_saveexec_b64 s[2:3], vcc
	s_cbranch_execz .LBB247_5
; %bb.2:
	s_load_dwordx4 s[8:11], s[0:1], 0x18
	s_load_dword s12, s[0:1], 0x28
	s_mov_b32 s7, 0
	s_lshl_b64 s[0:1], s[6:7], 3
	v_cmp_eq_f64_e64 s[2:3], s[4:5], 0
	s_waitcnt lgkmcnt(0)
	s_add_u32 s0, s8, s0
	s_addc_u32 s1, s9, s1
	s_load_dwordx2 s[0:1], s[0:1], 0x0
	s_ashr_i32 s8, s12, 31
	s_lshl_b64 s[6:7], s[10:11], 3
	v_mov_b64_e32 v[2:3], 0
	s_waitcnt lgkmcnt(0)
	s_add_u32 s0, s0, s6
	s_addc_u32 s1, s1, s7
	v_mad_u64_u32 v[4:5], s[6:7], v0, s12, 0
	v_mov_b32_e32 v6, v5
	v_mad_u64_u32 v[0:1], s[6:7], v0, s8, v[6:7]
	v_mov_b32_e32 v5, v0
	v_lshl_add_u64 v[0:1], v[4:5], 3, s[0:1]
	s_and_b64 vcc, exec, s[2:3]
	s_cbranch_vccnz .LBB247_4
; %bb.3:
	global_load_dwordx2 v[2:3], v[0:1], off
	s_waitcnt vmcnt(0)
	v_mul_f64 v[2:3], v[2:3], s[4:5]
.LBB247_4:
	global_store_dwordx2 v[0:1], v[2:3], off
.LBB247_5:
	s_endpgm
	.section	.rodata,"a",@progbits
	.p2align	6, 0x0
	.amdhsa_kernel _ZL24rocblas_gemv_scal_kernelILi256EdPKPdEviT0_lT1_lili
		.amdhsa_group_segment_fixed_size 0
		.amdhsa_private_segment_fixed_size 0
		.amdhsa_kernarg_size 320
		.amdhsa_user_sgpr_count 2
		.amdhsa_user_sgpr_dispatch_ptr 0
		.amdhsa_user_sgpr_queue_ptr 0
		.amdhsa_user_sgpr_kernarg_segment_ptr 1
		.amdhsa_user_sgpr_dispatch_id 0
		.amdhsa_user_sgpr_kernarg_preload_length 0
		.amdhsa_user_sgpr_kernarg_preload_offset 0
		.amdhsa_user_sgpr_private_segment_size 0
		.amdhsa_uses_dynamic_stack 0
		.amdhsa_enable_private_segment 0
		.amdhsa_system_sgpr_workgroup_id_x 1
		.amdhsa_system_sgpr_workgroup_id_y 0
		.amdhsa_system_sgpr_workgroup_id_z 1
		.amdhsa_system_sgpr_workgroup_info 0
		.amdhsa_system_vgpr_workitem_id 0
		.amdhsa_next_free_vgpr 8
		.amdhsa_next_free_sgpr 13
		.amdhsa_accum_offset 8
		.amdhsa_reserve_vcc 1
		.amdhsa_float_round_mode_32 0
		.amdhsa_float_round_mode_16_64 0
		.amdhsa_float_denorm_mode_32 3
		.amdhsa_float_denorm_mode_16_64 3
		.amdhsa_dx10_clamp 1
		.amdhsa_ieee_mode 1
		.amdhsa_fp16_overflow 0
		.amdhsa_tg_split 0
		.amdhsa_exception_fp_ieee_invalid_op 0
		.amdhsa_exception_fp_denorm_src 0
		.amdhsa_exception_fp_ieee_div_zero 0
		.amdhsa_exception_fp_ieee_overflow 0
		.amdhsa_exception_fp_ieee_underflow 0
		.amdhsa_exception_fp_ieee_inexact 0
		.amdhsa_exception_int_div_zero 0
	.end_amdhsa_kernel
	.section	.text._ZL24rocblas_gemv_scal_kernelILi256EdPKPdEviT0_lT1_lili,"axG",@progbits,_ZL24rocblas_gemv_scal_kernelILi256EdPKPdEviT0_lT1_lili,comdat
.Lfunc_end247:
	.size	_ZL24rocblas_gemv_scal_kernelILi256EdPKPdEviT0_lT1_lili, .Lfunc_end247-_ZL24rocblas_gemv_scal_kernelILi256EdPKPdEviT0_lT1_lili
                                        ; -- End function
	.section	.AMDGPU.csdata,"",@progbits
; Kernel info:
; codeLenInByte = 236
; NumSgprs: 19
; NumVgprs: 8
; NumAgprs: 0
; TotalNumVgprs: 8
; ScratchSize: 0
; MemoryBound: 1
; FloatMode: 240
; IeeeMode: 1
; LDSByteSize: 0 bytes/workgroup (compile time only)
; SGPRBlocks: 2
; VGPRBlocks: 0
; NumSGPRsForWavesPerEU: 19
; NumVGPRsForWavesPerEU: 8
; AccumOffset: 8
; Occupancy: 8
; WaveLimiterHint : 1
; COMPUTE_PGM_RSRC2:SCRATCH_EN: 0
; COMPUTE_PGM_RSRC2:USER_SGPR: 2
; COMPUTE_PGM_RSRC2:TRAP_HANDLER: 0
; COMPUTE_PGM_RSRC2:TGID_X_EN: 1
; COMPUTE_PGM_RSRC2:TGID_Y_EN: 0
; COMPUTE_PGM_RSRC2:TGID_Z_EN: 1
; COMPUTE_PGM_RSRC2:TIDIG_COMP_CNT: 0
; COMPUTE_PGM_RSRC3_GFX90A:ACCUM_OFFSET: 1
; COMPUTE_PGM_RSRC3_GFX90A:TG_SPLIT: 0
	.section	.text._ZL36rocblas_gemvn_double_buffered_kernelILi128ELi4ELi16EPKdS1_KPdEviiT3_lPKT2_lilS7_lilPT4_lili,"axG",@progbits,_ZL36rocblas_gemvn_double_buffered_kernelILi128ELi4ELi16EPKdS1_KPdEviiT3_lPKT2_lilS7_lilPT4_lili,comdat
	.globl	_ZL36rocblas_gemvn_double_buffered_kernelILi128ELi4ELi16EPKdS1_KPdEviiT3_lPKT2_lilS7_lilPT4_lili ; -- Begin function _ZL36rocblas_gemvn_double_buffered_kernelILi128ELi4ELi16EPKdS1_KPdEviiT3_lPKT2_lilS7_lilPT4_lili
	.p2align	8
	.type	_ZL36rocblas_gemvn_double_buffered_kernelILi128ELi4ELi16EPKdS1_KPdEviiT3_lPKT2_lilS7_lilPT4_lili,@function
_ZL36rocblas_gemvn_double_buffered_kernelILi128ELi4ELi16EPKdS1_KPdEviiT3_lPKT2_lilS7_lilPT4_lili: ; @_ZL36rocblas_gemvn_double_buffered_kernelILi128ELi4ELi16EPKdS1_KPdEviiT3_lPKT2_lilS7_lilPT4_lili
; %bb.0:
	s_load_dwordx8 s[8:15], s[0:1], 0x8
	s_waitcnt lgkmcnt(0)
	s_mul_i32 s5, s4, s11
	s_mul_hi_u32 s6, s4, s10
	s_add_i32 s7, s6, s5
	s_mul_i32 s6, s4, s10
	s_lshl_b64 s[6:7], s[6:7], 3
	s_add_u32 s6, s8, s6
	s_addc_u32 s7, s9, s7
	s_load_dwordx2 s[16:17], s[6:7], 0x0
	s_waitcnt lgkmcnt(0)
	v_cmp_eq_f64_e64 s[6:7], s[16:17], 0
	s_and_b64 vcc, exec, s[6:7]
	s_cbranch_vccnz .LBB248_10
; %bb.1:
	s_load_dword s5, s[0:1], 0x84
	s_load_dword s6, s[0:1], 0x4
	s_waitcnt lgkmcnt(0)
	v_cvt_f32_u32_e32 v1, s5
	s_ashr_i32 s7, s6, 31
	s_lshr_b32 s7, s7, 25
	s_sub_i32 s8, 0, s5
	v_rcp_iflag_f32_e32 v1, v1
	s_add_i32 s6, s6, s7
	s_ashr_i32 s6, s6, 7
	v_mul_f32_e32 v1, 0x4f7ffffe, v1
	v_cvt_u32_f32_e32 v1, v1
	s_nop 0
	v_readfirstlane_b32 s7, v1
	s_mul_i32 s8, s8, s7
	s_mul_hi_u32 s8, s7, s8
	s_add_i32 s7, s7, s8
	s_mul_hi_u32 s7, s6, s7
	s_mul_i32 s8, s7, s5
	s_sub_i32 s8, s6, s8
	s_add_i32 s9, s7, 1
	s_sub_i32 s10, s8, s5
	s_cmp_ge_u32 s8, s5
	s_cselect_b32 s7, s9, s7
	s_cselect_b32 s8, s10, s8
	s_add_i32 s9, s7, 1
	s_cmp_ge_u32 s8, s5
	s_cselect_b32 s29, s9, s7
	s_mul_i32 s5, s29, s5
	s_sub_i32 s28, s6, s5
	s_cmp_lt_u32 s3, s28
	s_cselect_b64 s[6:7], -1, 0
	s_cmp_lg_u64 s[6:7], 0
	s_addc_u32 s33, s29, 0
	s_cmp_eq_u32 s33, 0
	s_mov_b32 s5, 0
	s_cbranch_scc1 .LBB248_10
; %bb.2:
	s_load_dwordx4 s[8:11], s[0:1], 0x58
	s_lshl_b64 s[26:27], s[4:5], 3
	v_and_b32_e32 v170, 0x3ff, v0
	v_bfe_u32 v171, v0, 10, 10
	v_lshl_add_u32 v34, v171, 7, v170
	s_waitcnt lgkmcnt(0)
	s_add_u32 s4, s8, s26
	s_addc_u32 s5, s9, s27
	s_load_dwordx2 s[8:9], s[4:5], 0x0
	s_lshl_b32 s18, s2, 7
	v_and_b32_e32 v32, 63, v170
	s_ashr_i32 s19, s18, 31
	v_mov_b64_e32 v[98:99], 0
	v_lshrrev_b32_e32 v172, 6, v34
	s_cmp_lt_i32 s33, 1
	v_lshlrev_b32_e32 v64, 3, v32
	v_mov_b64_e32 v[104:105], v[98:99]
	s_cbranch_scc1 .LBB248_8
; %bb.3:
	s_load_dword s22, s[0:1], 0x28
	s_load_dwordx4 s[4:7], s[0:1], 0x38
	s_load_dword s20, s[0:1], 0x48
	s_mul_i32 s29, s29, s3
	v_cvt_f64_i32_e32 v[4:5], s3
	s_waitcnt lgkmcnt(0)
	s_ashr_i32 s23, s22, 31
	s_add_u32 s12, s12, s26
	s_addc_u32 s13, s13, s27
	s_load_dwordx2 s[24:25], s[12:13], 0x0
	s_add_u32 s12, s4, s26
	v_cvt_f64_u32_e32 v[6:7], s28
	v_lshlrev_b32_e32 v0, 4, v172
	s_addc_u32 s13, s5, s27
	v_mov_b32_e32 v33, 0
	s_ashr_i32 s21, s20, 31
	s_lshl_b64 s[26:27], s[14:15], 3
	v_cvt_f64_u32_e32 v[2:3], s29
	v_min_f64 v[4:5], v[4:5], v[6:7]
	v_mad_i64_i32 v[0:1], s[4:5], s22, v0, v[32:33]
	s_waitcnt lgkmcnt(0)
	s_add_u32 s2, s24, s26
	v_add_f64 v[2:3], v[4:5], v[2:3]
	s_addc_u32 s4, s25, s27
	v_cvt_i32_f64_e32 v2, v[2:3]
	s_lshl_b64 s[28:29], s[18:19], 3
	s_add_u32 s5, s2, s28
	v_readfirstlane_b32 s2, v2
	s_addc_u32 s4, s4, s29
	s_lshl_b32 s30, s2, 7
	s_mul_hi_i32 s3, s30, s22
	s_mul_i32 s2, s30, s22
	s_ashr_i32 s31, s30, 31
	s_lshl_b64 s[2:3], s[2:3], 3
	s_add_u32 s2, s5, s2
	s_addc_u32 s3, s4, s3
	v_lshl_add_u64 v[4:5], v[0:1], 3, s[2:3]
	s_lshl_b64 s[2:3], s[22:23], 3
	v_lshl_add_u64 v[6:7], v[4:5], 0, s[2:3]
	global_load_dwordx2 v[0:1], v[4:5], off
	global_load_dwordx2 v[2:3], v[6:7], off
	v_lshl_add_u64 v[6:7], v[6:7], 0, s[2:3]
	v_lshl_add_u64 v[8:9], v[6:7], 0, s[2:3]
	;; [unrolled: 1-line block ×13, first 2 shown]
	global_load_dwordx2 v[4:5], v[6:7], off
	s_lshl_b32 s14, s20, 7
	global_load_dwordx2 v[6:7], v[8:9], off
	s_lshl_b64 s[4:5], s[22:23], 10
	global_load_dwordx2 v[8:9], v[10:11], off
	s_add_i32 s19, s33, -1
	global_load_dwordx2 v[10:11], v[12:13], off
	s_ashr_i32 s15, s14, 31
	global_load_dwordx2 v[12:13], v[14:15], off
	s_add_u32 s24, s24, s28
	global_load_dwordx2 v[14:15], v[16:17], off
	s_addc_u32 s25, s25, s29
	global_load_dwordx2 v[16:17], v[18:19], off
	v_lshlrev_b32_e32 v32, 1, v34
	global_load_dwordx2 v[18:19], v[20:21], off
	s_add_u32 s24, s24, s26
	global_load_dwordx2 v[20:21], v[22:23], off
	v_and_b32_e32 v32, 0x7ff80, v32
	global_load_dwordx2 v[22:23], v[24:25], off
	s_addc_u32 s25, s25, s27
	global_load_dwordx2 v[24:25], v[26:27], off
	v_lshl_add_u64 v[34:35], s[30:31], 3, v[32:33]
	global_load_dwordx2 v[26:27], v[28:29], off
	v_mov_b64_e32 v[36:37], s[24:25]
	global_load_dwordx2 v[28:29], v[30:31], off
	v_lshl_add_u64 v[30:31], v[30:31], 0, s[2:3]
	global_load_dwordx2 v[30:31], v[30:31], off
	v_mad_u64_u32 v[38:39], s[24:25], v34, s22, v[36:37]
	v_mul_lo_u32 v32, v34, s23
	v_mul_lo_u32 v40, v35, s22
	s_mov_b64 s[24:25], 0x400
	v_add3_u32 v39, v40, v39, v32
	v_lshl_add_u64 v[40:41], v[34:35], 0, s[24:25]
	v_mad_u64_u32 v[66:67], s[24:25], v40, s22, v[36:37]
	v_mul_lo_u32 v32, v40, s23
	v_mul_lo_u32 v41, v41, s22
	s_mov_b64 s[24:25], 0x410
	v_add3_u32 v67, v41, v67, v32
	v_lshl_add_u64 v[40:41], v[34:35], 0, s[24:25]
	;; [unrolled: 6-line block ×14, first 2 shown]
	v_mad_u64_u32 v[92:93], s[24:25], v40, s22, v[36:37]
	s_load_dwordx2 s[12:13], s[12:13], 0x0
	v_mul_lo_u32 v32, v40, s23
	v_mul_lo_u32 v41, v41, s22
	s_mov_b64 s[24:25], 0x478
	v_add3_u32 v93, v41, v93, v32
	v_lshl_add_u64 v[40:41], v[34:35], 0, s[24:25]
	v_mad_u64_u32 v[94:95], s[24:25], v40, s22, v[36:37]
	v_mul_lo_u32 v32, v40, s23
	v_mul_lo_u32 v41, v41, s22
	s_mov_b64 s[24:25], 0x408
	s_lshl_b64 s[6:7], s[6:7], 3
	v_add3_u32 v95, v41, v95, v32
	v_lshl_add_u64 v[40:41], v[34:35], 0, s[24:25]
	s_waitcnt lgkmcnt(0)
	s_add_u32 s6, s12, s6
	v_mad_u64_u32 v[96:97], s[24:25], v40, s22, v[36:37]
	v_mul_lo_u32 v32, v40, s23
	v_mul_lo_u32 v36, v41, s22
	s_addc_u32 s7, s13, s7
	v_add3_u32 v97, v36, v97, v32
	v_mov_b64_e32 v[36:37], s[6:7]
	v_mad_u64_u32 v[100:101], s[6:7], v34, s20, v[36:37]
	v_mul_lo_u32 v32, v34, s21
	v_mul_lo_u32 v34, v35, s20
	s_mov_b64 s[6:7], 0x200
	v_add3_u32 v101, v34, v101, v32
	v_mov_b32_e32 v65, v33
	v_lshl_add_u64 v[102:103], v[38:39], 0, s[6:7]
	v_mov_b64_e32 v[98:99], 0
	s_waitcnt vmcnt(0)
	v_mov_b64_e32 v[62:63], v[30:31]
	s_mov_b32 s22, 0
	s_lshl_b64 s[6:7], s[14:15], 3
	s_lshl_b64 s[12:13], s[20:21], 3
	v_mov_b64_e32 v[104:105], v[98:99]
	v_mov_b64_e32 v[60:61], v[28:29]
	;; [unrolled: 1-line block ×16, first 2 shown]
.LBB248_4:                              ; =>This Inner Loop Header: Depth=1
	v_lshl_add_u64 v[114:115], v[102:103], 0, v[64:65]
	v_lshl_add_u64 v[116:117], v[114:115], 0, s[2:3]
	;; [unrolled: 1-line block ×4, first 2 shown]
	global_load_dwordx2 v[112:113], v[114:115], off
	global_load_dwordx2 v[110:111], v[116:117], off
	;; [unrolled: 1-line block ×4, first 2 shown]
	v_lshl_add_u64 v[118:119], v[120:121], 0, s[2:3]
	v_lshl_add_u64 v[120:121], v[118:119], 0, s[2:3]
	global_load_dwordx2 v[116:117], v[118:119], off
	global_load_dwordx2 v[114:115], v[120:121], off
	v_lshl_add_u64 v[120:121], v[120:121], 0, s[2:3]
	v_lshl_add_u64 v[122:123], v[120:121], 0, s[2:3]
	v_lshl_add_u64 v[124:125], v[122:123], 0, s[2:3]
	v_lshl_add_u64 v[126:127], v[124:125], 0, s[2:3]
	v_lshl_add_u64 v[128:129], v[126:127], 0, s[2:3]
	v_lshl_add_u64 v[130:131], v[128:129], 0, s[2:3]
	v_lshl_add_u64 v[132:133], v[130:131], 0, s[2:3]
	v_lshl_add_u64 v[140:141], v[100:101], 0, s[12:13]
	v_lshl_add_u64 v[134:135], v[132:133], 0, s[2:3]
	v_lshl_add_u64 v[142:143], v[140:141], 0, s[12:13]
	v_lshl_add_u64 v[136:137], v[134:135], 0, s[2:3]
	v_lshl_add_u64 v[144:145], v[142:143], 0, s[12:13]
	global_load_dwordx2 v[118:119], v[120:121], off
	v_lshl_add_u64 v[146:147], v[144:145], 0, s[12:13]
	global_load_dwordx2 v[120:121], v[122:123], off
	s_cmp_eq_u32 s19, s22
	global_load_dwordx2 v[122:123], v[124:125], off
	s_nop 0
	global_load_dwordx2 v[124:125], v[126:127], off
	s_nop 0
	;; [unrolled: 2-line block ×6, first 2 shown]
	global_load_dwordx2 v[134:135], v[136:137], off
	v_lshl_add_u64 v[136:137], v[136:137], 0, s[2:3]
	global_load_dwordx2 v[136:137], v[136:137], off
	s_nop 0
	global_load_dwordx2 v[138:139], v[100:101], off
	global_load_dwordx2 v[168:169], v[140:141], off
	;; [unrolled: 1-line block ×3, first 2 shown]
	s_nop 0
	global_load_dwordx2 v[142:143], v[144:145], off
	global_load_dwordx2 v[140:141], v[146:147], off
	v_lshl_add_u64 v[144:145], v[146:147], 0, s[12:13]
	v_lshl_add_u64 v[146:147], v[144:145], 0, s[12:13]
	;; [unrolled: 1-line block ×10, first 2 shown]
	global_load_dwordx2 v[166:167], v[144:145], off
	s_nop 0
	global_load_dwordx2 v[144:145], v[146:147], off
	s_nop 0
	;; [unrolled: 2-line block ×9, first 2 shown]
	global_load_dwordx2 v[160:161], v[162:163], off
	v_lshl_add_u64 v[162:163], v[162:163], 0, s[12:13]
	global_load_dwordx2 v[162:163], v[162:163], off
	s_cbranch_scc1 .LBB248_6
; %bb.5:                                ;   in Loop: Header=BB248_4 Depth=1
	v_lshl_add_u64 v[32:33], v[66:67], 0, v[64:65]
	v_lshl_add_u64 v[34:35], v[96:97], 0, v[64:65]
	;; [unrolled: 1-line block ×16, first 2 shown]
	global_load_dwordx2 v[32:33], v[32:33], off
	s_nop 0
	global_load_dwordx2 v[34:35], v[34:35], off
	s_nop 0
	;; [unrolled: 2-line block ×15, first 2 shown]
	global_load_dwordx2 v[62:63], v[62:63], off
.LBB248_6:                              ;   in Loop: Header=BB248_4 Depth=1
	s_waitcnt vmcnt(15)
	v_fmac_f64_e32 v[104:105], v[0:1], v[138:139]
	v_fmac_f64_e32 v[98:99], v[112:113], v[138:139]
	s_waitcnt vmcnt(14)
	v_fmac_f64_e32 v[104:105], v[2:3], v[168:169]
	v_fmac_f64_e32 v[98:99], v[110:111], v[168:169]
	;; [unrolled: 3-line block ×15, first 2 shown]
	s_add_i32 s22, s22, 1
	s_waitcnt vmcnt(0)
	v_fmac_f64_e32 v[104:105], v[30:31], v[162:163]
	v_fmac_f64_e32 v[98:99], v[136:137], v[162:163]
	v_lshl_add_u64 v[102:103], v[102:103], 0, s[4:5]
	v_lshl_add_u64 v[66:67], v[66:67], 0, s[4:5]
	;; [unrolled: 1-line block ×17, first 2 shown]
	s_cmp_lt_i32 s22, s33
	v_lshl_add_u64 v[100:101], v[100:101], 0, s[6:7]
	s_cbranch_scc0 .LBB248_8
; %bb.7:                                ;   in Loop: Header=BB248_4 Depth=1
	v_mov_b64_e32 v[0:1], v[32:33]
	v_mov_b64_e32 v[2:3], v[34:35]
	;; [unrolled: 1-line block ×16, first 2 shown]
	s_branch .LBB248_4
.LBB248_8:
	v_lshl_or_b32 v0, v172, 10, v64
	v_cmp_eq_u32_e32 vcc, 0, v171
	ds_write2st64_b64 v0, v[104:105], v[98:99] offset1:1
	s_waitcnt lgkmcnt(0)
	s_barrier
	s_and_saveexec_b64 s[2:3], vcc
	s_cbranch_execz .LBB248_10
; %bb.9:
	v_lshlrev_b32_e32 v14, 3, v170
	ds_read2st64_b64 v[0:3], v14 offset1:2
	ds_read2st64_b64 v[4:7], v14 offset0:4 offset1:6
	s_load_dword s2, s[0:1], 0x68
	ds_read2st64_b64 v[8:11], v14 offset0:8 offset1:10
	s_lshl_b64 s[0:1], s[10:11], 3
	s_waitcnt lgkmcnt(0)
	v_add_f64 v[0:1], v[0:1], 0
	v_add_f64 v[12:13], v[0:1], v[2:3]
	ds_read2st64_b64 v[0:3], v14 offset0:12 offset1:14
	v_add_f64 v[4:5], v[12:13], v[4:5]
	s_add_u32 s3, s8, s0
	v_add_f64 v[4:5], v[4:5], v[6:7]
	s_addc_u32 s4, s9, s1
	s_mul_hi_i32 s1, s2, s18
	s_mul_i32 s0, s2, s18
	v_add_f64 v[4:5], v[4:5], v[8:9]
	s_lshl_b64 s[0:1], s[0:1], 3
	v_add_f64 v[4:5], v[4:5], v[10:11]
	s_add_u32 s0, s3, s0
	s_waitcnt lgkmcnt(0)
	v_add_f64 v[0:1], v[4:5], v[0:1]
	s_addc_u32 s1, s4, s1
	v_add_f64 v[0:1], v[0:1], v[2:3]
	v_mad_i64_i32 v[2:3], s[2:3], s2, v170, 0
	v_lshl_add_u64 v[2:3], v[2:3], 3, s[0:1]
	v_mul_f64 v[0:1], s[16:17], v[0:1]
	global_atomic_add_f64 v[2:3], v[0:1], off
.LBB248_10:
	s_endpgm
	.section	.rodata,"a",@progbits
	.p2align	6, 0x0
	.amdhsa_kernel _ZL36rocblas_gemvn_double_buffered_kernelILi128ELi4ELi16EPKdS1_KPdEviiT3_lPKT2_lilS7_lilPT4_lili
		.amdhsa_group_segment_fixed_size 8192
		.amdhsa_private_segment_fixed_size 0
		.amdhsa_kernarg_size 384
		.amdhsa_user_sgpr_count 2
		.amdhsa_user_sgpr_dispatch_ptr 0
		.amdhsa_user_sgpr_queue_ptr 0
		.amdhsa_user_sgpr_kernarg_segment_ptr 1
		.amdhsa_user_sgpr_dispatch_id 0
		.amdhsa_user_sgpr_kernarg_preload_length 0
		.amdhsa_user_sgpr_kernarg_preload_offset 0
		.amdhsa_user_sgpr_private_segment_size 0
		.amdhsa_uses_dynamic_stack 0
		.amdhsa_enable_private_segment 0
		.amdhsa_system_sgpr_workgroup_id_x 1
		.amdhsa_system_sgpr_workgroup_id_y 1
		.amdhsa_system_sgpr_workgroup_id_z 1
		.amdhsa_system_sgpr_workgroup_info 0
		.amdhsa_system_vgpr_workitem_id 1
		.amdhsa_next_free_vgpr 173
		.amdhsa_next_free_sgpr 34
		.amdhsa_accum_offset 176
		.amdhsa_reserve_vcc 1
		.amdhsa_float_round_mode_32 0
		.amdhsa_float_round_mode_16_64 0
		.amdhsa_float_denorm_mode_32 3
		.amdhsa_float_denorm_mode_16_64 3
		.amdhsa_dx10_clamp 1
		.amdhsa_ieee_mode 1
		.amdhsa_fp16_overflow 0
		.amdhsa_tg_split 0
		.amdhsa_exception_fp_ieee_invalid_op 0
		.amdhsa_exception_fp_denorm_src 0
		.amdhsa_exception_fp_ieee_div_zero 0
		.amdhsa_exception_fp_ieee_overflow 0
		.amdhsa_exception_fp_ieee_underflow 0
		.amdhsa_exception_fp_ieee_inexact 0
		.amdhsa_exception_int_div_zero 0
	.end_amdhsa_kernel
	.section	.text._ZL36rocblas_gemvn_double_buffered_kernelILi128ELi4ELi16EPKdS1_KPdEviiT3_lPKT2_lilS7_lilPT4_lili,"axG",@progbits,_ZL36rocblas_gemvn_double_buffered_kernelILi128ELi4ELi16EPKdS1_KPdEviiT3_lPKT2_lilS7_lilPT4_lili,comdat
.Lfunc_end248:
	.size	_ZL36rocblas_gemvn_double_buffered_kernelILi128ELi4ELi16EPKdS1_KPdEviiT3_lPKT2_lilS7_lilPT4_lili, .Lfunc_end248-_ZL36rocblas_gemvn_double_buffered_kernelILi128ELi4ELi16EPKdS1_KPdEviiT3_lPKT2_lilS7_lilPT4_lili
                                        ; -- End function
	.section	.AMDGPU.csdata,"",@progbits
; Kernel info:
; codeLenInByte = 3308
; NumSgprs: 40
; NumVgprs: 173
; NumAgprs: 0
; TotalNumVgprs: 173
; ScratchSize: 0
; MemoryBound: 1
; FloatMode: 240
; IeeeMode: 1
; LDSByteSize: 8192 bytes/workgroup (compile time only)
; SGPRBlocks: 4
; VGPRBlocks: 21
; NumSGPRsForWavesPerEU: 40
; NumVGPRsForWavesPerEU: 173
; AccumOffset: 176
; Occupancy: 2
; WaveLimiterHint : 1
; COMPUTE_PGM_RSRC2:SCRATCH_EN: 0
; COMPUTE_PGM_RSRC2:USER_SGPR: 2
; COMPUTE_PGM_RSRC2:TRAP_HANDLER: 0
; COMPUTE_PGM_RSRC2:TGID_X_EN: 1
; COMPUTE_PGM_RSRC2:TGID_Y_EN: 1
; COMPUTE_PGM_RSRC2:TGID_Z_EN: 1
; COMPUTE_PGM_RSRC2:TIDIG_COMP_CNT: 1
; COMPUTE_PGM_RSRC3_GFX90A:ACCUM_OFFSET: 43
; COMPUTE_PGM_RSRC3_GFX90A:TG_SPLIT: 0
	.section	.text._ZL36rocblas_gemvn_double_buffered_kernelILi128ELi4ELi16EPKddKPdEviiT3_lPKT2_lilS7_lilPT4_lili,"axG",@progbits,_ZL36rocblas_gemvn_double_buffered_kernelILi128ELi4ELi16EPKddKPdEviiT3_lPKT2_lilS7_lilPT4_lili,comdat
	.globl	_ZL36rocblas_gemvn_double_buffered_kernelILi128ELi4ELi16EPKddKPdEviiT3_lPKT2_lilS7_lilPT4_lili ; -- Begin function _ZL36rocblas_gemvn_double_buffered_kernelILi128ELi4ELi16EPKddKPdEviiT3_lPKT2_lilS7_lilPT4_lili
	.p2align	8
	.type	_ZL36rocblas_gemvn_double_buffered_kernelILi128ELi4ELi16EPKddKPdEviiT3_lPKT2_lilS7_lilPT4_lili,@function
_ZL36rocblas_gemvn_double_buffered_kernelILi128ELi4ELi16EPKddKPdEviiT3_lPKT2_lilS7_lilPT4_lili: ; @_ZL36rocblas_gemvn_double_buffered_kernelILi128ELi4ELi16EPKddKPdEviiT3_lPKT2_lilS7_lilPT4_lili
; %bb.0:
	s_load_dwordx2 s[12:13], s[0:1], 0x8
	s_waitcnt lgkmcnt(0)
	v_cmp_eq_f64_e64 s[6:7], s[12:13], 0
	s_and_b64 vcc, exec, s[6:7]
	s_cbranch_vccnz .LBB249_10
; %bb.1:
	s_load_dword s5, s[0:1], 0x84
	s_load_dword s6, s[0:1], 0x4
	s_waitcnt lgkmcnt(0)
	v_cvt_f32_u32_e32 v1, s5
	s_ashr_i32 s7, s6, 31
	s_lshr_b32 s7, s7, 25
	s_sub_i32 s8, 0, s5
	v_rcp_iflag_f32_e32 v1, v1
	s_add_i32 s6, s6, s7
	s_ashr_i32 s6, s6, 7
	v_mul_f32_e32 v1, 0x4f7ffffe, v1
	v_cvt_u32_f32_e32 v1, v1
	s_nop 0
	v_readfirstlane_b32 s7, v1
	s_mul_i32 s8, s8, s7
	s_mul_hi_u32 s8, s7, s8
	s_add_i32 s7, s7, s8
	s_mul_hi_u32 s7, s6, s7
	s_mul_i32 s8, s7, s5
	s_sub_i32 s8, s6, s8
	s_add_i32 s9, s7, 1
	s_sub_i32 s10, s8, s5
	s_cmp_ge_u32 s8, s5
	s_cselect_b32 s7, s9, s7
	s_cselect_b32 s8, s10, s8
	s_add_i32 s9, s7, 1
	s_cmp_ge_u32 s8, s5
	s_cselect_b32 s23, s9, s7
	s_mul_i32 s5, s23, s5
	s_sub_i32 s22, s6, s5
	s_cmp_lt_u32 s3, s22
	s_cselect_b64 s[6:7], -1, 0
	s_cmp_lg_u64 s[6:7], 0
	s_addc_u32 s33, s23, 0
	s_cmp_eq_u32 s33, 0
	s_mov_b32 s5, 0
	s_cbranch_scc1 .LBB249_10
; %bb.2:
	s_load_dwordx4 s[8:11], s[0:1], 0x58
	s_lshl_b64 s[20:21], s[4:5], 3
	v_and_b32_e32 v170, 0x3ff, v0
	v_bfe_u32 v171, v0, 10, 10
	v_lshl_add_u32 v34, v171, 7, v170
	s_waitcnt lgkmcnt(0)
	s_add_u32 s4, s8, s20
	s_addc_u32 s5, s9, s21
	s_load_dwordx2 s[8:9], s[4:5], 0x0
	s_lshl_b32 s14, s2, 7
	v_and_b32_e32 v32, 63, v170
	s_ashr_i32 s15, s14, 31
	v_mov_b64_e32 v[98:99], 0
	v_lshrrev_b32_e32 v172, 6, v34
	s_cmp_lt_i32 s33, 1
	v_lshlrev_b32_e32 v64, 3, v32
	v_mov_b64_e32 v[104:105], v[98:99]
	s_cbranch_scc1 .LBB249_8
; %bb.3:
	s_load_dword s18, s[0:1], 0x28
	s_load_dwordx4 s[24:27], s[0:1], 0x18
	s_load_dwordx4 s[4:7], s[0:1], 0x38
	s_load_dword s16, s[0:1], 0x48
	s_mul_i32 s23, s23, s3
	s_waitcnt lgkmcnt(0)
	s_ashr_i32 s19, s18, 31
	s_add_u32 s24, s24, s20
	s_addc_u32 s25, s25, s21
	s_load_dwordx2 s[24:25], s[24:25], 0x0
	s_add_u32 s20, s4, s20
	v_cvt_f64_i32_e32 v[4:5], s3
	v_cvt_f64_u32_e32 v[6:7], s22
	s_addc_u32 s21, s5, s21
	v_lshlrev_b32_e32 v0, 4, v172
	v_mov_b32_e32 v33, 0
	s_ashr_i32 s17, s16, 31
	s_lshl_b64 s[26:27], s[26:27], 3
	v_cvt_f64_u32_e32 v[2:3], s23
	v_min_f64 v[4:5], v[4:5], v[6:7]
	v_mad_i64_i32 v[0:1], s[4:5], s18, v0, v[32:33]
	s_waitcnt lgkmcnt(0)
	s_add_u32 s2, s24, s26
	v_add_f64 v[2:3], v[4:5], v[2:3]
	s_addc_u32 s4, s25, s27
	v_cvt_i32_f64_e32 v2, v[2:3]
	s_lshl_b64 s[28:29], s[14:15], 3
	s_add_u32 s5, s2, s28
	v_readfirstlane_b32 s2, v2
	s_addc_u32 s4, s4, s29
	s_lshl_b32 s30, s2, 7
	s_mul_hi_i32 s3, s30, s18
	s_mul_i32 s2, s30, s18
	s_ashr_i32 s31, s30, 31
	s_lshl_b64 s[2:3], s[2:3], 3
	s_add_u32 s2, s5, s2
	s_addc_u32 s3, s4, s3
	v_lshl_add_u64 v[4:5], v[0:1], 3, s[2:3]
	s_lshl_b64 s[2:3], s[18:19], 3
	v_lshl_add_u64 v[6:7], v[4:5], 0, s[2:3]
	global_load_dwordx2 v[0:1], v[4:5], off
	global_load_dwordx2 v[2:3], v[6:7], off
	v_lshl_add_u64 v[6:7], v[6:7], 0, s[2:3]
	v_lshl_add_u64 v[8:9], v[6:7], 0, s[2:3]
	;; [unrolled: 1-line block ×13, first 2 shown]
	global_load_dwordx2 v[4:5], v[6:7], off
	s_lshl_b32 s22, s16, 7
	global_load_dwordx2 v[6:7], v[8:9], off
	s_lshl_b64 s[4:5], s[18:19], 10
	global_load_dwordx2 v[8:9], v[10:11], off
	s_add_i32 s15, s33, -1
	global_load_dwordx2 v[10:11], v[12:13], off
	s_ashr_i32 s23, s22, 31
	global_load_dwordx2 v[12:13], v[14:15], off
	s_add_u32 s24, s24, s28
	global_load_dwordx2 v[14:15], v[16:17], off
	s_addc_u32 s25, s25, s29
	global_load_dwordx2 v[16:17], v[18:19], off
	v_lshlrev_b32_e32 v32, 1, v34
	global_load_dwordx2 v[18:19], v[20:21], off
	s_add_u32 s24, s24, s26
	global_load_dwordx2 v[20:21], v[22:23], off
	v_and_b32_e32 v32, 0x7ff80, v32
	global_load_dwordx2 v[22:23], v[24:25], off
	s_addc_u32 s25, s25, s27
	global_load_dwordx2 v[24:25], v[26:27], off
	v_lshl_add_u64 v[34:35], s[30:31], 3, v[32:33]
	global_load_dwordx2 v[26:27], v[28:29], off
	v_mov_b64_e32 v[36:37], s[24:25]
	global_load_dwordx2 v[28:29], v[30:31], off
	v_lshl_add_u64 v[30:31], v[30:31], 0, s[2:3]
	global_load_dwordx2 v[30:31], v[30:31], off
	v_mad_u64_u32 v[38:39], s[24:25], v34, s18, v[36:37]
	v_mul_lo_u32 v32, v34, s19
	v_mul_lo_u32 v40, v35, s18
	s_mov_b64 s[24:25], 0x400
	v_add3_u32 v39, v40, v39, v32
	v_lshl_add_u64 v[40:41], v[34:35], 0, s[24:25]
	v_mad_u64_u32 v[66:67], s[24:25], v40, s18, v[36:37]
	v_mul_lo_u32 v32, v40, s19
	v_mul_lo_u32 v41, v41, s18
	s_mov_b64 s[24:25], 0x410
	v_add3_u32 v67, v41, v67, v32
	v_lshl_add_u64 v[40:41], v[34:35], 0, s[24:25]
	;; [unrolled: 6-line block ×14, first 2 shown]
	v_mad_u64_u32 v[92:93], s[24:25], v40, s18, v[36:37]
	s_load_dwordx2 s[20:21], s[20:21], 0x0
	v_mul_lo_u32 v32, v40, s19
	v_mul_lo_u32 v41, v41, s18
	s_mov_b64 s[24:25], 0x478
	v_add3_u32 v93, v41, v93, v32
	v_lshl_add_u64 v[40:41], v[34:35], 0, s[24:25]
	v_mad_u64_u32 v[94:95], s[24:25], v40, s18, v[36:37]
	v_mul_lo_u32 v32, v40, s19
	v_mul_lo_u32 v41, v41, s18
	s_mov_b64 s[24:25], 0x408
	s_lshl_b64 s[6:7], s[6:7], 3
	v_add3_u32 v95, v41, v95, v32
	v_lshl_add_u64 v[40:41], v[34:35], 0, s[24:25]
	s_waitcnt lgkmcnt(0)
	s_add_u32 s6, s20, s6
	v_mad_u64_u32 v[96:97], s[24:25], v40, s18, v[36:37]
	v_mul_lo_u32 v32, v40, s19
	v_mul_lo_u32 v36, v41, s18
	s_addc_u32 s7, s21, s7
	v_add3_u32 v97, v36, v97, v32
	v_mov_b64_e32 v[36:37], s[6:7]
	v_mad_u64_u32 v[100:101], s[6:7], v34, s16, v[36:37]
	v_mul_lo_u32 v32, v34, s17
	v_mul_lo_u32 v34, v35, s16
	s_mov_b64 s[6:7], 0x200
	v_add3_u32 v101, v34, v101, v32
	v_mov_b32_e32 v65, v33
	v_lshl_add_u64 v[102:103], v[38:39], 0, s[6:7]
	v_mov_b64_e32 v[98:99], 0
	s_waitcnt vmcnt(0)
	v_mov_b64_e32 v[62:63], v[30:31]
	s_mov_b32 s18, 0
	s_lshl_b64 s[6:7], s[22:23], 3
	s_lshl_b64 s[16:17], s[16:17], 3
	v_mov_b64_e32 v[104:105], v[98:99]
	v_mov_b64_e32 v[60:61], v[28:29]
	;; [unrolled: 1-line block ×16, first 2 shown]
.LBB249_4:                              ; =>This Inner Loop Header: Depth=1
	v_lshl_add_u64 v[114:115], v[102:103], 0, v[64:65]
	v_lshl_add_u64 v[116:117], v[114:115], 0, s[2:3]
	;; [unrolled: 1-line block ×4, first 2 shown]
	global_load_dwordx2 v[112:113], v[114:115], off
	global_load_dwordx2 v[110:111], v[116:117], off
	;; [unrolled: 1-line block ×4, first 2 shown]
	v_lshl_add_u64 v[118:119], v[120:121], 0, s[2:3]
	v_lshl_add_u64 v[120:121], v[118:119], 0, s[2:3]
	global_load_dwordx2 v[116:117], v[118:119], off
	global_load_dwordx2 v[114:115], v[120:121], off
	v_lshl_add_u64 v[120:121], v[120:121], 0, s[2:3]
	v_lshl_add_u64 v[122:123], v[120:121], 0, s[2:3]
	;; [unrolled: 1-line block ×12, first 2 shown]
	global_load_dwordx2 v[118:119], v[120:121], off
	v_lshl_add_u64 v[146:147], v[144:145], 0, s[16:17]
	global_load_dwordx2 v[120:121], v[122:123], off
	s_cmp_eq_u32 s15, s18
	global_load_dwordx2 v[122:123], v[124:125], off
	s_nop 0
	global_load_dwordx2 v[124:125], v[126:127], off
	s_nop 0
	;; [unrolled: 2-line block ×6, first 2 shown]
	global_load_dwordx2 v[134:135], v[136:137], off
	v_lshl_add_u64 v[136:137], v[136:137], 0, s[2:3]
	global_load_dwordx2 v[136:137], v[136:137], off
	s_nop 0
	global_load_dwordx2 v[138:139], v[100:101], off
	global_load_dwordx2 v[168:169], v[140:141], off
	;; [unrolled: 1-line block ×3, first 2 shown]
	s_nop 0
	global_load_dwordx2 v[142:143], v[144:145], off
	global_load_dwordx2 v[140:141], v[146:147], off
	v_lshl_add_u64 v[144:145], v[146:147], 0, s[16:17]
	v_lshl_add_u64 v[146:147], v[144:145], 0, s[16:17]
	;; [unrolled: 1-line block ×10, first 2 shown]
	global_load_dwordx2 v[166:167], v[144:145], off
	s_nop 0
	global_load_dwordx2 v[144:145], v[146:147], off
	s_nop 0
	;; [unrolled: 2-line block ×9, first 2 shown]
	global_load_dwordx2 v[160:161], v[162:163], off
	v_lshl_add_u64 v[162:163], v[162:163], 0, s[16:17]
	global_load_dwordx2 v[162:163], v[162:163], off
	s_cbranch_scc1 .LBB249_6
; %bb.5:                                ;   in Loop: Header=BB249_4 Depth=1
	v_lshl_add_u64 v[32:33], v[66:67], 0, v[64:65]
	v_lshl_add_u64 v[34:35], v[96:97], 0, v[64:65]
	;; [unrolled: 1-line block ×16, first 2 shown]
	global_load_dwordx2 v[32:33], v[32:33], off
	s_nop 0
	global_load_dwordx2 v[34:35], v[34:35], off
	s_nop 0
	;; [unrolled: 2-line block ×15, first 2 shown]
	global_load_dwordx2 v[62:63], v[62:63], off
.LBB249_6:                              ;   in Loop: Header=BB249_4 Depth=1
	s_waitcnt vmcnt(15)
	v_fmac_f64_e32 v[104:105], v[0:1], v[138:139]
	v_fmac_f64_e32 v[98:99], v[112:113], v[138:139]
	s_waitcnt vmcnt(14)
	v_fmac_f64_e32 v[104:105], v[2:3], v[168:169]
	v_fmac_f64_e32 v[98:99], v[110:111], v[168:169]
	s_waitcnt vmcnt(13)
	v_fmac_f64_e32 v[104:105], v[4:5], v[164:165]
	v_fmac_f64_e32 v[98:99], v[108:109], v[164:165]
	s_waitcnt vmcnt(12)
	v_fmac_f64_e32 v[104:105], v[6:7], v[142:143]
	v_fmac_f64_e32 v[98:99], v[106:107], v[142:143]
	s_waitcnt vmcnt(11)
	v_fmac_f64_e32 v[104:105], v[8:9], v[140:141]
	v_fmac_f64_e32 v[98:99], v[116:117], v[140:141]
	s_waitcnt vmcnt(10)
	v_fmac_f64_e32 v[104:105], v[10:11], v[166:167]
	v_fmac_f64_e32 v[98:99], v[114:115], v[166:167]
	s_waitcnt vmcnt(9)
	v_fmac_f64_e32 v[104:105], v[12:13], v[144:145]
	v_fmac_f64_e32 v[98:99], v[118:119], v[144:145]
	s_waitcnt vmcnt(8)
	v_fmac_f64_e32 v[104:105], v[14:15], v[146:147]
	v_fmac_f64_e32 v[98:99], v[120:121], v[146:147]
	s_waitcnt vmcnt(7)
	v_fmac_f64_e32 v[104:105], v[16:17], v[148:149]
	v_fmac_f64_e32 v[98:99], v[122:123], v[148:149]
	s_waitcnt vmcnt(6)
	v_fmac_f64_e32 v[104:105], v[18:19], v[150:151]
	v_fmac_f64_e32 v[98:99], v[124:125], v[150:151]
	s_waitcnt vmcnt(5)
	v_fmac_f64_e32 v[104:105], v[20:21], v[152:153]
	v_fmac_f64_e32 v[98:99], v[126:127], v[152:153]
	s_waitcnt vmcnt(4)
	v_fmac_f64_e32 v[104:105], v[22:23], v[154:155]
	v_fmac_f64_e32 v[98:99], v[128:129], v[154:155]
	s_waitcnt vmcnt(3)
	v_fmac_f64_e32 v[104:105], v[24:25], v[156:157]
	v_fmac_f64_e32 v[98:99], v[130:131], v[156:157]
	s_waitcnt vmcnt(2)
	v_fmac_f64_e32 v[104:105], v[26:27], v[158:159]
	v_fmac_f64_e32 v[98:99], v[132:133], v[158:159]
	s_waitcnt vmcnt(1)
	v_fmac_f64_e32 v[104:105], v[28:29], v[160:161]
	v_fmac_f64_e32 v[98:99], v[134:135], v[160:161]
	s_add_i32 s18, s18, 1
	s_waitcnt vmcnt(0)
	v_fmac_f64_e32 v[104:105], v[30:31], v[162:163]
	v_fmac_f64_e32 v[98:99], v[136:137], v[162:163]
	v_lshl_add_u64 v[102:103], v[102:103], 0, s[4:5]
	v_lshl_add_u64 v[66:67], v[66:67], 0, s[4:5]
	;; [unrolled: 1-line block ×17, first 2 shown]
	s_cmp_lt_i32 s18, s33
	v_lshl_add_u64 v[100:101], v[100:101], 0, s[6:7]
	s_cbranch_scc0 .LBB249_8
; %bb.7:                                ;   in Loop: Header=BB249_4 Depth=1
	v_mov_b64_e32 v[0:1], v[32:33]
	v_mov_b64_e32 v[2:3], v[34:35]
	;; [unrolled: 1-line block ×16, first 2 shown]
	s_branch .LBB249_4
.LBB249_8:
	v_lshl_or_b32 v0, v172, 10, v64
	v_cmp_eq_u32_e32 vcc, 0, v171
	ds_write2st64_b64 v0, v[104:105], v[98:99] offset1:1
	s_waitcnt lgkmcnt(0)
	s_barrier
	s_and_saveexec_b64 s[2:3], vcc
	s_cbranch_execz .LBB249_10
; %bb.9:
	v_lshlrev_b32_e32 v14, 3, v170
	ds_read2st64_b64 v[0:3], v14 offset1:2
	ds_read2st64_b64 v[4:7], v14 offset0:4 offset1:6
	s_load_dword s2, s[0:1], 0x68
	ds_read2st64_b64 v[8:11], v14 offset0:8 offset1:10
	s_lshl_b64 s[0:1], s[10:11], 3
	s_waitcnt lgkmcnt(0)
	v_add_f64 v[0:1], v[0:1], 0
	v_add_f64 v[12:13], v[0:1], v[2:3]
	ds_read2st64_b64 v[0:3], v14 offset0:12 offset1:14
	v_add_f64 v[4:5], v[12:13], v[4:5]
	s_add_u32 s3, s8, s0
	v_add_f64 v[4:5], v[4:5], v[6:7]
	s_addc_u32 s4, s9, s1
	s_mul_hi_i32 s1, s2, s14
	s_mul_i32 s0, s2, s14
	v_add_f64 v[4:5], v[4:5], v[8:9]
	s_lshl_b64 s[0:1], s[0:1], 3
	v_add_f64 v[4:5], v[4:5], v[10:11]
	s_add_u32 s0, s3, s0
	s_waitcnt lgkmcnt(0)
	v_add_f64 v[0:1], v[4:5], v[0:1]
	s_addc_u32 s1, s4, s1
	v_add_f64 v[0:1], v[0:1], v[2:3]
	v_mad_i64_i32 v[2:3], s[2:3], s2, v170, 0
	v_lshl_add_u64 v[2:3], v[2:3], 3, s[0:1]
	v_mul_f64 v[0:1], v[0:1], s[12:13]
	global_atomic_add_f64 v[2:3], v[0:1], off
.LBB249_10:
	s_endpgm
	.section	.rodata,"a",@progbits
	.p2align	6, 0x0
	.amdhsa_kernel _ZL36rocblas_gemvn_double_buffered_kernelILi128ELi4ELi16EPKddKPdEviiT3_lPKT2_lilS7_lilPT4_lili
		.amdhsa_group_segment_fixed_size 8192
		.amdhsa_private_segment_fixed_size 0
		.amdhsa_kernarg_size 384
		.amdhsa_user_sgpr_count 2
		.amdhsa_user_sgpr_dispatch_ptr 0
		.amdhsa_user_sgpr_queue_ptr 0
		.amdhsa_user_sgpr_kernarg_segment_ptr 1
		.amdhsa_user_sgpr_dispatch_id 0
		.amdhsa_user_sgpr_kernarg_preload_length 0
		.amdhsa_user_sgpr_kernarg_preload_offset 0
		.amdhsa_user_sgpr_private_segment_size 0
		.amdhsa_uses_dynamic_stack 0
		.amdhsa_enable_private_segment 0
		.amdhsa_system_sgpr_workgroup_id_x 1
		.amdhsa_system_sgpr_workgroup_id_y 1
		.amdhsa_system_sgpr_workgroup_id_z 1
		.amdhsa_system_sgpr_workgroup_info 0
		.amdhsa_system_vgpr_workitem_id 1
		.amdhsa_next_free_vgpr 173
		.amdhsa_next_free_sgpr 34
		.amdhsa_accum_offset 176
		.amdhsa_reserve_vcc 1
		.amdhsa_float_round_mode_32 0
		.amdhsa_float_round_mode_16_64 0
		.amdhsa_float_denorm_mode_32 3
		.amdhsa_float_denorm_mode_16_64 3
		.amdhsa_dx10_clamp 1
		.amdhsa_ieee_mode 1
		.amdhsa_fp16_overflow 0
		.amdhsa_tg_split 0
		.amdhsa_exception_fp_ieee_invalid_op 0
		.amdhsa_exception_fp_denorm_src 0
		.amdhsa_exception_fp_ieee_div_zero 0
		.amdhsa_exception_fp_ieee_overflow 0
		.amdhsa_exception_fp_ieee_underflow 0
		.amdhsa_exception_fp_ieee_inexact 0
		.amdhsa_exception_int_div_zero 0
	.end_amdhsa_kernel
	.section	.text._ZL36rocblas_gemvn_double_buffered_kernelILi128ELi4ELi16EPKddKPdEviiT3_lPKT2_lilS7_lilPT4_lili,"axG",@progbits,_ZL36rocblas_gemvn_double_buffered_kernelILi128ELi4ELi16EPKddKPdEviiT3_lPKT2_lilS7_lilPT4_lili,comdat
.Lfunc_end249:
	.size	_ZL36rocblas_gemvn_double_buffered_kernelILi128ELi4ELi16EPKddKPdEviiT3_lPKT2_lilS7_lilPT4_lili, .Lfunc_end249-_ZL36rocblas_gemvn_double_buffered_kernelILi128ELi4ELi16EPKddKPdEviiT3_lPKT2_lilS7_lilPT4_lili
                                        ; -- End function
	.section	.AMDGPU.csdata,"",@progbits
; Kernel info:
; codeLenInByte = 3276
; NumSgprs: 40
; NumVgprs: 173
; NumAgprs: 0
; TotalNumVgprs: 173
; ScratchSize: 0
; MemoryBound: 1
; FloatMode: 240
; IeeeMode: 1
; LDSByteSize: 8192 bytes/workgroup (compile time only)
; SGPRBlocks: 4
; VGPRBlocks: 21
; NumSGPRsForWavesPerEU: 40
; NumVGPRsForWavesPerEU: 173
; AccumOffset: 176
; Occupancy: 2
; WaveLimiterHint : 1
; COMPUTE_PGM_RSRC2:SCRATCH_EN: 0
; COMPUTE_PGM_RSRC2:USER_SGPR: 2
; COMPUTE_PGM_RSRC2:TRAP_HANDLER: 0
; COMPUTE_PGM_RSRC2:TGID_X_EN: 1
; COMPUTE_PGM_RSRC2:TGID_Y_EN: 1
; COMPUTE_PGM_RSRC2:TGID_Z_EN: 1
; COMPUTE_PGM_RSRC2:TIDIG_COMP_CNT: 1
; COMPUTE_PGM_RSRC3_GFX90A:ACCUM_OFFSET: 43
; COMPUTE_PGM_RSRC3_GFX90A:TG_SPLIT: 0
	.section	.text._ZL20rocblas_gemvn_kernelILi32ELi16EiPKdS1_KPdEviiT3_lPKT2_lT1_lS7_lS8_lS4_lPT4_lS8_li,"axG",@progbits,_ZL20rocblas_gemvn_kernelILi32ELi16EiPKdS1_KPdEviiT3_lPKT2_lT1_lS7_lS8_lS4_lPT4_lS8_li,comdat
	.globl	_ZL20rocblas_gemvn_kernelILi32ELi16EiPKdS1_KPdEviiT3_lPKT2_lT1_lS7_lS8_lS4_lPT4_lS8_li ; -- Begin function _ZL20rocblas_gemvn_kernelILi32ELi16EiPKdS1_KPdEviiT3_lPKT2_lT1_lS7_lS8_lS4_lPT4_lS8_li
	.p2align	8
	.type	_ZL20rocblas_gemvn_kernelILi32ELi16EiPKdS1_KPdEviiT3_lPKT2_lT1_lS7_lS8_lS4_lPT4_lS8_li,@function
_ZL20rocblas_gemvn_kernelILi32ELi16EiPKdS1_KPdEviiT3_lPKT2_lT1_lS7_lS8_lS4_lPT4_lS8_li: ; @_ZL20rocblas_gemvn_kernelILi32ELi16EiPKdS1_KPdEviiT3_lPKT2_lT1_lS7_lS8_lS4_lPT4_lS8_li
; %bb.0:
	s_load_dwordx2 s[4:5], s[0:1], 0x9c
	s_mov_b32 s24, s3
	s_waitcnt lgkmcnt(0)
	s_and_b32 s3, s5, 0xffff
	s_lshr_b32 s5, s4, 16
	s_and_b32 s4, s4, 0xffff
	s_mul_i32 s4, s5, s4
	s_mul_i32 s4, s4, s3
	s_cmpk_lg_i32 s4, 0x200
	s_cbranch_scc1 .LBB250_54
; %bb.1:
	s_load_dwordx8 s[12:19], s[0:1], 0x8
	s_load_dwordx8 s[4:11], s[0:1], 0x58
	s_waitcnt lgkmcnt(0)
	s_mul_i32 s3, s24, s15
	s_mul_hi_u32 s15, s24, s14
	s_mul_i32 s14, s24, s14
	s_add_i32 s15, s15, s3
	s_lshl_b64 s[14:15], s[14:15], 3
	s_mul_i32 s7, s24, s7
	s_add_u32 s12, s12, s14
	s_mul_hi_u32 s3, s24, s6
	s_addc_u32 s13, s13, s15
	s_add_i32 s7, s3, s7
	s_mul_i32 s6, s24, s6
	s_lshl_b64 s[6:7], s[6:7], 3
	s_add_u32 s4, s4, s6
	s_addc_u32 s5, s5, s7
	s_load_dwordx2 s[14:15], s[12:13], 0x0
	s_nop 0
	s_load_dwordx2 s[12:13], s[4:5], 0x0
	s_waitcnt lgkmcnt(0)
	v_cmp_eq_f64_e64 s[4:5], s[14:15], 0
	v_cmp_eq_f64_e64 s[6:7], s[12:13], 1.0
	s_and_b64 s[6:7], s[4:5], s[6:7]
	s_and_b64 vcc, exec, s[6:7]
	s_cbranch_vccnz .LBB250_54
; %bb.2:
	s_mov_b32 s25, 0
	s_mov_b64 s[22:23], 0
	v_cmp_neq_f64_e64 s[6:7], s[14:15], 0
	s_and_b64 vcc, exec, s[4:5]
	s_mov_b64 s[20:21], 0
	s_cbranch_vccnz .LBB250_4
; %bb.3:
	s_lshl_b64 s[20:21], s[24:25], 3
	s_add_u32 s16, s16, s20
	s_addc_u32 s17, s17, s21
	s_load_dwordx2 s[16:17], s[16:17], 0x0
	s_lshl_b64 s[18:19], s[18:19], 3
	s_waitcnt lgkmcnt(0)
	s_add_u32 s20, s16, s18
	s_addc_u32 s21, s17, s19
.LBB250_4:
	s_andn2_b64 vcc, exec, s[6:7]
	s_cbranch_vccnz .LBB250_6
; %bb.5:
	s_load_dwordx4 s[16:19], s[0:1], 0x38
	s_lshl_b64 s[6:7], s[24:25], 3
	s_waitcnt lgkmcnt(0)
	s_add_u32 s6, s16, s6
	s_addc_u32 s7, s17, s7
	s_load_dwordx2 s[6:7], s[6:7], 0x0
	s_lshl_b64 s[16:17], s[18:19], 3
	s_waitcnt lgkmcnt(0)
	s_add_u32 s22, s6, s16
	s_addc_u32 s23, s7, s17
.LBB250_6:
	s_lshl_b64 s[6:7], s[24:25], 3
	s_add_u32 s6, s8, s6
	s_addc_u32 s7, s9, s7
	s_load_dwordx2 s[8:9], s[6:7], 0x0
	s_load_dwordx2 s[16:17], s[0:1], 0x0
	s_load_dword s33, s[0:1], 0x78
	s_lshl_b64 s[6:7], s[10:11], 3
	v_and_b32_e32 v2, 0x3ff, v0
	s_waitcnt lgkmcnt(0)
	s_add_u32 s8, s8, s6
	v_bfe_u32 v3, v0, 10, 10
	s_addc_u32 s9, s9, s7
	s_andn2_b64 vcc, exec, s[4:5]
	v_lshl_add_u32 v54, v3, 5, v2
	s_cbranch_vccnz .LBB250_13
; %bb.7:
	s_movk_i32 s3, 0x80
	v_cmp_gt_u32_e32 vcc, s3, v54
	s_mov_b64 s[4:5], 0
	s_mov_b64 s[10:11], 0
                                        ; implicit-def: $vgpr0_vgpr1
                                        ; implicit-def: $vgpr4_vgpr5
	s_and_saveexec_b64 s[6:7], vcc
	s_cbranch_execz .LBB250_14
; %bb.8:
	v_lshl_or_b32 v6, s2, 7, v54
	v_mov_b32_e32 v7, 0
	s_ashr_i32 s11, s16, 31
	s_mov_b32 s10, s16
	v_cmp_gt_i64_e32 vcc, s[10:11], v[6:7]
	s_mov_b64 s[18:19], 0
                                        ; implicit-def: $vgpr0_vgpr1
                                        ; implicit-def: $vgpr4_vgpr5
	s_and_saveexec_b64 s[10:11], vcc
	s_cbranch_execz .LBB250_12
; %bb.9:
	v_mad_u64_u32 v[4:5], s[24:25], s33, v6, 0
	s_ashr_i32 s3, s33, 31
	v_mov_b32_e32 v8, v5
	v_cmp_eq_f64_e64 s[18:19], s[12:13], 0
	v_mad_u64_u32 v[6:7], s[24:25], s3, v6, v[8:9]
	v_mov_b64_e32 v[0:1], 0
	v_mov_b32_e32 v5, v6
	s_and_b64 vcc, exec, s[18:19]
	s_cbranch_vccnz .LBB250_11
; %bb.10:
	v_lshl_add_u64 v[0:1], v[4:5], 3, s[8:9]
	global_load_dwordx2 v[0:1], v[0:1], off
	s_waitcnt vmcnt(0)
	v_mul_f64 v[0:1], s[12:13], v[0:1]
.LBB250_11:
	s_mov_b64 s[18:19], exec
.LBB250_12:
	s_or_b64 exec, exec, s[10:11]
	s_and_b64 s[10:11], s[18:19], exec
	s_or_b64 exec, exec, s[6:7]
	s_and_b64 vcc, exec, s[4:5]
	s_cbranch_vccnz .LBB250_15
	s_branch .LBB250_52
.LBB250_13:
	s_mov_b64 s[10:11], 0
                                        ; implicit-def: $vgpr0_vgpr1
                                        ; implicit-def: $vgpr4_vgpr5
	s_cbranch_execnz .LBB250_15
	s_branch .LBB250_52
.LBB250_14:
	s_or_b64 exec, exec, s[6:7]
	s_and_b64 vcc, exec, s[4:5]
	s_cbranch_vccz .LBB250_52
.LBB250_15:
	s_load_dword s35, s[0:1], 0x28
	s_load_dword s36, s[0:1], 0x48
	s_ashr_i32 s0, s17, 31
	s_lshr_b32 s0, s0, 26
	s_add_i32 s37, s17, s0
	s_lshl_b32 s34, s2, 7
	s_andn2_b32 s37, s37, 63
	v_lshlrev_b32_e32 v56, 2, v3
	v_mov_b64_e32 v[0:1], 0
	v_add_u32_e32 v55, s34, v2
	v_cmp_gt_i32_e32 vcc, s37, v56
	v_mov_b64_e32 v[4:5], v[0:1]
	v_mov_b64_e32 v[6:7], v[0:1]
	;; [unrolled: 1-line block ×3, first 2 shown]
	s_and_saveexec_b64 s[18:19], vcc
	s_cbranch_execz .LBB250_27
; %bb.16:
	v_add_u32_e32 v0, 32, v55
	v_cmp_gt_i32_e64 s[0:1], s16, v0
	v_add_u32_e32 v0, 64, v55
	v_cmp_gt_i32_e64 s[2:3], s16, v0
	;; [unrolled: 2-line block ×3, first 2 shown]
	s_waitcnt lgkmcnt(0)
	v_mul_lo_u32 v0, s35, v56
	v_add3_u32 v57, v0, s35, v2
	v_add_u32_e32 v0, 2, v56
	v_mad_u64_u32 v[10:11], s[6:7], s35, v0, v[2:3]
	v_add_u32_e32 v1, 3, v56
	v_mul_lo_u32 v4, v3, s35
	v_mul_lo_u32 v58, s36, v0
	;; [unrolled: 1-line block ×3, first 2 shown]
	v_mad_u64_u32 v[12:13], s[6:7], s35, v1, v[2:3]
	v_lshl_add_u32 v11, v4, 2, v2
	v_mul_lo_u32 v4, s36, v56
	v_mul_lo_u32 v59, s36, v1
	v_lshlrev_b32_e32 v60, 2, v0
	v_mov_b64_e32 v[0:1], 0
	v_cmp_gt_i32_e32 vcc, s16, v55
	s_lshl_b32 s38, s35, 6
	v_add_u32_e32 v13, s36, v4
	s_lshl_b32 s39, s36, 6
	s_mov_b64 s[24:25], 0
	s_mov_b32 s40, 0
	v_mov_b64_e32 v[4:5], v[0:1]
	v_mov_b64_e32 v[6:7], v[0:1]
	;; [unrolled: 1-line block ×3, first 2 shown]
	s_branch .LBB250_21
.LBB250_17:                             ;   in Loop: Header=BB250_21 Depth=1
	s_or_b64 exec, exec, s[30:31]
	s_waitcnt vmcnt(0) lgkmcnt(0)
	v_fmac_f64_e32 v[6:7], v[20:21], v[52:53]
	v_fmac_f64_e32 v[6:7], v[18:19], v[50:51]
	;; [unrolled: 1-line block ×4, first 2 shown]
.LBB250_18:                             ;   in Loop: Header=BB250_21 Depth=1
	s_or_b64 exec, exec, s[28:29]
	s_waitcnt vmcnt(0) lgkmcnt(0)
	v_fmac_f64_e32 v[4:5], v[20:21], v[38:39]
	v_fmac_f64_e32 v[4:5], v[18:19], v[36:37]
	;; [unrolled: 1-line block ×4, first 2 shown]
.LBB250_19:                             ;   in Loop: Header=BB250_21 Depth=1
	s_or_b64 exec, exec, s[26:27]
	s_waitcnt vmcnt(0) lgkmcnt(0)
	v_fmac_f64_e32 v[0:1], v[20:21], v[28:29]
	v_fmac_f64_e32 v[0:1], v[18:19], v[26:27]
	;; [unrolled: 1-line block ×4, first 2 shown]
.LBB250_20:                             ;   in Loop: Header=BB250_21 Depth=1
	s_or_b64 exec, exec, s[6:7]
	v_add_u32_e32 v56, 64, v56
	s_add_i32 s40, s40, s39
	v_cmp_le_i32_e64 s[6:7], s37, v56
	v_add_u32_e32 v57, s38, v57
	v_add_u32_e32 v10, s38, v10
	;; [unrolled: 1-line block ×3, first 2 shown]
	s_or_b64 s[24:25], s[6:7], s[24:25]
	v_add_u32_e32 v11, s38, v11
	s_andn2_b64 exec, exec, s[24:25]
	s_cbranch_execz .LBB250_26
.LBB250_21:                             ; =>This Inner Loop Header: Depth=1
	s_and_saveexec_b64 s[6:7], vcc
	s_cbranch_execz .LBB250_20
; %bb.22:                               ;   in Loop: Header=BB250_21 Depth=1
	v_add_u32_e32 v14, s40, v60
	v_ashrrev_i32_e32 v15, 31, v14
	v_lshl_add_u64 v[22:23], v[14:15], 3, s[22:23]
	v_add_u32_e32 v14, s40, v13
	v_ashrrev_i32_e32 v15, 31, v14
	v_lshl_add_u64 v[24:25], v[14:15], 3, s[22:23]
	;; [unrolled: 3-line block ×4, first 2 shown]
	flat_load_dwordx2 v[20:21], v[22:23]
	flat_load_dwordx2 v[18:19], v[24:25]
	;; [unrolled: 1-line block ×4, first 2 shown]
	v_add_u32_e32 v22, s34, v11
	v_ashrrev_i32_e32 v23, 31, v22
	v_lshl_add_u64 v[30:31], v[22:23], 3, s[20:21]
	v_add_u32_e32 v22, s34, v57
	v_ashrrev_i32_e32 v23, 31, v22
	v_lshl_add_u64 v[40:41], v[22:23], 3, s[20:21]
	;; [unrolled: 3-line block ×4, first 2 shown]
	flat_load_dwordx2 v[28:29], v[30:31]
	flat_load_dwordx2 v[26:27], v[40:41]
	;; [unrolled: 1-line block ×4, first 2 shown]
	s_and_saveexec_b64 s[26:27], s[0:1]
	s_cbranch_execz .LBB250_19
; %bb.23:                               ;   in Loop: Header=BB250_21 Depth=1
	flat_load_dwordx2 v[38:39], v[30:31] offset:256
	flat_load_dwordx2 v[36:37], v[40:41] offset:256
	flat_load_dwordx2 v[34:35], v[42:43] offset:256
	flat_load_dwordx2 v[32:33], v[44:45] offset:256
	s_and_saveexec_b64 s[28:29], s[2:3]
	s_cbranch_execz .LBB250_18
; %bb.24:                               ;   in Loop: Header=BB250_21 Depth=1
	flat_load_dwordx2 v[52:53], v[30:31] offset:512
	flat_load_dwordx2 v[50:51], v[40:41] offset:512
	flat_load_dwordx2 v[48:49], v[42:43] offset:512
	flat_load_dwordx2 v[46:47], v[44:45] offset:512
	;; [unrolled: 7-line block ×3, first 2 shown]
	s_waitcnt vmcnt(0) lgkmcnt(0)
	v_fmac_f64_e32 v[8:9], v[20:21], v[62:63]
	v_fmac_f64_e32 v[8:9], v[18:19], v[64:65]
	v_fmac_f64_e32 v[8:9], v[16:17], v[66:67]
	v_fmac_f64_e32 v[8:9], v[14:15], v[68:69]
	s_branch .LBB250_17
.LBB250_26:
	s_or_b64 exec, exec, s[24:25]
.LBB250_27:
	s_or_b64 exec, exec, s[18:19]
	s_sub_i32 s0, s17, s37
	s_cmp_lt_i32 s0, 1
	s_cbranch_scc1 .LBB250_45
; %bb.28:
	v_mov_b64_e32 v[10:11], 0
	v_cmp_gt_i32_e32 vcc, s17, v56
	v_or_b32_e32 v20, 1, v56
	v_mov_b64_e32 v[16:17], v[10:11]
	v_mov_b64_e32 v[14:15], v[10:11]
	;; [unrolled: 1-line block ×3, first 2 shown]
	s_and_saveexec_b64 s[2:3], vcc
	s_cbranch_execz .LBB250_36
; %bb.29:
	s_waitcnt lgkmcnt(0)
	v_mul_lo_u32 v10, v56, s36
	v_ashrrev_i32_e32 v11, 31, v10
	v_lshl_add_u64 v[10:11], v[10:11], 3, s[22:23]
	flat_load_dwordx2 v[12:13], v[10:11]
	v_mov_b64_e32 v[14:15], 0
	v_cmp_gt_i32_e64 s[0:1], s17, v20
	v_mov_b64_e32 v[16:17], v[14:15]
	v_mov_b64_e32 v[10:11], v[14:15]
	s_and_saveexec_b64 s[4:5], s[0:1]
	s_cbranch_execz .LBB250_35
; %bb.30:
	v_mul_lo_u32 v10, v20, s36
	v_ashrrev_i32_e32 v11, 31, v10
	v_lshl_add_u64 v[10:11], v[10:11], 3, s[22:23]
	flat_load_dwordx2 v[14:15], v[10:11]
	v_or_b32_e32 v18, 2, v56
	v_mov_b64_e32 v[16:17], 0
	v_cmp_gt_i32_e64 s[0:1], s17, v18
	v_mov_b64_e32 v[10:11], v[16:17]
	s_and_saveexec_b64 s[6:7], s[0:1]
	s_cbranch_execz .LBB250_34
; %bb.31:
	v_mul_lo_u32 v10, v18, s36
	v_ashrrev_i32_e32 v11, 31, v10
	v_lshl_add_u64 v[10:11], v[10:11], 3, s[22:23]
	flat_load_dwordx2 v[16:17], v[10:11]
	v_or_b32_e32 v18, 3, v56
	v_cmp_gt_i32_e64 s[0:1], s17, v18
	v_mov_b64_e32 v[10:11], 0
	s_and_saveexec_b64 s[18:19], s[0:1]
	s_cbranch_execz .LBB250_33
; %bb.32:
	v_mul_lo_u32 v10, v18, s36
	v_ashrrev_i32_e32 v11, 31, v10
	v_lshl_add_u64 v[10:11], v[10:11], 3, s[22:23]
	flat_load_dwordx2 v[10:11], v[10:11]
.LBB250_33:
	s_or_b64 exec, exec, s[18:19]
.LBB250_34:
	s_or_b64 exec, exec, s[6:7]
.LBB250_35:
	s_or_b64 exec, exec, s[4:5]
.LBB250_36:
	s_or_b64 exec, exec, s[2:3]
	v_cmp_gt_i32_e64 s[0:1], s16, v55
	s_and_saveexec_b64 s[2:3], s[0:1]
	s_cbranch_execz .LBB250_44
; %bb.37:
	s_waitcnt lgkmcnt(0)
	v_mul_lo_u32 v18, v56, s35
	v_cndmask_b32_e32 v18, 0, v18, vcc
	v_mul_lo_u32 v21, v20, s35
	v_cmp_gt_i32_e32 vcc, s17, v20
	v_add_u32_e32 v18, v18, v55
	v_ashrrev_i32_e32 v19, 31, v18
	v_cndmask_b32_e32 v20, 0, v21, vcc
	v_add_u32_e32 v20, v20, v55
	v_ashrrev_i32_e32 v21, 31, v20
	v_lshl_add_u64 v[22:23], v[20:21], 3, s[20:21]
	v_or_b32_e32 v20, 2, v56
	v_mul_lo_u32 v21, v20, s35
	v_cmp_gt_i32_e32 vcc, s17, v20
	v_lshl_add_u64 v[18:19], v[18:19], 3, s[20:21]
	v_add_u32_e32 v34, 32, v55
	v_cndmask_b32_e32 v20, 0, v21, vcc
	v_add_u32_e32 v20, v20, v55
	v_ashrrev_i32_e32 v21, 31, v20
	v_lshl_add_u64 v[24:25], v[20:21], 3, s[20:21]
	v_or_b32_e32 v20, 3, v56
	v_mul_lo_u32 v21, v20, s35
	v_cmp_gt_i32_e32 vcc, s17, v20
	flat_load_dwordx2 v[28:29], v[18:19]
	flat_load_dwordx2 v[30:31], v[22:23]
	;; [unrolled: 1-line block ×3, first 2 shown]
	v_cndmask_b32_e32 v20, 0, v21, vcc
	v_add_u32_e32 v20, v20, v55
	v_ashrrev_i32_e32 v21, 31, v20
	v_lshl_add_u64 v[26:27], v[20:21], 3, s[20:21]
	flat_load_dwordx2 v[20:21], v[26:27]
	v_cmp_gt_i32_e32 vcc, s16, v34
	s_waitcnt vmcnt(0) lgkmcnt(0)
	v_fmac_f64_e32 v[0:1], v[12:13], v[28:29]
	v_fmac_f64_e32 v[0:1], v[14:15], v[30:31]
	;; [unrolled: 1-line block ×3, first 2 shown]
	s_and_saveexec_b64 s[0:1], vcc
	s_cbranch_execz .LBB250_43
; %bb.38:
	flat_load_dwordx2 v[30:31], v[18:19] offset:256
	flat_load_dwordx2 v[32:33], v[22:23] offset:256
	;; [unrolled: 1-line block ×4, first 2 shown]
	v_add_u32_e32 v36, 64, v55
	v_cmp_gt_i32_e32 vcc, s16, v36
	s_waitcnt vmcnt(0) lgkmcnt(0)
	v_fmac_f64_e32 v[4:5], v[12:13], v[30:31]
	v_fmac_f64_e32 v[4:5], v[14:15], v[32:33]
	;; [unrolled: 1-line block ×3, first 2 shown]
	s_and_saveexec_b64 s[4:5], vcc
	s_cbranch_execz .LBB250_42
; %bb.39:
	flat_load_dwordx2 v[32:33], v[18:19] offset:512
	flat_load_dwordx2 v[34:35], v[22:23] offset:512
	;; [unrolled: 1-line block ×4, first 2 shown]
	v_add_u32_e32 v38, 0x60, v55
	v_cmp_gt_i32_e32 vcc, s16, v38
	s_waitcnt vmcnt(0) lgkmcnt(0)
	v_fmac_f64_e32 v[6:7], v[12:13], v[32:33]
	v_fmac_f64_e32 v[6:7], v[14:15], v[34:35]
	;; [unrolled: 1-line block ×3, first 2 shown]
	s_and_saveexec_b64 s[6:7], vcc
	s_cbranch_execz .LBB250_41
; %bb.40:
	flat_load_dwordx2 v[32:33], v[18:19] offset:768
	flat_load_dwordx2 v[34:35], v[22:23] offset:768
	;; [unrolled: 1-line block ×4, first 2 shown]
	s_waitcnt vmcnt(0) lgkmcnt(0)
	v_fmac_f64_e32 v[8:9], v[12:13], v[32:33]
	v_fmac_f64_e32 v[8:9], v[14:15], v[34:35]
	;; [unrolled: 1-line block ×4, first 2 shown]
.LBB250_41:
	s_or_b64 exec, exec, s[6:7]
	v_fmac_f64_e32 v[6:7], v[10:11], v[30:31]
.LBB250_42:
	s_or_b64 exec, exec, s[4:5]
	v_fmac_f64_e32 v[4:5], v[10:11], v[28:29]
.LBB250_43:
	s_or_b64 exec, exec, s[0:1]
	v_fmac_f64_e32 v[0:1], v[10:11], v[20:21]
.LBB250_44:
	s_or_b64 exec, exec, s[2:3]
.LBB250_45:
	v_lshlrev_b32_e32 v3, 7, v3
	s_movk_i32 s0, 0x80
	v_add_lshl_u32 v2, v3, v2, 3
	v_cmp_gt_u32_e32 vcc, s0, v54
	ds_write2_b64 v2, v[0:1], v[4:5] offset1:32
	ds_write2_b64 v2, v[6:7], v[8:9] offset0:64 offset1:96
	s_waitcnt lgkmcnt(0)
	s_barrier
	s_waitcnt lgkmcnt(0)
                                        ; implicit-def: $vgpr0_vgpr1
                                        ; implicit-def: $vgpr4_vgpr5
	s_and_saveexec_b64 s[0:1], vcc
	s_cbranch_execz .LBB250_51
; %bb.46:
	v_lshlrev_b32_e32 v20, 3, v54
	ds_read2st64_b64 v[0:3], v20 offset1:2
	ds_read2st64_b64 v[4:7], v20 offset0:4 offset1:6
	s_waitcnt vmcnt(0)
	ds_read2st64_b64 v[8:11], v20 offset0:8 offset1:10
	ds_read2st64_b64 v[12:15], v20 offset0:12 offset1:14
	ds_read2st64_b64 v[16:19], v20 offset0:16 offset1:18
	s_waitcnt lgkmcnt(4)
	v_add_f64 v[0:1], v[0:1], v[2:3]
	s_waitcnt lgkmcnt(3)
	v_add_f64 v[0:1], v[4:5], v[0:1]
	v_add_f64 v[0:1], v[6:7], v[0:1]
	s_waitcnt lgkmcnt(2)
	v_add_f64 v[0:1], v[8:9], v[0:1]
	;; [unrolled: 3-line block ×3, first 2 shown]
	v_add_f64 v[4:5], v[14:15], v[0:1]
	ds_read2st64_b64 v[0:3], v20 offset0:20 offset1:22
	s_waitcnt lgkmcnt(1)
	v_add_f64 v[8:9], v[16:17], v[4:5]
	ds_read2st64_b64 v[4:7], v20 offset0:24 offset1:26
	v_add_f64 v[12:13], v[18:19], v[8:9]
	ds_read2st64_b64 v[8:11], v20 offset0:28 offset1:30
	s_waitcnt lgkmcnt(2)
	v_add_f64 v[0:1], v[0:1], v[12:13]
	v_add_f64 v[0:1], v[2:3], v[0:1]
	s_waitcnt lgkmcnt(1)
	v_add_f64 v[0:1], v[4:5], v[0:1]
	v_add_f64 v[0:1], v[6:7], v[0:1]
	s_waitcnt lgkmcnt(0)
	v_add_f64 v[0:1], v[8:9], v[0:1]
	v_or_b32_e32 v6, s34, v54
	v_add_f64 v[2:3], v[10:11], v[0:1]
	v_cmp_gt_i32_e32 vcc, s16, v6
	s_mov_b64 s[4:5], s[10:11]
	ds_write_b64 v20, v[2:3]
                                        ; implicit-def: $vgpr0_vgpr1
                                        ; implicit-def: $vgpr4_vgpr5
	s_and_saveexec_b64 s[2:3], vcc
	s_cbranch_execz .LBB250_50
; %bb.47:
	v_cmp_eq_f64_e64 s[4:5], s[12:13], 0
	v_mul_lo_u32 v4, v6, s33
	v_mul_f64 v[0:1], s[14:15], v[2:3]
	v_ashrrev_i32_e32 v5, 31, v4
	s_and_b64 vcc, exec, s[4:5]
	s_cbranch_vccnz .LBB250_49
; %bb.48:
	v_lshl_add_u64 v[2:3], v[4:5], 3, s[8:9]
	global_load_dwordx2 v[2:3], v[2:3], off
	s_waitcnt vmcnt(0)
	v_fmac_f64_e32 v[0:1], s[12:13], v[2:3]
.LBB250_49:
	s_or_b64 s[4:5], s[10:11], exec
.LBB250_50:
	s_or_b64 exec, exec, s[2:3]
	s_andn2_b64 s[2:3], s[10:11], exec
	s_and_b64 s[4:5], s[4:5], exec
	s_or_b64 s[10:11], s[2:3], s[4:5]
.LBB250_51:
	s_or_b64 exec, exec, s[0:1]
.LBB250_52:
	s_and_saveexec_b64 s[0:1], s[10:11]
	s_cbranch_execz .LBB250_54
; %bb.53:
	v_lshl_add_u64 v[2:3], v[4:5], 3, s[8:9]
	global_store_dwordx2 v[2:3], v[0:1], off
.LBB250_54:
	s_endpgm
	.section	.rodata,"a",@progbits
	.p2align	6, 0x0
	.amdhsa_kernel _ZL20rocblas_gemvn_kernelILi32ELi16EiPKdS1_KPdEviiT3_lPKT2_lT1_lS7_lS8_lS4_lPT4_lS8_li
		.amdhsa_group_segment_fixed_size 16384
		.amdhsa_private_segment_fixed_size 0
		.amdhsa_kernarg_size 400
		.amdhsa_user_sgpr_count 2
		.amdhsa_user_sgpr_dispatch_ptr 0
		.amdhsa_user_sgpr_queue_ptr 0
		.amdhsa_user_sgpr_kernarg_segment_ptr 1
		.amdhsa_user_sgpr_dispatch_id 0
		.amdhsa_user_sgpr_kernarg_preload_length 0
		.amdhsa_user_sgpr_kernarg_preload_offset 0
		.amdhsa_user_sgpr_private_segment_size 0
		.amdhsa_uses_dynamic_stack 0
		.amdhsa_enable_private_segment 0
		.amdhsa_system_sgpr_workgroup_id_x 1
		.amdhsa_system_sgpr_workgroup_id_y 0
		.amdhsa_system_sgpr_workgroup_id_z 1
		.amdhsa_system_sgpr_workgroup_info 0
		.amdhsa_system_vgpr_workitem_id 1
		.amdhsa_next_free_vgpr 70
		.amdhsa_next_free_sgpr 41
		.amdhsa_accum_offset 72
		.amdhsa_reserve_vcc 1
		.amdhsa_float_round_mode_32 0
		.amdhsa_float_round_mode_16_64 0
		.amdhsa_float_denorm_mode_32 3
		.amdhsa_float_denorm_mode_16_64 3
		.amdhsa_dx10_clamp 1
		.amdhsa_ieee_mode 1
		.amdhsa_fp16_overflow 0
		.amdhsa_tg_split 0
		.amdhsa_exception_fp_ieee_invalid_op 0
		.amdhsa_exception_fp_denorm_src 0
		.amdhsa_exception_fp_ieee_div_zero 0
		.amdhsa_exception_fp_ieee_overflow 0
		.amdhsa_exception_fp_ieee_underflow 0
		.amdhsa_exception_fp_ieee_inexact 0
		.amdhsa_exception_int_div_zero 0
	.end_amdhsa_kernel
	.section	.text._ZL20rocblas_gemvn_kernelILi32ELi16EiPKdS1_KPdEviiT3_lPKT2_lT1_lS7_lS8_lS4_lPT4_lS8_li,"axG",@progbits,_ZL20rocblas_gemvn_kernelILi32ELi16EiPKdS1_KPdEviiT3_lPKT2_lT1_lS7_lS8_lS4_lPT4_lS8_li,comdat
.Lfunc_end250:
	.size	_ZL20rocblas_gemvn_kernelILi32ELi16EiPKdS1_KPdEviiT3_lPKT2_lT1_lS7_lS8_lS4_lPT4_lS8_li, .Lfunc_end250-_ZL20rocblas_gemvn_kernelILi32ELi16EiPKdS1_KPdEviiT3_lPKT2_lT1_lS7_lS8_lS4_lPT4_lS8_li
                                        ; -- End function
	.section	.AMDGPU.csdata,"",@progbits
; Kernel info:
; codeLenInByte = 2400
; NumSgprs: 47
; NumVgprs: 70
; NumAgprs: 0
; TotalNumVgprs: 70
; ScratchSize: 0
; MemoryBound: 0
; FloatMode: 240
; IeeeMode: 1
; LDSByteSize: 16384 bytes/workgroup (compile time only)
; SGPRBlocks: 5
; VGPRBlocks: 8
; NumSGPRsForWavesPerEU: 47
; NumVGPRsForWavesPerEU: 70
; AccumOffset: 72
; Occupancy: 7
; WaveLimiterHint : 1
; COMPUTE_PGM_RSRC2:SCRATCH_EN: 0
; COMPUTE_PGM_RSRC2:USER_SGPR: 2
; COMPUTE_PGM_RSRC2:TRAP_HANDLER: 0
; COMPUTE_PGM_RSRC2:TGID_X_EN: 1
; COMPUTE_PGM_RSRC2:TGID_Y_EN: 0
; COMPUTE_PGM_RSRC2:TGID_Z_EN: 1
; COMPUTE_PGM_RSRC2:TIDIG_COMP_CNT: 1
; COMPUTE_PGM_RSRC3_GFX90A:ACCUM_OFFSET: 17
; COMPUTE_PGM_RSRC3_GFX90A:TG_SPLIT: 0
	.section	.text._ZL20rocblas_gemvn_kernelILi32ELi16ElPKdS1_KPdEviiT3_lPKT2_lT1_lS7_lS8_lS4_lPT4_lS8_li,"axG",@progbits,_ZL20rocblas_gemvn_kernelILi32ELi16ElPKdS1_KPdEviiT3_lPKT2_lT1_lS7_lS8_lS4_lPT4_lS8_li,comdat
	.globl	_ZL20rocblas_gemvn_kernelILi32ELi16ElPKdS1_KPdEviiT3_lPKT2_lT1_lS7_lS8_lS4_lPT4_lS8_li ; -- Begin function _ZL20rocblas_gemvn_kernelILi32ELi16ElPKdS1_KPdEviiT3_lPKT2_lT1_lS7_lS8_lS4_lPT4_lS8_li
	.p2align	8
	.type	_ZL20rocblas_gemvn_kernelILi32ELi16ElPKdS1_KPdEviiT3_lPKT2_lT1_lS7_lS8_lS4_lPT4_lS8_li,@function
_ZL20rocblas_gemvn_kernelILi32ELi16ElPKdS1_KPdEviiT3_lPKT2_lT1_lS7_lS8_lS4_lPT4_lS8_li: ; @_ZL20rocblas_gemvn_kernelILi32ELi16ElPKdS1_KPdEviiT3_lPKT2_lT1_lS7_lS8_lS4_lPT4_lS8_li
; %bb.0:
	s_load_dwordx2 s[4:5], s[0:1], 0x9c
	s_mov_b32 s28, s3
	s_waitcnt lgkmcnt(0)
	s_and_b32 s3, s5, 0xffff
	s_lshr_b32 s5, s4, 16
	s_and_b32 s4, s4, 0xffff
	s_mul_i32 s4, s5, s4
	s_mul_i32 s4, s4, s3
	s_cmpk_lg_i32 s4, 0x200
	s_cbranch_scc1 .LBB251_54
; %bb.1:
	s_load_dwordx8 s[12:19], s[0:1], 0x8
	s_load_dwordx8 s[4:11], s[0:1], 0x58
	s_waitcnt lgkmcnt(0)
	s_mul_i32 s3, s28, s15
	s_mul_hi_u32 s15, s28, s14
	s_mul_i32 s14, s28, s14
	s_add_i32 s15, s15, s3
	s_lshl_b64 s[14:15], s[14:15], 3
	s_mul_i32 s7, s28, s7
	s_add_u32 s12, s12, s14
	s_mul_hi_u32 s3, s28, s6
	s_addc_u32 s13, s13, s15
	s_add_i32 s7, s3, s7
	s_mul_i32 s6, s28, s6
	s_lshl_b64 s[6:7], s[6:7], 3
	s_add_u32 s4, s4, s6
	s_addc_u32 s5, s5, s7
	s_load_dwordx2 s[14:15], s[12:13], 0x0
	s_waitcnt lgkmcnt(0)
	v_cmp_eq_f64_e64 s[30:31], s[14:15], 0
	s_load_dwordx2 s[12:13], s[4:5], 0x0
	s_waitcnt lgkmcnt(0)
	v_cmp_eq_f64_e64 s[4:5], s[12:13], 1.0
	s_and_b64 s[4:5], s[30:31], s[4:5]
	s_and_b64 vcc, exec, s[4:5]
	s_cbranch_vccnz .LBB251_54
; %bb.2:
	s_load_dwordx2 s[22:23], s[0:1], 0x28
	s_load_dwordx2 s[20:21], s[0:1], 0x78
	s_mov_b32 s29, 0
	s_mov_b64 s[26:27], 0
	v_cmp_neq_f64_e64 s[34:35], s[14:15], 0
	s_and_b64 vcc, exec, s[30:31]
	s_mov_b64 s[24:25], 0
	s_cbranch_vccnz .LBB251_4
; %bb.3:
	s_lshl_b64 s[4:5], s[28:29], 3
	s_add_u32 s4, s16, s4
	s_addc_u32 s5, s17, s5
	s_load_dwordx2 s[4:5], s[4:5], 0x0
	s_lshl_b64 s[6:7], s[18:19], 3
	s_waitcnt lgkmcnt(0)
	s_add_u32 s24, s4, s6
	s_addc_u32 s25, s5, s7
.LBB251_4:
	s_load_dwordx4 s[4:7], s[0:1], 0x38
	s_load_dwordx2 s[18:19], s[0:1], 0x48
	s_andn2_b64 vcc, exec, s[34:35]
	s_cbranch_vccnz .LBB251_6
; %bb.5:
	s_lshl_b64 s[16:17], s[28:29], 3
	s_waitcnt lgkmcnt(0)
	s_add_u32 s4, s4, s16
	s_addc_u32 s5, s5, s17
	s_load_dwordx2 s[4:5], s[4:5], 0x0
	s_lshl_b64 s[6:7], s[6:7], 3
	s_waitcnt lgkmcnt(0)
	s_add_u32 s26, s4, s6
	s_addc_u32 s27, s5, s7
.LBB251_6:
	s_waitcnt lgkmcnt(0)
	s_lshl_b64 s[4:5], s[28:29], 3
	s_add_u32 s4, s8, s4
	s_addc_u32 s5, s9, s5
	s_load_dwordx2 s[6:7], s[4:5], 0x0
	s_load_dwordx2 s[16:17], s[0:1], 0x0
	s_lshl_b64 s[0:1], s[10:11], 3
	v_and_b32_e32 v69, 0x3ff, v0
	v_bfe_u32 v70, v0, 10, 10
	s_waitcnt lgkmcnt(0)
	s_add_u32 s8, s6, s0
	s_addc_u32 s9, s7, s1
	s_andn2_b64 vcc, exec, s[30:31]
	v_lshl_add_u32 v68, v70, 5, v69
	s_cbranch_vccnz .LBB251_13
; %bb.7:
	s_movk_i32 s0, 0x80
	v_cmp_gt_u32_e32 vcc, s0, v68
	s_mov_b64 s[0:1], 0
	s_mov_b64 s[10:11], 0
                                        ; implicit-def: $vgpr0_vgpr1
                                        ; implicit-def: $vgpr2_vgpr3
	s_and_saveexec_b64 s[4:5], vcc
	s_cbranch_execz .LBB251_14
; %bb.8:
	v_lshl_or_b32 v4, s2, 7, v68
	v_mov_b32_e32 v5, 0
	s_ashr_i32 s7, s16, 31
	s_mov_b32 s6, s16
	v_cmp_gt_i64_e32 vcc, s[6:7], v[4:5]
                                        ; implicit-def: $vgpr0_vgpr1
                                        ; implicit-def: $vgpr2_vgpr3
	s_and_saveexec_b64 s[6:7], vcc
	s_cbranch_execz .LBB251_12
; %bb.9:
	v_mad_u64_u32 v[2:3], s[28:29], v4, s20, 0
	v_mov_b32_e32 v6, v3
	v_cmp_eq_f64_e64 s[10:11], s[12:13], 0
	v_mad_u64_u32 v[4:5], s[28:29], v4, s21, v[6:7]
	v_mov_b64_e32 v[0:1], 0
	v_mov_b32_e32 v3, v4
	s_and_b64 vcc, exec, s[10:11]
	s_cbranch_vccnz .LBB251_11
; %bb.10:
	v_lshl_add_u64 v[0:1], v[2:3], 3, s[8:9]
	global_load_dwordx2 v[0:1], v[0:1], off
	s_waitcnt vmcnt(0)
	v_mul_f64 v[0:1], s[12:13], v[0:1]
.LBB251_11:
	s_mov_b64 s[10:11], exec
.LBB251_12:
	s_or_b64 exec, exec, s[6:7]
	s_and_b64 s[10:11], s[10:11], exec
	s_or_b64 exec, exec, s[4:5]
	s_and_b64 vcc, exec, s[0:1]
	s_cbranch_vccnz .LBB251_15
	s_branch .LBB251_52
.LBB251_13:
	s_mov_b64 s[10:11], 0
                                        ; implicit-def: $vgpr0_vgpr1
                                        ; implicit-def: $vgpr2_vgpr3
	s_cbranch_execnz .LBB251_15
	s_branch .LBB251_52
.LBB251_14:
	s_or_b64 exec, exec, s[4:5]
	s_and_b64 vcc, exec, s[0:1]
	s_cbranch_vccz .LBB251_52
.LBB251_15:
	s_ashr_i32 s0, s17, 31
	s_lshr_b32 s0, s0, 26
	s_add_i32 s46, s17, s0
	s_lshl_b32 s33, s2, 7
	s_andn2_b32 s46, s46, 63
	v_lshlrev_b32_e32 v71, 2, v70
	v_mov_b64_e32 v[0:1], 0
	v_add_u32_e32 v2, s33, v69
	v_cmp_gt_i32_e32 vcc, s46, v71
	v_mov_b64_e32 v[4:5], v[0:1]
	v_mov_b64_e32 v[6:7], v[0:1]
	;; [unrolled: 1-line block ×3, first 2 shown]
	s_and_saveexec_b64 s[28:29], vcc
	s_cbranch_execz .LBB251_27
; %bb.16:
	v_ashrrev_i32_e32 v3, 31, v2
	v_add_u32_e32 v0, 32, v2
	v_cmp_gt_i32_e64 s[0:1], s16, v0
	v_add_u32_e32 v0, 64, v2
	v_lshlrev_b64 v[10:11], 3, v[2:3]
	v_lshlrev_b32_e32 v3, 2, v70
	v_cmp_gt_i32_e64 s[2:3], s16, v0
	v_add_u32_e32 v0, 0x60, v2
	v_or_b32_e32 v6, 3, v3
	v_cmp_gt_i32_e64 s[4:5], s16, v0
	v_mad_u64_u32 v[0:1], s[6:7], s22, v6, 0
	v_mov_b32_e32 v4, v1
	v_mad_u64_u32 v[4:5], s[6:7], s23, v6, v[4:5]
	v_mov_b32_e32 v1, v4
	v_lshl_add_u64 v[12:13], v[0:1], 3, s[24:25]
	v_mad_u64_u32 v[0:1], s[6:7], s18, v70, 0
	v_mov_b32_e32 v4, v1
	v_mad_u64_u32 v[4:5], s[6:7], s19, v70, v[4:5]
	v_mov_b32_e32 v1, v4
	v_lshlrev_b64 v[14:15], 5, v[0:1]
	v_mad_u64_u32 v[0:1], s[6:7], s22, v70, 0
	v_mov_b32_e32 v4, v1
	v_mad_u64_u32 v[4:5], s[6:7], s23, v70, v[4:5]
	v_mov_b32_e32 v1, v4
	v_lshlrev_b64 v[0:1], 5, v[0:1]
	v_lshl_add_u64 v[16:17], s[24:25], 0, v[0:1]
	v_mov_b64_e32 v[0:1], s[18:19]
	v_mad_u64_u32 v[0:1], s[6:7], s18, v3, v[0:1]
	v_mov_b32_e32 v4, v1
	v_mad_u64_u32 v[4:5], s[6:7], s19, v3, v[4:5]
	v_mov_b32_e32 v1, v4
	v_lshlrev_b64 v[18:19], 3, v[0:1]
	v_mad_u64_u32 v[0:1], s[6:7], s18, v6, 0
	v_mov_b32_e32 v4, v1
	v_mad_u64_u32 v[4:5], s[6:7], s19, v6, v[4:5]
	v_mov_b32_e32 v1, v4
	v_or_b32_e32 v6, 2, v3
	v_lshlrev_b64 v[20:21], 3, v[0:1]
	v_mad_u64_u32 v[0:1], s[6:7], s22, v6, 0
	v_mov_b32_e32 v4, v1
	v_mad_u64_u32 v[4:5], s[6:7], s23, v6, v[4:5]
	v_mov_b32_e32 v1, v4
	v_lshl_add_u64 v[22:23], v[0:1], 3, s[24:25]
	v_mov_b64_e32 v[0:1], s[22:23]
	v_mad_u64_u32 v[0:1], s[6:7], s22, v3, v[0:1]
	v_mov_b32_e32 v4, v1
	v_mad_u64_u32 v[4:5], s[6:7], s23, v3, v[4:5]
	v_mov_b32_e32 v1, v4
	v_lshl_add_u64 v[24:25], v[0:1], 3, s[24:25]
	v_mad_u64_u32 v[0:1], s[6:7], s18, v6, 0
	v_mov_b32_e32 v4, v1
	v_mad_u64_u32 v[4:5], s[6:7], s19, v6, v[4:5]
	v_mov_b32_e32 v1, v4
	v_lshlrev_b64 v[26:27], 3, v[0:1]
	v_mov_b64_e32 v[0:1], 0
	v_cmp_gt_i32_e32 vcc, s16, v2
	s_lshl_b64 s[30:31], s[22:23], 9
	s_lshl_b64 s[34:35], s[18:19], 9
	s_mov_b64 s[36:37], 0
	s_mov_b64 s[38:39], s[26:27]
	v_mov_b64_e32 v[4:5], v[0:1]
	v_mov_b64_e32 v[6:7], v[0:1]
	;; [unrolled: 1-line block ×3, first 2 shown]
	s_branch .LBB251_21
.LBB251_17:                             ;   in Loop: Header=BB251_21 Depth=1
	s_or_b64 exec, exec, s[44:45]
	s_waitcnt vmcnt(0) lgkmcnt(0)
	v_fmac_f64_e32 v[6:7], v[34:35], v[66:67]
	v_fmac_f64_e32 v[6:7], v[32:33], v[64:65]
	;; [unrolled: 1-line block ×4, first 2 shown]
.LBB251_18:                             ;   in Loop: Header=BB251_21 Depth=1
	s_or_b64 exec, exec, s[42:43]
	s_waitcnt vmcnt(0) lgkmcnt(0)
	v_fmac_f64_e32 v[4:5], v[34:35], v[50:51]
	v_fmac_f64_e32 v[4:5], v[32:33], v[48:49]
	;; [unrolled: 1-line block ×4, first 2 shown]
.LBB251_19:                             ;   in Loop: Header=BB251_21 Depth=1
	s_or_b64 exec, exec, s[40:41]
	s_waitcnt vmcnt(0) lgkmcnt(0)
	v_fmac_f64_e32 v[0:1], v[34:35], v[36:37]
	v_fmac_f64_e32 v[0:1], v[32:33], v[38:39]
	;; [unrolled: 1-line block ×4, first 2 shown]
.LBB251_20:                             ;   in Loop: Header=BB251_21 Depth=1
	s_or_b64 exec, exec, s[6:7]
	v_add_u32_e32 v71, 64, v71
	s_add_u32 s38, s38, s34
	s_addc_u32 s39, s39, s35
	v_cmp_le_i32_e64 s[6:7], s46, v71
	v_lshl_add_u64 v[12:13], v[12:13], 0, s[30:31]
	v_lshl_add_u64 v[16:17], v[16:17], 0, s[30:31]
	v_lshl_add_u64 v[22:23], v[22:23], 0, s[30:31]
	s_or_b64 s[36:37], s[6:7], s[36:37]
	v_lshl_add_u64 v[24:25], v[24:25], 0, s[30:31]
	s_andn2_b64 exec, exec, s[36:37]
	s_cbranch_execz .LBB251_26
.LBB251_21:                             ; =>This Inner Loop Header: Depth=1
	s_and_saveexec_b64 s[6:7], vcc
	s_cbranch_execz .LBB251_20
; %bb.22:                               ;   in Loop: Header=BB251_21 Depth=1
	v_lshl_add_u64 v[36:37], s[38:39], 0, v[14:15]
	v_lshl_add_u64 v[38:39], s[38:39], 0, v[18:19]
	;; [unrolled: 1-line block ×4, first 2 shown]
	flat_load_dwordx2 v[34:35], v[36:37]
	flat_load_dwordx2 v[32:33], v[38:39]
	;; [unrolled: 1-line block ×4, first 2 shown]
	v_lshl_add_u64 v[52:53], v[16:17], 0, v[10:11]
	v_lshl_add_u64 v[54:55], v[24:25], 0, v[10:11]
	;; [unrolled: 1-line block ×4, first 2 shown]
	flat_load_dwordx2 v[36:37], v[52:53]
	flat_load_dwordx2 v[38:39], v[54:55]
	;; [unrolled: 1-line block ×4, first 2 shown]
	s_and_saveexec_b64 s[40:41], s[0:1]
	s_cbranch_execz .LBB251_19
; %bb.23:                               ;   in Loop: Header=BB251_21 Depth=1
	flat_load_dwordx2 v[50:51], v[52:53] offset:256
	flat_load_dwordx2 v[48:49], v[54:55] offset:256
	flat_load_dwordx2 v[46:47], v[56:57] offset:256
	flat_load_dwordx2 v[44:45], v[58:59] offset:256
	s_and_saveexec_b64 s[42:43], s[2:3]
	s_cbranch_execz .LBB251_18
; %bb.24:                               ;   in Loop: Header=BB251_21 Depth=1
	flat_load_dwordx2 v[66:67], v[52:53] offset:512
	flat_load_dwordx2 v[64:65], v[54:55] offset:512
	flat_load_dwordx2 v[62:63], v[56:57] offset:512
	flat_load_dwordx2 v[60:61], v[58:59] offset:512
	;; [unrolled: 7-line block ×3, first 2 shown]
	s_waitcnt vmcnt(0) lgkmcnt(0)
	v_fmac_f64_e32 v[8:9], v[34:35], v[72:73]
	v_fmac_f64_e32 v[8:9], v[32:33], v[74:75]
	;; [unrolled: 1-line block ×4, first 2 shown]
	s_branch .LBB251_17
.LBB251_26:
	s_or_b64 exec, exec, s[36:37]
.LBB251_27:
	s_or_b64 exec, exec, s[28:29]
	s_sub_i32 s0, s17, s46
	s_cmp_lt_i32 s0, 1
	s_cbranch_scc1 .LBB251_45
; %bb.28:
	v_mov_b64_e32 v[12:13], 0
	v_cmp_gt_i32_e32 vcc, s17, v71
	v_or_b32_e32 v20, 1, v71
	v_mov_b64_e32 v[16:17], v[12:13]
	v_mov_b64_e32 v[14:15], v[12:13]
	;; [unrolled: 1-line block ×3, first 2 shown]
	s_and_saveexec_b64 s[2:3], vcc
	s_cbranch_execz .LBB251_36
; %bb.29:
	v_mad_u64_u32 v[10:11], s[0:1], v71, s18, 0
	v_mov_b32_e32 v12, v11
	v_mad_u64_u32 v[12:13], s[0:1], v71, s19, v[12:13]
	v_mov_b32_e32 v11, v12
	v_lshl_add_u64 v[10:11], v[10:11], 3, s[26:27]
	flat_load_dwordx2 v[10:11], v[10:11]
	v_mov_b64_e32 v[14:15], 0
	v_cmp_gt_i32_e64 s[0:1], s17, v20
	v_mov_b64_e32 v[16:17], v[14:15]
	v_mov_b64_e32 v[12:13], v[14:15]
	s_and_saveexec_b64 s[4:5], s[0:1]
	s_cbranch_execz .LBB251_35
; %bb.30:
	v_mad_u64_u32 v[12:13], s[0:1], v20, s18, 0
	v_mov_b32_e32 v14, v13
	v_mad_u64_u32 v[14:15], s[0:1], v20, s19, v[14:15]
	v_mov_b32_e32 v13, v14
	v_lshl_add_u64 v[12:13], v[12:13], 3, s[26:27]
	flat_load_dwordx2 v[14:15], v[12:13]
	v_or_b32_e32 v3, 2, v71
	v_mov_b64_e32 v[16:17], 0
	v_cmp_gt_i32_e64 s[0:1], s17, v3
	v_mov_b64_e32 v[12:13], v[16:17]
	s_and_saveexec_b64 s[6:7], s[0:1]
	s_cbranch_execz .LBB251_34
; %bb.31:
	v_mad_u64_u32 v[12:13], s[0:1], v3, s18, 0
	v_mov_b32_e32 v16, v13
	v_mad_u64_u32 v[16:17], s[0:1], v3, s19, v[16:17]
	v_mov_b32_e32 v13, v16
	v_lshl_add_u64 v[12:13], v[12:13], 3, s[26:27]
	flat_load_dwordx2 v[16:17], v[12:13]
	v_or_b32_e32 v3, 3, v71
	v_cmp_gt_i32_e64 s[0:1], s17, v3
	v_mov_b64_e32 v[12:13], 0
	s_and_saveexec_b64 s[28:29], s[0:1]
	s_cbranch_execz .LBB251_33
; %bb.32:
	v_mad_u64_u32 v[12:13], s[0:1], v3, s18, 0
	v_mov_b32_e32 v18, v13
	v_mad_u64_u32 v[18:19], s[0:1], v3, s19, v[18:19]
	v_mov_b32_e32 v13, v18
	v_lshl_add_u64 v[12:13], v[12:13], 3, s[26:27]
	flat_load_dwordx2 v[12:13], v[12:13]
.LBB251_33:
	s_or_b64 exec, exec, s[28:29]
.LBB251_34:
	s_or_b64 exec, exec, s[6:7]
.LBB251_35:
	s_or_b64 exec, exec, s[4:5]
.LBB251_36:
	s_or_b64 exec, exec, s[2:3]
	v_cmp_gt_i32_e64 s[0:1], s16, v2
	s_and_saveexec_b64 s[2:3], s[0:1]
	s_cbranch_execz .LBB251_44
; %bb.37:
	v_mad_u64_u32 v[18:19], s[0:1], v71, s22, 0
	v_mov_b32_e32 v22, v19
	v_ashrrev_i32_e32 v3, 31, v2
	v_mad_u64_u32 v[22:23], s[0:1], v71, s23, v[22:23]
	v_mad_u64_u32 v[24:25], s[0:1], v20, s22, 0
	v_cndmask_b32_e32 v18, 0, v18, vcc
	v_cndmask_b32_e32 v19, 0, v22, vcc
	v_lshlrev_b64 v[22:23], 3, v[2:3]
	v_mov_b32_e32 v26, v25
	v_cmp_gt_i32_e32 vcc, s17, v20
	v_or_b32_e32 v3, 2, v71
	v_mad_u64_u32 v[26:27], s[0:1], v20, s23, v[26:27]
	v_cndmask_b32_e32 v20, 0, v24, vcc
	v_mad_u64_u32 v[24:25], s[0:1], v3, s22, 0
	v_cndmask_b32_e32 v21, 0, v26, vcc
	v_mov_b32_e32 v26, v25
	v_mad_u64_u32 v[26:27], s[0:1], v3, s23, v[26:27]
	v_cmp_gt_i32_e32 vcc, s17, v3
	v_or_b32_e32 v3, 3, v71
	v_lshl_add_u64 v[18:19], v[18:19], 3, s[24:25]
	v_cndmask_b32_e32 v25, 0, v26, vcc
	v_mad_u64_u32 v[26:27], s[0:1], v3, s22, 0
	v_mov_b32_e32 v28, v27
	v_cndmask_b32_e32 v24, 0, v24, vcc
	v_mad_u64_u32 v[28:29], s[0:1], v3, s23, v[28:29]
	v_cmp_gt_i32_e32 vcc, s17, v3
	v_lshl_add_u64 v[18:19], v[18:19], 0, v[22:23]
	v_lshl_add_u64 v[20:21], v[20:21], 3, s[24:25]
	v_cndmask_b32_e32 v26, 0, v26, vcc
	v_cndmask_b32_e32 v27, 0, v28, vcc
	v_lshl_add_u64 v[24:25], v[24:25], 3, s[24:25]
	v_lshl_add_u64 v[26:27], v[26:27], 3, s[24:25]
	v_lshl_add_u64 v[20:21], v[20:21], 0, v[22:23]
	v_lshl_add_u64 v[24:25], v[24:25], 0, v[22:23]
	flat_load_dwordx2 v[28:29], v[18:19]
	flat_load_dwordx2 v[30:31], v[20:21]
	;; [unrolled: 1-line block ×3, first 2 shown]
	v_lshl_add_u64 v[26:27], v[26:27], 0, v[22:23]
	flat_load_dwordx2 v[22:23], v[26:27]
	v_add_u32_e32 v3, 32, v2
	v_cmp_gt_i32_e32 vcc, s16, v3
	s_waitcnt vmcnt(0) lgkmcnt(0)
	v_fmac_f64_e32 v[0:1], v[10:11], v[28:29]
	v_fmac_f64_e32 v[0:1], v[14:15], v[30:31]
	v_fmac_f64_e32 v[0:1], v[16:17], v[32:33]
	s_and_saveexec_b64 s[0:1], vcc
	s_cbranch_execz .LBB251_43
; %bb.38:
	flat_load_dwordx2 v[30:31], v[18:19] offset:256
	flat_load_dwordx2 v[32:33], v[20:21] offset:256
	flat_load_dwordx2 v[34:35], v[24:25] offset:256
	flat_load_dwordx2 v[28:29], v[26:27] offset:256
	v_add_u32_e32 v3, 64, v2
	v_cmp_gt_i32_e32 vcc, s16, v3
	s_waitcnt vmcnt(0) lgkmcnt(0)
	v_fmac_f64_e32 v[4:5], v[10:11], v[30:31]
	v_fmac_f64_e32 v[4:5], v[14:15], v[32:33]
	v_fmac_f64_e32 v[4:5], v[16:17], v[34:35]
	s_and_saveexec_b64 s[4:5], vcc
	s_cbranch_execz .LBB251_42
; %bb.39:
	flat_load_dwordx2 v[32:33], v[18:19] offset:512
	flat_load_dwordx2 v[34:35], v[20:21] offset:512
	flat_load_dwordx2 v[36:37], v[24:25] offset:512
	flat_load_dwordx2 v[30:31], v[26:27] offset:512
	;; [unrolled: 13-line block ×3, first 2 shown]
	s_waitcnt vmcnt(0) lgkmcnt(0)
	v_fmac_f64_e32 v[8:9], v[10:11], v[2:3]
	v_fmac_f64_e32 v[8:9], v[14:15], v[32:33]
	;; [unrolled: 1-line block ×4, first 2 shown]
.LBB251_41:
	s_or_b64 exec, exec, s[6:7]
	v_fmac_f64_e32 v[6:7], v[12:13], v[30:31]
.LBB251_42:
	s_or_b64 exec, exec, s[4:5]
	v_fmac_f64_e32 v[4:5], v[12:13], v[28:29]
.LBB251_43:
	s_or_b64 exec, exec, s[0:1]
	v_fmac_f64_e32 v[0:1], v[12:13], v[22:23]
.LBB251_44:
	s_or_b64 exec, exec, s[2:3]
.LBB251_45:
	v_lshlrev_b32_e32 v2, 7, v70
	s_movk_i32 s0, 0x80
	v_add_lshl_u32 v2, v2, v69, 3
	v_cmp_gt_u32_e32 vcc, s0, v68
	ds_write2_b64 v2, v[0:1], v[4:5] offset1:32
	ds_write2_b64 v2, v[6:7], v[8:9] offset0:64 offset1:96
	s_waitcnt lgkmcnt(0)
	s_barrier
	s_waitcnt lgkmcnt(0)
                                        ; implicit-def: $vgpr0_vgpr1
                                        ; implicit-def: $vgpr2_vgpr3
	s_and_saveexec_b64 s[0:1], vcc
	s_cbranch_execz .LBB251_51
; %bb.46:
	v_lshlrev_b32_e32 v20, 3, v68
	ds_read2st64_b64 v[0:3], v20 offset1:2
	ds_read2st64_b64 v[4:7], v20 offset0:4 offset1:6
	s_waitcnt vmcnt(0)
	ds_read2st64_b64 v[8:11], v20 offset0:8 offset1:10
	ds_read2st64_b64 v[12:15], v20 offset0:12 offset1:14
	;; [unrolled: 1-line block ×3, first 2 shown]
	s_waitcnt lgkmcnt(4)
	v_add_f64 v[0:1], v[0:1], v[2:3]
	s_waitcnt lgkmcnt(3)
	v_add_f64 v[0:1], v[4:5], v[0:1]
	v_add_f64 v[0:1], v[6:7], v[0:1]
	s_waitcnt lgkmcnt(2)
	v_add_f64 v[0:1], v[8:9], v[0:1]
	;; [unrolled: 3-line block ×3, first 2 shown]
	v_add_f64 v[4:5], v[14:15], v[0:1]
	ds_read2st64_b64 v[0:3], v20 offset0:20 offset1:22
	s_waitcnt lgkmcnt(1)
	v_add_f64 v[8:9], v[16:17], v[4:5]
	ds_read2st64_b64 v[4:7], v20 offset0:24 offset1:26
	v_add_f64 v[12:13], v[18:19], v[8:9]
	ds_read2st64_b64 v[8:11], v20 offset0:28 offset1:30
	s_waitcnt lgkmcnt(2)
	v_add_f64 v[0:1], v[0:1], v[12:13]
	v_add_f64 v[0:1], v[2:3], v[0:1]
	s_waitcnt lgkmcnt(1)
	v_add_f64 v[0:1], v[4:5], v[0:1]
	v_add_f64 v[0:1], v[6:7], v[0:1]
	s_waitcnt lgkmcnt(0)
	v_add_f64 v[0:1], v[8:9], v[0:1]
	v_or_b32_e32 v6, s33, v68
	v_add_f64 v[4:5], v[10:11], v[0:1]
	v_cmp_gt_i32_e32 vcc, s16, v6
	s_mov_b64 s[4:5], s[10:11]
	ds_write_b64 v20, v[4:5]
                                        ; implicit-def: $vgpr0_vgpr1
                                        ; implicit-def: $vgpr2_vgpr3
	s_and_saveexec_b64 s[2:3], vcc
	s_cbranch_execz .LBB251_50
; %bb.47:
	v_ashrrev_i32_e32 v2, 31, v6
	v_cmp_eq_f64_e64 s[4:5], s[12:13], 0
	v_mul_f64 v[0:1], s[14:15], v[4:5]
	v_mul_lo_u32 v4, v6, s21
	v_mul_lo_u32 v5, v2, s20
	v_mad_u64_u32 v[2:3], s[6:7], v6, s20, 0
	v_add3_u32 v3, v3, v4, v5
	s_and_b64 vcc, exec, s[4:5]
	s_cbranch_vccnz .LBB251_49
; %bb.48:
	v_lshl_add_u64 v[4:5], v[2:3], 3, s[8:9]
	global_load_dwordx2 v[4:5], v[4:5], off
	s_waitcnt vmcnt(0)
	v_fmac_f64_e32 v[0:1], s[12:13], v[4:5]
.LBB251_49:
	s_or_b64 s[4:5], s[10:11], exec
.LBB251_50:
	s_or_b64 exec, exec, s[2:3]
	s_andn2_b64 s[2:3], s[10:11], exec
	s_and_b64 s[4:5], s[4:5], exec
	s_or_b64 s[10:11], s[2:3], s[4:5]
.LBB251_51:
	s_or_b64 exec, exec, s[0:1]
.LBB251_52:
	s_and_saveexec_b64 s[0:1], s[10:11]
	s_cbranch_execz .LBB251_54
; %bb.53:
	v_lshl_add_u64 v[2:3], v[2:3], 3, s[8:9]
	global_store_dwordx2 v[2:3], v[0:1], off
.LBB251_54:
	s_endpgm
	.section	.rodata,"a",@progbits
	.p2align	6, 0x0
	.amdhsa_kernel _ZL20rocblas_gemvn_kernelILi32ELi16ElPKdS1_KPdEviiT3_lPKT2_lT1_lS7_lS8_lS4_lPT4_lS8_li
		.amdhsa_group_segment_fixed_size 16384
		.amdhsa_private_segment_fixed_size 0
		.amdhsa_kernarg_size 400
		.amdhsa_user_sgpr_count 2
		.amdhsa_user_sgpr_dispatch_ptr 0
		.amdhsa_user_sgpr_queue_ptr 0
		.amdhsa_user_sgpr_kernarg_segment_ptr 1
		.amdhsa_user_sgpr_dispatch_id 0
		.amdhsa_user_sgpr_kernarg_preload_length 0
		.amdhsa_user_sgpr_kernarg_preload_offset 0
		.amdhsa_user_sgpr_private_segment_size 0
		.amdhsa_uses_dynamic_stack 0
		.amdhsa_enable_private_segment 0
		.amdhsa_system_sgpr_workgroup_id_x 1
		.amdhsa_system_sgpr_workgroup_id_y 0
		.amdhsa_system_sgpr_workgroup_id_z 1
		.amdhsa_system_sgpr_workgroup_info 0
		.amdhsa_system_vgpr_workitem_id 1
		.amdhsa_next_free_vgpr 80
		.amdhsa_next_free_sgpr 47
		.amdhsa_accum_offset 80
		.amdhsa_reserve_vcc 1
		.amdhsa_float_round_mode_32 0
		.amdhsa_float_round_mode_16_64 0
		.amdhsa_float_denorm_mode_32 3
		.amdhsa_float_denorm_mode_16_64 3
		.amdhsa_dx10_clamp 1
		.amdhsa_ieee_mode 1
		.amdhsa_fp16_overflow 0
		.amdhsa_tg_split 0
		.amdhsa_exception_fp_ieee_invalid_op 0
		.amdhsa_exception_fp_denorm_src 0
		.amdhsa_exception_fp_ieee_div_zero 0
		.amdhsa_exception_fp_ieee_overflow 0
		.amdhsa_exception_fp_ieee_underflow 0
		.amdhsa_exception_fp_ieee_inexact 0
		.amdhsa_exception_int_div_zero 0
	.end_amdhsa_kernel
	.section	.text._ZL20rocblas_gemvn_kernelILi32ELi16ElPKdS1_KPdEviiT3_lPKT2_lT1_lS7_lS8_lS4_lPT4_lS8_li,"axG",@progbits,_ZL20rocblas_gemvn_kernelILi32ELi16ElPKdS1_KPdEviiT3_lPKT2_lT1_lS7_lS8_lS4_lPT4_lS8_li,comdat
.Lfunc_end251:
	.size	_ZL20rocblas_gemvn_kernelILi32ELi16ElPKdS1_KPdEviiT3_lPKT2_lT1_lS7_lS8_lS4_lPT4_lS8_li, .Lfunc_end251-_ZL20rocblas_gemvn_kernelILi32ELi16ElPKdS1_KPdEviiT3_lPKT2_lT1_lS7_lS8_lS4_lPT4_lS8_li
                                        ; -- End function
	.section	.AMDGPU.csdata,"",@progbits
; Kernel info:
; codeLenInByte = 2688
; NumSgprs: 53
; NumVgprs: 80
; NumAgprs: 0
; TotalNumVgprs: 80
; ScratchSize: 0
; MemoryBound: 1
; FloatMode: 240
; IeeeMode: 1
; LDSByteSize: 16384 bytes/workgroup (compile time only)
; SGPRBlocks: 6
; VGPRBlocks: 9
; NumSGPRsForWavesPerEU: 53
; NumVGPRsForWavesPerEU: 80
; AccumOffset: 80
; Occupancy: 6
; WaveLimiterHint : 1
; COMPUTE_PGM_RSRC2:SCRATCH_EN: 0
; COMPUTE_PGM_RSRC2:USER_SGPR: 2
; COMPUTE_PGM_RSRC2:TRAP_HANDLER: 0
; COMPUTE_PGM_RSRC2:TGID_X_EN: 1
; COMPUTE_PGM_RSRC2:TGID_Y_EN: 0
; COMPUTE_PGM_RSRC2:TGID_Z_EN: 1
; COMPUTE_PGM_RSRC2:TIDIG_COMP_CNT: 1
; COMPUTE_PGM_RSRC3_GFX90A:ACCUM_OFFSET: 19
; COMPUTE_PGM_RSRC3_GFX90A:TG_SPLIT: 0
	.section	.text._ZL20rocblas_gemvn_kernelILi32ELi16EiPKddKPdEviiT3_lPKT2_lT1_lS7_lS8_lS4_lPT4_lS8_li,"axG",@progbits,_ZL20rocblas_gemvn_kernelILi32ELi16EiPKddKPdEviiT3_lPKT2_lT1_lS7_lS8_lS4_lPT4_lS8_li,comdat
	.globl	_ZL20rocblas_gemvn_kernelILi32ELi16EiPKddKPdEviiT3_lPKT2_lT1_lS7_lS8_lS4_lPT4_lS8_li ; -- Begin function _ZL20rocblas_gemvn_kernelILi32ELi16EiPKddKPdEviiT3_lPKT2_lT1_lS7_lS8_lS4_lPT4_lS8_li
	.p2align	8
	.type	_ZL20rocblas_gemvn_kernelILi32ELi16EiPKddKPdEviiT3_lPKT2_lT1_lS7_lS8_lS4_lPT4_lS8_li,@function
_ZL20rocblas_gemvn_kernelILi32ELi16EiPKddKPdEviiT3_lPKT2_lT1_lS7_lS8_lS4_lPT4_lS8_li: ; @_ZL20rocblas_gemvn_kernelILi32ELi16EiPKddKPdEviiT3_lPKT2_lT1_lS7_lS8_lS4_lPT4_lS8_li
; %bb.0:
	s_load_dwordx2 s[4:5], s[0:1], 0x9c
	s_mov_b32 s6, s3
	s_waitcnt lgkmcnt(0)
	s_and_b32 s3, s5, 0xffff
	s_lshr_b32 s5, s4, 16
	s_and_b32 s4, s4, 0xffff
	s_mul_i32 s4, s5, s4
	s_mul_i32 s4, s4, s3
	s_cmpk_lg_i32 s4, 0x200
	s_cbranch_scc1 .LBB252_56
; %bb.1:
	s_load_dwordx2 s[10:11], s[0:1], 0x8
	s_load_dwordx2 s[8:9], s[0:1], 0x58
	s_waitcnt lgkmcnt(0)
	v_cmp_eq_f64_e64 s[4:5], s[10:11], 0
	v_cmp_eq_f64_e64 s[12:13], s[8:9], 1.0
	s_and_b64 s[12:13], s[4:5], s[12:13]
	s_and_b64 vcc, exec, s[12:13]
	s_cbranch_vccnz .LBB252_56
; %bb.2:
	v_cmp_neq_f64_e64 s[12:13], s[10:11], 0
	s_mov_b64 s[14:15], 0
	s_and_b64 vcc, exec, s[12:13]
	s_cbranch_vccnz .LBB252_4
; %bb.3:
	s_mov_b32 s7, 0
	s_mov_b64 s[18:19], 0
	s_andn2_b64 vcc, exec, s[14:15]
	s_cbranch_vccz .LBB252_5
	s_branch .LBB252_6
.LBB252_4:
                                        ; implicit-def: $sgpr18_sgpr19
.LBB252_5:
	s_load_dwordx4 s[16:19], s[0:1], 0x18
	s_mov_b32 s7, 0
	s_lshl_b64 s[14:15], s[6:7], 3
	s_waitcnt lgkmcnt(0)
	s_add_u32 s14, s16, s14
	s_addc_u32 s15, s17, s15
	s_load_dwordx2 s[14:15], s[14:15], 0x0
	s_lshl_b64 s[16:17], s[18:19], 3
	s_waitcnt lgkmcnt(0)
	s_add_u32 s18, s14, s16
	s_addc_u32 s19, s15, s17
.LBB252_6:
	s_mov_b64 s[14:15], 0
	s_andn2_b64 vcc, exec, s[12:13]
	s_mov_b64 s[20:21], 0
	s_cbranch_vccnz .LBB252_8
; %bb.7:
	s_load_dwordx4 s[20:23], s[0:1], 0x38
	s_lshl_b64 s[12:13], s[6:7], 3
	s_waitcnt lgkmcnt(0)
	s_add_u32 s12, s20, s12
	s_addc_u32 s13, s21, s13
	s_load_dwordx2 s[12:13], s[12:13], 0x0
	s_lshl_b64 s[16:17], s[22:23], 3
	s_waitcnt lgkmcnt(0)
	s_add_u32 s20, s12, s16
	s_addc_u32 s21, s13, s17
.LBB252_8:
	s_load_dwordx4 s[24:27], s[0:1], 0x68
	s_load_dwordx2 s[16:17], s[0:1], 0x0
	s_load_dword s33, s[0:1], 0x78
	s_lshl_b64 s[6:7], s[6:7], 3
	v_and_b32_e32 v2, 0x3ff, v0
	s_waitcnt lgkmcnt(0)
	s_add_u32 s6, s24, s6
	s_addc_u32 s7, s25, s7
	s_load_dwordx2 s[6:7], s[6:7], 0x0
	s_lshl_b64 s[12:13], s[26:27], 3
	v_bfe_u32 v3, v0, 10, 10
	v_lshl_add_u32 v54, v3, 5, v2
	s_waitcnt lgkmcnt(0)
	s_add_u32 s12, s6, s12
	s_addc_u32 s13, s7, s13
	s_andn2_b64 vcc, exec, s[4:5]
	s_cbranch_vccnz .LBB252_15
; %bb.9:
	s_movk_i32 s3, 0x80
	v_cmp_gt_u32_e32 vcc, s3, v54
	s_mov_b64 s[4:5], 0
                                        ; implicit-def: $vgpr0_vgpr1
                                        ; implicit-def: $vgpr4_vgpr5
	s_and_saveexec_b64 s[6:7], vcc
	s_cbranch_execz .LBB252_16
; %bb.10:
	v_lshl_or_b32 v6, s2, 7, v54
	v_mov_b32_e32 v7, 0
	s_ashr_i32 s15, s16, 31
	s_mov_b32 s14, s16
	v_cmp_gt_i64_e32 vcc, s[14:15], v[6:7]
	s_mov_b64 s[22:23], 0
                                        ; implicit-def: $vgpr0_vgpr1
                                        ; implicit-def: $vgpr4_vgpr5
	s_and_saveexec_b64 s[14:15], vcc
	s_cbranch_execz .LBB252_14
; %bb.11:
	v_mad_u64_u32 v[4:5], s[24:25], s33, v6, 0
	s_ashr_i32 s3, s33, 31
	v_mov_b32_e32 v8, v5
	v_cmp_eq_f64_e64 s[22:23], s[8:9], 0
	v_mad_u64_u32 v[6:7], s[24:25], s3, v6, v[8:9]
	v_mov_b64_e32 v[0:1], 0
	v_mov_b32_e32 v5, v6
	s_and_b64 vcc, exec, s[22:23]
	s_cbranch_vccnz .LBB252_13
; %bb.12:
	v_lshl_add_u64 v[0:1], v[4:5], 3, s[12:13]
	global_load_dwordx2 v[0:1], v[0:1], off
	s_waitcnt vmcnt(0)
	v_mul_f64 v[0:1], v[0:1], s[8:9]
.LBB252_13:
	s_mov_b64 s[22:23], exec
.LBB252_14:
	s_or_b64 exec, exec, s[14:15]
	s_and_b64 s[14:15], s[22:23], exec
	s_or_b64 exec, exec, s[6:7]
	s_and_b64 vcc, exec, s[4:5]
	s_cbranch_vccnz .LBB252_17
	s_branch .LBB252_54
.LBB252_15:
                                        ; implicit-def: $vgpr0_vgpr1
                                        ; implicit-def: $vgpr4_vgpr5
	s_cbranch_execnz .LBB252_17
	s_branch .LBB252_54
.LBB252_16:
	s_or_b64 exec, exec, s[6:7]
	s_and_b64 vcc, exec, s[4:5]
	s_cbranch_vccz .LBB252_54
.LBB252_17:
	s_load_dword s35, s[0:1], 0x28
	s_load_dword s36, s[0:1], 0x48
	s_ashr_i32 s0, s17, 31
	s_lshr_b32 s0, s0, 26
	s_add_i32 s37, s17, s0
	s_lshl_b32 s34, s2, 7
	s_andn2_b32 s37, s37, 63
	v_lshlrev_b32_e32 v56, 2, v3
	v_mov_b64_e32 v[0:1], 0
	v_add_u32_e32 v55, s34, v2
	v_cmp_gt_i32_e32 vcc, s37, v56
	v_mov_b64_e32 v[4:5], v[0:1]
	v_mov_b64_e32 v[6:7], v[0:1]
	;; [unrolled: 1-line block ×3, first 2 shown]
	s_and_saveexec_b64 s[22:23], vcc
	s_cbranch_execz .LBB252_29
; %bb.18:
	v_add_u32_e32 v0, 32, v55
	v_cmp_gt_i32_e64 s[0:1], s16, v0
	v_add_u32_e32 v0, 64, v55
	v_cmp_gt_i32_e64 s[2:3], s16, v0
	;; [unrolled: 2-line block ×3, first 2 shown]
	s_waitcnt lgkmcnt(0)
	v_mul_lo_u32 v0, s35, v56
	v_add3_u32 v57, v0, s35, v2
	v_add_u32_e32 v0, 2, v56
	v_mad_u64_u32 v[10:11], s[6:7], s35, v0, v[2:3]
	v_add_u32_e32 v1, 3, v56
	v_mul_lo_u32 v4, v3, s35
	v_mul_lo_u32 v58, s36, v0
	;; [unrolled: 1-line block ×3, first 2 shown]
	v_mad_u64_u32 v[12:13], s[6:7], s35, v1, v[2:3]
	v_lshl_add_u32 v11, v4, 2, v2
	v_mul_lo_u32 v4, s36, v56
	v_mul_lo_u32 v59, s36, v1
	v_lshlrev_b32_e32 v60, 2, v0
	v_mov_b64_e32 v[0:1], 0
	v_cmp_gt_i32_e32 vcc, s16, v55
	s_lshl_b32 s38, s35, 6
	v_add_u32_e32 v13, s36, v4
	s_lshl_b32 s39, s36, 6
	s_mov_b64 s[24:25], 0
	s_mov_b32 s40, 0
	v_mov_b64_e32 v[4:5], v[0:1]
	v_mov_b64_e32 v[6:7], v[0:1]
	;; [unrolled: 1-line block ×3, first 2 shown]
	s_branch .LBB252_23
.LBB252_19:                             ;   in Loop: Header=BB252_23 Depth=1
	s_or_b64 exec, exec, s[30:31]
	s_waitcnt vmcnt(0) lgkmcnt(0)
	v_fmac_f64_e32 v[6:7], v[20:21], v[52:53]
	v_fmac_f64_e32 v[6:7], v[18:19], v[50:51]
	;; [unrolled: 1-line block ×4, first 2 shown]
.LBB252_20:                             ;   in Loop: Header=BB252_23 Depth=1
	s_or_b64 exec, exec, s[28:29]
	s_waitcnt vmcnt(0) lgkmcnt(0)
	v_fmac_f64_e32 v[4:5], v[20:21], v[38:39]
	v_fmac_f64_e32 v[4:5], v[18:19], v[36:37]
	;; [unrolled: 1-line block ×4, first 2 shown]
.LBB252_21:                             ;   in Loop: Header=BB252_23 Depth=1
	s_or_b64 exec, exec, s[26:27]
	s_waitcnt vmcnt(0) lgkmcnt(0)
	v_fmac_f64_e32 v[0:1], v[20:21], v[28:29]
	v_fmac_f64_e32 v[0:1], v[18:19], v[26:27]
	;; [unrolled: 1-line block ×4, first 2 shown]
.LBB252_22:                             ;   in Loop: Header=BB252_23 Depth=1
	s_or_b64 exec, exec, s[6:7]
	v_add_u32_e32 v56, 64, v56
	s_add_i32 s40, s40, s39
	v_cmp_le_i32_e64 s[6:7], s37, v56
	v_add_u32_e32 v57, s38, v57
	v_add_u32_e32 v10, s38, v10
	;; [unrolled: 1-line block ×3, first 2 shown]
	s_or_b64 s[24:25], s[6:7], s[24:25]
	v_add_u32_e32 v11, s38, v11
	s_andn2_b64 exec, exec, s[24:25]
	s_cbranch_execz .LBB252_28
.LBB252_23:                             ; =>This Inner Loop Header: Depth=1
	s_and_saveexec_b64 s[6:7], vcc
	s_cbranch_execz .LBB252_22
; %bb.24:                               ;   in Loop: Header=BB252_23 Depth=1
	v_add_u32_e32 v14, s40, v60
	v_ashrrev_i32_e32 v15, 31, v14
	v_lshl_add_u64 v[22:23], v[14:15], 3, s[20:21]
	v_add_u32_e32 v14, s40, v13
	v_ashrrev_i32_e32 v15, 31, v14
	v_lshl_add_u64 v[24:25], v[14:15], 3, s[20:21]
	;; [unrolled: 3-line block ×4, first 2 shown]
	flat_load_dwordx2 v[20:21], v[22:23]
	flat_load_dwordx2 v[18:19], v[24:25]
	;; [unrolled: 1-line block ×4, first 2 shown]
	v_add_u32_e32 v22, s34, v11
	v_ashrrev_i32_e32 v23, 31, v22
	v_lshl_add_u64 v[30:31], v[22:23], 3, s[18:19]
	v_add_u32_e32 v22, s34, v57
	v_ashrrev_i32_e32 v23, 31, v22
	v_lshl_add_u64 v[40:41], v[22:23], 3, s[18:19]
	;; [unrolled: 3-line block ×4, first 2 shown]
	flat_load_dwordx2 v[28:29], v[30:31]
	flat_load_dwordx2 v[26:27], v[40:41]
	;; [unrolled: 1-line block ×4, first 2 shown]
	s_and_saveexec_b64 s[26:27], s[0:1]
	s_cbranch_execz .LBB252_21
; %bb.25:                               ;   in Loop: Header=BB252_23 Depth=1
	flat_load_dwordx2 v[38:39], v[30:31] offset:256
	flat_load_dwordx2 v[36:37], v[40:41] offset:256
	flat_load_dwordx2 v[34:35], v[42:43] offset:256
	flat_load_dwordx2 v[32:33], v[44:45] offset:256
	s_and_saveexec_b64 s[28:29], s[2:3]
	s_cbranch_execz .LBB252_20
; %bb.26:                               ;   in Loop: Header=BB252_23 Depth=1
	flat_load_dwordx2 v[52:53], v[30:31] offset:512
	flat_load_dwordx2 v[50:51], v[40:41] offset:512
	flat_load_dwordx2 v[48:49], v[42:43] offset:512
	flat_load_dwordx2 v[46:47], v[44:45] offset:512
	;; [unrolled: 7-line block ×3, first 2 shown]
	s_waitcnt vmcnt(0) lgkmcnt(0)
	v_fmac_f64_e32 v[8:9], v[20:21], v[62:63]
	v_fmac_f64_e32 v[8:9], v[18:19], v[64:65]
	;; [unrolled: 1-line block ×4, first 2 shown]
	s_branch .LBB252_19
.LBB252_28:
	s_or_b64 exec, exec, s[24:25]
.LBB252_29:
	s_or_b64 exec, exec, s[22:23]
	s_sub_i32 s0, s17, s37
	s_cmp_lt_i32 s0, 1
	s_cbranch_scc1 .LBB252_47
; %bb.30:
	v_mov_b64_e32 v[10:11], 0
	v_cmp_gt_i32_e32 vcc, s17, v56
	v_or_b32_e32 v20, 1, v56
	v_mov_b64_e32 v[16:17], v[10:11]
	v_mov_b64_e32 v[14:15], v[10:11]
	;; [unrolled: 1-line block ×3, first 2 shown]
	s_and_saveexec_b64 s[2:3], vcc
	s_cbranch_execz .LBB252_38
; %bb.31:
	s_waitcnt lgkmcnt(0)
	v_mul_lo_u32 v10, v56, s36
	v_ashrrev_i32_e32 v11, 31, v10
	v_lshl_add_u64 v[10:11], v[10:11], 3, s[20:21]
	flat_load_dwordx2 v[12:13], v[10:11]
	v_mov_b64_e32 v[14:15], 0
	v_cmp_gt_i32_e64 s[0:1], s17, v20
	v_mov_b64_e32 v[16:17], v[14:15]
	v_mov_b64_e32 v[10:11], v[14:15]
	s_and_saveexec_b64 s[4:5], s[0:1]
	s_cbranch_execz .LBB252_37
; %bb.32:
	v_mul_lo_u32 v10, v20, s36
	v_ashrrev_i32_e32 v11, 31, v10
	v_lshl_add_u64 v[10:11], v[10:11], 3, s[20:21]
	flat_load_dwordx2 v[14:15], v[10:11]
	v_or_b32_e32 v18, 2, v56
	v_mov_b64_e32 v[16:17], 0
	v_cmp_gt_i32_e64 s[0:1], s17, v18
	v_mov_b64_e32 v[10:11], v[16:17]
	s_and_saveexec_b64 s[6:7], s[0:1]
	s_cbranch_execz .LBB252_36
; %bb.33:
	v_mul_lo_u32 v10, v18, s36
	v_ashrrev_i32_e32 v11, 31, v10
	v_lshl_add_u64 v[10:11], v[10:11], 3, s[20:21]
	flat_load_dwordx2 v[16:17], v[10:11]
	v_or_b32_e32 v18, 3, v56
	v_cmp_gt_i32_e64 s[0:1], s17, v18
	v_mov_b64_e32 v[10:11], 0
	s_and_saveexec_b64 s[22:23], s[0:1]
	s_cbranch_execz .LBB252_35
; %bb.34:
	v_mul_lo_u32 v10, v18, s36
	v_ashrrev_i32_e32 v11, 31, v10
	v_lshl_add_u64 v[10:11], v[10:11], 3, s[20:21]
	flat_load_dwordx2 v[10:11], v[10:11]
.LBB252_35:
	s_or_b64 exec, exec, s[22:23]
.LBB252_36:
	s_or_b64 exec, exec, s[6:7]
.LBB252_37:
	s_or_b64 exec, exec, s[4:5]
.LBB252_38:
	s_or_b64 exec, exec, s[2:3]
	v_cmp_gt_i32_e64 s[0:1], s16, v55
	s_and_saveexec_b64 s[2:3], s[0:1]
	s_cbranch_execz .LBB252_46
; %bb.39:
	s_waitcnt lgkmcnt(0)
	v_mul_lo_u32 v18, v56, s35
	v_cndmask_b32_e32 v18, 0, v18, vcc
	v_mul_lo_u32 v21, v20, s35
	v_cmp_gt_i32_e32 vcc, s17, v20
	v_add_u32_e32 v18, v18, v55
	v_ashrrev_i32_e32 v19, 31, v18
	v_cndmask_b32_e32 v20, 0, v21, vcc
	v_add_u32_e32 v20, v20, v55
	v_ashrrev_i32_e32 v21, 31, v20
	v_lshl_add_u64 v[22:23], v[20:21], 3, s[18:19]
	v_or_b32_e32 v20, 2, v56
	v_mul_lo_u32 v21, v20, s35
	v_cmp_gt_i32_e32 vcc, s17, v20
	v_lshl_add_u64 v[18:19], v[18:19], 3, s[18:19]
	v_add_u32_e32 v34, 32, v55
	v_cndmask_b32_e32 v20, 0, v21, vcc
	v_add_u32_e32 v20, v20, v55
	v_ashrrev_i32_e32 v21, 31, v20
	v_lshl_add_u64 v[24:25], v[20:21], 3, s[18:19]
	v_or_b32_e32 v20, 3, v56
	v_mul_lo_u32 v21, v20, s35
	v_cmp_gt_i32_e32 vcc, s17, v20
	flat_load_dwordx2 v[28:29], v[18:19]
	flat_load_dwordx2 v[30:31], v[22:23]
	flat_load_dwordx2 v[32:33], v[24:25]
	v_cndmask_b32_e32 v20, 0, v21, vcc
	v_add_u32_e32 v20, v20, v55
	v_ashrrev_i32_e32 v21, 31, v20
	v_lshl_add_u64 v[26:27], v[20:21], 3, s[18:19]
	flat_load_dwordx2 v[20:21], v[26:27]
	v_cmp_gt_i32_e32 vcc, s16, v34
	s_waitcnt vmcnt(0) lgkmcnt(0)
	v_fmac_f64_e32 v[0:1], v[12:13], v[28:29]
	v_fmac_f64_e32 v[0:1], v[14:15], v[30:31]
	;; [unrolled: 1-line block ×3, first 2 shown]
	s_and_saveexec_b64 s[0:1], vcc
	s_cbranch_execz .LBB252_45
; %bb.40:
	flat_load_dwordx2 v[30:31], v[18:19] offset:256
	flat_load_dwordx2 v[32:33], v[22:23] offset:256
	;; [unrolled: 1-line block ×4, first 2 shown]
	v_add_u32_e32 v36, 64, v55
	v_cmp_gt_i32_e32 vcc, s16, v36
	s_waitcnt vmcnt(0) lgkmcnt(0)
	v_fmac_f64_e32 v[4:5], v[12:13], v[30:31]
	v_fmac_f64_e32 v[4:5], v[14:15], v[32:33]
	;; [unrolled: 1-line block ×3, first 2 shown]
	s_and_saveexec_b64 s[4:5], vcc
	s_cbranch_execz .LBB252_44
; %bb.41:
	flat_load_dwordx2 v[32:33], v[18:19] offset:512
	flat_load_dwordx2 v[34:35], v[22:23] offset:512
	;; [unrolled: 1-line block ×4, first 2 shown]
	v_add_u32_e32 v38, 0x60, v55
	v_cmp_gt_i32_e32 vcc, s16, v38
	s_waitcnt vmcnt(0) lgkmcnt(0)
	v_fmac_f64_e32 v[6:7], v[12:13], v[32:33]
	v_fmac_f64_e32 v[6:7], v[14:15], v[34:35]
	;; [unrolled: 1-line block ×3, first 2 shown]
	s_and_saveexec_b64 s[6:7], vcc
	s_cbranch_execz .LBB252_43
; %bb.42:
	flat_load_dwordx2 v[32:33], v[18:19] offset:768
	flat_load_dwordx2 v[34:35], v[22:23] offset:768
	;; [unrolled: 1-line block ×4, first 2 shown]
	s_waitcnt vmcnt(0) lgkmcnt(0)
	v_fmac_f64_e32 v[8:9], v[12:13], v[32:33]
	v_fmac_f64_e32 v[8:9], v[14:15], v[34:35]
	;; [unrolled: 1-line block ×4, first 2 shown]
.LBB252_43:
	s_or_b64 exec, exec, s[6:7]
	v_fmac_f64_e32 v[6:7], v[10:11], v[30:31]
.LBB252_44:
	s_or_b64 exec, exec, s[4:5]
	v_fmac_f64_e32 v[4:5], v[10:11], v[28:29]
.LBB252_45:
	s_or_b64 exec, exec, s[0:1]
	v_fmac_f64_e32 v[0:1], v[10:11], v[20:21]
.LBB252_46:
	s_or_b64 exec, exec, s[2:3]
.LBB252_47:
	v_lshlrev_b32_e32 v3, 7, v3
	s_movk_i32 s0, 0x80
	v_add_lshl_u32 v2, v3, v2, 3
	v_cmp_gt_u32_e32 vcc, s0, v54
	ds_write2_b64 v2, v[0:1], v[4:5] offset1:32
	ds_write2_b64 v2, v[6:7], v[8:9] offset0:64 offset1:96
	s_waitcnt lgkmcnt(0)
	s_barrier
	s_waitcnt lgkmcnt(0)
                                        ; implicit-def: $vgpr0_vgpr1
                                        ; implicit-def: $vgpr4_vgpr5
	s_and_saveexec_b64 s[0:1], vcc
	s_cbranch_execz .LBB252_53
; %bb.48:
	v_lshlrev_b32_e32 v20, 3, v54
	ds_read2st64_b64 v[0:3], v20 offset1:2
	ds_read2st64_b64 v[4:7], v20 offset0:4 offset1:6
	s_waitcnt vmcnt(0)
	ds_read2st64_b64 v[8:11], v20 offset0:8 offset1:10
	ds_read2st64_b64 v[12:15], v20 offset0:12 offset1:14
	;; [unrolled: 1-line block ×3, first 2 shown]
	s_waitcnt lgkmcnt(4)
	v_add_f64 v[0:1], v[0:1], v[2:3]
	s_waitcnt lgkmcnt(3)
	v_add_f64 v[0:1], v[4:5], v[0:1]
	v_add_f64 v[0:1], v[6:7], v[0:1]
	s_waitcnt lgkmcnt(2)
	v_add_f64 v[0:1], v[8:9], v[0:1]
	;; [unrolled: 3-line block ×3, first 2 shown]
	v_add_f64 v[4:5], v[14:15], v[0:1]
	ds_read2st64_b64 v[0:3], v20 offset0:20 offset1:22
	s_waitcnt lgkmcnt(1)
	v_add_f64 v[8:9], v[16:17], v[4:5]
	ds_read2st64_b64 v[4:7], v20 offset0:24 offset1:26
	v_add_f64 v[12:13], v[18:19], v[8:9]
	ds_read2st64_b64 v[8:11], v20 offset0:28 offset1:30
	s_waitcnt lgkmcnt(2)
	v_add_f64 v[0:1], v[0:1], v[12:13]
	v_add_f64 v[0:1], v[2:3], v[0:1]
	s_waitcnt lgkmcnt(1)
	v_add_f64 v[0:1], v[4:5], v[0:1]
	v_add_f64 v[0:1], v[6:7], v[0:1]
	s_waitcnt lgkmcnt(0)
	v_add_f64 v[0:1], v[8:9], v[0:1]
	v_or_b32_e32 v6, s34, v54
	v_add_f64 v[2:3], v[10:11], v[0:1]
	v_cmp_gt_i32_e32 vcc, s16, v6
	s_mov_b64 s[4:5], s[14:15]
	ds_write_b64 v20, v[2:3]
                                        ; implicit-def: $vgpr0_vgpr1
                                        ; implicit-def: $vgpr4_vgpr5
	s_and_saveexec_b64 s[2:3], vcc
	s_cbranch_execz .LBB252_52
; %bb.49:
	v_cmp_eq_f64_e64 s[4:5], s[8:9], 0
	v_mul_lo_u32 v4, v6, s33
	v_mul_f64 v[0:1], v[2:3], s[10:11]
	v_ashrrev_i32_e32 v5, 31, v4
	s_and_b64 vcc, exec, s[4:5]
	s_cbranch_vccnz .LBB252_51
; %bb.50:
	v_lshl_add_u64 v[2:3], v[4:5], 3, s[12:13]
	global_load_dwordx2 v[2:3], v[2:3], off
	s_waitcnt vmcnt(0)
	v_fmac_f64_e32 v[0:1], s[8:9], v[2:3]
.LBB252_51:
	s_or_b64 s[4:5], s[14:15], exec
.LBB252_52:
	s_or_b64 exec, exec, s[2:3]
	s_andn2_b64 s[2:3], s[14:15], exec
	s_and_b64 s[4:5], s[4:5], exec
	s_or_b64 s[14:15], s[2:3], s[4:5]
.LBB252_53:
	s_or_b64 exec, exec, s[0:1]
.LBB252_54:
	s_and_saveexec_b64 s[0:1], s[14:15]
	s_cbranch_execz .LBB252_56
; %bb.55:
	v_lshl_add_u64 v[2:3], v[4:5], 3, s[12:13]
	global_store_dwordx2 v[2:3], v[0:1], off
.LBB252_56:
	s_endpgm
	.section	.rodata,"a",@progbits
	.p2align	6, 0x0
	.amdhsa_kernel _ZL20rocblas_gemvn_kernelILi32ELi16EiPKddKPdEviiT3_lPKT2_lT1_lS7_lS8_lS4_lPT4_lS8_li
		.amdhsa_group_segment_fixed_size 16384
		.amdhsa_private_segment_fixed_size 0
		.amdhsa_kernarg_size 400
		.amdhsa_user_sgpr_count 2
		.amdhsa_user_sgpr_dispatch_ptr 0
		.amdhsa_user_sgpr_queue_ptr 0
		.amdhsa_user_sgpr_kernarg_segment_ptr 1
		.amdhsa_user_sgpr_dispatch_id 0
		.amdhsa_user_sgpr_kernarg_preload_length 0
		.amdhsa_user_sgpr_kernarg_preload_offset 0
		.amdhsa_user_sgpr_private_segment_size 0
		.amdhsa_uses_dynamic_stack 0
		.amdhsa_enable_private_segment 0
		.amdhsa_system_sgpr_workgroup_id_x 1
		.amdhsa_system_sgpr_workgroup_id_y 0
		.amdhsa_system_sgpr_workgroup_id_z 1
		.amdhsa_system_sgpr_workgroup_info 0
		.amdhsa_system_vgpr_workitem_id 1
		.amdhsa_next_free_vgpr 70
		.amdhsa_next_free_sgpr 41
		.amdhsa_accum_offset 72
		.amdhsa_reserve_vcc 1
		.amdhsa_float_round_mode_32 0
		.amdhsa_float_round_mode_16_64 0
		.amdhsa_float_denorm_mode_32 3
		.amdhsa_float_denorm_mode_16_64 3
		.amdhsa_dx10_clamp 1
		.amdhsa_ieee_mode 1
		.amdhsa_fp16_overflow 0
		.amdhsa_tg_split 0
		.amdhsa_exception_fp_ieee_invalid_op 0
		.amdhsa_exception_fp_denorm_src 0
		.amdhsa_exception_fp_ieee_div_zero 0
		.amdhsa_exception_fp_ieee_overflow 0
		.amdhsa_exception_fp_ieee_underflow 0
		.amdhsa_exception_fp_ieee_inexact 0
		.amdhsa_exception_int_div_zero 0
	.end_amdhsa_kernel
	.section	.text._ZL20rocblas_gemvn_kernelILi32ELi16EiPKddKPdEviiT3_lPKT2_lT1_lS7_lS8_lS4_lPT4_lS8_li,"axG",@progbits,_ZL20rocblas_gemvn_kernelILi32ELi16EiPKddKPdEviiT3_lPKT2_lT1_lS7_lS8_lS4_lPT4_lS8_li,comdat
.Lfunc_end252:
	.size	_ZL20rocblas_gemvn_kernelILi32ELi16EiPKddKPdEviiT3_lPKT2_lT1_lS7_lS8_lS4_lPT4_lS8_li, .Lfunc_end252-_ZL20rocblas_gemvn_kernelILi32ELi16EiPKddKPdEviiT3_lPKT2_lT1_lS7_lS8_lS4_lPT4_lS8_li
                                        ; -- End function
	.section	.AMDGPU.csdata,"",@progbits
; Kernel info:
; codeLenInByte = 2360
; NumSgprs: 47
; NumVgprs: 70
; NumAgprs: 0
; TotalNumVgprs: 70
; ScratchSize: 0
; MemoryBound: 0
; FloatMode: 240
; IeeeMode: 1
; LDSByteSize: 16384 bytes/workgroup (compile time only)
; SGPRBlocks: 5
; VGPRBlocks: 8
; NumSGPRsForWavesPerEU: 47
; NumVGPRsForWavesPerEU: 70
; AccumOffset: 72
; Occupancy: 7
; WaveLimiterHint : 1
; COMPUTE_PGM_RSRC2:SCRATCH_EN: 0
; COMPUTE_PGM_RSRC2:USER_SGPR: 2
; COMPUTE_PGM_RSRC2:TRAP_HANDLER: 0
; COMPUTE_PGM_RSRC2:TGID_X_EN: 1
; COMPUTE_PGM_RSRC2:TGID_Y_EN: 0
; COMPUTE_PGM_RSRC2:TGID_Z_EN: 1
; COMPUTE_PGM_RSRC2:TIDIG_COMP_CNT: 1
; COMPUTE_PGM_RSRC3_GFX90A:ACCUM_OFFSET: 17
; COMPUTE_PGM_RSRC3_GFX90A:TG_SPLIT: 0
	.section	.text._ZL20rocblas_gemvn_kernelILi32ELi16ElPKddKPdEviiT3_lPKT2_lT1_lS7_lS8_lS4_lPT4_lS8_li,"axG",@progbits,_ZL20rocblas_gemvn_kernelILi32ELi16ElPKddKPdEviiT3_lPKT2_lT1_lS7_lS8_lS4_lPT4_lS8_li,comdat
	.globl	_ZL20rocblas_gemvn_kernelILi32ELi16ElPKddKPdEviiT3_lPKT2_lT1_lS7_lS8_lS4_lPT4_lS8_li ; -- Begin function _ZL20rocblas_gemvn_kernelILi32ELi16ElPKddKPdEviiT3_lPKT2_lT1_lS7_lS8_lS4_lPT4_lS8_li
	.p2align	8
	.type	_ZL20rocblas_gemvn_kernelILi32ELi16ElPKddKPdEviiT3_lPKT2_lT1_lS7_lS8_lS4_lPT4_lS8_li,@function
_ZL20rocblas_gemvn_kernelILi32ELi16ElPKddKPdEviiT3_lPKT2_lT1_lS7_lS8_lS4_lPT4_lS8_li: ; @_ZL20rocblas_gemvn_kernelILi32ELi16ElPKddKPdEviiT3_lPKT2_lT1_lS7_lS8_lS4_lPT4_lS8_li
; %bb.0:
	s_load_dwordx2 s[4:5], s[0:1], 0x9c
	s_mov_b32 s12, s3
	s_waitcnt lgkmcnt(0)
	s_and_b32 s3, s5, 0xffff
	s_lshr_b32 s5, s4, 16
	s_and_b32 s4, s4, 0xffff
	s_mul_i32 s4, s5, s4
	s_mul_i32 s4, s4, s3
	s_cmpk_lg_i32 s4, 0x200
	s_cbranch_scc1 .LBB253_56
; %bb.1:
	s_load_dwordx2 s[10:11], s[0:1], 0x8
	s_load_dwordx2 s[8:9], s[0:1], 0x58
	s_waitcnt lgkmcnt(0)
	v_cmp_eq_f64_e64 s[28:29], s[10:11], 0
	v_cmp_eq_f64_e64 s[4:5], s[8:9], 1.0
	s_and_b64 s[4:5], s[28:29], s[4:5]
	s_and_b64 vcc, exec, s[4:5]
	s_cbranch_vccnz .LBB253_56
; %bb.2:
	s_load_dwordx4 s[4:7], s[0:1], 0x18
	s_load_dwordx2 s[20:21], s[0:1], 0x28
	v_cmp_neq_f64_e64 s[16:17], s[10:11], 0
	s_mov_b64 s[14:15], 0
	s_and_b64 vcc, exec, s[16:17]
	s_cbranch_vccnz .LBB253_4
; %bb.3:
	s_mov_b32 s13, 0
	s_mov_b64 s[22:23], 0
	s_andn2_b64 vcc, exec, s[14:15]
	s_cbranch_vccz .LBB253_5
	s_branch .LBB253_6
.LBB253_4:
                                        ; implicit-def: $sgpr22_sgpr23
.LBB253_5:
	s_mov_b32 s13, 0
	s_lshl_b64 s[14:15], s[12:13], 3
	s_waitcnt lgkmcnt(0)
	s_add_u32 s4, s4, s14
	s_addc_u32 s5, s5, s15
	s_load_dwordx2 s[4:5], s[4:5], 0x0
	s_lshl_b64 s[6:7], s[6:7], 3
	s_waitcnt lgkmcnt(0)
	s_add_u32 s22, s4, s6
	s_addc_u32 s23, s5, s7
.LBB253_6:
	s_waitcnt lgkmcnt(0)
	s_load_dwordx4 s[4:7], s[0:1], 0x38
	s_load_dwordx2 s[24:25], s[0:1], 0x48
	s_mov_b64 s[14:15], 0
	s_andn2_b64 vcc, exec, s[16:17]
	s_mov_b64 s[26:27], 0
	s_cbranch_vccnz .LBB253_8
; %bb.7:
	s_lshl_b64 s[16:17], s[12:13], 3
	s_waitcnt lgkmcnt(0)
	s_add_u32 s4, s4, s16
	s_addc_u32 s5, s5, s17
	s_load_dwordx2 s[4:5], s[4:5], 0x0
	s_lshl_b64 s[6:7], s[6:7], 3
	s_waitcnt lgkmcnt(0)
	s_add_u32 s26, s4, s6
	s_addc_u32 s27, s5, s7
.LBB253_8:
	s_waitcnt lgkmcnt(0)
	s_load_dwordx4 s[4:7], s[0:1], 0x68
	s_load_dwordx2 s[18:19], s[0:1], 0x0
	s_load_dwordx2 s[16:17], s[0:1], 0x78
	s_lshl_b64 s[0:1], s[12:13], 3
	v_and_b32_e32 v69, 0x3ff, v0
	s_waitcnt lgkmcnt(0)
	s_add_u32 s0, s4, s0
	s_addc_u32 s1, s5, s1
	s_load_dwordx2 s[0:1], s[0:1], 0x0
	s_lshl_b64 s[4:5], s[6:7], 3
	v_bfe_u32 v70, v0, 10, 10
	v_lshl_add_u32 v68, v70, 5, v69
	s_waitcnt lgkmcnt(0)
	s_add_u32 s12, s0, s4
	s_addc_u32 s13, s1, s5
	s_andn2_b64 vcc, exec, s[28:29]
	s_cbranch_vccnz .LBB253_15
; %bb.9:
	s_movk_i32 s0, 0x80
	v_cmp_gt_u32_e32 vcc, s0, v68
	s_mov_b64 s[0:1], 0
                                        ; implicit-def: $vgpr0_vgpr1
                                        ; implicit-def: $vgpr2_vgpr3
	s_and_saveexec_b64 s[4:5], vcc
	s_cbranch_execz .LBB253_16
; %bb.10:
	v_lshl_or_b32 v4, s2, 7, v68
	v_mov_b32_e32 v5, 0
	s_ashr_i32 s7, s18, 31
	s_mov_b32 s6, s18
	v_cmp_gt_i64_e32 vcc, s[6:7], v[4:5]
                                        ; implicit-def: $vgpr0_vgpr1
                                        ; implicit-def: $vgpr2_vgpr3
	s_and_saveexec_b64 s[6:7], vcc
	s_cbranch_execz .LBB253_14
; %bb.11:
	v_mad_u64_u32 v[2:3], s[28:29], v4, s16, 0
	v_mov_b32_e32 v6, v3
	v_cmp_eq_f64_e64 s[14:15], s[8:9], 0
	v_mad_u64_u32 v[4:5], s[28:29], v4, s17, v[6:7]
	v_mov_b64_e32 v[0:1], 0
	v_mov_b32_e32 v3, v4
	s_and_b64 vcc, exec, s[14:15]
	s_cbranch_vccnz .LBB253_13
; %bb.12:
	v_lshl_add_u64 v[0:1], v[2:3], 3, s[12:13]
	global_load_dwordx2 v[0:1], v[0:1], off
	s_waitcnt vmcnt(0)
	v_mul_f64 v[0:1], v[0:1], s[8:9]
.LBB253_13:
	s_mov_b64 s[14:15], exec
.LBB253_14:
	s_or_b64 exec, exec, s[6:7]
	s_and_b64 s[14:15], s[14:15], exec
	s_or_b64 exec, exec, s[4:5]
	s_and_b64 vcc, exec, s[0:1]
	s_cbranch_vccnz .LBB253_17
	s_branch .LBB253_54
.LBB253_15:
                                        ; implicit-def: $vgpr0_vgpr1
                                        ; implicit-def: $vgpr2_vgpr3
	s_cbranch_execnz .LBB253_17
	s_branch .LBB253_54
.LBB253_16:
	s_or_b64 exec, exec, s[4:5]
	s_and_b64 vcc, exec, s[0:1]
	s_cbranch_vccz .LBB253_54
.LBB253_17:
	s_ashr_i32 s0, s19, 31
	s_lshr_b32 s0, s0, 26
	s_add_i32 s46, s19, s0
	s_lshl_b32 s33, s2, 7
	s_andn2_b32 s46, s46, 63
	v_lshlrev_b32_e32 v71, 2, v70
	v_mov_b64_e32 v[0:1], 0
	v_add_u32_e32 v2, s33, v69
	v_cmp_gt_i32_e32 vcc, s46, v71
	v_mov_b64_e32 v[4:5], v[0:1]
	v_mov_b64_e32 v[6:7], v[0:1]
	;; [unrolled: 1-line block ×3, first 2 shown]
	s_and_saveexec_b64 s[28:29], vcc
	s_cbranch_execz .LBB253_29
; %bb.18:
	v_ashrrev_i32_e32 v3, 31, v2
	v_add_u32_e32 v0, 32, v2
	v_cmp_gt_i32_e64 s[0:1], s18, v0
	v_add_u32_e32 v0, 64, v2
	v_lshlrev_b64 v[10:11], 3, v[2:3]
	v_lshlrev_b32_e32 v3, 2, v70
	v_cmp_gt_i32_e64 s[2:3], s18, v0
	v_add_u32_e32 v0, 0x60, v2
	v_or_b32_e32 v6, 3, v3
	v_cmp_gt_i32_e64 s[4:5], s18, v0
	v_mad_u64_u32 v[0:1], s[6:7], s20, v6, 0
	v_mov_b32_e32 v4, v1
	v_mad_u64_u32 v[4:5], s[6:7], s21, v6, v[4:5]
	v_mov_b32_e32 v1, v4
	v_lshl_add_u64 v[12:13], v[0:1], 3, s[22:23]
	v_mad_u64_u32 v[0:1], s[6:7], s24, v70, 0
	v_mov_b32_e32 v4, v1
	v_mad_u64_u32 v[4:5], s[6:7], s25, v70, v[4:5]
	v_mov_b32_e32 v1, v4
	v_lshlrev_b64 v[14:15], 5, v[0:1]
	v_mad_u64_u32 v[0:1], s[6:7], s20, v70, 0
	v_mov_b32_e32 v4, v1
	v_mad_u64_u32 v[4:5], s[6:7], s21, v70, v[4:5]
	v_mov_b32_e32 v1, v4
	v_lshlrev_b64 v[0:1], 5, v[0:1]
	v_lshl_add_u64 v[16:17], s[22:23], 0, v[0:1]
	v_mov_b64_e32 v[0:1], s[24:25]
	v_mad_u64_u32 v[0:1], s[6:7], s24, v3, v[0:1]
	v_mov_b32_e32 v4, v1
	v_mad_u64_u32 v[4:5], s[6:7], s25, v3, v[4:5]
	v_mov_b32_e32 v1, v4
	v_lshlrev_b64 v[18:19], 3, v[0:1]
	v_mad_u64_u32 v[0:1], s[6:7], s24, v6, 0
	v_mov_b32_e32 v4, v1
	v_mad_u64_u32 v[4:5], s[6:7], s25, v6, v[4:5]
	v_mov_b32_e32 v1, v4
	v_or_b32_e32 v6, 2, v3
	v_lshlrev_b64 v[20:21], 3, v[0:1]
	v_mad_u64_u32 v[0:1], s[6:7], s20, v6, 0
	v_mov_b32_e32 v4, v1
	v_mad_u64_u32 v[4:5], s[6:7], s21, v6, v[4:5]
	v_mov_b32_e32 v1, v4
	v_lshl_add_u64 v[22:23], v[0:1], 3, s[22:23]
	v_mov_b64_e32 v[0:1], s[20:21]
	v_mad_u64_u32 v[0:1], s[6:7], s20, v3, v[0:1]
	v_mov_b32_e32 v4, v1
	v_mad_u64_u32 v[4:5], s[6:7], s21, v3, v[4:5]
	v_mov_b32_e32 v1, v4
	v_lshl_add_u64 v[24:25], v[0:1], 3, s[22:23]
	v_mad_u64_u32 v[0:1], s[6:7], s24, v6, 0
	v_mov_b32_e32 v4, v1
	v_mad_u64_u32 v[4:5], s[6:7], s25, v6, v[4:5]
	v_mov_b32_e32 v1, v4
	v_lshlrev_b64 v[26:27], 3, v[0:1]
	v_mov_b64_e32 v[0:1], 0
	v_cmp_gt_i32_e32 vcc, s18, v2
	s_lshl_b64 s[30:31], s[20:21], 9
	s_lshl_b64 s[34:35], s[24:25], 9
	s_mov_b64 s[36:37], 0
	s_mov_b64 s[38:39], s[26:27]
	v_mov_b64_e32 v[4:5], v[0:1]
	v_mov_b64_e32 v[6:7], v[0:1]
	;; [unrolled: 1-line block ×3, first 2 shown]
	s_branch .LBB253_23
.LBB253_19:                             ;   in Loop: Header=BB253_23 Depth=1
	s_or_b64 exec, exec, s[44:45]
	s_waitcnt vmcnt(0) lgkmcnt(0)
	v_fmac_f64_e32 v[6:7], v[34:35], v[66:67]
	v_fmac_f64_e32 v[6:7], v[32:33], v[64:65]
	;; [unrolled: 1-line block ×4, first 2 shown]
.LBB253_20:                             ;   in Loop: Header=BB253_23 Depth=1
	s_or_b64 exec, exec, s[42:43]
	s_waitcnt vmcnt(0) lgkmcnt(0)
	v_fmac_f64_e32 v[4:5], v[34:35], v[50:51]
	v_fmac_f64_e32 v[4:5], v[32:33], v[48:49]
	;; [unrolled: 1-line block ×4, first 2 shown]
.LBB253_21:                             ;   in Loop: Header=BB253_23 Depth=1
	s_or_b64 exec, exec, s[40:41]
	s_waitcnt vmcnt(0) lgkmcnt(0)
	v_fmac_f64_e32 v[0:1], v[34:35], v[36:37]
	v_fmac_f64_e32 v[0:1], v[32:33], v[38:39]
	;; [unrolled: 1-line block ×4, first 2 shown]
.LBB253_22:                             ;   in Loop: Header=BB253_23 Depth=1
	s_or_b64 exec, exec, s[6:7]
	v_add_u32_e32 v71, 64, v71
	s_add_u32 s38, s38, s34
	s_addc_u32 s39, s39, s35
	v_cmp_le_i32_e64 s[6:7], s46, v71
	v_lshl_add_u64 v[12:13], v[12:13], 0, s[30:31]
	v_lshl_add_u64 v[16:17], v[16:17], 0, s[30:31]
	;; [unrolled: 1-line block ×3, first 2 shown]
	s_or_b64 s[36:37], s[6:7], s[36:37]
	v_lshl_add_u64 v[24:25], v[24:25], 0, s[30:31]
	s_andn2_b64 exec, exec, s[36:37]
	s_cbranch_execz .LBB253_28
.LBB253_23:                             ; =>This Inner Loop Header: Depth=1
	s_and_saveexec_b64 s[6:7], vcc
	s_cbranch_execz .LBB253_22
; %bb.24:                               ;   in Loop: Header=BB253_23 Depth=1
	v_lshl_add_u64 v[36:37], s[38:39], 0, v[14:15]
	v_lshl_add_u64 v[38:39], s[38:39], 0, v[18:19]
	;; [unrolled: 1-line block ×4, first 2 shown]
	flat_load_dwordx2 v[34:35], v[36:37]
	flat_load_dwordx2 v[32:33], v[38:39]
	;; [unrolled: 1-line block ×4, first 2 shown]
	v_lshl_add_u64 v[52:53], v[16:17], 0, v[10:11]
	v_lshl_add_u64 v[54:55], v[24:25], 0, v[10:11]
	;; [unrolled: 1-line block ×4, first 2 shown]
	flat_load_dwordx2 v[36:37], v[52:53]
	flat_load_dwordx2 v[38:39], v[54:55]
	;; [unrolled: 1-line block ×4, first 2 shown]
	s_and_saveexec_b64 s[40:41], s[0:1]
	s_cbranch_execz .LBB253_21
; %bb.25:                               ;   in Loop: Header=BB253_23 Depth=1
	flat_load_dwordx2 v[50:51], v[52:53] offset:256
	flat_load_dwordx2 v[48:49], v[54:55] offset:256
	flat_load_dwordx2 v[46:47], v[56:57] offset:256
	flat_load_dwordx2 v[44:45], v[58:59] offset:256
	s_and_saveexec_b64 s[42:43], s[2:3]
	s_cbranch_execz .LBB253_20
; %bb.26:                               ;   in Loop: Header=BB253_23 Depth=1
	flat_load_dwordx2 v[66:67], v[52:53] offset:512
	flat_load_dwordx2 v[64:65], v[54:55] offset:512
	flat_load_dwordx2 v[62:63], v[56:57] offset:512
	flat_load_dwordx2 v[60:61], v[58:59] offset:512
	;; [unrolled: 7-line block ×3, first 2 shown]
	s_waitcnt vmcnt(0) lgkmcnt(0)
	v_fmac_f64_e32 v[8:9], v[34:35], v[72:73]
	v_fmac_f64_e32 v[8:9], v[32:33], v[74:75]
	;; [unrolled: 1-line block ×4, first 2 shown]
	s_branch .LBB253_19
.LBB253_28:
	s_or_b64 exec, exec, s[36:37]
.LBB253_29:
	s_or_b64 exec, exec, s[28:29]
	s_sub_i32 s0, s19, s46
	s_cmp_lt_i32 s0, 1
	s_cbranch_scc1 .LBB253_47
; %bb.30:
	v_mov_b64_e32 v[12:13], 0
	v_cmp_gt_i32_e32 vcc, s19, v71
	v_or_b32_e32 v20, 1, v71
	v_mov_b64_e32 v[16:17], v[12:13]
	v_mov_b64_e32 v[14:15], v[12:13]
	;; [unrolled: 1-line block ×3, first 2 shown]
	s_and_saveexec_b64 s[2:3], vcc
	s_cbranch_execz .LBB253_38
; %bb.31:
	v_mad_u64_u32 v[10:11], s[0:1], v71, s24, 0
	v_mov_b32_e32 v12, v11
	v_mad_u64_u32 v[12:13], s[0:1], v71, s25, v[12:13]
	v_mov_b32_e32 v11, v12
	v_lshl_add_u64 v[10:11], v[10:11], 3, s[26:27]
	flat_load_dwordx2 v[10:11], v[10:11]
	v_mov_b64_e32 v[14:15], 0
	v_cmp_gt_i32_e64 s[0:1], s19, v20
	v_mov_b64_e32 v[16:17], v[14:15]
	v_mov_b64_e32 v[12:13], v[14:15]
	s_and_saveexec_b64 s[4:5], s[0:1]
	s_cbranch_execz .LBB253_37
; %bb.32:
	v_mad_u64_u32 v[12:13], s[0:1], v20, s24, 0
	v_mov_b32_e32 v14, v13
	v_mad_u64_u32 v[14:15], s[0:1], v20, s25, v[14:15]
	v_mov_b32_e32 v13, v14
	v_lshl_add_u64 v[12:13], v[12:13], 3, s[26:27]
	flat_load_dwordx2 v[14:15], v[12:13]
	v_or_b32_e32 v3, 2, v71
	v_mov_b64_e32 v[16:17], 0
	v_cmp_gt_i32_e64 s[0:1], s19, v3
	v_mov_b64_e32 v[12:13], v[16:17]
	s_and_saveexec_b64 s[6:7], s[0:1]
	s_cbranch_execz .LBB253_36
; %bb.33:
	v_mad_u64_u32 v[12:13], s[0:1], v3, s24, 0
	v_mov_b32_e32 v16, v13
	v_mad_u64_u32 v[16:17], s[0:1], v3, s25, v[16:17]
	v_mov_b32_e32 v13, v16
	v_lshl_add_u64 v[12:13], v[12:13], 3, s[26:27]
	flat_load_dwordx2 v[16:17], v[12:13]
	v_or_b32_e32 v3, 3, v71
	v_cmp_gt_i32_e64 s[0:1], s19, v3
	v_mov_b64_e32 v[12:13], 0
	s_and_saveexec_b64 s[28:29], s[0:1]
	s_cbranch_execz .LBB253_35
; %bb.34:
	v_mad_u64_u32 v[12:13], s[0:1], v3, s24, 0
	v_mov_b32_e32 v18, v13
	v_mad_u64_u32 v[18:19], s[0:1], v3, s25, v[18:19]
	v_mov_b32_e32 v13, v18
	v_lshl_add_u64 v[12:13], v[12:13], 3, s[26:27]
	flat_load_dwordx2 v[12:13], v[12:13]
.LBB253_35:
	s_or_b64 exec, exec, s[28:29]
.LBB253_36:
	s_or_b64 exec, exec, s[6:7]
.LBB253_37:
	s_or_b64 exec, exec, s[4:5]
.LBB253_38:
	s_or_b64 exec, exec, s[2:3]
	v_cmp_gt_i32_e64 s[0:1], s18, v2
	s_and_saveexec_b64 s[2:3], s[0:1]
	s_cbranch_execz .LBB253_46
; %bb.39:
	v_mad_u64_u32 v[18:19], s[0:1], v71, s20, 0
	v_mov_b32_e32 v22, v19
	v_ashrrev_i32_e32 v3, 31, v2
	v_mad_u64_u32 v[22:23], s[0:1], v71, s21, v[22:23]
	v_mad_u64_u32 v[24:25], s[0:1], v20, s20, 0
	v_cndmask_b32_e32 v18, 0, v18, vcc
	v_cndmask_b32_e32 v19, 0, v22, vcc
	v_lshlrev_b64 v[22:23], 3, v[2:3]
	v_mov_b32_e32 v26, v25
	v_cmp_gt_i32_e32 vcc, s19, v20
	v_or_b32_e32 v3, 2, v71
	v_mad_u64_u32 v[26:27], s[0:1], v20, s21, v[26:27]
	v_cndmask_b32_e32 v20, 0, v24, vcc
	v_mad_u64_u32 v[24:25], s[0:1], v3, s20, 0
	v_cndmask_b32_e32 v21, 0, v26, vcc
	v_mov_b32_e32 v26, v25
	v_mad_u64_u32 v[26:27], s[0:1], v3, s21, v[26:27]
	v_cmp_gt_i32_e32 vcc, s19, v3
	v_or_b32_e32 v3, 3, v71
	v_lshl_add_u64 v[18:19], v[18:19], 3, s[22:23]
	v_cndmask_b32_e32 v25, 0, v26, vcc
	v_mad_u64_u32 v[26:27], s[0:1], v3, s20, 0
	v_mov_b32_e32 v28, v27
	v_cndmask_b32_e32 v24, 0, v24, vcc
	v_mad_u64_u32 v[28:29], s[0:1], v3, s21, v[28:29]
	v_cmp_gt_i32_e32 vcc, s19, v3
	v_lshl_add_u64 v[18:19], v[18:19], 0, v[22:23]
	v_lshl_add_u64 v[20:21], v[20:21], 3, s[22:23]
	v_cndmask_b32_e32 v26, 0, v26, vcc
	v_cndmask_b32_e32 v27, 0, v28, vcc
	v_lshl_add_u64 v[24:25], v[24:25], 3, s[22:23]
	v_lshl_add_u64 v[26:27], v[26:27], 3, s[22:23]
	;; [unrolled: 1-line block ×4, first 2 shown]
	flat_load_dwordx2 v[28:29], v[18:19]
	flat_load_dwordx2 v[30:31], v[20:21]
	;; [unrolled: 1-line block ×3, first 2 shown]
	v_lshl_add_u64 v[26:27], v[26:27], 0, v[22:23]
	flat_load_dwordx2 v[22:23], v[26:27]
	v_add_u32_e32 v3, 32, v2
	v_cmp_gt_i32_e32 vcc, s18, v3
	s_waitcnt vmcnt(0) lgkmcnt(0)
	v_fmac_f64_e32 v[0:1], v[10:11], v[28:29]
	v_fmac_f64_e32 v[0:1], v[14:15], v[30:31]
	v_fmac_f64_e32 v[0:1], v[16:17], v[32:33]
	s_and_saveexec_b64 s[0:1], vcc
	s_cbranch_execz .LBB253_45
; %bb.40:
	flat_load_dwordx2 v[30:31], v[18:19] offset:256
	flat_load_dwordx2 v[32:33], v[20:21] offset:256
	flat_load_dwordx2 v[34:35], v[24:25] offset:256
	flat_load_dwordx2 v[28:29], v[26:27] offset:256
	v_add_u32_e32 v3, 64, v2
	v_cmp_gt_i32_e32 vcc, s18, v3
	s_waitcnt vmcnt(0) lgkmcnt(0)
	v_fmac_f64_e32 v[4:5], v[10:11], v[30:31]
	v_fmac_f64_e32 v[4:5], v[14:15], v[32:33]
	v_fmac_f64_e32 v[4:5], v[16:17], v[34:35]
	s_and_saveexec_b64 s[4:5], vcc
	s_cbranch_execz .LBB253_44
; %bb.41:
	flat_load_dwordx2 v[32:33], v[18:19] offset:512
	flat_load_dwordx2 v[34:35], v[20:21] offset:512
	flat_load_dwordx2 v[36:37], v[24:25] offset:512
	flat_load_dwordx2 v[30:31], v[26:27] offset:512
	;; [unrolled: 13-line block ×3, first 2 shown]
	s_waitcnt vmcnt(0) lgkmcnt(0)
	v_fmac_f64_e32 v[8:9], v[10:11], v[2:3]
	v_fmac_f64_e32 v[8:9], v[14:15], v[32:33]
	v_fmac_f64_e32 v[8:9], v[16:17], v[34:35]
	v_fmac_f64_e32 v[8:9], v[12:13], v[36:37]
.LBB253_43:
	s_or_b64 exec, exec, s[6:7]
	v_fmac_f64_e32 v[6:7], v[12:13], v[30:31]
.LBB253_44:
	s_or_b64 exec, exec, s[4:5]
	v_fmac_f64_e32 v[4:5], v[12:13], v[28:29]
.LBB253_45:
	s_or_b64 exec, exec, s[0:1]
	v_fmac_f64_e32 v[0:1], v[12:13], v[22:23]
.LBB253_46:
	s_or_b64 exec, exec, s[2:3]
.LBB253_47:
	v_lshlrev_b32_e32 v2, 7, v70
	s_movk_i32 s0, 0x80
	v_add_lshl_u32 v2, v2, v69, 3
	v_cmp_gt_u32_e32 vcc, s0, v68
	ds_write2_b64 v2, v[0:1], v[4:5] offset1:32
	ds_write2_b64 v2, v[6:7], v[8:9] offset0:64 offset1:96
	s_waitcnt lgkmcnt(0)
	s_barrier
	s_waitcnt lgkmcnt(0)
                                        ; implicit-def: $vgpr0_vgpr1
                                        ; implicit-def: $vgpr2_vgpr3
	s_and_saveexec_b64 s[0:1], vcc
	s_cbranch_execz .LBB253_53
; %bb.48:
	v_lshlrev_b32_e32 v20, 3, v68
	ds_read2st64_b64 v[0:3], v20 offset1:2
	ds_read2st64_b64 v[4:7], v20 offset0:4 offset1:6
	s_waitcnt vmcnt(0)
	ds_read2st64_b64 v[8:11], v20 offset0:8 offset1:10
	ds_read2st64_b64 v[12:15], v20 offset0:12 offset1:14
	;; [unrolled: 1-line block ×3, first 2 shown]
	s_waitcnt lgkmcnt(4)
	v_add_f64 v[0:1], v[0:1], v[2:3]
	s_waitcnt lgkmcnt(3)
	v_add_f64 v[0:1], v[4:5], v[0:1]
	v_add_f64 v[0:1], v[6:7], v[0:1]
	s_waitcnt lgkmcnt(2)
	v_add_f64 v[0:1], v[8:9], v[0:1]
	;; [unrolled: 3-line block ×3, first 2 shown]
	v_add_f64 v[4:5], v[14:15], v[0:1]
	ds_read2st64_b64 v[0:3], v20 offset0:20 offset1:22
	s_waitcnt lgkmcnt(1)
	v_add_f64 v[8:9], v[16:17], v[4:5]
	ds_read2st64_b64 v[4:7], v20 offset0:24 offset1:26
	v_add_f64 v[12:13], v[18:19], v[8:9]
	ds_read2st64_b64 v[8:11], v20 offset0:28 offset1:30
	s_waitcnt lgkmcnt(2)
	v_add_f64 v[0:1], v[0:1], v[12:13]
	v_add_f64 v[0:1], v[2:3], v[0:1]
	s_waitcnt lgkmcnt(1)
	v_add_f64 v[0:1], v[4:5], v[0:1]
	v_add_f64 v[0:1], v[6:7], v[0:1]
	s_waitcnt lgkmcnt(0)
	v_add_f64 v[0:1], v[8:9], v[0:1]
	v_or_b32_e32 v6, s33, v68
	v_add_f64 v[4:5], v[10:11], v[0:1]
	v_cmp_gt_i32_e32 vcc, s18, v6
	s_mov_b64 s[4:5], s[14:15]
	ds_write_b64 v20, v[4:5]
                                        ; implicit-def: $vgpr0_vgpr1
                                        ; implicit-def: $vgpr2_vgpr3
	s_and_saveexec_b64 s[2:3], vcc
	s_cbranch_execz .LBB253_52
; %bb.49:
	v_ashrrev_i32_e32 v2, 31, v6
	v_cmp_eq_f64_e64 s[4:5], s[8:9], 0
	v_mul_f64 v[0:1], v[4:5], s[10:11]
	v_mul_lo_u32 v4, v6, s17
	v_mul_lo_u32 v5, v2, s16
	v_mad_u64_u32 v[2:3], s[6:7], v6, s16, 0
	v_add3_u32 v3, v3, v4, v5
	s_and_b64 vcc, exec, s[4:5]
	s_cbranch_vccnz .LBB253_51
; %bb.50:
	v_lshl_add_u64 v[4:5], v[2:3], 3, s[12:13]
	global_load_dwordx2 v[4:5], v[4:5], off
	s_waitcnt vmcnt(0)
	v_fmac_f64_e32 v[0:1], s[8:9], v[4:5]
.LBB253_51:
	s_or_b64 s[4:5], s[14:15], exec
.LBB253_52:
	s_or_b64 exec, exec, s[2:3]
	s_andn2_b64 s[2:3], s[14:15], exec
	s_and_b64 s[4:5], s[4:5], exec
	s_or_b64 s[14:15], s[2:3], s[4:5]
.LBB253_53:
	s_or_b64 exec, exec, s[0:1]
.LBB253_54:
	s_and_saveexec_b64 s[0:1], s[14:15]
	s_cbranch_execz .LBB253_56
; %bb.55:
	v_lshl_add_u64 v[2:3], v[2:3], 3, s[12:13]
	global_store_dwordx2 v[2:3], v[0:1], off
.LBB253_56:
	s_endpgm
	.section	.rodata,"a",@progbits
	.p2align	6, 0x0
	.amdhsa_kernel _ZL20rocblas_gemvn_kernelILi32ELi16ElPKddKPdEviiT3_lPKT2_lT1_lS7_lS8_lS4_lPT4_lS8_li
		.amdhsa_group_segment_fixed_size 16384
		.amdhsa_private_segment_fixed_size 0
		.amdhsa_kernarg_size 400
		.amdhsa_user_sgpr_count 2
		.amdhsa_user_sgpr_dispatch_ptr 0
		.amdhsa_user_sgpr_queue_ptr 0
		.amdhsa_user_sgpr_kernarg_segment_ptr 1
		.amdhsa_user_sgpr_dispatch_id 0
		.amdhsa_user_sgpr_kernarg_preload_length 0
		.amdhsa_user_sgpr_kernarg_preload_offset 0
		.amdhsa_user_sgpr_private_segment_size 0
		.amdhsa_uses_dynamic_stack 0
		.amdhsa_enable_private_segment 0
		.amdhsa_system_sgpr_workgroup_id_x 1
		.amdhsa_system_sgpr_workgroup_id_y 0
		.amdhsa_system_sgpr_workgroup_id_z 1
		.amdhsa_system_sgpr_workgroup_info 0
		.amdhsa_system_vgpr_workitem_id 1
		.amdhsa_next_free_vgpr 80
		.amdhsa_next_free_sgpr 47
		.amdhsa_accum_offset 80
		.amdhsa_reserve_vcc 1
		.amdhsa_float_round_mode_32 0
		.amdhsa_float_round_mode_16_64 0
		.amdhsa_float_denorm_mode_32 3
		.amdhsa_float_denorm_mode_16_64 3
		.amdhsa_dx10_clamp 1
		.amdhsa_ieee_mode 1
		.amdhsa_fp16_overflow 0
		.amdhsa_tg_split 0
		.amdhsa_exception_fp_ieee_invalid_op 0
		.amdhsa_exception_fp_denorm_src 0
		.amdhsa_exception_fp_ieee_div_zero 0
		.amdhsa_exception_fp_ieee_overflow 0
		.amdhsa_exception_fp_ieee_underflow 0
		.amdhsa_exception_fp_ieee_inexact 0
		.amdhsa_exception_int_div_zero 0
	.end_amdhsa_kernel
	.section	.text._ZL20rocblas_gemvn_kernelILi32ELi16ElPKddKPdEviiT3_lPKT2_lT1_lS7_lS8_lS4_lPT4_lS8_li,"axG",@progbits,_ZL20rocblas_gemvn_kernelILi32ELi16ElPKddKPdEviiT3_lPKT2_lT1_lS7_lS8_lS4_lPT4_lS8_li,comdat
.Lfunc_end253:
	.size	_ZL20rocblas_gemvn_kernelILi32ELi16ElPKddKPdEviiT3_lPKT2_lT1_lS7_lS8_lS4_lPT4_lS8_li, .Lfunc_end253-_ZL20rocblas_gemvn_kernelILi32ELi16ElPKddKPdEviiT3_lPKT2_lT1_lS7_lS8_lS4_lPT4_lS8_li
                                        ; -- End function
	.section	.AMDGPU.csdata,"",@progbits
; Kernel info:
; codeLenInByte = 2652
; NumSgprs: 53
; NumVgprs: 80
; NumAgprs: 0
; TotalNumVgprs: 80
; ScratchSize: 0
; MemoryBound: 1
; FloatMode: 240
; IeeeMode: 1
; LDSByteSize: 16384 bytes/workgroup (compile time only)
; SGPRBlocks: 6
; VGPRBlocks: 9
; NumSGPRsForWavesPerEU: 53
; NumVGPRsForWavesPerEU: 80
; AccumOffset: 80
; Occupancy: 6
; WaveLimiterHint : 1
; COMPUTE_PGM_RSRC2:SCRATCH_EN: 0
; COMPUTE_PGM_RSRC2:USER_SGPR: 2
; COMPUTE_PGM_RSRC2:TRAP_HANDLER: 0
; COMPUTE_PGM_RSRC2:TGID_X_EN: 1
; COMPUTE_PGM_RSRC2:TGID_Y_EN: 0
; COMPUTE_PGM_RSRC2:TGID_Z_EN: 1
; COMPUTE_PGM_RSRC2:TIDIG_COMP_CNT: 1
; COMPUTE_PGM_RSRC3_GFX90A:ACCUM_OFFSET: 19
; COMPUTE_PGM_RSRC3_GFX90A:TG_SPLIT: 0
	.section	.text._ZL20rocblas_gemvn_kernelILi64ELi16EiPKdS1_KPdEviiT3_lPKT2_lT1_lS7_lS8_lS4_lPT4_lS8_li,"axG",@progbits,_ZL20rocblas_gemvn_kernelILi64ELi16EiPKdS1_KPdEviiT3_lPKT2_lT1_lS7_lS8_lS4_lPT4_lS8_li,comdat
	.globl	_ZL20rocblas_gemvn_kernelILi64ELi16EiPKdS1_KPdEviiT3_lPKT2_lT1_lS7_lS8_lS4_lPT4_lS8_li ; -- Begin function _ZL20rocblas_gemvn_kernelILi64ELi16EiPKdS1_KPdEviiT3_lPKT2_lT1_lS7_lS8_lS4_lPT4_lS8_li
	.p2align	8
	.type	_ZL20rocblas_gemvn_kernelILi64ELi16EiPKdS1_KPdEviiT3_lPKT2_lT1_lS7_lS8_lS4_lPT4_lS8_li,@function
_ZL20rocblas_gemvn_kernelILi64ELi16EiPKdS1_KPdEviiT3_lPKT2_lT1_lS7_lS8_lS4_lPT4_lS8_li: ; @_ZL20rocblas_gemvn_kernelILi64ELi16EiPKdS1_KPdEviiT3_lPKT2_lT1_lS7_lS8_lS4_lPT4_lS8_li
; %bb.0:
	s_load_dwordx2 s[4:5], s[0:1], 0x9c
	s_mov_b32 s24, s3
	s_waitcnt lgkmcnt(0)
	s_and_b32 s3, s5, 0xffff
	s_lshr_b32 s5, s4, 16
	s_and_b32 s4, s4, 0xffff
	s_mul_i32 s4, s5, s4
	s_mul_i32 s4, s4, s3
	s_cmpk_lg_i32 s4, 0x400
	s_cbranch_scc1 .LBB254_54
; %bb.1:
	s_load_dwordx8 s[12:19], s[0:1], 0x8
	s_load_dwordx8 s[4:11], s[0:1], 0x58
	s_waitcnt lgkmcnt(0)
	s_mul_i32 s3, s24, s15
	s_mul_hi_u32 s15, s24, s14
	s_mul_i32 s14, s24, s14
	s_add_i32 s15, s15, s3
	s_lshl_b64 s[14:15], s[14:15], 3
	s_mul_i32 s7, s24, s7
	s_add_u32 s12, s12, s14
	s_mul_hi_u32 s3, s24, s6
	s_addc_u32 s13, s13, s15
	s_add_i32 s7, s3, s7
	s_mul_i32 s6, s24, s6
	s_lshl_b64 s[6:7], s[6:7], 3
	s_add_u32 s4, s4, s6
	s_addc_u32 s5, s5, s7
	s_load_dwordx2 s[14:15], s[12:13], 0x0
	s_nop 0
	s_load_dwordx2 s[12:13], s[4:5], 0x0
	s_waitcnt lgkmcnt(0)
	v_cmp_eq_f64_e64 s[4:5], s[14:15], 0
	v_cmp_eq_f64_e64 s[6:7], s[12:13], 1.0
	s_and_b64 s[6:7], s[4:5], s[6:7]
	s_and_b64 vcc, exec, s[6:7]
	s_cbranch_vccnz .LBB254_54
; %bb.2:
	s_mov_b32 s25, 0
	s_mov_b64 s[22:23], 0
	v_cmp_neq_f64_e64 s[6:7], s[14:15], 0
	s_and_b64 vcc, exec, s[4:5]
	s_mov_b64 s[20:21], 0
	s_cbranch_vccnz .LBB254_4
; %bb.3:
	s_lshl_b64 s[20:21], s[24:25], 3
	s_add_u32 s16, s16, s20
	s_addc_u32 s17, s17, s21
	s_load_dwordx2 s[16:17], s[16:17], 0x0
	s_lshl_b64 s[18:19], s[18:19], 3
	s_waitcnt lgkmcnt(0)
	s_add_u32 s20, s16, s18
	s_addc_u32 s21, s17, s19
.LBB254_4:
	s_andn2_b64 vcc, exec, s[6:7]
	s_cbranch_vccnz .LBB254_6
; %bb.5:
	s_load_dwordx4 s[16:19], s[0:1], 0x38
	s_lshl_b64 s[6:7], s[24:25], 3
	s_waitcnt lgkmcnt(0)
	s_add_u32 s6, s16, s6
	s_addc_u32 s7, s17, s7
	s_load_dwordx2 s[6:7], s[6:7], 0x0
	s_lshl_b64 s[16:17], s[18:19], 3
	s_waitcnt lgkmcnt(0)
	s_add_u32 s22, s6, s16
	s_addc_u32 s23, s7, s17
.LBB254_6:
	s_lshl_b64 s[6:7], s[24:25], 3
	s_add_u32 s6, s8, s6
	s_addc_u32 s7, s9, s7
	s_load_dwordx2 s[8:9], s[6:7], 0x0
	s_load_dwordx2 s[16:17], s[0:1], 0x0
	s_load_dword s33, s[0:1], 0x78
	s_lshl_b64 s[6:7], s[10:11], 3
	v_and_b32_e32 v2, 0x3ff, v0
	s_waitcnt lgkmcnt(0)
	s_add_u32 s8, s8, s6
	v_bfe_u32 v3, v0, 10, 10
	s_addc_u32 s9, s9, s7
	s_andn2_b64 vcc, exec, s[4:5]
	v_lshl_add_u32 v54, v3, 6, v2
	s_cbranch_vccnz .LBB254_13
; %bb.7:
	s_movk_i32 s3, 0x100
	v_cmp_gt_u32_e32 vcc, s3, v54
	s_mov_b64 s[4:5], 0
	s_mov_b64 s[10:11], 0
                                        ; implicit-def: $vgpr0_vgpr1
                                        ; implicit-def: $vgpr4_vgpr5
	s_and_saveexec_b64 s[6:7], vcc
	s_cbranch_execz .LBB254_14
; %bb.8:
	v_lshl_or_b32 v6, s2, 8, v54
	v_mov_b32_e32 v7, 0
	s_ashr_i32 s11, s16, 31
	s_mov_b32 s10, s16
	v_cmp_gt_i64_e32 vcc, s[10:11], v[6:7]
	s_mov_b64 s[18:19], 0
                                        ; implicit-def: $vgpr0_vgpr1
                                        ; implicit-def: $vgpr4_vgpr5
	s_and_saveexec_b64 s[10:11], vcc
	s_cbranch_execz .LBB254_12
; %bb.9:
	v_mad_u64_u32 v[4:5], s[24:25], s33, v6, 0
	s_ashr_i32 s3, s33, 31
	v_mov_b32_e32 v8, v5
	v_cmp_eq_f64_e64 s[18:19], s[12:13], 0
	v_mad_u64_u32 v[6:7], s[24:25], s3, v6, v[8:9]
	v_mov_b64_e32 v[0:1], 0
	v_mov_b32_e32 v5, v6
	s_and_b64 vcc, exec, s[18:19]
	s_cbranch_vccnz .LBB254_11
; %bb.10:
	v_lshl_add_u64 v[0:1], v[4:5], 3, s[8:9]
	global_load_dwordx2 v[0:1], v[0:1], off
	s_waitcnt vmcnt(0)
	v_mul_f64 v[0:1], s[12:13], v[0:1]
.LBB254_11:
	s_mov_b64 s[18:19], exec
.LBB254_12:
	s_or_b64 exec, exec, s[10:11]
	s_and_b64 s[10:11], s[18:19], exec
	s_or_b64 exec, exec, s[6:7]
	s_and_b64 vcc, exec, s[4:5]
	s_cbranch_vccnz .LBB254_15
	s_branch .LBB254_52
.LBB254_13:
	s_mov_b64 s[10:11], 0
                                        ; implicit-def: $vgpr0_vgpr1
                                        ; implicit-def: $vgpr4_vgpr5
	s_cbranch_execnz .LBB254_15
	s_branch .LBB254_52
.LBB254_14:
	s_or_b64 exec, exec, s[6:7]
	s_and_b64 vcc, exec, s[4:5]
	s_cbranch_vccz .LBB254_52
.LBB254_15:
	s_load_dword s35, s[0:1], 0x28
	s_load_dword s36, s[0:1], 0x48
	s_ashr_i32 s0, s17, 31
	s_lshr_b32 s0, s0, 26
	s_add_i32 s37, s17, s0
	s_lshl_b32 s34, s2, 8
	s_andn2_b32 s37, s37, 63
	v_lshlrev_b32_e32 v56, 2, v3
	v_mov_b64_e32 v[0:1], 0
	v_add_u32_e32 v55, s34, v2
	v_cmp_gt_i32_e32 vcc, s37, v56
	v_mov_b64_e32 v[4:5], v[0:1]
	v_mov_b64_e32 v[6:7], v[0:1]
	;; [unrolled: 1-line block ×3, first 2 shown]
	s_and_saveexec_b64 s[18:19], vcc
	s_cbranch_execz .LBB254_27
; %bb.16:
	v_add_u32_e32 v0, 64, v55
	v_cmp_gt_i32_e64 s[0:1], s16, v0
	v_add_u32_e32 v0, 0x80, v55
	v_cmp_gt_i32_e64 s[2:3], s16, v0
	;; [unrolled: 2-line block ×3, first 2 shown]
	s_waitcnt lgkmcnt(0)
	v_mul_lo_u32 v0, s35, v56
	v_add3_u32 v57, v0, s35, v2
	v_add_u32_e32 v0, 2, v56
	v_mad_u64_u32 v[10:11], s[6:7], s35, v0, v[2:3]
	v_add_u32_e32 v1, 3, v56
	v_mul_lo_u32 v4, v3, s35
	v_mul_lo_u32 v58, s36, v0
	;; [unrolled: 1-line block ×3, first 2 shown]
	v_mad_u64_u32 v[12:13], s[6:7], s35, v1, v[2:3]
	v_lshl_add_u32 v11, v4, 2, v2
	v_mul_lo_u32 v4, s36, v56
	v_mul_lo_u32 v59, s36, v1
	v_lshlrev_b32_e32 v60, 2, v0
	v_mov_b64_e32 v[0:1], 0
	v_cmp_gt_i32_e32 vcc, s16, v55
	s_lshl_b32 s38, s35, 6
	v_add_u32_e32 v13, s36, v4
	s_lshl_b32 s39, s36, 6
	s_mov_b64 s[24:25], 0
	s_mov_b32 s40, 0
	v_mov_b64_e32 v[4:5], v[0:1]
	v_mov_b64_e32 v[6:7], v[0:1]
	v_mov_b64_e32 v[8:9], v[0:1]
	s_branch .LBB254_21
.LBB254_17:                             ;   in Loop: Header=BB254_21 Depth=1
	s_or_b64 exec, exec, s[30:31]
	s_waitcnt vmcnt(0) lgkmcnt(0)
	v_fmac_f64_e32 v[6:7], v[20:21], v[52:53]
	v_fmac_f64_e32 v[6:7], v[18:19], v[50:51]
	v_fmac_f64_e32 v[6:7], v[16:17], v[48:49]
	v_fmac_f64_e32 v[6:7], v[14:15], v[46:47]
.LBB254_18:                             ;   in Loop: Header=BB254_21 Depth=1
	s_or_b64 exec, exec, s[28:29]
	s_waitcnt vmcnt(0) lgkmcnt(0)
	v_fmac_f64_e32 v[4:5], v[20:21], v[36:37]
	v_fmac_f64_e32 v[4:5], v[18:19], v[34:35]
	;; [unrolled: 1-line block ×4, first 2 shown]
.LBB254_19:                             ;   in Loop: Header=BB254_21 Depth=1
	s_or_b64 exec, exec, s[26:27]
	s_waitcnt vmcnt(0) lgkmcnt(0)
	v_fmac_f64_e32 v[0:1], v[20:21], v[28:29]
	v_fmac_f64_e32 v[0:1], v[18:19], v[26:27]
	;; [unrolled: 1-line block ×4, first 2 shown]
.LBB254_20:                             ;   in Loop: Header=BB254_21 Depth=1
	s_or_b64 exec, exec, s[6:7]
	v_add_u32_e32 v56, 64, v56
	s_add_i32 s40, s40, s39
	v_cmp_le_i32_e64 s[6:7], s37, v56
	v_add_u32_e32 v57, s38, v57
	v_add_u32_e32 v10, s38, v10
	v_add_u32_e32 v12, s38, v12
	s_or_b64 s[24:25], s[6:7], s[24:25]
	v_add_u32_e32 v11, s38, v11
	s_andn2_b64 exec, exec, s[24:25]
	s_cbranch_execz .LBB254_26
.LBB254_21:                             ; =>This Inner Loop Header: Depth=1
	s_and_saveexec_b64 s[6:7], vcc
	s_cbranch_execz .LBB254_20
; %bb.22:                               ;   in Loop: Header=BB254_21 Depth=1
	v_add_u32_e32 v14, s40, v60
	v_ashrrev_i32_e32 v15, 31, v14
	v_lshl_add_u64 v[22:23], v[14:15], 3, s[22:23]
	v_add_u32_e32 v14, s40, v13
	v_ashrrev_i32_e32 v15, 31, v14
	v_lshl_add_u64 v[24:25], v[14:15], 3, s[22:23]
	;; [unrolled: 3-line block ×4, first 2 shown]
	flat_load_dwordx2 v[20:21], v[22:23]
	flat_load_dwordx2 v[18:19], v[24:25]
	;; [unrolled: 1-line block ×4, first 2 shown]
	v_add_u32_e32 v22, s34, v11
	v_ashrrev_i32_e32 v23, 31, v22
	v_lshl_add_u64 v[38:39], v[22:23], 3, s[20:21]
	v_add_u32_e32 v22, s34, v57
	v_ashrrev_i32_e32 v23, 31, v22
	v_lshl_add_u64 v[40:41], v[22:23], 3, s[20:21]
	;; [unrolled: 3-line block ×4, first 2 shown]
	flat_load_dwordx2 v[28:29], v[38:39]
	flat_load_dwordx2 v[26:27], v[40:41]
	;; [unrolled: 1-line block ×4, first 2 shown]
	s_and_saveexec_b64 s[26:27], s[0:1]
	s_cbranch_execz .LBB254_19
; %bb.23:                               ;   in Loop: Header=BB254_21 Depth=1
	flat_load_dwordx2 v[36:37], v[38:39] offset:512
	flat_load_dwordx2 v[34:35], v[40:41] offset:512
	;; [unrolled: 1-line block ×4, first 2 shown]
	s_and_saveexec_b64 s[28:29], s[2:3]
	s_cbranch_execz .LBB254_18
; %bb.24:                               ;   in Loop: Header=BB254_21 Depth=1
	flat_load_dwordx2 v[52:53], v[38:39] offset:1024
	flat_load_dwordx2 v[50:51], v[40:41] offset:1024
	;; [unrolled: 1-line block ×4, first 2 shown]
	s_and_saveexec_b64 s[30:31], s[4:5]
	s_cbranch_execz .LBB254_17
; %bb.25:                               ;   in Loop: Header=BB254_21 Depth=1
	flat_load_dwordx2 v[38:39], v[38:39] offset:1536
	s_nop 0
	flat_load_dwordx2 v[40:41], v[40:41] offset:1536
	s_nop 0
	;; [unrolled: 2-line block ×3, first 2 shown]
	flat_load_dwordx2 v[44:45], v[44:45] offset:1536
	s_waitcnt vmcnt(0) lgkmcnt(0)
	v_fmac_f64_e32 v[8:9], v[20:21], v[38:39]
	v_fmac_f64_e32 v[8:9], v[18:19], v[40:41]
	;; [unrolled: 1-line block ×4, first 2 shown]
	s_branch .LBB254_17
.LBB254_26:
	s_or_b64 exec, exec, s[24:25]
.LBB254_27:
	s_or_b64 exec, exec, s[18:19]
	s_sub_i32 s0, s17, s37
	s_cmp_lt_i32 s0, 1
	s_cbranch_scc1 .LBB254_45
; %bb.28:
	v_mov_b64_e32 v[10:11], 0
	v_cmp_gt_i32_e32 vcc, s17, v56
	v_or_b32_e32 v20, 1, v56
	v_mov_b64_e32 v[16:17], v[10:11]
	v_mov_b64_e32 v[14:15], v[10:11]
	;; [unrolled: 1-line block ×3, first 2 shown]
	s_and_saveexec_b64 s[2:3], vcc
	s_cbranch_execz .LBB254_36
; %bb.29:
	s_waitcnt lgkmcnt(0)
	v_mul_lo_u32 v10, v56, s36
	v_ashrrev_i32_e32 v11, 31, v10
	v_lshl_add_u64 v[10:11], v[10:11], 3, s[22:23]
	flat_load_dwordx2 v[12:13], v[10:11]
	v_mov_b64_e32 v[14:15], 0
	v_cmp_gt_i32_e64 s[0:1], s17, v20
	v_mov_b64_e32 v[16:17], v[14:15]
	v_mov_b64_e32 v[10:11], v[14:15]
	s_and_saveexec_b64 s[4:5], s[0:1]
	s_cbranch_execz .LBB254_35
; %bb.30:
	v_mul_lo_u32 v10, v20, s36
	v_ashrrev_i32_e32 v11, 31, v10
	v_lshl_add_u64 v[10:11], v[10:11], 3, s[22:23]
	flat_load_dwordx2 v[14:15], v[10:11]
	v_or_b32_e32 v18, 2, v56
	v_mov_b64_e32 v[16:17], 0
	v_cmp_gt_i32_e64 s[0:1], s17, v18
	v_mov_b64_e32 v[10:11], v[16:17]
	s_and_saveexec_b64 s[6:7], s[0:1]
	s_cbranch_execz .LBB254_34
; %bb.31:
	v_mul_lo_u32 v10, v18, s36
	v_ashrrev_i32_e32 v11, 31, v10
	v_lshl_add_u64 v[10:11], v[10:11], 3, s[22:23]
	flat_load_dwordx2 v[16:17], v[10:11]
	v_or_b32_e32 v18, 3, v56
	v_cmp_gt_i32_e64 s[0:1], s17, v18
	v_mov_b64_e32 v[10:11], 0
	s_and_saveexec_b64 s[18:19], s[0:1]
	s_cbranch_execz .LBB254_33
; %bb.32:
	v_mul_lo_u32 v10, v18, s36
	v_ashrrev_i32_e32 v11, 31, v10
	v_lshl_add_u64 v[10:11], v[10:11], 3, s[22:23]
	flat_load_dwordx2 v[10:11], v[10:11]
.LBB254_33:
	s_or_b64 exec, exec, s[18:19]
.LBB254_34:
	s_or_b64 exec, exec, s[6:7]
.LBB254_35:
	s_or_b64 exec, exec, s[4:5]
.LBB254_36:
	s_or_b64 exec, exec, s[2:3]
	v_cmp_gt_i32_e64 s[0:1], s16, v55
	s_and_saveexec_b64 s[2:3], s[0:1]
	s_cbranch_execz .LBB254_44
; %bb.37:
	s_waitcnt lgkmcnt(0)
	v_mul_lo_u32 v18, v56, s35
	v_cndmask_b32_e32 v18, 0, v18, vcc
	v_mul_lo_u32 v21, v20, s35
	v_cmp_gt_i32_e32 vcc, s17, v20
	v_add_u32_e32 v18, v18, v55
	v_ashrrev_i32_e32 v19, 31, v18
	v_cndmask_b32_e32 v20, 0, v21, vcc
	v_add_u32_e32 v20, v20, v55
	v_ashrrev_i32_e32 v21, 31, v20
	v_lshl_add_u64 v[22:23], v[20:21], 3, s[20:21]
	v_or_b32_e32 v20, 2, v56
	v_mul_lo_u32 v21, v20, s35
	v_cmp_gt_i32_e32 vcc, s17, v20
	v_lshl_add_u64 v[18:19], v[18:19], 3, s[20:21]
	v_add_u32_e32 v34, 64, v55
	v_cndmask_b32_e32 v20, 0, v21, vcc
	v_add_u32_e32 v20, v20, v55
	v_ashrrev_i32_e32 v21, 31, v20
	v_lshl_add_u64 v[24:25], v[20:21], 3, s[20:21]
	v_or_b32_e32 v20, 3, v56
	v_mul_lo_u32 v21, v20, s35
	v_cmp_gt_i32_e32 vcc, s17, v20
	flat_load_dwordx2 v[28:29], v[18:19]
	flat_load_dwordx2 v[30:31], v[22:23]
	;; [unrolled: 1-line block ×3, first 2 shown]
	v_cndmask_b32_e32 v20, 0, v21, vcc
	v_add_u32_e32 v20, v20, v55
	v_ashrrev_i32_e32 v21, 31, v20
	v_lshl_add_u64 v[26:27], v[20:21], 3, s[20:21]
	flat_load_dwordx2 v[20:21], v[26:27]
	v_cmp_gt_i32_e32 vcc, s16, v34
	s_waitcnt vmcnt(0) lgkmcnt(0)
	v_fmac_f64_e32 v[0:1], v[12:13], v[28:29]
	v_fmac_f64_e32 v[0:1], v[14:15], v[30:31]
	;; [unrolled: 1-line block ×3, first 2 shown]
	s_and_saveexec_b64 s[0:1], vcc
	s_cbranch_execz .LBB254_43
; %bb.38:
	flat_load_dwordx2 v[30:31], v[18:19] offset:512
	flat_load_dwordx2 v[32:33], v[22:23] offset:512
	;; [unrolled: 1-line block ×4, first 2 shown]
	v_add_u32_e32 v36, 0x80, v55
	v_cmp_gt_i32_e32 vcc, s16, v36
	s_waitcnt vmcnt(0) lgkmcnt(0)
	v_fmac_f64_e32 v[4:5], v[12:13], v[30:31]
	v_fmac_f64_e32 v[4:5], v[14:15], v[32:33]
	;; [unrolled: 1-line block ×3, first 2 shown]
	s_and_saveexec_b64 s[4:5], vcc
	s_cbranch_execz .LBB254_42
; %bb.39:
	flat_load_dwordx2 v[32:33], v[18:19] offset:1024
	flat_load_dwordx2 v[34:35], v[22:23] offset:1024
	;; [unrolled: 1-line block ×4, first 2 shown]
	v_add_u32_e32 v38, 0xc0, v55
	v_cmp_gt_i32_e32 vcc, s16, v38
	s_waitcnt vmcnt(0) lgkmcnt(0)
	v_fmac_f64_e32 v[6:7], v[12:13], v[32:33]
	v_fmac_f64_e32 v[6:7], v[14:15], v[34:35]
	;; [unrolled: 1-line block ×3, first 2 shown]
	s_and_saveexec_b64 s[6:7], vcc
	s_cbranch_execz .LBB254_41
; %bb.40:
	flat_load_dwordx2 v[32:33], v[18:19] offset:1536
	flat_load_dwordx2 v[34:35], v[22:23] offset:1536
	;; [unrolled: 1-line block ×4, first 2 shown]
	s_waitcnt vmcnt(0) lgkmcnt(0)
	v_fmac_f64_e32 v[8:9], v[12:13], v[32:33]
	v_fmac_f64_e32 v[8:9], v[14:15], v[34:35]
	;; [unrolled: 1-line block ×4, first 2 shown]
.LBB254_41:
	s_or_b64 exec, exec, s[6:7]
	v_fmac_f64_e32 v[6:7], v[10:11], v[30:31]
.LBB254_42:
	s_or_b64 exec, exec, s[4:5]
	v_fmac_f64_e32 v[4:5], v[10:11], v[28:29]
.LBB254_43:
	s_or_b64 exec, exec, s[0:1]
	v_fmac_f64_e32 v[0:1], v[10:11], v[20:21]
.LBB254_44:
	s_or_b64 exec, exec, s[2:3]
.LBB254_45:
	v_lshlrev_b32_e32 v3, 8, v3
	s_movk_i32 s0, 0x100
	v_add_lshl_u32 v2, v3, v2, 3
	v_cmp_gt_u32_e32 vcc, s0, v54
	ds_write2st64_b64 v2, v[0:1], v[4:5] offset1:1
	ds_write2st64_b64 v2, v[6:7], v[8:9] offset0:2 offset1:3
	s_waitcnt lgkmcnt(0)
	s_barrier
	s_waitcnt lgkmcnt(0)
                                        ; implicit-def: $vgpr0_vgpr1
                                        ; implicit-def: $vgpr4_vgpr5
	s_and_saveexec_b64 s[0:1], vcc
	s_cbranch_execz .LBB254_51
; %bb.46:
	v_lshlrev_b32_e32 v20, 3, v54
	ds_read2st64_b64 v[0:3], v20 offset1:4
	ds_read2st64_b64 v[4:7], v20 offset0:8 offset1:12
	s_waitcnt vmcnt(0)
	ds_read2st64_b64 v[8:11], v20 offset0:16 offset1:20
	ds_read2st64_b64 v[12:15], v20 offset0:24 offset1:28
	;; [unrolled: 1-line block ×3, first 2 shown]
	s_waitcnt lgkmcnt(4)
	v_add_f64 v[0:1], v[0:1], v[2:3]
	s_waitcnt lgkmcnt(3)
	v_add_f64 v[0:1], v[4:5], v[0:1]
	v_add_f64 v[0:1], v[6:7], v[0:1]
	s_waitcnt lgkmcnt(2)
	v_add_f64 v[0:1], v[8:9], v[0:1]
	v_add_f64 v[0:1], v[10:11], v[0:1]
	s_waitcnt lgkmcnt(1)
	v_add_f64 v[0:1], v[12:13], v[0:1]
	v_add_f64 v[4:5], v[14:15], v[0:1]
	ds_read2st64_b64 v[0:3], v20 offset0:40 offset1:44
	s_waitcnt lgkmcnt(1)
	v_add_f64 v[8:9], v[16:17], v[4:5]
	ds_read2st64_b64 v[4:7], v20 offset0:48 offset1:52
	v_add_f64 v[12:13], v[18:19], v[8:9]
	ds_read2st64_b64 v[8:11], v20 offset0:56 offset1:60
	s_waitcnt lgkmcnt(2)
	v_add_f64 v[0:1], v[0:1], v[12:13]
	v_add_f64 v[0:1], v[2:3], v[0:1]
	s_waitcnt lgkmcnt(1)
	v_add_f64 v[0:1], v[4:5], v[0:1]
	v_add_f64 v[0:1], v[6:7], v[0:1]
	s_waitcnt lgkmcnt(0)
	v_add_f64 v[0:1], v[8:9], v[0:1]
	v_or_b32_e32 v6, s34, v54
	v_add_f64 v[2:3], v[10:11], v[0:1]
	v_cmp_gt_i32_e32 vcc, s16, v6
	s_mov_b64 s[4:5], s[10:11]
	ds_write_b64 v20, v[2:3]
                                        ; implicit-def: $vgpr0_vgpr1
                                        ; implicit-def: $vgpr4_vgpr5
	s_and_saveexec_b64 s[2:3], vcc
	s_cbranch_execz .LBB254_50
; %bb.47:
	v_cmp_eq_f64_e64 s[4:5], s[12:13], 0
	v_mul_lo_u32 v4, v6, s33
	v_mul_f64 v[0:1], s[14:15], v[2:3]
	v_ashrrev_i32_e32 v5, 31, v4
	s_and_b64 vcc, exec, s[4:5]
	s_cbranch_vccnz .LBB254_49
; %bb.48:
	v_lshl_add_u64 v[2:3], v[4:5], 3, s[8:9]
	global_load_dwordx2 v[2:3], v[2:3], off
	s_waitcnt vmcnt(0)
	v_fmac_f64_e32 v[0:1], s[12:13], v[2:3]
.LBB254_49:
	s_or_b64 s[4:5], s[10:11], exec
.LBB254_50:
	s_or_b64 exec, exec, s[2:3]
	s_andn2_b64 s[2:3], s[10:11], exec
	s_and_b64 s[4:5], s[4:5], exec
	s_or_b64 s[10:11], s[2:3], s[4:5]
.LBB254_51:
	s_or_b64 exec, exec, s[0:1]
.LBB254_52:
	s_and_saveexec_b64 s[0:1], s[10:11]
	s_cbranch_execz .LBB254_54
; %bb.53:
	v_lshl_add_u64 v[2:3], v[4:5], 3, s[8:9]
	global_store_dwordx2 v[2:3], v[0:1], off
.LBB254_54:
	s_endpgm
	.section	.rodata,"a",@progbits
	.p2align	6, 0x0
	.amdhsa_kernel _ZL20rocblas_gemvn_kernelILi64ELi16EiPKdS1_KPdEviiT3_lPKT2_lT1_lS7_lS8_lS4_lPT4_lS8_li
		.amdhsa_group_segment_fixed_size 32768
		.amdhsa_private_segment_fixed_size 0
		.amdhsa_kernarg_size 400
		.amdhsa_user_sgpr_count 2
		.amdhsa_user_sgpr_dispatch_ptr 0
		.amdhsa_user_sgpr_queue_ptr 0
		.amdhsa_user_sgpr_kernarg_segment_ptr 1
		.amdhsa_user_sgpr_dispatch_id 0
		.amdhsa_user_sgpr_kernarg_preload_length 0
		.amdhsa_user_sgpr_kernarg_preload_offset 0
		.amdhsa_user_sgpr_private_segment_size 0
		.amdhsa_uses_dynamic_stack 0
		.amdhsa_enable_private_segment 0
		.amdhsa_system_sgpr_workgroup_id_x 1
		.amdhsa_system_sgpr_workgroup_id_y 0
		.amdhsa_system_sgpr_workgroup_id_z 1
		.amdhsa_system_sgpr_workgroup_info 0
		.amdhsa_system_vgpr_workitem_id 1
		.amdhsa_next_free_vgpr 61
		.amdhsa_next_free_sgpr 41
		.amdhsa_accum_offset 64
		.amdhsa_reserve_vcc 1
		.amdhsa_float_round_mode_32 0
		.amdhsa_float_round_mode_16_64 0
		.amdhsa_float_denorm_mode_32 3
		.amdhsa_float_denorm_mode_16_64 3
		.amdhsa_dx10_clamp 1
		.amdhsa_ieee_mode 1
		.amdhsa_fp16_overflow 0
		.amdhsa_tg_split 0
		.amdhsa_exception_fp_ieee_invalid_op 0
		.amdhsa_exception_fp_denorm_src 0
		.amdhsa_exception_fp_ieee_div_zero 0
		.amdhsa_exception_fp_ieee_overflow 0
		.amdhsa_exception_fp_ieee_underflow 0
		.amdhsa_exception_fp_ieee_inexact 0
		.amdhsa_exception_int_div_zero 0
	.end_amdhsa_kernel
	.section	.text._ZL20rocblas_gemvn_kernelILi64ELi16EiPKdS1_KPdEviiT3_lPKT2_lT1_lS7_lS8_lS4_lPT4_lS8_li,"axG",@progbits,_ZL20rocblas_gemvn_kernelILi64ELi16EiPKdS1_KPdEviiT3_lPKT2_lT1_lS7_lS8_lS4_lPT4_lS8_li,comdat
.Lfunc_end254:
	.size	_ZL20rocblas_gemvn_kernelILi64ELi16EiPKdS1_KPdEviiT3_lPKT2_lT1_lS7_lS8_lS4_lPT4_lS8_li, .Lfunc_end254-_ZL20rocblas_gemvn_kernelILi64ELi16EiPKdS1_KPdEviiT3_lPKT2_lT1_lS7_lS8_lS4_lPT4_lS8_li
                                        ; -- End function
	.section	.AMDGPU.csdata,"",@progbits
; Kernel info:
; codeLenInByte = 2420
; NumSgprs: 47
; NumVgprs: 61
; NumAgprs: 0
; TotalNumVgprs: 61
; ScratchSize: 0
; MemoryBound: 0
; FloatMode: 240
; IeeeMode: 1
; LDSByteSize: 32768 bytes/workgroup (compile time only)
; SGPRBlocks: 5
; VGPRBlocks: 7
; NumSGPRsForWavesPerEU: 47
; NumVGPRsForWavesPerEU: 61
; AccumOffset: 64
; Occupancy: 8
; WaveLimiterHint : 1
; COMPUTE_PGM_RSRC2:SCRATCH_EN: 0
; COMPUTE_PGM_RSRC2:USER_SGPR: 2
; COMPUTE_PGM_RSRC2:TRAP_HANDLER: 0
; COMPUTE_PGM_RSRC2:TGID_X_EN: 1
; COMPUTE_PGM_RSRC2:TGID_Y_EN: 0
; COMPUTE_PGM_RSRC2:TGID_Z_EN: 1
; COMPUTE_PGM_RSRC2:TIDIG_COMP_CNT: 1
; COMPUTE_PGM_RSRC3_GFX90A:ACCUM_OFFSET: 15
; COMPUTE_PGM_RSRC3_GFX90A:TG_SPLIT: 0
	.section	.text._ZL20rocblas_gemvn_kernelILi64ELi16ElPKdS1_KPdEviiT3_lPKT2_lT1_lS7_lS8_lS4_lPT4_lS8_li,"axG",@progbits,_ZL20rocblas_gemvn_kernelILi64ELi16ElPKdS1_KPdEviiT3_lPKT2_lT1_lS7_lS8_lS4_lPT4_lS8_li,comdat
	.globl	_ZL20rocblas_gemvn_kernelILi64ELi16ElPKdS1_KPdEviiT3_lPKT2_lT1_lS7_lS8_lS4_lPT4_lS8_li ; -- Begin function _ZL20rocblas_gemvn_kernelILi64ELi16ElPKdS1_KPdEviiT3_lPKT2_lT1_lS7_lS8_lS4_lPT4_lS8_li
	.p2align	8
	.type	_ZL20rocblas_gemvn_kernelILi64ELi16ElPKdS1_KPdEviiT3_lPKT2_lT1_lS7_lS8_lS4_lPT4_lS8_li,@function
_ZL20rocblas_gemvn_kernelILi64ELi16ElPKdS1_KPdEviiT3_lPKT2_lT1_lS7_lS8_lS4_lPT4_lS8_li: ; @_ZL20rocblas_gemvn_kernelILi64ELi16ElPKdS1_KPdEviiT3_lPKT2_lT1_lS7_lS8_lS4_lPT4_lS8_li
; %bb.0:
	s_load_dwordx2 s[4:5], s[0:1], 0x9c
	s_mov_b32 s28, s3
	s_waitcnt lgkmcnt(0)
	s_and_b32 s3, s5, 0xffff
	s_lshr_b32 s5, s4, 16
	s_and_b32 s4, s4, 0xffff
	s_mul_i32 s4, s5, s4
	s_mul_i32 s4, s4, s3
	s_cmpk_lg_i32 s4, 0x400
	s_cbranch_scc1 .LBB255_54
; %bb.1:
	s_load_dwordx8 s[12:19], s[0:1], 0x8
	s_load_dwordx8 s[4:11], s[0:1], 0x58
	s_waitcnt lgkmcnt(0)
	s_mul_i32 s3, s28, s15
	s_mul_hi_u32 s15, s28, s14
	s_mul_i32 s14, s28, s14
	s_add_i32 s15, s15, s3
	s_lshl_b64 s[14:15], s[14:15], 3
	s_mul_i32 s7, s28, s7
	s_add_u32 s12, s12, s14
	s_mul_hi_u32 s3, s28, s6
	s_addc_u32 s13, s13, s15
	s_add_i32 s7, s3, s7
	s_mul_i32 s6, s28, s6
	s_lshl_b64 s[6:7], s[6:7], 3
	s_add_u32 s4, s4, s6
	s_addc_u32 s5, s5, s7
	s_load_dwordx2 s[14:15], s[12:13], 0x0
	s_waitcnt lgkmcnt(0)
	v_cmp_eq_f64_e64 s[30:31], s[14:15], 0
	s_load_dwordx2 s[12:13], s[4:5], 0x0
	s_waitcnt lgkmcnt(0)
	v_cmp_eq_f64_e64 s[4:5], s[12:13], 1.0
	s_and_b64 s[4:5], s[30:31], s[4:5]
	s_and_b64 vcc, exec, s[4:5]
	s_cbranch_vccnz .LBB255_54
; %bb.2:
	s_load_dwordx2 s[22:23], s[0:1], 0x28
	s_load_dwordx2 s[20:21], s[0:1], 0x78
	s_mov_b32 s29, 0
	s_mov_b64 s[26:27], 0
	v_cmp_neq_f64_e64 s[34:35], s[14:15], 0
	s_and_b64 vcc, exec, s[30:31]
	s_mov_b64 s[24:25], 0
	s_cbranch_vccnz .LBB255_4
; %bb.3:
	s_lshl_b64 s[4:5], s[28:29], 3
	s_add_u32 s4, s16, s4
	s_addc_u32 s5, s17, s5
	s_load_dwordx2 s[4:5], s[4:5], 0x0
	s_lshl_b64 s[6:7], s[18:19], 3
	s_waitcnt lgkmcnt(0)
	s_add_u32 s24, s4, s6
	s_addc_u32 s25, s5, s7
.LBB255_4:
	s_load_dwordx4 s[4:7], s[0:1], 0x38
	s_load_dwordx2 s[18:19], s[0:1], 0x48
	s_andn2_b64 vcc, exec, s[34:35]
	s_cbranch_vccnz .LBB255_6
; %bb.5:
	s_lshl_b64 s[16:17], s[28:29], 3
	s_waitcnt lgkmcnt(0)
	s_add_u32 s4, s4, s16
	s_addc_u32 s5, s5, s17
	s_load_dwordx2 s[4:5], s[4:5], 0x0
	s_lshl_b64 s[6:7], s[6:7], 3
	s_waitcnt lgkmcnt(0)
	s_add_u32 s26, s4, s6
	s_addc_u32 s27, s5, s7
.LBB255_6:
	s_waitcnt lgkmcnt(0)
	s_lshl_b64 s[4:5], s[28:29], 3
	s_add_u32 s4, s8, s4
	s_addc_u32 s5, s9, s5
	s_load_dwordx2 s[6:7], s[4:5], 0x0
	s_load_dwordx2 s[16:17], s[0:1], 0x0
	s_lshl_b64 s[0:1], s[10:11], 3
	v_and_b32_e32 v69, 0x3ff, v0
	v_bfe_u32 v70, v0, 10, 10
	s_waitcnt lgkmcnt(0)
	s_add_u32 s8, s6, s0
	s_addc_u32 s9, s7, s1
	s_andn2_b64 vcc, exec, s[30:31]
	v_lshl_add_u32 v68, v70, 6, v69
	s_cbranch_vccnz .LBB255_13
; %bb.7:
	s_movk_i32 s0, 0x100
	v_cmp_gt_u32_e32 vcc, s0, v68
	s_mov_b64 s[0:1], 0
	s_mov_b64 s[10:11], 0
                                        ; implicit-def: $vgpr0_vgpr1
                                        ; implicit-def: $vgpr2_vgpr3
	s_and_saveexec_b64 s[4:5], vcc
	s_cbranch_execz .LBB255_14
; %bb.8:
	v_lshl_or_b32 v4, s2, 8, v68
	v_mov_b32_e32 v5, 0
	s_ashr_i32 s7, s16, 31
	s_mov_b32 s6, s16
	v_cmp_gt_i64_e32 vcc, s[6:7], v[4:5]
                                        ; implicit-def: $vgpr0_vgpr1
                                        ; implicit-def: $vgpr2_vgpr3
	s_and_saveexec_b64 s[6:7], vcc
	s_cbranch_execz .LBB255_12
; %bb.9:
	v_mad_u64_u32 v[2:3], s[28:29], v4, s20, 0
	v_mov_b32_e32 v6, v3
	v_cmp_eq_f64_e64 s[10:11], s[12:13], 0
	v_mad_u64_u32 v[4:5], s[28:29], v4, s21, v[6:7]
	v_mov_b64_e32 v[0:1], 0
	v_mov_b32_e32 v3, v4
	s_and_b64 vcc, exec, s[10:11]
	s_cbranch_vccnz .LBB255_11
; %bb.10:
	v_lshl_add_u64 v[0:1], v[2:3], 3, s[8:9]
	global_load_dwordx2 v[0:1], v[0:1], off
	s_waitcnt vmcnt(0)
	v_mul_f64 v[0:1], s[12:13], v[0:1]
.LBB255_11:
	s_mov_b64 s[10:11], exec
.LBB255_12:
	s_or_b64 exec, exec, s[6:7]
	s_and_b64 s[10:11], s[10:11], exec
	s_or_b64 exec, exec, s[4:5]
	s_and_b64 vcc, exec, s[0:1]
	s_cbranch_vccnz .LBB255_15
	s_branch .LBB255_52
.LBB255_13:
	s_mov_b64 s[10:11], 0
                                        ; implicit-def: $vgpr0_vgpr1
                                        ; implicit-def: $vgpr2_vgpr3
	s_cbranch_execnz .LBB255_15
	s_branch .LBB255_52
.LBB255_14:
	s_or_b64 exec, exec, s[4:5]
	s_and_b64 vcc, exec, s[0:1]
	s_cbranch_vccz .LBB255_52
.LBB255_15:
	s_ashr_i32 s0, s17, 31
	s_lshr_b32 s0, s0, 26
	s_add_i32 s46, s17, s0
	s_lshl_b32 s33, s2, 8
	s_andn2_b32 s46, s46, 63
	v_lshlrev_b32_e32 v71, 2, v70
	v_mov_b64_e32 v[0:1], 0
	v_add_u32_e32 v2, s33, v69
	v_cmp_gt_i32_e32 vcc, s46, v71
	v_mov_b64_e32 v[4:5], v[0:1]
	v_mov_b64_e32 v[6:7], v[0:1]
	v_mov_b64_e32 v[8:9], v[0:1]
	s_and_saveexec_b64 s[28:29], vcc
	s_cbranch_execz .LBB255_27
; %bb.16:
	v_ashrrev_i32_e32 v3, 31, v2
	v_add_u32_e32 v0, 64, v2
	v_cmp_gt_i32_e64 s[0:1], s16, v0
	v_add_u32_e32 v0, 0x80, v2
	v_lshlrev_b64 v[10:11], 3, v[2:3]
	v_lshlrev_b32_e32 v3, 2, v70
	v_cmp_gt_i32_e64 s[2:3], s16, v0
	v_add_u32_e32 v0, 0xc0, v2
	v_or_b32_e32 v6, 3, v3
	v_cmp_gt_i32_e64 s[4:5], s16, v0
	v_mad_u64_u32 v[0:1], s[6:7], s22, v6, 0
	v_mov_b32_e32 v4, v1
	v_mad_u64_u32 v[4:5], s[6:7], s23, v6, v[4:5]
	v_mov_b32_e32 v1, v4
	v_lshl_add_u64 v[12:13], v[0:1], 3, s[24:25]
	v_mad_u64_u32 v[0:1], s[6:7], s18, v70, 0
	v_mov_b32_e32 v4, v1
	v_mad_u64_u32 v[4:5], s[6:7], s19, v70, v[4:5]
	v_mov_b32_e32 v1, v4
	v_lshlrev_b64 v[14:15], 5, v[0:1]
	v_mad_u64_u32 v[0:1], s[6:7], s22, v70, 0
	v_mov_b32_e32 v4, v1
	v_mad_u64_u32 v[4:5], s[6:7], s23, v70, v[4:5]
	v_mov_b32_e32 v1, v4
	v_lshlrev_b64 v[0:1], 5, v[0:1]
	v_lshl_add_u64 v[16:17], s[24:25], 0, v[0:1]
	v_mov_b64_e32 v[0:1], s[18:19]
	v_mad_u64_u32 v[0:1], s[6:7], s18, v3, v[0:1]
	v_mov_b32_e32 v4, v1
	v_mad_u64_u32 v[4:5], s[6:7], s19, v3, v[4:5]
	v_mov_b32_e32 v1, v4
	v_lshlrev_b64 v[18:19], 3, v[0:1]
	v_mad_u64_u32 v[0:1], s[6:7], s18, v6, 0
	v_mov_b32_e32 v4, v1
	v_mad_u64_u32 v[4:5], s[6:7], s19, v6, v[4:5]
	v_mov_b32_e32 v1, v4
	v_or_b32_e32 v6, 2, v3
	v_lshlrev_b64 v[20:21], 3, v[0:1]
	v_mad_u64_u32 v[0:1], s[6:7], s22, v6, 0
	v_mov_b32_e32 v4, v1
	v_mad_u64_u32 v[4:5], s[6:7], s23, v6, v[4:5]
	v_mov_b32_e32 v1, v4
	v_lshl_add_u64 v[22:23], v[0:1], 3, s[24:25]
	v_mov_b64_e32 v[0:1], s[22:23]
	v_mad_u64_u32 v[0:1], s[6:7], s22, v3, v[0:1]
	v_mov_b32_e32 v4, v1
	v_mad_u64_u32 v[4:5], s[6:7], s23, v3, v[4:5]
	v_mov_b32_e32 v1, v4
	v_lshl_add_u64 v[24:25], v[0:1], 3, s[24:25]
	v_mad_u64_u32 v[0:1], s[6:7], s18, v6, 0
	v_mov_b32_e32 v4, v1
	v_mad_u64_u32 v[4:5], s[6:7], s19, v6, v[4:5]
	v_mov_b32_e32 v1, v4
	v_lshlrev_b64 v[26:27], 3, v[0:1]
	v_mov_b64_e32 v[0:1], 0
	v_cmp_gt_i32_e32 vcc, s16, v2
	s_lshl_b64 s[30:31], s[22:23], 9
	s_lshl_b64 s[34:35], s[18:19], 9
	s_mov_b64 s[36:37], 0
	s_mov_b64 s[38:39], s[26:27]
	v_mov_b64_e32 v[4:5], v[0:1]
	v_mov_b64_e32 v[6:7], v[0:1]
	;; [unrolled: 1-line block ×3, first 2 shown]
	s_branch .LBB255_21
.LBB255_17:                             ;   in Loop: Header=BB255_21 Depth=1
	s_or_b64 exec, exec, s[44:45]
	s_waitcnt vmcnt(0) lgkmcnt(0)
	v_fmac_f64_e32 v[6:7], v[34:35], v[66:67]
	v_fmac_f64_e32 v[6:7], v[32:33], v[64:65]
	;; [unrolled: 1-line block ×4, first 2 shown]
.LBB255_18:                             ;   in Loop: Header=BB255_21 Depth=1
	s_or_b64 exec, exec, s[42:43]
	s_waitcnt vmcnt(0) lgkmcnt(0)
	v_fmac_f64_e32 v[4:5], v[34:35], v[50:51]
	v_fmac_f64_e32 v[4:5], v[32:33], v[48:49]
	;; [unrolled: 1-line block ×4, first 2 shown]
.LBB255_19:                             ;   in Loop: Header=BB255_21 Depth=1
	s_or_b64 exec, exec, s[40:41]
	s_waitcnt vmcnt(0) lgkmcnt(0)
	v_fmac_f64_e32 v[0:1], v[34:35], v[36:37]
	v_fmac_f64_e32 v[0:1], v[32:33], v[38:39]
	;; [unrolled: 1-line block ×4, first 2 shown]
.LBB255_20:                             ;   in Loop: Header=BB255_21 Depth=1
	s_or_b64 exec, exec, s[6:7]
	v_add_u32_e32 v71, 64, v71
	s_add_u32 s38, s38, s34
	s_addc_u32 s39, s39, s35
	v_cmp_le_i32_e64 s[6:7], s46, v71
	v_lshl_add_u64 v[12:13], v[12:13], 0, s[30:31]
	v_lshl_add_u64 v[16:17], v[16:17], 0, s[30:31]
	;; [unrolled: 1-line block ×3, first 2 shown]
	s_or_b64 s[36:37], s[6:7], s[36:37]
	v_lshl_add_u64 v[24:25], v[24:25], 0, s[30:31]
	s_andn2_b64 exec, exec, s[36:37]
	s_cbranch_execz .LBB255_26
.LBB255_21:                             ; =>This Inner Loop Header: Depth=1
	s_and_saveexec_b64 s[6:7], vcc
	s_cbranch_execz .LBB255_20
; %bb.22:                               ;   in Loop: Header=BB255_21 Depth=1
	v_lshl_add_u64 v[36:37], s[38:39], 0, v[14:15]
	v_lshl_add_u64 v[38:39], s[38:39], 0, v[18:19]
	;; [unrolled: 1-line block ×4, first 2 shown]
	flat_load_dwordx2 v[34:35], v[36:37]
	flat_load_dwordx2 v[32:33], v[38:39]
	;; [unrolled: 1-line block ×4, first 2 shown]
	v_lshl_add_u64 v[58:59], v[16:17], 0, v[10:11]
	v_lshl_add_u64 v[56:57], v[24:25], 0, v[10:11]
	;; [unrolled: 1-line block ×4, first 2 shown]
	flat_load_dwordx2 v[36:37], v[58:59]
	flat_load_dwordx2 v[38:39], v[56:57]
	;; [unrolled: 1-line block ×4, first 2 shown]
	s_and_saveexec_b64 s[40:41], s[0:1]
	s_cbranch_execz .LBB255_19
; %bb.23:                               ;   in Loop: Header=BB255_21 Depth=1
	flat_load_dwordx2 v[50:51], v[58:59] offset:512
	flat_load_dwordx2 v[48:49], v[56:57] offset:512
	;; [unrolled: 1-line block ×4, first 2 shown]
	s_and_saveexec_b64 s[42:43], s[2:3]
	s_cbranch_execz .LBB255_18
; %bb.24:                               ;   in Loop: Header=BB255_21 Depth=1
	flat_load_dwordx2 v[66:67], v[58:59] offset:1024
	flat_load_dwordx2 v[64:65], v[56:57] offset:1024
	;; [unrolled: 1-line block ×4, first 2 shown]
	s_and_saveexec_b64 s[44:45], s[4:5]
	s_cbranch_execz .LBB255_17
; %bb.25:                               ;   in Loop: Header=BB255_21 Depth=1
	flat_load_dwordx2 v[58:59], v[58:59] offset:1536
	s_nop 0
	flat_load_dwordx2 v[56:57], v[56:57] offset:1536
	s_nop 0
	;; [unrolled: 2-line block ×3, first 2 shown]
	flat_load_dwordx2 v[52:53], v[52:53] offset:1536
	s_waitcnt vmcnt(0) lgkmcnt(0)
	v_fmac_f64_e32 v[8:9], v[34:35], v[58:59]
	v_fmac_f64_e32 v[8:9], v[32:33], v[56:57]
	;; [unrolled: 1-line block ×4, first 2 shown]
	s_branch .LBB255_17
.LBB255_26:
	s_or_b64 exec, exec, s[36:37]
.LBB255_27:
	s_or_b64 exec, exec, s[28:29]
	s_sub_i32 s0, s17, s46
	s_cmp_lt_i32 s0, 1
	s_cbranch_scc1 .LBB255_45
; %bb.28:
	v_mov_b64_e32 v[12:13], 0
	v_cmp_gt_i32_e32 vcc, s17, v71
	v_or_b32_e32 v20, 1, v71
	v_mov_b64_e32 v[16:17], v[12:13]
	v_mov_b64_e32 v[14:15], v[12:13]
	;; [unrolled: 1-line block ×3, first 2 shown]
	s_and_saveexec_b64 s[2:3], vcc
	s_cbranch_execz .LBB255_36
; %bb.29:
	v_mad_u64_u32 v[10:11], s[0:1], v71, s18, 0
	v_mov_b32_e32 v12, v11
	v_mad_u64_u32 v[12:13], s[0:1], v71, s19, v[12:13]
	v_mov_b32_e32 v11, v12
	v_lshl_add_u64 v[10:11], v[10:11], 3, s[26:27]
	flat_load_dwordx2 v[10:11], v[10:11]
	v_mov_b64_e32 v[14:15], 0
	v_cmp_gt_i32_e64 s[0:1], s17, v20
	v_mov_b64_e32 v[16:17], v[14:15]
	v_mov_b64_e32 v[12:13], v[14:15]
	s_and_saveexec_b64 s[4:5], s[0:1]
	s_cbranch_execz .LBB255_35
; %bb.30:
	v_mad_u64_u32 v[12:13], s[0:1], v20, s18, 0
	v_mov_b32_e32 v14, v13
	v_mad_u64_u32 v[14:15], s[0:1], v20, s19, v[14:15]
	v_mov_b32_e32 v13, v14
	v_lshl_add_u64 v[12:13], v[12:13], 3, s[26:27]
	flat_load_dwordx2 v[14:15], v[12:13]
	v_or_b32_e32 v3, 2, v71
	v_mov_b64_e32 v[16:17], 0
	v_cmp_gt_i32_e64 s[0:1], s17, v3
	v_mov_b64_e32 v[12:13], v[16:17]
	s_and_saveexec_b64 s[6:7], s[0:1]
	s_cbranch_execz .LBB255_34
; %bb.31:
	v_mad_u64_u32 v[12:13], s[0:1], v3, s18, 0
	v_mov_b32_e32 v16, v13
	v_mad_u64_u32 v[16:17], s[0:1], v3, s19, v[16:17]
	v_mov_b32_e32 v13, v16
	v_lshl_add_u64 v[12:13], v[12:13], 3, s[26:27]
	flat_load_dwordx2 v[16:17], v[12:13]
	v_or_b32_e32 v3, 3, v71
	v_cmp_gt_i32_e64 s[0:1], s17, v3
	v_mov_b64_e32 v[12:13], 0
	s_and_saveexec_b64 s[28:29], s[0:1]
	s_cbranch_execz .LBB255_33
; %bb.32:
	v_mad_u64_u32 v[12:13], s[0:1], v3, s18, 0
	v_mov_b32_e32 v18, v13
	v_mad_u64_u32 v[18:19], s[0:1], v3, s19, v[18:19]
	v_mov_b32_e32 v13, v18
	v_lshl_add_u64 v[12:13], v[12:13], 3, s[26:27]
	flat_load_dwordx2 v[12:13], v[12:13]
.LBB255_33:
	s_or_b64 exec, exec, s[28:29]
.LBB255_34:
	s_or_b64 exec, exec, s[6:7]
.LBB255_35:
	s_or_b64 exec, exec, s[4:5]
.LBB255_36:
	s_or_b64 exec, exec, s[2:3]
	v_cmp_gt_i32_e64 s[0:1], s16, v2
	s_and_saveexec_b64 s[2:3], s[0:1]
	s_cbranch_execz .LBB255_44
; %bb.37:
	v_mad_u64_u32 v[18:19], s[0:1], v71, s22, 0
	v_mov_b32_e32 v22, v19
	v_ashrrev_i32_e32 v3, 31, v2
	v_mad_u64_u32 v[22:23], s[0:1], v71, s23, v[22:23]
	v_mad_u64_u32 v[24:25], s[0:1], v20, s22, 0
	v_cndmask_b32_e32 v18, 0, v18, vcc
	v_cndmask_b32_e32 v19, 0, v22, vcc
	v_lshlrev_b64 v[22:23], 3, v[2:3]
	v_mov_b32_e32 v26, v25
	v_cmp_gt_i32_e32 vcc, s17, v20
	v_or_b32_e32 v3, 2, v71
	v_mad_u64_u32 v[26:27], s[0:1], v20, s23, v[26:27]
	v_cndmask_b32_e32 v20, 0, v24, vcc
	v_mad_u64_u32 v[24:25], s[0:1], v3, s22, 0
	v_cndmask_b32_e32 v21, 0, v26, vcc
	v_mov_b32_e32 v26, v25
	v_mad_u64_u32 v[26:27], s[0:1], v3, s23, v[26:27]
	v_cmp_gt_i32_e32 vcc, s17, v3
	v_or_b32_e32 v3, 3, v71
	v_lshl_add_u64 v[18:19], v[18:19], 3, s[24:25]
	v_cndmask_b32_e32 v25, 0, v26, vcc
	v_mad_u64_u32 v[26:27], s[0:1], v3, s22, 0
	v_mov_b32_e32 v28, v27
	v_cndmask_b32_e32 v24, 0, v24, vcc
	v_mad_u64_u32 v[28:29], s[0:1], v3, s23, v[28:29]
	v_cmp_gt_i32_e32 vcc, s17, v3
	v_lshl_add_u64 v[18:19], v[18:19], 0, v[22:23]
	v_lshl_add_u64 v[20:21], v[20:21], 3, s[24:25]
	v_cndmask_b32_e32 v26, 0, v26, vcc
	v_cndmask_b32_e32 v27, 0, v28, vcc
	v_lshl_add_u64 v[24:25], v[24:25], 3, s[24:25]
	v_lshl_add_u64 v[26:27], v[26:27], 3, s[24:25]
	;; [unrolled: 1-line block ×4, first 2 shown]
	flat_load_dwordx2 v[28:29], v[18:19]
	flat_load_dwordx2 v[30:31], v[20:21]
	flat_load_dwordx2 v[32:33], v[24:25]
	v_lshl_add_u64 v[26:27], v[26:27], 0, v[22:23]
	flat_load_dwordx2 v[22:23], v[26:27]
	v_add_u32_e32 v3, 64, v2
	v_cmp_gt_i32_e32 vcc, s16, v3
	s_waitcnt vmcnt(0) lgkmcnt(0)
	v_fmac_f64_e32 v[0:1], v[10:11], v[28:29]
	v_fmac_f64_e32 v[0:1], v[14:15], v[30:31]
	v_fmac_f64_e32 v[0:1], v[16:17], v[32:33]
	s_and_saveexec_b64 s[0:1], vcc
	s_cbranch_execz .LBB255_43
; %bb.38:
	flat_load_dwordx2 v[30:31], v[18:19] offset:512
	flat_load_dwordx2 v[32:33], v[20:21] offset:512
	flat_load_dwordx2 v[34:35], v[24:25] offset:512
	flat_load_dwordx2 v[28:29], v[26:27] offset:512
	v_add_u32_e32 v3, 0x80, v2
	v_cmp_gt_i32_e32 vcc, s16, v3
	s_waitcnt vmcnt(0) lgkmcnt(0)
	v_fmac_f64_e32 v[4:5], v[10:11], v[30:31]
	v_fmac_f64_e32 v[4:5], v[14:15], v[32:33]
	v_fmac_f64_e32 v[4:5], v[16:17], v[34:35]
	s_and_saveexec_b64 s[4:5], vcc
	s_cbranch_execz .LBB255_42
; %bb.39:
	flat_load_dwordx2 v[32:33], v[18:19] offset:1024
	flat_load_dwordx2 v[34:35], v[20:21] offset:1024
	flat_load_dwordx2 v[36:37], v[24:25] offset:1024
	flat_load_dwordx2 v[30:31], v[26:27] offset:1024
	;; [unrolled: 13-line block ×3, first 2 shown]
	s_waitcnt vmcnt(0) lgkmcnt(0)
	v_fmac_f64_e32 v[8:9], v[10:11], v[2:3]
	v_fmac_f64_e32 v[8:9], v[14:15], v[32:33]
	;; [unrolled: 1-line block ×4, first 2 shown]
.LBB255_41:
	s_or_b64 exec, exec, s[6:7]
	v_fmac_f64_e32 v[6:7], v[12:13], v[30:31]
.LBB255_42:
	s_or_b64 exec, exec, s[4:5]
	v_fmac_f64_e32 v[4:5], v[12:13], v[28:29]
.LBB255_43:
	s_or_b64 exec, exec, s[0:1]
	v_fmac_f64_e32 v[0:1], v[12:13], v[22:23]
.LBB255_44:
	s_or_b64 exec, exec, s[2:3]
.LBB255_45:
	v_lshlrev_b32_e32 v2, 8, v70
	s_movk_i32 s0, 0x100
	v_add_lshl_u32 v2, v2, v69, 3
	v_cmp_gt_u32_e32 vcc, s0, v68
	ds_write2st64_b64 v2, v[0:1], v[4:5] offset1:1
	ds_write2st64_b64 v2, v[6:7], v[8:9] offset0:2 offset1:3
	s_waitcnt lgkmcnt(0)
	s_barrier
	s_waitcnt lgkmcnt(0)
                                        ; implicit-def: $vgpr0_vgpr1
                                        ; implicit-def: $vgpr2_vgpr3
	s_and_saveexec_b64 s[0:1], vcc
	s_cbranch_execz .LBB255_51
; %bb.46:
	v_lshlrev_b32_e32 v20, 3, v68
	ds_read2st64_b64 v[0:3], v20 offset1:4
	ds_read2st64_b64 v[4:7], v20 offset0:8 offset1:12
	s_waitcnt vmcnt(0)
	ds_read2st64_b64 v[8:11], v20 offset0:16 offset1:20
	ds_read2st64_b64 v[12:15], v20 offset0:24 offset1:28
	;; [unrolled: 1-line block ×3, first 2 shown]
	s_waitcnt lgkmcnt(4)
	v_add_f64 v[0:1], v[0:1], v[2:3]
	s_waitcnt lgkmcnt(3)
	v_add_f64 v[0:1], v[4:5], v[0:1]
	v_add_f64 v[0:1], v[6:7], v[0:1]
	s_waitcnt lgkmcnt(2)
	v_add_f64 v[0:1], v[8:9], v[0:1]
	v_add_f64 v[0:1], v[10:11], v[0:1]
	s_waitcnt lgkmcnt(1)
	v_add_f64 v[0:1], v[12:13], v[0:1]
	v_add_f64 v[4:5], v[14:15], v[0:1]
	ds_read2st64_b64 v[0:3], v20 offset0:40 offset1:44
	s_waitcnt lgkmcnt(1)
	v_add_f64 v[8:9], v[16:17], v[4:5]
	ds_read2st64_b64 v[4:7], v20 offset0:48 offset1:52
	v_add_f64 v[12:13], v[18:19], v[8:9]
	ds_read2st64_b64 v[8:11], v20 offset0:56 offset1:60
	s_waitcnt lgkmcnt(2)
	v_add_f64 v[0:1], v[0:1], v[12:13]
	v_add_f64 v[0:1], v[2:3], v[0:1]
	s_waitcnt lgkmcnt(1)
	v_add_f64 v[0:1], v[4:5], v[0:1]
	v_add_f64 v[0:1], v[6:7], v[0:1]
	s_waitcnt lgkmcnt(0)
	v_add_f64 v[0:1], v[8:9], v[0:1]
	v_or_b32_e32 v6, s33, v68
	v_add_f64 v[4:5], v[10:11], v[0:1]
	v_cmp_gt_i32_e32 vcc, s16, v6
	s_mov_b64 s[4:5], s[10:11]
	ds_write_b64 v20, v[4:5]
                                        ; implicit-def: $vgpr0_vgpr1
                                        ; implicit-def: $vgpr2_vgpr3
	s_and_saveexec_b64 s[2:3], vcc
	s_cbranch_execz .LBB255_50
; %bb.47:
	v_ashrrev_i32_e32 v2, 31, v6
	v_cmp_eq_f64_e64 s[4:5], s[12:13], 0
	v_mul_f64 v[0:1], s[14:15], v[4:5]
	v_mul_lo_u32 v4, v6, s21
	v_mul_lo_u32 v5, v2, s20
	v_mad_u64_u32 v[2:3], s[6:7], v6, s20, 0
	v_add3_u32 v3, v3, v4, v5
	s_and_b64 vcc, exec, s[4:5]
	s_cbranch_vccnz .LBB255_49
; %bb.48:
	v_lshl_add_u64 v[4:5], v[2:3], 3, s[8:9]
	global_load_dwordx2 v[4:5], v[4:5], off
	s_waitcnt vmcnt(0)
	v_fmac_f64_e32 v[0:1], s[12:13], v[4:5]
.LBB255_49:
	s_or_b64 s[4:5], s[10:11], exec
.LBB255_50:
	s_or_b64 exec, exec, s[2:3]
	s_andn2_b64 s[2:3], s[10:11], exec
	s_and_b64 s[4:5], s[4:5], exec
	s_or_b64 s[10:11], s[2:3], s[4:5]
.LBB255_51:
	s_or_b64 exec, exec, s[0:1]
.LBB255_52:
	s_and_saveexec_b64 s[0:1], s[10:11]
	s_cbranch_execz .LBB255_54
; %bb.53:
	v_lshl_add_u64 v[2:3], v[2:3], 3, s[8:9]
	global_store_dwordx2 v[2:3], v[0:1], off
.LBB255_54:
	s_endpgm
	.section	.rodata,"a",@progbits
	.p2align	6, 0x0
	.amdhsa_kernel _ZL20rocblas_gemvn_kernelILi64ELi16ElPKdS1_KPdEviiT3_lPKT2_lT1_lS7_lS8_lS4_lPT4_lS8_li
		.amdhsa_group_segment_fixed_size 32768
		.amdhsa_private_segment_fixed_size 0
		.amdhsa_kernarg_size 400
		.amdhsa_user_sgpr_count 2
		.amdhsa_user_sgpr_dispatch_ptr 0
		.amdhsa_user_sgpr_queue_ptr 0
		.amdhsa_user_sgpr_kernarg_segment_ptr 1
		.amdhsa_user_sgpr_dispatch_id 0
		.amdhsa_user_sgpr_kernarg_preload_length 0
		.amdhsa_user_sgpr_kernarg_preload_offset 0
		.amdhsa_user_sgpr_private_segment_size 0
		.amdhsa_uses_dynamic_stack 0
		.amdhsa_enable_private_segment 0
		.amdhsa_system_sgpr_workgroup_id_x 1
		.amdhsa_system_sgpr_workgroup_id_y 0
		.amdhsa_system_sgpr_workgroup_id_z 1
		.amdhsa_system_sgpr_workgroup_info 0
		.amdhsa_system_vgpr_workitem_id 1
		.amdhsa_next_free_vgpr 72
		.amdhsa_next_free_sgpr 47
		.amdhsa_accum_offset 72
		.amdhsa_reserve_vcc 1
		.amdhsa_float_round_mode_32 0
		.amdhsa_float_round_mode_16_64 0
		.amdhsa_float_denorm_mode_32 3
		.amdhsa_float_denorm_mode_16_64 3
		.amdhsa_dx10_clamp 1
		.amdhsa_ieee_mode 1
		.amdhsa_fp16_overflow 0
		.amdhsa_tg_split 0
		.amdhsa_exception_fp_ieee_invalid_op 0
		.amdhsa_exception_fp_denorm_src 0
		.amdhsa_exception_fp_ieee_div_zero 0
		.amdhsa_exception_fp_ieee_overflow 0
		.amdhsa_exception_fp_ieee_underflow 0
		.amdhsa_exception_fp_ieee_inexact 0
		.amdhsa_exception_int_div_zero 0
	.end_amdhsa_kernel
	.section	.text._ZL20rocblas_gemvn_kernelILi64ELi16ElPKdS1_KPdEviiT3_lPKT2_lT1_lS7_lS8_lS4_lPT4_lS8_li,"axG",@progbits,_ZL20rocblas_gemvn_kernelILi64ELi16ElPKdS1_KPdEviiT3_lPKT2_lT1_lS7_lS8_lS4_lPT4_lS8_li,comdat
.Lfunc_end255:
	.size	_ZL20rocblas_gemvn_kernelILi64ELi16ElPKdS1_KPdEviiT3_lPKT2_lT1_lS7_lS8_lS4_lPT4_lS8_li, .Lfunc_end255-_ZL20rocblas_gemvn_kernelILi64ELi16ElPKdS1_KPdEviiT3_lPKT2_lT1_lS7_lS8_lS4_lPT4_lS8_li
                                        ; -- End function
	.section	.AMDGPU.csdata,"",@progbits
; Kernel info:
; codeLenInByte = 2708
; NumSgprs: 53
; NumVgprs: 72
; NumAgprs: 0
; TotalNumVgprs: 72
; ScratchSize: 0
; MemoryBound: 1
; FloatMode: 240
; IeeeMode: 1
; LDSByteSize: 32768 bytes/workgroup (compile time only)
; SGPRBlocks: 6
; VGPRBlocks: 8
; NumSGPRsForWavesPerEU: 53
; NumVGPRsForWavesPerEU: 72
; AccumOffset: 72
; Occupancy: 7
; WaveLimiterHint : 1
; COMPUTE_PGM_RSRC2:SCRATCH_EN: 0
; COMPUTE_PGM_RSRC2:USER_SGPR: 2
; COMPUTE_PGM_RSRC2:TRAP_HANDLER: 0
; COMPUTE_PGM_RSRC2:TGID_X_EN: 1
; COMPUTE_PGM_RSRC2:TGID_Y_EN: 0
; COMPUTE_PGM_RSRC2:TGID_Z_EN: 1
; COMPUTE_PGM_RSRC2:TIDIG_COMP_CNT: 1
; COMPUTE_PGM_RSRC3_GFX90A:ACCUM_OFFSET: 17
; COMPUTE_PGM_RSRC3_GFX90A:TG_SPLIT: 0
	.section	.text._ZL20rocblas_gemvn_kernelILi64ELi16EiPKddKPdEviiT3_lPKT2_lT1_lS7_lS8_lS4_lPT4_lS8_li,"axG",@progbits,_ZL20rocblas_gemvn_kernelILi64ELi16EiPKddKPdEviiT3_lPKT2_lT1_lS7_lS8_lS4_lPT4_lS8_li,comdat
	.globl	_ZL20rocblas_gemvn_kernelILi64ELi16EiPKddKPdEviiT3_lPKT2_lT1_lS7_lS8_lS4_lPT4_lS8_li ; -- Begin function _ZL20rocblas_gemvn_kernelILi64ELi16EiPKddKPdEviiT3_lPKT2_lT1_lS7_lS8_lS4_lPT4_lS8_li
	.p2align	8
	.type	_ZL20rocblas_gemvn_kernelILi64ELi16EiPKddKPdEviiT3_lPKT2_lT1_lS7_lS8_lS4_lPT4_lS8_li,@function
_ZL20rocblas_gemvn_kernelILi64ELi16EiPKddKPdEviiT3_lPKT2_lT1_lS7_lS8_lS4_lPT4_lS8_li: ; @_ZL20rocblas_gemvn_kernelILi64ELi16EiPKddKPdEviiT3_lPKT2_lT1_lS7_lS8_lS4_lPT4_lS8_li
; %bb.0:
	s_load_dwordx2 s[4:5], s[0:1], 0x9c
	s_mov_b32 s6, s3
	s_waitcnt lgkmcnt(0)
	s_and_b32 s3, s5, 0xffff
	s_lshr_b32 s5, s4, 16
	s_and_b32 s4, s4, 0xffff
	s_mul_i32 s4, s5, s4
	s_mul_i32 s4, s4, s3
	s_cmpk_lg_i32 s4, 0x400
	s_cbranch_scc1 .LBB256_56
; %bb.1:
	s_load_dwordx2 s[10:11], s[0:1], 0x8
	s_load_dwordx2 s[8:9], s[0:1], 0x58
	s_waitcnt lgkmcnt(0)
	v_cmp_eq_f64_e64 s[4:5], s[10:11], 0
	v_cmp_eq_f64_e64 s[12:13], s[8:9], 1.0
	s_and_b64 s[12:13], s[4:5], s[12:13]
	s_and_b64 vcc, exec, s[12:13]
	s_cbranch_vccnz .LBB256_56
; %bb.2:
	v_cmp_neq_f64_e64 s[12:13], s[10:11], 0
	s_mov_b64 s[14:15], 0
	s_and_b64 vcc, exec, s[12:13]
	s_cbranch_vccnz .LBB256_4
; %bb.3:
	s_mov_b32 s7, 0
	s_mov_b64 s[18:19], 0
	s_andn2_b64 vcc, exec, s[14:15]
	s_cbranch_vccz .LBB256_5
	s_branch .LBB256_6
.LBB256_4:
                                        ; implicit-def: $sgpr18_sgpr19
.LBB256_5:
	s_load_dwordx4 s[16:19], s[0:1], 0x18
	s_mov_b32 s7, 0
	s_lshl_b64 s[14:15], s[6:7], 3
	s_waitcnt lgkmcnt(0)
	s_add_u32 s14, s16, s14
	s_addc_u32 s15, s17, s15
	s_load_dwordx2 s[14:15], s[14:15], 0x0
	s_lshl_b64 s[16:17], s[18:19], 3
	s_waitcnt lgkmcnt(0)
	s_add_u32 s18, s14, s16
	s_addc_u32 s19, s15, s17
.LBB256_6:
	s_mov_b64 s[14:15], 0
	s_andn2_b64 vcc, exec, s[12:13]
	s_mov_b64 s[20:21], 0
	s_cbranch_vccnz .LBB256_8
; %bb.7:
	s_load_dwordx4 s[20:23], s[0:1], 0x38
	s_lshl_b64 s[12:13], s[6:7], 3
	s_waitcnt lgkmcnt(0)
	s_add_u32 s12, s20, s12
	s_addc_u32 s13, s21, s13
	s_load_dwordx2 s[12:13], s[12:13], 0x0
	s_lshl_b64 s[16:17], s[22:23], 3
	s_waitcnt lgkmcnt(0)
	s_add_u32 s20, s12, s16
	s_addc_u32 s21, s13, s17
.LBB256_8:
	s_load_dwordx4 s[24:27], s[0:1], 0x68
	s_load_dwordx2 s[16:17], s[0:1], 0x0
	s_load_dword s33, s[0:1], 0x78
	s_lshl_b64 s[6:7], s[6:7], 3
	v_and_b32_e32 v2, 0x3ff, v0
	s_waitcnt lgkmcnt(0)
	s_add_u32 s6, s24, s6
	s_addc_u32 s7, s25, s7
	s_load_dwordx2 s[6:7], s[6:7], 0x0
	s_lshl_b64 s[12:13], s[26:27], 3
	v_bfe_u32 v3, v0, 10, 10
	v_lshl_add_u32 v54, v3, 6, v2
	s_waitcnt lgkmcnt(0)
	s_add_u32 s12, s6, s12
	s_addc_u32 s13, s7, s13
	s_andn2_b64 vcc, exec, s[4:5]
	s_cbranch_vccnz .LBB256_15
; %bb.9:
	s_movk_i32 s3, 0x100
	v_cmp_gt_u32_e32 vcc, s3, v54
	s_mov_b64 s[4:5], 0
                                        ; implicit-def: $vgpr0_vgpr1
                                        ; implicit-def: $vgpr4_vgpr5
	s_and_saveexec_b64 s[6:7], vcc
	s_cbranch_execz .LBB256_16
; %bb.10:
	v_lshl_or_b32 v6, s2, 8, v54
	v_mov_b32_e32 v7, 0
	s_ashr_i32 s15, s16, 31
	s_mov_b32 s14, s16
	v_cmp_gt_i64_e32 vcc, s[14:15], v[6:7]
	s_mov_b64 s[22:23], 0
                                        ; implicit-def: $vgpr0_vgpr1
                                        ; implicit-def: $vgpr4_vgpr5
	s_and_saveexec_b64 s[14:15], vcc
	s_cbranch_execz .LBB256_14
; %bb.11:
	v_mad_u64_u32 v[4:5], s[24:25], s33, v6, 0
	s_ashr_i32 s3, s33, 31
	v_mov_b32_e32 v8, v5
	v_cmp_eq_f64_e64 s[22:23], s[8:9], 0
	v_mad_u64_u32 v[6:7], s[24:25], s3, v6, v[8:9]
	v_mov_b64_e32 v[0:1], 0
	v_mov_b32_e32 v5, v6
	s_and_b64 vcc, exec, s[22:23]
	s_cbranch_vccnz .LBB256_13
; %bb.12:
	v_lshl_add_u64 v[0:1], v[4:5], 3, s[12:13]
	global_load_dwordx2 v[0:1], v[0:1], off
	s_waitcnt vmcnt(0)
	v_mul_f64 v[0:1], v[0:1], s[8:9]
.LBB256_13:
	s_mov_b64 s[22:23], exec
.LBB256_14:
	s_or_b64 exec, exec, s[14:15]
	s_and_b64 s[14:15], s[22:23], exec
	s_or_b64 exec, exec, s[6:7]
	s_and_b64 vcc, exec, s[4:5]
	s_cbranch_vccnz .LBB256_17
	s_branch .LBB256_54
.LBB256_15:
                                        ; implicit-def: $vgpr0_vgpr1
                                        ; implicit-def: $vgpr4_vgpr5
	s_cbranch_execnz .LBB256_17
	s_branch .LBB256_54
.LBB256_16:
	s_or_b64 exec, exec, s[6:7]
	s_and_b64 vcc, exec, s[4:5]
	s_cbranch_vccz .LBB256_54
.LBB256_17:
	s_load_dword s35, s[0:1], 0x28
	s_load_dword s36, s[0:1], 0x48
	s_ashr_i32 s0, s17, 31
	s_lshr_b32 s0, s0, 26
	s_add_i32 s37, s17, s0
	s_lshl_b32 s34, s2, 8
	s_andn2_b32 s37, s37, 63
	v_lshlrev_b32_e32 v56, 2, v3
	v_mov_b64_e32 v[0:1], 0
	v_add_u32_e32 v55, s34, v2
	v_cmp_gt_i32_e32 vcc, s37, v56
	v_mov_b64_e32 v[4:5], v[0:1]
	v_mov_b64_e32 v[6:7], v[0:1]
	;; [unrolled: 1-line block ×3, first 2 shown]
	s_and_saveexec_b64 s[22:23], vcc
	s_cbranch_execz .LBB256_29
; %bb.18:
	v_add_u32_e32 v0, 64, v55
	v_cmp_gt_i32_e64 s[0:1], s16, v0
	v_add_u32_e32 v0, 0x80, v55
	v_cmp_gt_i32_e64 s[2:3], s16, v0
	;; [unrolled: 2-line block ×3, first 2 shown]
	s_waitcnt lgkmcnt(0)
	v_mul_lo_u32 v0, s35, v56
	v_add3_u32 v57, v0, s35, v2
	v_add_u32_e32 v0, 2, v56
	v_mad_u64_u32 v[10:11], s[6:7], s35, v0, v[2:3]
	v_add_u32_e32 v1, 3, v56
	v_mul_lo_u32 v4, v3, s35
	v_mul_lo_u32 v58, s36, v0
	;; [unrolled: 1-line block ×3, first 2 shown]
	v_mad_u64_u32 v[12:13], s[6:7], s35, v1, v[2:3]
	v_lshl_add_u32 v11, v4, 2, v2
	v_mul_lo_u32 v4, s36, v56
	v_mul_lo_u32 v59, s36, v1
	v_lshlrev_b32_e32 v60, 2, v0
	v_mov_b64_e32 v[0:1], 0
	v_cmp_gt_i32_e32 vcc, s16, v55
	s_lshl_b32 s38, s35, 6
	v_add_u32_e32 v13, s36, v4
	s_lshl_b32 s39, s36, 6
	s_mov_b64 s[24:25], 0
	s_mov_b32 s40, 0
	v_mov_b64_e32 v[4:5], v[0:1]
	v_mov_b64_e32 v[6:7], v[0:1]
	;; [unrolled: 1-line block ×3, first 2 shown]
	s_branch .LBB256_23
.LBB256_19:                             ;   in Loop: Header=BB256_23 Depth=1
	s_or_b64 exec, exec, s[30:31]
	s_waitcnt vmcnt(0) lgkmcnt(0)
	v_fmac_f64_e32 v[6:7], v[20:21], v[52:53]
	v_fmac_f64_e32 v[6:7], v[18:19], v[50:51]
	;; [unrolled: 1-line block ×4, first 2 shown]
.LBB256_20:                             ;   in Loop: Header=BB256_23 Depth=1
	s_or_b64 exec, exec, s[28:29]
	s_waitcnt vmcnt(0) lgkmcnt(0)
	v_fmac_f64_e32 v[4:5], v[20:21], v[36:37]
	v_fmac_f64_e32 v[4:5], v[18:19], v[34:35]
	;; [unrolled: 1-line block ×4, first 2 shown]
.LBB256_21:                             ;   in Loop: Header=BB256_23 Depth=1
	s_or_b64 exec, exec, s[26:27]
	s_waitcnt vmcnt(0) lgkmcnt(0)
	v_fmac_f64_e32 v[0:1], v[20:21], v[28:29]
	v_fmac_f64_e32 v[0:1], v[18:19], v[26:27]
	;; [unrolled: 1-line block ×4, first 2 shown]
.LBB256_22:                             ;   in Loop: Header=BB256_23 Depth=1
	s_or_b64 exec, exec, s[6:7]
	v_add_u32_e32 v56, 64, v56
	s_add_i32 s40, s40, s39
	v_cmp_le_i32_e64 s[6:7], s37, v56
	v_add_u32_e32 v57, s38, v57
	v_add_u32_e32 v10, s38, v10
	;; [unrolled: 1-line block ×3, first 2 shown]
	s_or_b64 s[24:25], s[6:7], s[24:25]
	v_add_u32_e32 v11, s38, v11
	s_andn2_b64 exec, exec, s[24:25]
	s_cbranch_execz .LBB256_28
.LBB256_23:                             ; =>This Inner Loop Header: Depth=1
	s_and_saveexec_b64 s[6:7], vcc
	s_cbranch_execz .LBB256_22
; %bb.24:                               ;   in Loop: Header=BB256_23 Depth=1
	v_add_u32_e32 v14, s40, v60
	v_ashrrev_i32_e32 v15, 31, v14
	v_lshl_add_u64 v[22:23], v[14:15], 3, s[20:21]
	v_add_u32_e32 v14, s40, v13
	v_ashrrev_i32_e32 v15, 31, v14
	v_lshl_add_u64 v[24:25], v[14:15], 3, s[20:21]
	;; [unrolled: 3-line block ×4, first 2 shown]
	flat_load_dwordx2 v[20:21], v[22:23]
	flat_load_dwordx2 v[18:19], v[24:25]
	;; [unrolled: 1-line block ×4, first 2 shown]
	v_add_u32_e32 v22, s34, v11
	v_ashrrev_i32_e32 v23, 31, v22
	v_lshl_add_u64 v[38:39], v[22:23], 3, s[18:19]
	v_add_u32_e32 v22, s34, v57
	v_ashrrev_i32_e32 v23, 31, v22
	v_lshl_add_u64 v[40:41], v[22:23], 3, s[18:19]
	;; [unrolled: 3-line block ×4, first 2 shown]
	flat_load_dwordx2 v[28:29], v[38:39]
	flat_load_dwordx2 v[26:27], v[40:41]
	;; [unrolled: 1-line block ×4, first 2 shown]
	s_and_saveexec_b64 s[26:27], s[0:1]
	s_cbranch_execz .LBB256_21
; %bb.25:                               ;   in Loop: Header=BB256_23 Depth=1
	flat_load_dwordx2 v[36:37], v[38:39] offset:512
	flat_load_dwordx2 v[34:35], v[40:41] offset:512
	;; [unrolled: 1-line block ×4, first 2 shown]
	s_and_saveexec_b64 s[28:29], s[2:3]
	s_cbranch_execz .LBB256_20
; %bb.26:                               ;   in Loop: Header=BB256_23 Depth=1
	flat_load_dwordx2 v[52:53], v[38:39] offset:1024
	flat_load_dwordx2 v[50:51], v[40:41] offset:1024
	;; [unrolled: 1-line block ×4, first 2 shown]
	s_and_saveexec_b64 s[30:31], s[4:5]
	s_cbranch_execz .LBB256_19
; %bb.27:                               ;   in Loop: Header=BB256_23 Depth=1
	flat_load_dwordx2 v[38:39], v[38:39] offset:1536
	s_nop 0
	flat_load_dwordx2 v[40:41], v[40:41] offset:1536
	s_nop 0
	;; [unrolled: 2-line block ×3, first 2 shown]
	flat_load_dwordx2 v[44:45], v[44:45] offset:1536
	s_waitcnt vmcnt(0) lgkmcnt(0)
	v_fmac_f64_e32 v[8:9], v[20:21], v[38:39]
	v_fmac_f64_e32 v[8:9], v[18:19], v[40:41]
	;; [unrolled: 1-line block ×4, first 2 shown]
	s_branch .LBB256_19
.LBB256_28:
	s_or_b64 exec, exec, s[24:25]
.LBB256_29:
	s_or_b64 exec, exec, s[22:23]
	s_sub_i32 s0, s17, s37
	s_cmp_lt_i32 s0, 1
	s_cbranch_scc1 .LBB256_47
; %bb.30:
	v_mov_b64_e32 v[10:11], 0
	v_cmp_gt_i32_e32 vcc, s17, v56
	v_or_b32_e32 v20, 1, v56
	v_mov_b64_e32 v[16:17], v[10:11]
	v_mov_b64_e32 v[14:15], v[10:11]
	;; [unrolled: 1-line block ×3, first 2 shown]
	s_and_saveexec_b64 s[2:3], vcc
	s_cbranch_execz .LBB256_38
; %bb.31:
	s_waitcnt lgkmcnt(0)
	v_mul_lo_u32 v10, v56, s36
	v_ashrrev_i32_e32 v11, 31, v10
	v_lshl_add_u64 v[10:11], v[10:11], 3, s[20:21]
	flat_load_dwordx2 v[12:13], v[10:11]
	v_mov_b64_e32 v[14:15], 0
	v_cmp_gt_i32_e64 s[0:1], s17, v20
	v_mov_b64_e32 v[16:17], v[14:15]
	v_mov_b64_e32 v[10:11], v[14:15]
	s_and_saveexec_b64 s[4:5], s[0:1]
	s_cbranch_execz .LBB256_37
; %bb.32:
	v_mul_lo_u32 v10, v20, s36
	v_ashrrev_i32_e32 v11, 31, v10
	v_lshl_add_u64 v[10:11], v[10:11], 3, s[20:21]
	flat_load_dwordx2 v[14:15], v[10:11]
	v_or_b32_e32 v18, 2, v56
	v_mov_b64_e32 v[16:17], 0
	v_cmp_gt_i32_e64 s[0:1], s17, v18
	v_mov_b64_e32 v[10:11], v[16:17]
	s_and_saveexec_b64 s[6:7], s[0:1]
	s_cbranch_execz .LBB256_36
; %bb.33:
	v_mul_lo_u32 v10, v18, s36
	v_ashrrev_i32_e32 v11, 31, v10
	v_lshl_add_u64 v[10:11], v[10:11], 3, s[20:21]
	flat_load_dwordx2 v[16:17], v[10:11]
	v_or_b32_e32 v18, 3, v56
	v_cmp_gt_i32_e64 s[0:1], s17, v18
	v_mov_b64_e32 v[10:11], 0
	s_and_saveexec_b64 s[22:23], s[0:1]
	s_cbranch_execz .LBB256_35
; %bb.34:
	v_mul_lo_u32 v10, v18, s36
	v_ashrrev_i32_e32 v11, 31, v10
	v_lshl_add_u64 v[10:11], v[10:11], 3, s[20:21]
	flat_load_dwordx2 v[10:11], v[10:11]
.LBB256_35:
	s_or_b64 exec, exec, s[22:23]
.LBB256_36:
	s_or_b64 exec, exec, s[6:7]
.LBB256_37:
	s_or_b64 exec, exec, s[4:5]
.LBB256_38:
	s_or_b64 exec, exec, s[2:3]
	v_cmp_gt_i32_e64 s[0:1], s16, v55
	s_and_saveexec_b64 s[2:3], s[0:1]
	s_cbranch_execz .LBB256_46
; %bb.39:
	s_waitcnt lgkmcnt(0)
	v_mul_lo_u32 v18, v56, s35
	v_cndmask_b32_e32 v18, 0, v18, vcc
	v_mul_lo_u32 v21, v20, s35
	v_cmp_gt_i32_e32 vcc, s17, v20
	v_add_u32_e32 v18, v18, v55
	v_ashrrev_i32_e32 v19, 31, v18
	v_cndmask_b32_e32 v20, 0, v21, vcc
	v_add_u32_e32 v20, v20, v55
	v_ashrrev_i32_e32 v21, 31, v20
	v_lshl_add_u64 v[22:23], v[20:21], 3, s[18:19]
	v_or_b32_e32 v20, 2, v56
	v_mul_lo_u32 v21, v20, s35
	v_cmp_gt_i32_e32 vcc, s17, v20
	v_lshl_add_u64 v[18:19], v[18:19], 3, s[18:19]
	v_add_u32_e32 v34, 64, v55
	v_cndmask_b32_e32 v20, 0, v21, vcc
	v_add_u32_e32 v20, v20, v55
	v_ashrrev_i32_e32 v21, 31, v20
	v_lshl_add_u64 v[24:25], v[20:21], 3, s[18:19]
	v_or_b32_e32 v20, 3, v56
	v_mul_lo_u32 v21, v20, s35
	v_cmp_gt_i32_e32 vcc, s17, v20
	flat_load_dwordx2 v[28:29], v[18:19]
	flat_load_dwordx2 v[30:31], v[22:23]
	;; [unrolled: 1-line block ×3, first 2 shown]
	v_cndmask_b32_e32 v20, 0, v21, vcc
	v_add_u32_e32 v20, v20, v55
	v_ashrrev_i32_e32 v21, 31, v20
	v_lshl_add_u64 v[26:27], v[20:21], 3, s[18:19]
	flat_load_dwordx2 v[20:21], v[26:27]
	v_cmp_gt_i32_e32 vcc, s16, v34
	s_waitcnt vmcnt(0) lgkmcnt(0)
	v_fmac_f64_e32 v[0:1], v[12:13], v[28:29]
	v_fmac_f64_e32 v[0:1], v[14:15], v[30:31]
	;; [unrolled: 1-line block ×3, first 2 shown]
	s_and_saveexec_b64 s[0:1], vcc
	s_cbranch_execz .LBB256_45
; %bb.40:
	flat_load_dwordx2 v[30:31], v[18:19] offset:512
	flat_load_dwordx2 v[32:33], v[22:23] offset:512
	;; [unrolled: 1-line block ×4, first 2 shown]
	v_add_u32_e32 v36, 0x80, v55
	v_cmp_gt_i32_e32 vcc, s16, v36
	s_waitcnt vmcnt(0) lgkmcnt(0)
	v_fmac_f64_e32 v[4:5], v[12:13], v[30:31]
	v_fmac_f64_e32 v[4:5], v[14:15], v[32:33]
	;; [unrolled: 1-line block ×3, first 2 shown]
	s_and_saveexec_b64 s[4:5], vcc
	s_cbranch_execz .LBB256_44
; %bb.41:
	flat_load_dwordx2 v[32:33], v[18:19] offset:1024
	flat_load_dwordx2 v[34:35], v[22:23] offset:1024
	;; [unrolled: 1-line block ×4, first 2 shown]
	v_add_u32_e32 v38, 0xc0, v55
	v_cmp_gt_i32_e32 vcc, s16, v38
	s_waitcnt vmcnt(0) lgkmcnt(0)
	v_fmac_f64_e32 v[6:7], v[12:13], v[32:33]
	v_fmac_f64_e32 v[6:7], v[14:15], v[34:35]
	;; [unrolled: 1-line block ×3, first 2 shown]
	s_and_saveexec_b64 s[6:7], vcc
	s_cbranch_execz .LBB256_43
; %bb.42:
	flat_load_dwordx2 v[32:33], v[18:19] offset:1536
	flat_load_dwordx2 v[34:35], v[22:23] offset:1536
	;; [unrolled: 1-line block ×4, first 2 shown]
	s_waitcnt vmcnt(0) lgkmcnt(0)
	v_fmac_f64_e32 v[8:9], v[12:13], v[32:33]
	v_fmac_f64_e32 v[8:9], v[14:15], v[34:35]
	;; [unrolled: 1-line block ×4, first 2 shown]
.LBB256_43:
	s_or_b64 exec, exec, s[6:7]
	v_fmac_f64_e32 v[6:7], v[10:11], v[30:31]
.LBB256_44:
	s_or_b64 exec, exec, s[4:5]
	v_fmac_f64_e32 v[4:5], v[10:11], v[28:29]
.LBB256_45:
	s_or_b64 exec, exec, s[0:1]
	v_fmac_f64_e32 v[0:1], v[10:11], v[20:21]
.LBB256_46:
	s_or_b64 exec, exec, s[2:3]
.LBB256_47:
	v_lshlrev_b32_e32 v3, 8, v3
	s_movk_i32 s0, 0x100
	v_add_lshl_u32 v2, v3, v2, 3
	v_cmp_gt_u32_e32 vcc, s0, v54
	ds_write2st64_b64 v2, v[0:1], v[4:5] offset1:1
	ds_write2st64_b64 v2, v[6:7], v[8:9] offset0:2 offset1:3
	s_waitcnt lgkmcnt(0)
	s_barrier
	s_waitcnt lgkmcnt(0)
                                        ; implicit-def: $vgpr0_vgpr1
                                        ; implicit-def: $vgpr4_vgpr5
	s_and_saveexec_b64 s[0:1], vcc
	s_cbranch_execz .LBB256_53
; %bb.48:
	v_lshlrev_b32_e32 v20, 3, v54
	ds_read2st64_b64 v[0:3], v20 offset1:4
	ds_read2st64_b64 v[4:7], v20 offset0:8 offset1:12
	s_waitcnt vmcnt(0)
	ds_read2st64_b64 v[8:11], v20 offset0:16 offset1:20
	ds_read2st64_b64 v[12:15], v20 offset0:24 offset1:28
	;; [unrolled: 1-line block ×3, first 2 shown]
	s_waitcnt lgkmcnt(4)
	v_add_f64 v[0:1], v[0:1], v[2:3]
	s_waitcnt lgkmcnt(3)
	v_add_f64 v[0:1], v[4:5], v[0:1]
	v_add_f64 v[0:1], v[6:7], v[0:1]
	s_waitcnt lgkmcnt(2)
	v_add_f64 v[0:1], v[8:9], v[0:1]
	;; [unrolled: 3-line block ×3, first 2 shown]
	v_add_f64 v[4:5], v[14:15], v[0:1]
	ds_read2st64_b64 v[0:3], v20 offset0:40 offset1:44
	s_waitcnt lgkmcnt(1)
	v_add_f64 v[8:9], v[16:17], v[4:5]
	ds_read2st64_b64 v[4:7], v20 offset0:48 offset1:52
	v_add_f64 v[12:13], v[18:19], v[8:9]
	ds_read2st64_b64 v[8:11], v20 offset0:56 offset1:60
	s_waitcnt lgkmcnt(2)
	v_add_f64 v[0:1], v[0:1], v[12:13]
	v_add_f64 v[0:1], v[2:3], v[0:1]
	s_waitcnt lgkmcnt(1)
	v_add_f64 v[0:1], v[4:5], v[0:1]
	v_add_f64 v[0:1], v[6:7], v[0:1]
	s_waitcnt lgkmcnt(0)
	v_add_f64 v[0:1], v[8:9], v[0:1]
	v_or_b32_e32 v6, s34, v54
	v_add_f64 v[2:3], v[10:11], v[0:1]
	v_cmp_gt_i32_e32 vcc, s16, v6
	s_mov_b64 s[4:5], s[14:15]
	ds_write_b64 v20, v[2:3]
                                        ; implicit-def: $vgpr0_vgpr1
                                        ; implicit-def: $vgpr4_vgpr5
	s_and_saveexec_b64 s[2:3], vcc
	s_cbranch_execz .LBB256_52
; %bb.49:
	v_cmp_eq_f64_e64 s[4:5], s[8:9], 0
	v_mul_lo_u32 v4, v6, s33
	v_mul_f64 v[0:1], v[2:3], s[10:11]
	v_ashrrev_i32_e32 v5, 31, v4
	s_and_b64 vcc, exec, s[4:5]
	s_cbranch_vccnz .LBB256_51
; %bb.50:
	v_lshl_add_u64 v[2:3], v[4:5], 3, s[12:13]
	global_load_dwordx2 v[2:3], v[2:3], off
	s_waitcnt vmcnt(0)
	v_fmac_f64_e32 v[0:1], s[8:9], v[2:3]
.LBB256_51:
	s_or_b64 s[4:5], s[14:15], exec
.LBB256_52:
	s_or_b64 exec, exec, s[2:3]
	s_andn2_b64 s[2:3], s[14:15], exec
	s_and_b64 s[4:5], s[4:5], exec
	s_or_b64 s[14:15], s[2:3], s[4:5]
.LBB256_53:
	s_or_b64 exec, exec, s[0:1]
.LBB256_54:
	s_and_saveexec_b64 s[0:1], s[14:15]
	s_cbranch_execz .LBB256_56
; %bb.55:
	v_lshl_add_u64 v[2:3], v[4:5], 3, s[12:13]
	global_store_dwordx2 v[2:3], v[0:1], off
.LBB256_56:
	s_endpgm
	.section	.rodata,"a",@progbits
	.p2align	6, 0x0
	.amdhsa_kernel _ZL20rocblas_gemvn_kernelILi64ELi16EiPKddKPdEviiT3_lPKT2_lT1_lS7_lS8_lS4_lPT4_lS8_li
		.amdhsa_group_segment_fixed_size 32768
		.amdhsa_private_segment_fixed_size 0
		.amdhsa_kernarg_size 400
		.amdhsa_user_sgpr_count 2
		.amdhsa_user_sgpr_dispatch_ptr 0
		.amdhsa_user_sgpr_queue_ptr 0
		.amdhsa_user_sgpr_kernarg_segment_ptr 1
		.amdhsa_user_sgpr_dispatch_id 0
		.amdhsa_user_sgpr_kernarg_preload_length 0
		.amdhsa_user_sgpr_kernarg_preload_offset 0
		.amdhsa_user_sgpr_private_segment_size 0
		.amdhsa_uses_dynamic_stack 0
		.amdhsa_enable_private_segment 0
		.amdhsa_system_sgpr_workgroup_id_x 1
		.amdhsa_system_sgpr_workgroup_id_y 0
		.amdhsa_system_sgpr_workgroup_id_z 1
		.amdhsa_system_sgpr_workgroup_info 0
		.amdhsa_system_vgpr_workitem_id 1
		.amdhsa_next_free_vgpr 61
		.amdhsa_next_free_sgpr 41
		.amdhsa_accum_offset 64
		.amdhsa_reserve_vcc 1
		.amdhsa_float_round_mode_32 0
		.amdhsa_float_round_mode_16_64 0
		.amdhsa_float_denorm_mode_32 3
		.amdhsa_float_denorm_mode_16_64 3
		.amdhsa_dx10_clamp 1
		.amdhsa_ieee_mode 1
		.amdhsa_fp16_overflow 0
		.amdhsa_tg_split 0
		.amdhsa_exception_fp_ieee_invalid_op 0
		.amdhsa_exception_fp_denorm_src 0
		.amdhsa_exception_fp_ieee_div_zero 0
		.amdhsa_exception_fp_ieee_overflow 0
		.amdhsa_exception_fp_ieee_underflow 0
		.amdhsa_exception_fp_ieee_inexact 0
		.amdhsa_exception_int_div_zero 0
	.end_amdhsa_kernel
	.section	.text._ZL20rocblas_gemvn_kernelILi64ELi16EiPKddKPdEviiT3_lPKT2_lT1_lS7_lS8_lS4_lPT4_lS8_li,"axG",@progbits,_ZL20rocblas_gemvn_kernelILi64ELi16EiPKddKPdEviiT3_lPKT2_lT1_lS7_lS8_lS4_lPT4_lS8_li,comdat
.Lfunc_end256:
	.size	_ZL20rocblas_gemvn_kernelILi64ELi16EiPKddKPdEviiT3_lPKT2_lT1_lS7_lS8_lS4_lPT4_lS8_li, .Lfunc_end256-_ZL20rocblas_gemvn_kernelILi64ELi16EiPKddKPdEviiT3_lPKT2_lT1_lS7_lS8_lS4_lPT4_lS8_li
                                        ; -- End function
	.section	.AMDGPU.csdata,"",@progbits
; Kernel info:
; codeLenInByte = 2380
; NumSgprs: 47
; NumVgprs: 61
; NumAgprs: 0
; TotalNumVgprs: 61
; ScratchSize: 0
; MemoryBound: 0
; FloatMode: 240
; IeeeMode: 1
; LDSByteSize: 32768 bytes/workgroup (compile time only)
; SGPRBlocks: 5
; VGPRBlocks: 7
; NumSGPRsForWavesPerEU: 47
; NumVGPRsForWavesPerEU: 61
; AccumOffset: 64
; Occupancy: 8
; WaveLimiterHint : 1
; COMPUTE_PGM_RSRC2:SCRATCH_EN: 0
; COMPUTE_PGM_RSRC2:USER_SGPR: 2
; COMPUTE_PGM_RSRC2:TRAP_HANDLER: 0
; COMPUTE_PGM_RSRC2:TGID_X_EN: 1
; COMPUTE_PGM_RSRC2:TGID_Y_EN: 0
; COMPUTE_PGM_RSRC2:TGID_Z_EN: 1
; COMPUTE_PGM_RSRC2:TIDIG_COMP_CNT: 1
; COMPUTE_PGM_RSRC3_GFX90A:ACCUM_OFFSET: 15
; COMPUTE_PGM_RSRC3_GFX90A:TG_SPLIT: 0
	.section	.text._ZL20rocblas_gemvn_kernelILi64ELi16ElPKddKPdEviiT3_lPKT2_lT1_lS7_lS8_lS4_lPT4_lS8_li,"axG",@progbits,_ZL20rocblas_gemvn_kernelILi64ELi16ElPKddKPdEviiT3_lPKT2_lT1_lS7_lS8_lS4_lPT4_lS8_li,comdat
	.globl	_ZL20rocblas_gemvn_kernelILi64ELi16ElPKddKPdEviiT3_lPKT2_lT1_lS7_lS8_lS4_lPT4_lS8_li ; -- Begin function _ZL20rocblas_gemvn_kernelILi64ELi16ElPKddKPdEviiT3_lPKT2_lT1_lS7_lS8_lS4_lPT4_lS8_li
	.p2align	8
	.type	_ZL20rocblas_gemvn_kernelILi64ELi16ElPKddKPdEviiT3_lPKT2_lT1_lS7_lS8_lS4_lPT4_lS8_li,@function
_ZL20rocblas_gemvn_kernelILi64ELi16ElPKddKPdEviiT3_lPKT2_lT1_lS7_lS8_lS4_lPT4_lS8_li: ; @_ZL20rocblas_gemvn_kernelILi64ELi16ElPKddKPdEviiT3_lPKT2_lT1_lS7_lS8_lS4_lPT4_lS8_li
; %bb.0:
	s_load_dwordx2 s[4:5], s[0:1], 0x9c
	s_mov_b32 s12, s3
	s_waitcnt lgkmcnt(0)
	s_and_b32 s3, s5, 0xffff
	s_lshr_b32 s5, s4, 16
	s_and_b32 s4, s4, 0xffff
	s_mul_i32 s4, s5, s4
	s_mul_i32 s4, s4, s3
	s_cmpk_lg_i32 s4, 0x400
	s_cbranch_scc1 .LBB257_56
; %bb.1:
	s_load_dwordx2 s[10:11], s[0:1], 0x8
	s_load_dwordx2 s[8:9], s[0:1], 0x58
	s_waitcnt lgkmcnt(0)
	v_cmp_eq_f64_e64 s[28:29], s[10:11], 0
	v_cmp_eq_f64_e64 s[4:5], s[8:9], 1.0
	s_and_b64 s[4:5], s[28:29], s[4:5]
	s_and_b64 vcc, exec, s[4:5]
	s_cbranch_vccnz .LBB257_56
; %bb.2:
	s_load_dwordx4 s[4:7], s[0:1], 0x18
	s_load_dwordx2 s[20:21], s[0:1], 0x28
	v_cmp_neq_f64_e64 s[16:17], s[10:11], 0
	s_mov_b64 s[14:15], 0
	s_and_b64 vcc, exec, s[16:17]
	s_cbranch_vccnz .LBB257_4
; %bb.3:
	s_mov_b32 s13, 0
	s_mov_b64 s[22:23], 0
	s_andn2_b64 vcc, exec, s[14:15]
	s_cbranch_vccz .LBB257_5
	s_branch .LBB257_6
.LBB257_4:
                                        ; implicit-def: $sgpr22_sgpr23
.LBB257_5:
	s_mov_b32 s13, 0
	s_lshl_b64 s[14:15], s[12:13], 3
	s_waitcnt lgkmcnt(0)
	s_add_u32 s4, s4, s14
	s_addc_u32 s5, s5, s15
	s_load_dwordx2 s[4:5], s[4:5], 0x0
	s_lshl_b64 s[6:7], s[6:7], 3
	s_waitcnt lgkmcnt(0)
	s_add_u32 s22, s4, s6
	s_addc_u32 s23, s5, s7
.LBB257_6:
	s_waitcnt lgkmcnt(0)
	s_load_dwordx4 s[4:7], s[0:1], 0x38
	s_load_dwordx2 s[24:25], s[0:1], 0x48
	s_mov_b64 s[14:15], 0
	s_andn2_b64 vcc, exec, s[16:17]
	s_mov_b64 s[26:27], 0
	s_cbranch_vccnz .LBB257_8
; %bb.7:
	s_lshl_b64 s[16:17], s[12:13], 3
	s_waitcnt lgkmcnt(0)
	s_add_u32 s4, s4, s16
	s_addc_u32 s5, s5, s17
	s_load_dwordx2 s[4:5], s[4:5], 0x0
	s_lshl_b64 s[6:7], s[6:7], 3
	s_waitcnt lgkmcnt(0)
	s_add_u32 s26, s4, s6
	s_addc_u32 s27, s5, s7
.LBB257_8:
	s_waitcnt lgkmcnt(0)
	s_load_dwordx4 s[4:7], s[0:1], 0x68
	s_load_dwordx2 s[18:19], s[0:1], 0x0
	s_load_dwordx2 s[16:17], s[0:1], 0x78
	s_lshl_b64 s[0:1], s[12:13], 3
	v_and_b32_e32 v69, 0x3ff, v0
	s_waitcnt lgkmcnt(0)
	s_add_u32 s0, s4, s0
	s_addc_u32 s1, s5, s1
	s_load_dwordx2 s[0:1], s[0:1], 0x0
	s_lshl_b64 s[4:5], s[6:7], 3
	v_bfe_u32 v70, v0, 10, 10
	v_lshl_add_u32 v68, v70, 6, v69
	s_waitcnt lgkmcnt(0)
	s_add_u32 s12, s0, s4
	s_addc_u32 s13, s1, s5
	s_andn2_b64 vcc, exec, s[28:29]
	s_cbranch_vccnz .LBB257_15
; %bb.9:
	s_movk_i32 s0, 0x100
	v_cmp_gt_u32_e32 vcc, s0, v68
	s_mov_b64 s[0:1], 0
                                        ; implicit-def: $vgpr0_vgpr1
                                        ; implicit-def: $vgpr2_vgpr3
	s_and_saveexec_b64 s[4:5], vcc
	s_cbranch_execz .LBB257_16
; %bb.10:
	v_lshl_or_b32 v4, s2, 8, v68
	v_mov_b32_e32 v5, 0
	s_ashr_i32 s7, s18, 31
	s_mov_b32 s6, s18
	v_cmp_gt_i64_e32 vcc, s[6:7], v[4:5]
                                        ; implicit-def: $vgpr0_vgpr1
                                        ; implicit-def: $vgpr2_vgpr3
	s_and_saveexec_b64 s[6:7], vcc
	s_cbranch_execz .LBB257_14
; %bb.11:
	v_mad_u64_u32 v[2:3], s[28:29], v4, s16, 0
	v_mov_b32_e32 v6, v3
	v_cmp_eq_f64_e64 s[14:15], s[8:9], 0
	v_mad_u64_u32 v[4:5], s[28:29], v4, s17, v[6:7]
	v_mov_b64_e32 v[0:1], 0
	v_mov_b32_e32 v3, v4
	s_and_b64 vcc, exec, s[14:15]
	s_cbranch_vccnz .LBB257_13
; %bb.12:
	v_lshl_add_u64 v[0:1], v[2:3], 3, s[12:13]
	global_load_dwordx2 v[0:1], v[0:1], off
	s_waitcnt vmcnt(0)
	v_mul_f64 v[0:1], v[0:1], s[8:9]
.LBB257_13:
	s_mov_b64 s[14:15], exec
.LBB257_14:
	s_or_b64 exec, exec, s[6:7]
	s_and_b64 s[14:15], s[14:15], exec
	s_or_b64 exec, exec, s[4:5]
	s_and_b64 vcc, exec, s[0:1]
	s_cbranch_vccnz .LBB257_17
	s_branch .LBB257_54
.LBB257_15:
                                        ; implicit-def: $vgpr0_vgpr1
                                        ; implicit-def: $vgpr2_vgpr3
	s_cbranch_execnz .LBB257_17
	s_branch .LBB257_54
.LBB257_16:
	s_or_b64 exec, exec, s[4:5]
	s_and_b64 vcc, exec, s[0:1]
	s_cbranch_vccz .LBB257_54
.LBB257_17:
	s_ashr_i32 s0, s19, 31
	s_lshr_b32 s0, s0, 26
	s_add_i32 s46, s19, s0
	s_lshl_b32 s33, s2, 8
	s_andn2_b32 s46, s46, 63
	v_lshlrev_b32_e32 v71, 2, v70
	v_mov_b64_e32 v[0:1], 0
	v_add_u32_e32 v2, s33, v69
	v_cmp_gt_i32_e32 vcc, s46, v71
	v_mov_b64_e32 v[4:5], v[0:1]
	v_mov_b64_e32 v[6:7], v[0:1]
	;; [unrolled: 1-line block ×3, first 2 shown]
	s_and_saveexec_b64 s[28:29], vcc
	s_cbranch_execz .LBB257_29
; %bb.18:
	v_ashrrev_i32_e32 v3, 31, v2
	v_add_u32_e32 v0, 64, v2
	v_cmp_gt_i32_e64 s[0:1], s18, v0
	v_add_u32_e32 v0, 0x80, v2
	v_lshlrev_b64 v[10:11], 3, v[2:3]
	v_lshlrev_b32_e32 v3, 2, v70
	v_cmp_gt_i32_e64 s[2:3], s18, v0
	v_add_u32_e32 v0, 0xc0, v2
	v_or_b32_e32 v6, 3, v3
	v_cmp_gt_i32_e64 s[4:5], s18, v0
	v_mad_u64_u32 v[0:1], s[6:7], s20, v6, 0
	v_mov_b32_e32 v4, v1
	v_mad_u64_u32 v[4:5], s[6:7], s21, v6, v[4:5]
	v_mov_b32_e32 v1, v4
	v_lshl_add_u64 v[12:13], v[0:1], 3, s[22:23]
	v_mad_u64_u32 v[0:1], s[6:7], s24, v70, 0
	v_mov_b32_e32 v4, v1
	v_mad_u64_u32 v[4:5], s[6:7], s25, v70, v[4:5]
	v_mov_b32_e32 v1, v4
	v_lshlrev_b64 v[14:15], 5, v[0:1]
	v_mad_u64_u32 v[0:1], s[6:7], s20, v70, 0
	v_mov_b32_e32 v4, v1
	v_mad_u64_u32 v[4:5], s[6:7], s21, v70, v[4:5]
	v_mov_b32_e32 v1, v4
	v_lshlrev_b64 v[0:1], 5, v[0:1]
	v_lshl_add_u64 v[16:17], s[22:23], 0, v[0:1]
	v_mov_b64_e32 v[0:1], s[24:25]
	v_mad_u64_u32 v[0:1], s[6:7], s24, v3, v[0:1]
	v_mov_b32_e32 v4, v1
	v_mad_u64_u32 v[4:5], s[6:7], s25, v3, v[4:5]
	v_mov_b32_e32 v1, v4
	v_lshlrev_b64 v[18:19], 3, v[0:1]
	v_mad_u64_u32 v[0:1], s[6:7], s24, v6, 0
	v_mov_b32_e32 v4, v1
	v_mad_u64_u32 v[4:5], s[6:7], s25, v6, v[4:5]
	v_mov_b32_e32 v1, v4
	v_or_b32_e32 v6, 2, v3
	v_lshlrev_b64 v[20:21], 3, v[0:1]
	v_mad_u64_u32 v[0:1], s[6:7], s20, v6, 0
	v_mov_b32_e32 v4, v1
	v_mad_u64_u32 v[4:5], s[6:7], s21, v6, v[4:5]
	v_mov_b32_e32 v1, v4
	v_lshl_add_u64 v[22:23], v[0:1], 3, s[22:23]
	v_mov_b64_e32 v[0:1], s[20:21]
	v_mad_u64_u32 v[0:1], s[6:7], s20, v3, v[0:1]
	v_mov_b32_e32 v4, v1
	v_mad_u64_u32 v[4:5], s[6:7], s21, v3, v[4:5]
	v_mov_b32_e32 v1, v4
	v_lshl_add_u64 v[24:25], v[0:1], 3, s[22:23]
	v_mad_u64_u32 v[0:1], s[6:7], s24, v6, 0
	v_mov_b32_e32 v4, v1
	v_mad_u64_u32 v[4:5], s[6:7], s25, v6, v[4:5]
	v_mov_b32_e32 v1, v4
	v_lshlrev_b64 v[26:27], 3, v[0:1]
	v_mov_b64_e32 v[0:1], 0
	v_cmp_gt_i32_e32 vcc, s18, v2
	s_lshl_b64 s[30:31], s[20:21], 9
	s_lshl_b64 s[34:35], s[24:25], 9
	s_mov_b64 s[36:37], 0
	s_mov_b64 s[38:39], s[26:27]
	v_mov_b64_e32 v[4:5], v[0:1]
	v_mov_b64_e32 v[6:7], v[0:1]
	;; [unrolled: 1-line block ×3, first 2 shown]
	s_branch .LBB257_23
.LBB257_19:                             ;   in Loop: Header=BB257_23 Depth=1
	s_or_b64 exec, exec, s[44:45]
	s_waitcnt vmcnt(0) lgkmcnt(0)
	v_fmac_f64_e32 v[6:7], v[34:35], v[66:67]
	v_fmac_f64_e32 v[6:7], v[32:33], v[64:65]
	;; [unrolled: 1-line block ×4, first 2 shown]
.LBB257_20:                             ;   in Loop: Header=BB257_23 Depth=1
	s_or_b64 exec, exec, s[42:43]
	s_waitcnt vmcnt(0) lgkmcnt(0)
	v_fmac_f64_e32 v[4:5], v[34:35], v[50:51]
	v_fmac_f64_e32 v[4:5], v[32:33], v[48:49]
	;; [unrolled: 1-line block ×4, first 2 shown]
.LBB257_21:                             ;   in Loop: Header=BB257_23 Depth=1
	s_or_b64 exec, exec, s[40:41]
	s_waitcnt vmcnt(0) lgkmcnt(0)
	v_fmac_f64_e32 v[0:1], v[34:35], v[36:37]
	v_fmac_f64_e32 v[0:1], v[32:33], v[38:39]
	;; [unrolled: 1-line block ×4, first 2 shown]
.LBB257_22:                             ;   in Loop: Header=BB257_23 Depth=1
	s_or_b64 exec, exec, s[6:7]
	v_add_u32_e32 v71, 64, v71
	s_add_u32 s38, s38, s34
	s_addc_u32 s39, s39, s35
	v_cmp_le_i32_e64 s[6:7], s46, v71
	v_lshl_add_u64 v[12:13], v[12:13], 0, s[30:31]
	v_lshl_add_u64 v[16:17], v[16:17], 0, s[30:31]
	;; [unrolled: 1-line block ×3, first 2 shown]
	s_or_b64 s[36:37], s[6:7], s[36:37]
	v_lshl_add_u64 v[24:25], v[24:25], 0, s[30:31]
	s_andn2_b64 exec, exec, s[36:37]
	s_cbranch_execz .LBB257_28
.LBB257_23:                             ; =>This Inner Loop Header: Depth=1
	s_and_saveexec_b64 s[6:7], vcc
	s_cbranch_execz .LBB257_22
; %bb.24:                               ;   in Loop: Header=BB257_23 Depth=1
	v_lshl_add_u64 v[36:37], s[38:39], 0, v[14:15]
	v_lshl_add_u64 v[38:39], s[38:39], 0, v[18:19]
	;; [unrolled: 1-line block ×4, first 2 shown]
	flat_load_dwordx2 v[34:35], v[36:37]
	flat_load_dwordx2 v[32:33], v[38:39]
	;; [unrolled: 1-line block ×4, first 2 shown]
	v_lshl_add_u64 v[58:59], v[16:17], 0, v[10:11]
	v_lshl_add_u64 v[56:57], v[24:25], 0, v[10:11]
	;; [unrolled: 1-line block ×4, first 2 shown]
	flat_load_dwordx2 v[36:37], v[58:59]
	flat_load_dwordx2 v[38:39], v[56:57]
	;; [unrolled: 1-line block ×4, first 2 shown]
	s_and_saveexec_b64 s[40:41], s[0:1]
	s_cbranch_execz .LBB257_21
; %bb.25:                               ;   in Loop: Header=BB257_23 Depth=1
	flat_load_dwordx2 v[50:51], v[58:59] offset:512
	flat_load_dwordx2 v[48:49], v[56:57] offset:512
	;; [unrolled: 1-line block ×4, first 2 shown]
	s_and_saveexec_b64 s[42:43], s[2:3]
	s_cbranch_execz .LBB257_20
; %bb.26:                               ;   in Loop: Header=BB257_23 Depth=1
	flat_load_dwordx2 v[66:67], v[58:59] offset:1024
	flat_load_dwordx2 v[64:65], v[56:57] offset:1024
	;; [unrolled: 1-line block ×4, first 2 shown]
	s_and_saveexec_b64 s[44:45], s[4:5]
	s_cbranch_execz .LBB257_19
; %bb.27:                               ;   in Loop: Header=BB257_23 Depth=1
	flat_load_dwordx2 v[58:59], v[58:59] offset:1536
	s_nop 0
	flat_load_dwordx2 v[56:57], v[56:57] offset:1536
	s_nop 0
	;; [unrolled: 2-line block ×3, first 2 shown]
	flat_load_dwordx2 v[52:53], v[52:53] offset:1536
	s_waitcnt vmcnt(0) lgkmcnt(0)
	v_fmac_f64_e32 v[8:9], v[34:35], v[58:59]
	v_fmac_f64_e32 v[8:9], v[32:33], v[56:57]
	;; [unrolled: 1-line block ×4, first 2 shown]
	s_branch .LBB257_19
.LBB257_28:
	s_or_b64 exec, exec, s[36:37]
.LBB257_29:
	s_or_b64 exec, exec, s[28:29]
	s_sub_i32 s0, s19, s46
	s_cmp_lt_i32 s0, 1
	s_cbranch_scc1 .LBB257_47
; %bb.30:
	v_mov_b64_e32 v[12:13], 0
	v_cmp_gt_i32_e32 vcc, s19, v71
	v_or_b32_e32 v20, 1, v71
	v_mov_b64_e32 v[16:17], v[12:13]
	v_mov_b64_e32 v[14:15], v[12:13]
	;; [unrolled: 1-line block ×3, first 2 shown]
	s_and_saveexec_b64 s[2:3], vcc
	s_cbranch_execz .LBB257_38
; %bb.31:
	v_mad_u64_u32 v[10:11], s[0:1], v71, s24, 0
	v_mov_b32_e32 v12, v11
	v_mad_u64_u32 v[12:13], s[0:1], v71, s25, v[12:13]
	v_mov_b32_e32 v11, v12
	v_lshl_add_u64 v[10:11], v[10:11], 3, s[26:27]
	flat_load_dwordx2 v[10:11], v[10:11]
	v_mov_b64_e32 v[14:15], 0
	v_cmp_gt_i32_e64 s[0:1], s19, v20
	v_mov_b64_e32 v[16:17], v[14:15]
	v_mov_b64_e32 v[12:13], v[14:15]
	s_and_saveexec_b64 s[4:5], s[0:1]
	s_cbranch_execz .LBB257_37
; %bb.32:
	v_mad_u64_u32 v[12:13], s[0:1], v20, s24, 0
	v_mov_b32_e32 v14, v13
	v_mad_u64_u32 v[14:15], s[0:1], v20, s25, v[14:15]
	v_mov_b32_e32 v13, v14
	v_lshl_add_u64 v[12:13], v[12:13], 3, s[26:27]
	flat_load_dwordx2 v[14:15], v[12:13]
	v_or_b32_e32 v3, 2, v71
	v_mov_b64_e32 v[16:17], 0
	v_cmp_gt_i32_e64 s[0:1], s19, v3
	v_mov_b64_e32 v[12:13], v[16:17]
	s_and_saveexec_b64 s[6:7], s[0:1]
	s_cbranch_execz .LBB257_36
; %bb.33:
	v_mad_u64_u32 v[12:13], s[0:1], v3, s24, 0
	v_mov_b32_e32 v16, v13
	v_mad_u64_u32 v[16:17], s[0:1], v3, s25, v[16:17]
	v_mov_b32_e32 v13, v16
	v_lshl_add_u64 v[12:13], v[12:13], 3, s[26:27]
	flat_load_dwordx2 v[16:17], v[12:13]
	v_or_b32_e32 v3, 3, v71
	v_cmp_gt_i32_e64 s[0:1], s19, v3
	v_mov_b64_e32 v[12:13], 0
	s_and_saveexec_b64 s[28:29], s[0:1]
	s_cbranch_execz .LBB257_35
; %bb.34:
	v_mad_u64_u32 v[12:13], s[0:1], v3, s24, 0
	v_mov_b32_e32 v18, v13
	v_mad_u64_u32 v[18:19], s[0:1], v3, s25, v[18:19]
	v_mov_b32_e32 v13, v18
	v_lshl_add_u64 v[12:13], v[12:13], 3, s[26:27]
	flat_load_dwordx2 v[12:13], v[12:13]
.LBB257_35:
	s_or_b64 exec, exec, s[28:29]
.LBB257_36:
	s_or_b64 exec, exec, s[6:7]
.LBB257_37:
	s_or_b64 exec, exec, s[4:5]
.LBB257_38:
	s_or_b64 exec, exec, s[2:3]
	v_cmp_gt_i32_e64 s[0:1], s18, v2
	s_and_saveexec_b64 s[2:3], s[0:1]
	s_cbranch_execz .LBB257_46
; %bb.39:
	v_mad_u64_u32 v[18:19], s[0:1], v71, s20, 0
	v_mov_b32_e32 v22, v19
	v_ashrrev_i32_e32 v3, 31, v2
	v_mad_u64_u32 v[22:23], s[0:1], v71, s21, v[22:23]
	v_mad_u64_u32 v[24:25], s[0:1], v20, s20, 0
	v_cndmask_b32_e32 v18, 0, v18, vcc
	v_cndmask_b32_e32 v19, 0, v22, vcc
	v_lshlrev_b64 v[22:23], 3, v[2:3]
	v_mov_b32_e32 v26, v25
	v_cmp_gt_i32_e32 vcc, s19, v20
	v_or_b32_e32 v3, 2, v71
	v_mad_u64_u32 v[26:27], s[0:1], v20, s21, v[26:27]
	v_cndmask_b32_e32 v20, 0, v24, vcc
	v_mad_u64_u32 v[24:25], s[0:1], v3, s20, 0
	v_cndmask_b32_e32 v21, 0, v26, vcc
	v_mov_b32_e32 v26, v25
	v_mad_u64_u32 v[26:27], s[0:1], v3, s21, v[26:27]
	v_cmp_gt_i32_e32 vcc, s19, v3
	v_or_b32_e32 v3, 3, v71
	v_lshl_add_u64 v[18:19], v[18:19], 3, s[22:23]
	v_cndmask_b32_e32 v25, 0, v26, vcc
	v_mad_u64_u32 v[26:27], s[0:1], v3, s20, 0
	v_mov_b32_e32 v28, v27
	v_cndmask_b32_e32 v24, 0, v24, vcc
	v_mad_u64_u32 v[28:29], s[0:1], v3, s21, v[28:29]
	v_cmp_gt_i32_e32 vcc, s19, v3
	v_lshl_add_u64 v[18:19], v[18:19], 0, v[22:23]
	v_lshl_add_u64 v[20:21], v[20:21], 3, s[22:23]
	v_cndmask_b32_e32 v26, 0, v26, vcc
	v_cndmask_b32_e32 v27, 0, v28, vcc
	v_lshl_add_u64 v[24:25], v[24:25], 3, s[22:23]
	v_lshl_add_u64 v[26:27], v[26:27], 3, s[22:23]
	v_lshl_add_u64 v[20:21], v[20:21], 0, v[22:23]
	v_lshl_add_u64 v[24:25], v[24:25], 0, v[22:23]
	flat_load_dwordx2 v[28:29], v[18:19]
	flat_load_dwordx2 v[30:31], v[20:21]
	;; [unrolled: 1-line block ×3, first 2 shown]
	v_lshl_add_u64 v[26:27], v[26:27], 0, v[22:23]
	flat_load_dwordx2 v[22:23], v[26:27]
	v_add_u32_e32 v3, 64, v2
	v_cmp_gt_i32_e32 vcc, s18, v3
	s_waitcnt vmcnt(0) lgkmcnt(0)
	v_fmac_f64_e32 v[0:1], v[10:11], v[28:29]
	v_fmac_f64_e32 v[0:1], v[14:15], v[30:31]
	v_fmac_f64_e32 v[0:1], v[16:17], v[32:33]
	s_and_saveexec_b64 s[0:1], vcc
	s_cbranch_execz .LBB257_45
; %bb.40:
	flat_load_dwordx2 v[30:31], v[18:19] offset:512
	flat_load_dwordx2 v[32:33], v[20:21] offset:512
	flat_load_dwordx2 v[34:35], v[24:25] offset:512
	flat_load_dwordx2 v[28:29], v[26:27] offset:512
	v_add_u32_e32 v3, 0x80, v2
	v_cmp_gt_i32_e32 vcc, s18, v3
	s_waitcnt vmcnt(0) lgkmcnt(0)
	v_fmac_f64_e32 v[4:5], v[10:11], v[30:31]
	v_fmac_f64_e32 v[4:5], v[14:15], v[32:33]
	v_fmac_f64_e32 v[4:5], v[16:17], v[34:35]
	s_and_saveexec_b64 s[4:5], vcc
	s_cbranch_execz .LBB257_44
; %bb.41:
	flat_load_dwordx2 v[32:33], v[18:19] offset:1024
	flat_load_dwordx2 v[34:35], v[20:21] offset:1024
	flat_load_dwordx2 v[36:37], v[24:25] offset:1024
	flat_load_dwordx2 v[30:31], v[26:27] offset:1024
	;; [unrolled: 13-line block ×3, first 2 shown]
	s_waitcnt vmcnt(0) lgkmcnt(0)
	v_fmac_f64_e32 v[8:9], v[10:11], v[2:3]
	v_fmac_f64_e32 v[8:9], v[14:15], v[32:33]
	;; [unrolled: 1-line block ×4, first 2 shown]
.LBB257_43:
	s_or_b64 exec, exec, s[6:7]
	v_fmac_f64_e32 v[6:7], v[12:13], v[30:31]
.LBB257_44:
	s_or_b64 exec, exec, s[4:5]
	v_fmac_f64_e32 v[4:5], v[12:13], v[28:29]
.LBB257_45:
	s_or_b64 exec, exec, s[0:1]
	v_fmac_f64_e32 v[0:1], v[12:13], v[22:23]
.LBB257_46:
	s_or_b64 exec, exec, s[2:3]
.LBB257_47:
	v_lshlrev_b32_e32 v2, 8, v70
	s_movk_i32 s0, 0x100
	v_add_lshl_u32 v2, v2, v69, 3
	v_cmp_gt_u32_e32 vcc, s0, v68
	ds_write2st64_b64 v2, v[0:1], v[4:5] offset1:1
	ds_write2st64_b64 v2, v[6:7], v[8:9] offset0:2 offset1:3
	s_waitcnt lgkmcnt(0)
	s_barrier
	s_waitcnt lgkmcnt(0)
                                        ; implicit-def: $vgpr0_vgpr1
                                        ; implicit-def: $vgpr2_vgpr3
	s_and_saveexec_b64 s[0:1], vcc
	s_cbranch_execz .LBB257_53
; %bb.48:
	v_lshlrev_b32_e32 v20, 3, v68
	ds_read2st64_b64 v[0:3], v20 offset1:4
	ds_read2st64_b64 v[4:7], v20 offset0:8 offset1:12
	s_waitcnt vmcnt(0)
	ds_read2st64_b64 v[8:11], v20 offset0:16 offset1:20
	ds_read2st64_b64 v[12:15], v20 offset0:24 offset1:28
	;; [unrolled: 1-line block ×3, first 2 shown]
	s_waitcnt lgkmcnt(4)
	v_add_f64 v[0:1], v[0:1], v[2:3]
	s_waitcnt lgkmcnt(3)
	v_add_f64 v[0:1], v[4:5], v[0:1]
	v_add_f64 v[0:1], v[6:7], v[0:1]
	s_waitcnt lgkmcnt(2)
	v_add_f64 v[0:1], v[8:9], v[0:1]
	;; [unrolled: 3-line block ×3, first 2 shown]
	v_add_f64 v[4:5], v[14:15], v[0:1]
	ds_read2st64_b64 v[0:3], v20 offset0:40 offset1:44
	s_waitcnt lgkmcnt(1)
	v_add_f64 v[8:9], v[16:17], v[4:5]
	ds_read2st64_b64 v[4:7], v20 offset0:48 offset1:52
	v_add_f64 v[12:13], v[18:19], v[8:9]
	ds_read2st64_b64 v[8:11], v20 offset0:56 offset1:60
	s_waitcnt lgkmcnt(2)
	v_add_f64 v[0:1], v[0:1], v[12:13]
	v_add_f64 v[0:1], v[2:3], v[0:1]
	s_waitcnt lgkmcnt(1)
	v_add_f64 v[0:1], v[4:5], v[0:1]
	v_add_f64 v[0:1], v[6:7], v[0:1]
	s_waitcnt lgkmcnt(0)
	v_add_f64 v[0:1], v[8:9], v[0:1]
	v_or_b32_e32 v6, s33, v68
	v_add_f64 v[4:5], v[10:11], v[0:1]
	v_cmp_gt_i32_e32 vcc, s18, v6
	s_mov_b64 s[4:5], s[14:15]
	ds_write_b64 v20, v[4:5]
                                        ; implicit-def: $vgpr0_vgpr1
                                        ; implicit-def: $vgpr2_vgpr3
	s_and_saveexec_b64 s[2:3], vcc
	s_cbranch_execz .LBB257_52
; %bb.49:
	v_ashrrev_i32_e32 v2, 31, v6
	v_cmp_eq_f64_e64 s[4:5], s[8:9], 0
	v_mul_f64 v[0:1], v[4:5], s[10:11]
	v_mul_lo_u32 v4, v6, s17
	v_mul_lo_u32 v5, v2, s16
	v_mad_u64_u32 v[2:3], s[6:7], v6, s16, 0
	v_add3_u32 v3, v3, v4, v5
	s_and_b64 vcc, exec, s[4:5]
	s_cbranch_vccnz .LBB257_51
; %bb.50:
	v_lshl_add_u64 v[4:5], v[2:3], 3, s[12:13]
	global_load_dwordx2 v[4:5], v[4:5], off
	s_waitcnt vmcnt(0)
	v_fmac_f64_e32 v[0:1], s[8:9], v[4:5]
.LBB257_51:
	s_or_b64 s[4:5], s[14:15], exec
.LBB257_52:
	s_or_b64 exec, exec, s[2:3]
	s_andn2_b64 s[2:3], s[14:15], exec
	s_and_b64 s[4:5], s[4:5], exec
	s_or_b64 s[14:15], s[2:3], s[4:5]
.LBB257_53:
	s_or_b64 exec, exec, s[0:1]
.LBB257_54:
	s_and_saveexec_b64 s[0:1], s[14:15]
	s_cbranch_execz .LBB257_56
; %bb.55:
	v_lshl_add_u64 v[2:3], v[2:3], 3, s[12:13]
	global_store_dwordx2 v[2:3], v[0:1], off
.LBB257_56:
	s_endpgm
	.section	.rodata,"a",@progbits
	.p2align	6, 0x0
	.amdhsa_kernel _ZL20rocblas_gemvn_kernelILi64ELi16ElPKddKPdEviiT3_lPKT2_lT1_lS7_lS8_lS4_lPT4_lS8_li
		.amdhsa_group_segment_fixed_size 32768
		.amdhsa_private_segment_fixed_size 0
		.amdhsa_kernarg_size 400
		.amdhsa_user_sgpr_count 2
		.amdhsa_user_sgpr_dispatch_ptr 0
		.amdhsa_user_sgpr_queue_ptr 0
		.amdhsa_user_sgpr_kernarg_segment_ptr 1
		.amdhsa_user_sgpr_dispatch_id 0
		.amdhsa_user_sgpr_kernarg_preload_length 0
		.amdhsa_user_sgpr_kernarg_preload_offset 0
		.amdhsa_user_sgpr_private_segment_size 0
		.amdhsa_uses_dynamic_stack 0
		.amdhsa_enable_private_segment 0
		.amdhsa_system_sgpr_workgroup_id_x 1
		.amdhsa_system_sgpr_workgroup_id_y 0
		.amdhsa_system_sgpr_workgroup_id_z 1
		.amdhsa_system_sgpr_workgroup_info 0
		.amdhsa_system_vgpr_workitem_id 1
		.amdhsa_next_free_vgpr 72
		.amdhsa_next_free_sgpr 47
		.amdhsa_accum_offset 72
		.amdhsa_reserve_vcc 1
		.amdhsa_float_round_mode_32 0
		.amdhsa_float_round_mode_16_64 0
		.amdhsa_float_denorm_mode_32 3
		.amdhsa_float_denorm_mode_16_64 3
		.amdhsa_dx10_clamp 1
		.amdhsa_ieee_mode 1
		.amdhsa_fp16_overflow 0
		.amdhsa_tg_split 0
		.amdhsa_exception_fp_ieee_invalid_op 0
		.amdhsa_exception_fp_denorm_src 0
		.amdhsa_exception_fp_ieee_div_zero 0
		.amdhsa_exception_fp_ieee_overflow 0
		.amdhsa_exception_fp_ieee_underflow 0
		.amdhsa_exception_fp_ieee_inexact 0
		.amdhsa_exception_int_div_zero 0
	.end_amdhsa_kernel
	.section	.text._ZL20rocblas_gemvn_kernelILi64ELi16ElPKddKPdEviiT3_lPKT2_lT1_lS7_lS8_lS4_lPT4_lS8_li,"axG",@progbits,_ZL20rocblas_gemvn_kernelILi64ELi16ElPKddKPdEviiT3_lPKT2_lT1_lS7_lS8_lS4_lPT4_lS8_li,comdat
.Lfunc_end257:
	.size	_ZL20rocblas_gemvn_kernelILi64ELi16ElPKddKPdEviiT3_lPKT2_lT1_lS7_lS8_lS4_lPT4_lS8_li, .Lfunc_end257-_ZL20rocblas_gemvn_kernelILi64ELi16ElPKddKPdEviiT3_lPKT2_lT1_lS7_lS8_lS4_lPT4_lS8_li
                                        ; -- End function
	.section	.AMDGPU.csdata,"",@progbits
; Kernel info:
; codeLenInByte = 2672
; NumSgprs: 53
; NumVgprs: 72
; NumAgprs: 0
; TotalNumVgprs: 72
; ScratchSize: 0
; MemoryBound: 1
; FloatMode: 240
; IeeeMode: 1
; LDSByteSize: 32768 bytes/workgroup (compile time only)
; SGPRBlocks: 6
; VGPRBlocks: 8
; NumSGPRsForWavesPerEU: 53
; NumVGPRsForWavesPerEU: 72
; AccumOffset: 72
; Occupancy: 7
; WaveLimiterHint : 1
; COMPUTE_PGM_RSRC2:SCRATCH_EN: 0
; COMPUTE_PGM_RSRC2:USER_SGPR: 2
; COMPUTE_PGM_RSRC2:TRAP_HANDLER: 0
; COMPUTE_PGM_RSRC2:TGID_X_EN: 1
; COMPUTE_PGM_RSRC2:TGID_Y_EN: 0
; COMPUTE_PGM_RSRC2:TGID_Z_EN: 1
; COMPUTE_PGM_RSRC2:TIDIG_COMP_CNT: 1
; COMPUTE_PGM_RSRC3_GFX90A:ACCUM_OFFSET: 17
; COMPUTE_PGM_RSRC3_GFX90A:TG_SPLIT: 0
	.section	.text._ZL22rocblas_gemvtsm_kernelILb0ELi256EPKdS1_KPdEviiT2_lPKT1_lilS7_lilS4_lPT3_lil,"axG",@progbits,_ZL22rocblas_gemvtsm_kernelILb0ELi256EPKdS1_KPdEviiT2_lPKT1_lilS7_lilS4_lPT3_lil,comdat
	.globl	_ZL22rocblas_gemvtsm_kernelILb0ELi256EPKdS1_KPdEviiT2_lPKT1_lilS7_lilS4_lPT3_lil ; -- Begin function _ZL22rocblas_gemvtsm_kernelILb0ELi256EPKdS1_KPdEviiT2_lPKT1_lilS7_lilS4_lPT3_lil
	.p2align	8
	.type	_ZL22rocblas_gemvtsm_kernelILb0ELi256EPKdS1_KPdEviiT2_lPKT1_lilS7_lilS4_lPT3_lil,@function
_ZL22rocblas_gemvtsm_kernelILb0ELi256EPKdS1_KPdEviiT2_lPKT1_lilS7_lilS4_lPT3_lil: ; @_ZL22rocblas_gemvtsm_kernelILb0ELi256EPKdS1_KPdEviiT2_lPKT1_lilS7_lilS4_lPT3_lil
; %bb.0:
	s_load_dwordx8 s[12:19], s[0:1], 0x8
	s_load_dwordx8 s[4:11], s[0:1], 0x58
	s_waitcnt lgkmcnt(0)
	s_mul_i32 s3, s2, s15
	s_mul_hi_u32 s15, s2, s14
	s_add_i32 s15, s15, s3
	s_mul_i32 s14, s2, s14
	s_lshl_b64 s[14:15], s[14:15], 3
	s_add_u32 s12, s12, s14
	s_mul_i32 s3, s2, s7
	s_mul_hi_u32 s7, s2, s6
	s_addc_u32 s13, s13, s15
	s_add_i32 s7, s7, s3
	s_mul_i32 s6, s2, s6
	s_lshl_b64 s[6:7], s[6:7], 3
	s_add_u32 s4, s4, s6
	s_addc_u32 s5, s5, s7
	s_load_dwordx2 s[20:21], s[12:13], 0x0
	s_load_dwordx2 s[6:7], s[4:5], 0x0
	s_waitcnt lgkmcnt(0)
	v_cmp_eq_f64_e64 s[24:25], s[20:21], 0
	v_cmp_eq_f64_e64 s[4:5], s[6:7], 1.0
	s_and_b64 s[4:5], s[24:25], s[4:5]
	s_and_b64 vcc, exec, s[4:5]
	s_cbranch_vccnz .LBB258_38
; %bb.1:
	s_mov_b32 s3, 0
	s_mov_b64 s[22:23], 0
	v_cmp_neq_f64_e64 s[12:13], s[20:21], 0
	s_and_b64 vcc, exec, s[24:25]
	s_mov_b64 s[4:5], 0
	s_cbranch_vccnz .LBB258_3
; %bb.2:
	s_lshl_b64 s[4:5], s[2:3], 3
	s_add_u32 s4, s16, s4
	s_addc_u32 s5, s17, s5
	s_load_dwordx2 s[4:5], s[4:5], 0x0
	s_lshl_b64 s[14:15], s[18:19], 3
	s_waitcnt lgkmcnt(0)
	s_add_u32 s4, s4, s14
	s_addc_u32 s5, s5, s15
.LBB258_3:
	s_andn2_b64 vcc, exec, s[12:13]
	s_cbranch_vccnz .LBB258_5
; %bb.4:
	s_load_dwordx4 s[12:15], s[0:1], 0x38
	s_lshl_b64 s[16:17], s[2:3], 3
	s_waitcnt lgkmcnt(0)
	s_add_u32 s12, s12, s16
	s_addc_u32 s13, s13, s17
	s_load_dwordx2 s[12:13], s[12:13], 0x0
	s_lshl_b64 s[14:15], s[14:15], 3
	s_waitcnt lgkmcnt(0)
	s_add_u32 s22, s12, s14
	s_addc_u32 s23, s13, s15
.LBB258_5:
	s_lshl_b64 s[2:3], s[2:3], 3
	s_add_u32 s2, s8, s2
	s_addc_u32 s3, s9, s3
	s_load_dwordx2 s[12:13], s[0:1], 0x0
	s_load_dword s14, s[0:1], 0x78
	s_load_dwordx2 s[8:9], s[2:3], 0x0
	s_andn2_b64 vcc, exec, s[24:25]
	s_mov_b64 s[2:3], -1
	s_cbranch_vccnz .LBB258_20
; %bb.6:
	s_waitcnt lgkmcnt(0)
	s_cmp_gt_i32 s13, 0
	s_cselect_b64 s[16:17], -1, 0
	v_cmp_neq_f64_e64 s[2:3], s[6:7], 0
	v_cndmask_b32_e64 v1, 0, 1, s[16:17]
	s_and_b64 vcc, exec, s[2:3]
	v_cmp_ne_u32_e64 s[2:3], 1, v1
	s_cbranch_vccnz .LBB258_13
; %bb.7:
	s_and_b64 vcc, exec, s[2:3]
	s_cbranch_vccnz .LBB258_12
; %bb.8:
	v_mad_i64_i32 v[2:3], s[16:17], s14, v0, 0
	s_ashr_i32 s15, s14, 31
	s_lshl_b64 s[16:17], s[10:11], 3
	s_add_u32 s16, s8, s16
	s_addc_u32 s17, s9, s17
	v_lshl_add_u64 v[2:3], v[2:3], 3, s[16:17]
	s_lshl_b64 s[16:17], s[14:15], 11
	s_mov_b32 s15, 0
	v_mov_b32_e32 v4, 0
	s_branch .LBB258_10
.LBB258_9:                              ;   in Loop: Header=BB258_10 Depth=1
	s_or_b64 exec, exec, s[18:19]
	s_addk_i32 s15, 0x100
	s_cmp_ge_i32 s15, s13
	v_lshl_add_u64 v[2:3], v[2:3], 0, s[16:17]
	s_cbranch_scc1 .LBB258_12
.LBB258_10:                             ; =>This Inner Loop Header: Depth=1
	v_add_u32_e32 v1, s15, v0
	v_cmp_gt_i32_e32 vcc, s13, v1
	s_and_saveexec_b64 s[18:19], vcc
	s_cbranch_execz .LBB258_9
; %bb.11:                               ;   in Loop: Header=BB258_10 Depth=1
	v_mov_b32_e32 v5, v4
	global_store_dwordx2 v[2:3], v[4:5], off
	s_branch .LBB258_9
.LBB258_12:
	s_cbranch_execz .LBB258_14
	s_branch .LBB258_19
.LBB258_13:
.LBB258_14:
	s_and_b64 vcc, exec, s[2:3]
	s_cbranch_vccnz .LBB258_19
; %bb.15:
	v_mad_i64_i32 v[2:3], s[2:3], s14, v0, 0
	s_ashr_i32 s15, s14, 31
	s_lshl_b64 s[2:3], s[10:11], 3
	s_add_u32 s2, s8, s2
	s_addc_u32 s3, s9, s3
	v_lshl_add_u64 v[2:3], v[2:3], 3, s[2:3]
	s_lshl_b64 s[2:3], s[14:15], 11
	s_mov_b32 s15, 0
	s_branch .LBB258_17
.LBB258_16:                             ;   in Loop: Header=BB258_17 Depth=1
	s_or_b64 exec, exec, s[16:17]
	s_addk_i32 s15, 0x100
	s_cmp_ge_i32 s15, s13
	v_lshl_add_u64 v[2:3], v[2:3], 0, s[2:3]
	s_cbranch_scc1 .LBB258_19
.LBB258_17:                             ; =>This Inner Loop Header: Depth=1
	v_add_u32_e32 v1, s15, v0
	v_cmp_gt_i32_e32 vcc, s13, v1
	s_and_saveexec_b64 s[16:17], vcc
	s_cbranch_execz .LBB258_16
; %bb.18:                               ;   in Loop: Header=BB258_17 Depth=1
	global_load_dwordx2 v[4:5], v[2:3], off
	s_waitcnt vmcnt(0)
	v_mul_f64 v[4:5], s[6:7], v[4:5]
	global_store_dwordx2 v[2:3], v[4:5], off
	s_branch .LBB258_16
.LBB258_19:
	s_mov_b64 s[2:3], 0
.LBB258_20:
	s_andn2_b64 vcc, exec, s[2:3]
	s_cbranch_vccnz .LBB258_38
; %bb.21:
	s_waitcnt lgkmcnt(0)
	v_cmp_gt_i32_e32 vcc, s12, v0
	s_and_saveexec_b64 s[2:3], vcc
	s_cbranch_execz .LBB258_23
; %bb.22:
	s_load_dword s15, s[0:1], 0x48
	v_lshlrev_b32_e32 v1, 3, v0
	s_waitcnt lgkmcnt(0)
	v_mad_i64_i32 v[2:3], s[16:17], s15, v0, 0
	v_lshl_add_u64 v[2:3], v[2:3], 3, s[22:23]
	flat_load_dwordx2 v[2:3], v[2:3]
	s_waitcnt vmcnt(0) lgkmcnt(0)
	v_mul_f64 v[2:3], s[20:21], v[2:3]
	ds_write_b64 v1, v[2:3]
.LBB258_23:
	s_or_b64 exec, exec, s[2:3]
	s_cmp_lt_i32 s13, 1
	s_waitcnt lgkmcnt(0)
	s_barrier
	s_cbranch_scc1 .LBB258_38
; %bb.24:
	s_load_dword s0, s[0:1], 0x28
	s_lshl_b64 s[2:3], s[10:11], 3
	s_add_u32 s8, s8, s2
	s_addc_u32 s9, s9, s3
	s_ashr_i32 s15, s14, 31
	s_waitcnt lgkmcnt(0)
	s_ashr_i32 s1, s0, 31
	s_cmp_gt_i32 s12, 0
	s_cselect_b64 s[2:3], -1, 0
	s_and_b32 s22, s12, 7
	s_cmp_gt_u32 s12, 7
	s_cselect_b64 s[20:21], -1, 0
	s_and_b32 s12, s12, 0x7ffffff8
	s_cmp_lg_u32 s22, 0
	v_mad_i64_i32 v[2:3], s[18:19], s0, v0, 0
	s_cselect_b64 s[16:17], -1, 0
	s_lshl_b64 s[18:19], s[0:1], 11
	v_cmp_neq_f64_e64 s[0:1], s[6:7], 0
	s_mov_b32 s11, 0
	v_lshl_add_u64 v[2:3], v[2:3], 3, s[4:5]
	v_cndmask_b32_e64 v1, 0, 1, s[0:1]
	v_cmp_ne_u32_e64 s[0:1], 1, v1
	v_cndmask_b32_e64 v1, 0, 1, s[2:3]
	v_cmp_ne_u32_e64 s[2:3], 1, v1
	;; [unrolled: 2-line block ×3, first 2 shown]
	s_mov_b32 s23, 0
	s_branch .LBB258_27
.LBB258_25:                             ;   in Loop: Header=BB258_27 Depth=1
	global_store_dwordx2 v[4:5], v[6:7], off
.LBB258_26:                             ;   in Loop: Header=BB258_27 Depth=1
	s_or_b64 exec, exec, s[20:21]
	s_addk_i32 s23, 0x100
	s_cmp_ge_i32 s23, s13
	v_lshl_add_u64 v[2:3], v[2:3], 0, s[18:19]
	s_cbranch_scc1 .LBB258_38
.LBB258_27:                             ; =>This Loop Header: Depth=1
                                        ;     Child Loop BB258_33 Depth 2
                                        ;     Child Loop BB258_37 Depth 2
	v_add_u32_e32 v1, s23, v0
	v_cmp_gt_i32_e32 vcc, s13, v1
	s_and_saveexec_b64 s[20:21], vcc
	s_cbranch_execz .LBB258_26
; %bb.28:                               ;   in Loop: Header=BB258_27 Depth=1
	v_mad_u64_u32 v[4:5], s[24:25], v1, s14, 0
	v_mov_b32_e32 v6, v5
	v_mad_u64_u32 v[6:7], s[24:25], v1, s15, v[6:7]
	v_mov_b32_e32 v5, v6
	s_and_b64 vcc, exec, s[0:1]
	v_lshl_add_u64 v[4:5], v[4:5], 3, s[8:9]
	s_cbranch_vccnz .LBB258_30
; %bb.29:                               ;   in Loop: Header=BB258_27 Depth=1
	global_load_dwordx2 v[6:7], v[4:5], off
	s_waitcnt vmcnt(0)
	v_mul_f64 v[6:7], s[6:7], v[6:7]
	s_and_b64 vcc, exec, s[2:3]
	s_cbranch_vccz .LBB258_31
	s_branch .LBB258_25
.LBB258_30:                             ;   in Loop: Header=BB258_27 Depth=1
	v_mov_b64_e32 v[6:7], 0
	s_and_b64 vcc, exec, s[2:3]
	s_cbranch_vccnz .LBB258_25
.LBB258_31:                             ;   in Loop: Header=BB258_27 Depth=1
	s_mov_b32 s10, 0
	s_and_b64 vcc, exec, s[4:5]
	s_cbranch_vccnz .LBB258_35
; %bb.32:                               ;   in Loop: Header=BB258_27 Depth=1
	s_mov_b32 s24, 0
	v_mov_b64_e32 v[8:9], v[2:3]
.LBB258_33:                             ;   Parent Loop BB258_27 Depth=1
                                        ; =>  This Inner Loop Header: Depth=2
	flat_load_dwordx4 v[10:13], v[8:9]
	flat_load_dwordx4 v[14:17], v[8:9] offset:16
	flat_load_dwordx4 v[18:21], v[8:9] offset:32
	;; [unrolled: 1-line block ×3, first 2 shown]
	v_mov_b32_e32 v1, s10
	ds_read_b128 v[26:29], v1
	ds_read_b128 v[30:33], v1 offset:16
	ds_read_b128 v[34:37], v1 offset:32
	;; [unrolled: 1-line block ×3, first 2 shown]
	s_add_i32 s24, s24, 8
	s_add_i32 s10, s10, 64
	v_lshl_add_u64 v[8:9], v[8:9], 0, 64
	s_cmp_eq_u32 s12, s24
	s_waitcnt vmcnt(0) lgkmcnt(0)
	v_fmac_f64_e32 v[6:7], v[26:27], v[10:11]
	v_fmac_f64_e32 v[6:7], v[28:29], v[12:13]
	;; [unrolled: 1-line block ×8, first 2 shown]
	s_cbranch_scc0 .LBB258_33
; %bb.34:                               ;   in Loop: Header=BB258_27 Depth=1
	s_mov_b32 s10, s12
.LBB258_35:                             ;   in Loop: Header=BB258_27 Depth=1
	s_andn2_b64 vcc, exec, s[16:17]
	s_cbranch_vccnz .LBB258_25
; %bb.36:                               ;   in Loop: Header=BB258_27 Depth=1
	s_lshl_b32 s24, s10, 3
	v_lshl_add_u64 v[8:9], s[10:11], 3, v[2:3]
	s_mov_b32 s10, s22
.LBB258_37:                             ;   Parent Loop BB258_27 Depth=1
                                        ; =>  This Inner Loop Header: Depth=2
	flat_load_dwordx2 v[10:11], v[8:9]
	v_mov_b32_e32 v1, s24
	ds_read_b64 v[12:13], v1
	s_add_i32 s24, s24, 8
	s_add_i32 s10, s10, -1
	v_lshl_add_u64 v[8:9], v[8:9], 0, 8
	s_cmp_lg_u32 s10, 0
	s_waitcnt vmcnt(0) lgkmcnt(0)
	v_fmac_f64_e32 v[6:7], v[12:13], v[10:11]
	s_cbranch_scc1 .LBB258_37
	s_branch .LBB258_25
.LBB258_38:
	s_endpgm
	.section	.rodata,"a",@progbits
	.p2align	6, 0x0
	.amdhsa_kernel _ZL22rocblas_gemvtsm_kernelILb0ELi256EPKdS1_KPdEviiT2_lPKT1_lilS7_lilS4_lPT3_lil
		.amdhsa_group_segment_fixed_size 512
		.amdhsa_private_segment_fixed_size 0
		.amdhsa_kernarg_size 136
		.amdhsa_user_sgpr_count 2
		.amdhsa_user_sgpr_dispatch_ptr 0
		.amdhsa_user_sgpr_queue_ptr 0
		.amdhsa_user_sgpr_kernarg_segment_ptr 1
		.amdhsa_user_sgpr_dispatch_id 0
		.amdhsa_user_sgpr_kernarg_preload_length 0
		.amdhsa_user_sgpr_kernarg_preload_offset 0
		.amdhsa_user_sgpr_private_segment_size 0
		.amdhsa_uses_dynamic_stack 0
		.amdhsa_enable_private_segment 0
		.amdhsa_system_sgpr_workgroup_id_x 1
		.amdhsa_system_sgpr_workgroup_id_y 0
		.amdhsa_system_sgpr_workgroup_id_z 0
		.amdhsa_system_sgpr_workgroup_info 0
		.amdhsa_system_vgpr_workitem_id 0
		.amdhsa_next_free_vgpr 42
		.amdhsa_next_free_sgpr 26
		.amdhsa_accum_offset 44
		.amdhsa_reserve_vcc 1
		.amdhsa_float_round_mode_32 0
		.amdhsa_float_round_mode_16_64 0
		.amdhsa_float_denorm_mode_32 3
		.amdhsa_float_denorm_mode_16_64 3
		.amdhsa_dx10_clamp 1
		.amdhsa_ieee_mode 1
		.amdhsa_fp16_overflow 0
		.amdhsa_tg_split 0
		.amdhsa_exception_fp_ieee_invalid_op 0
		.amdhsa_exception_fp_denorm_src 0
		.amdhsa_exception_fp_ieee_div_zero 0
		.amdhsa_exception_fp_ieee_overflow 0
		.amdhsa_exception_fp_ieee_underflow 0
		.amdhsa_exception_fp_ieee_inexact 0
		.amdhsa_exception_int_div_zero 0
	.end_amdhsa_kernel
	.section	.text._ZL22rocblas_gemvtsm_kernelILb0ELi256EPKdS1_KPdEviiT2_lPKT1_lilS7_lilS4_lPT3_lil,"axG",@progbits,_ZL22rocblas_gemvtsm_kernelILb0ELi256EPKdS1_KPdEviiT2_lPKT1_lilS7_lilS4_lPT3_lil,comdat
.Lfunc_end258:
	.size	_ZL22rocblas_gemvtsm_kernelILb0ELi256EPKdS1_KPdEviiT2_lPKT1_lilS7_lilS4_lPT3_lil, .Lfunc_end258-_ZL22rocblas_gemvtsm_kernelILb0ELi256EPKdS1_KPdEviiT2_lPKT1_lilS7_lilS4_lPT3_lil
                                        ; -- End function
	.section	.AMDGPU.csdata,"",@progbits
; Kernel info:
; codeLenInByte = 1212
; NumSgprs: 32
; NumVgprs: 42
; NumAgprs: 0
; TotalNumVgprs: 42
; ScratchSize: 0
; MemoryBound: 0
; FloatMode: 240
; IeeeMode: 1
; LDSByteSize: 512 bytes/workgroup (compile time only)
; SGPRBlocks: 3
; VGPRBlocks: 5
; NumSGPRsForWavesPerEU: 32
; NumVGPRsForWavesPerEU: 42
; AccumOffset: 44
; Occupancy: 8
; WaveLimiterHint : 1
; COMPUTE_PGM_RSRC2:SCRATCH_EN: 0
; COMPUTE_PGM_RSRC2:USER_SGPR: 2
; COMPUTE_PGM_RSRC2:TRAP_HANDLER: 0
; COMPUTE_PGM_RSRC2:TGID_X_EN: 1
; COMPUTE_PGM_RSRC2:TGID_Y_EN: 0
; COMPUTE_PGM_RSRC2:TGID_Z_EN: 0
; COMPUTE_PGM_RSRC2:TIDIG_COMP_CNT: 0
; COMPUTE_PGM_RSRC3_GFX90A:ACCUM_OFFSET: 10
; COMPUTE_PGM_RSRC3_GFX90A:TG_SPLIT: 0
	.section	.text._ZL22rocblas_gemvtsm_kernelILb0ELi256EPKddKPdEviiT2_lPKT1_lilS7_lilS4_lPT3_lil,"axG",@progbits,_ZL22rocblas_gemvtsm_kernelILb0ELi256EPKddKPdEviiT2_lPKT1_lilS7_lilS4_lPT3_lil,comdat
	.globl	_ZL22rocblas_gemvtsm_kernelILb0ELi256EPKddKPdEviiT2_lPKT1_lilS7_lilS4_lPT3_lil ; -- Begin function _ZL22rocblas_gemvtsm_kernelILb0ELi256EPKddKPdEviiT2_lPKT1_lilS7_lilS4_lPT3_lil
	.p2align	8
	.type	_ZL22rocblas_gemvtsm_kernelILb0ELi256EPKddKPdEviiT2_lPKT1_lilS7_lilS4_lPT3_lil,@function
_ZL22rocblas_gemvtsm_kernelILb0ELi256EPKddKPdEviiT2_lPKT1_lilS7_lilS4_lPT3_lil: ; @_ZL22rocblas_gemvtsm_kernelILb0ELi256EPKddKPdEviiT2_lPKT1_lilS7_lilS4_lPT3_lil
; %bb.0:
	s_load_dwordx2 s[14:15], s[0:1], 0x8
	s_load_dwordx2 s[8:9], s[0:1], 0x58
	s_waitcnt lgkmcnt(0)
	v_cmp_eq_f64_e64 s[20:21], s[14:15], 0
	v_cmp_eq_f64_e64 s[4:5], s[8:9], 1.0
	s_and_b64 s[4:5], s[20:21], s[4:5]
	s_and_b64 vcc, exec, s[4:5]
	s_cbranch_vccnz .LBB259_41
; %bb.1:
	v_cmp_neq_f64_e64 s[4:5], s[14:15], 0
	s_mov_b64 s[6:7], 0
	s_and_b64 vcc, exec, s[4:5]
	s_cbranch_vccnz .LBB259_3
; %bb.2:
	s_mov_b32 s3, 0
	s_mov_b64 s[16:17], 0
	s_andn2_b64 vcc, exec, s[6:7]
	s_cbranch_vccz .LBB259_4
	s_branch .LBB259_5
.LBB259_3:
                                        ; implicit-def: $sgpr16_sgpr17
.LBB259_4:
	s_load_dwordx4 s[16:19], s[0:1], 0x18
	s_mov_b32 s3, 0
	s_lshl_b64 s[6:7], s[2:3], 3
	s_waitcnt lgkmcnt(0)
	s_add_u32 s6, s16, s6
	s_addc_u32 s7, s17, s7
	s_load_dwordx2 s[6:7], s[6:7], 0x0
	s_lshl_b64 s[10:11], s[18:19], 3
	s_waitcnt lgkmcnt(0)
	s_add_u32 s16, s6, s10
	s_addc_u32 s17, s7, s11
.LBB259_5:
	s_andn2_b64 vcc, exec, s[4:5]
	s_cbranch_vccnz .LBB259_7
; %bb.6:
	s_load_dwordx4 s[4:7], s[0:1], 0x38
	s_lshl_b64 s[10:11], s[2:3], 3
	s_waitcnt lgkmcnt(0)
	s_add_u32 s4, s4, s10
	s_addc_u32 s5, s5, s11
	s_load_dwordx2 s[4:5], s[4:5], 0x0
	s_lshl_b64 s[6:7], s[6:7], 3
	s_waitcnt lgkmcnt(0)
	s_add_u32 s18, s4, s6
	s_addc_u32 s19, s5, s7
	s_branch .LBB259_8
.LBB259_7:
	s_mov_b64 s[18:19], 0
.LBB259_8:
	s_load_dwordx4 s[4:7], s[0:1], 0x68
	s_load_dwordx2 s[10:11], s[0:1], 0x0
	s_load_dword s12, s[0:1], 0x78
	s_lshl_b64 s[2:3], s[2:3], 3
	s_waitcnt lgkmcnt(0)
	s_add_u32 s2, s4, s2
	s_addc_u32 s3, s5, s3
	s_load_dwordx2 s[4:5], s[2:3], 0x0
	s_andn2_b64 vcc, exec, s[20:21]
	s_mov_b64 s[2:3], -1
	s_cbranch_vccnz .LBB259_23
; %bb.9:
	s_cmp_gt_i32 s11, 0
	s_cselect_b64 s[20:21], -1, 0
	v_cmp_neq_f64_e64 s[2:3], s[8:9], 0
	v_cndmask_b32_e64 v1, 0, 1, s[20:21]
	s_and_b64 vcc, exec, s[2:3]
	v_cmp_ne_u32_e64 s[2:3], 1, v1
	s_cbranch_vccnz .LBB259_16
; %bb.10:
	s_and_b64 vcc, exec, s[2:3]
	s_cbranch_vccnz .LBB259_15
; %bb.11:
	v_mad_i64_i32 v[2:3], s[20:21], s12, v0, 0
	s_ashr_i32 s13, s12, 31
	s_lshl_b64 s[20:21], s[6:7], 3
	s_waitcnt lgkmcnt(0)
	s_add_u32 s20, s4, s20
	s_addc_u32 s21, s5, s21
	v_lshl_add_u64 v[2:3], v[2:3], 3, s[20:21]
	s_lshl_b64 s[20:21], s[12:13], 11
	s_mov_b32 s13, 0
	v_mov_b32_e32 v4, 0
	s_branch .LBB259_13
.LBB259_12:                             ;   in Loop: Header=BB259_13 Depth=1
	s_or_b64 exec, exec, s[22:23]
	s_addk_i32 s13, 0x100
	s_cmp_ge_i32 s13, s11
	v_lshl_add_u64 v[2:3], v[2:3], 0, s[20:21]
	s_cbranch_scc1 .LBB259_15
.LBB259_13:                             ; =>This Inner Loop Header: Depth=1
	v_add_u32_e32 v1, s13, v0
	v_cmp_gt_i32_e32 vcc, s11, v1
	s_and_saveexec_b64 s[22:23], vcc
	s_cbranch_execz .LBB259_12
; %bb.14:                               ;   in Loop: Header=BB259_13 Depth=1
	v_mov_b32_e32 v5, v4
	global_store_dwordx2 v[2:3], v[4:5], off
	s_branch .LBB259_12
.LBB259_15:
	s_cbranch_execz .LBB259_17
	s_branch .LBB259_22
.LBB259_16:
.LBB259_17:
	s_and_b64 vcc, exec, s[2:3]
	s_cbranch_vccnz .LBB259_22
; %bb.18:
	v_mad_i64_i32 v[2:3], s[2:3], s12, v0, 0
	s_ashr_i32 s13, s12, 31
	s_lshl_b64 s[2:3], s[6:7], 3
	s_waitcnt lgkmcnt(0)
	s_add_u32 s2, s4, s2
	s_addc_u32 s3, s5, s3
	v_lshl_add_u64 v[2:3], v[2:3], 3, s[2:3]
	s_lshl_b64 s[2:3], s[12:13], 11
	s_mov_b32 s13, 0
	s_branch .LBB259_20
.LBB259_19:                             ;   in Loop: Header=BB259_20 Depth=1
	s_or_b64 exec, exec, s[20:21]
	s_addk_i32 s13, 0x100
	s_cmp_ge_i32 s13, s11
	v_lshl_add_u64 v[2:3], v[2:3], 0, s[2:3]
	s_cbranch_scc1 .LBB259_22
.LBB259_20:                             ; =>This Inner Loop Header: Depth=1
	v_add_u32_e32 v1, s13, v0
	v_cmp_gt_i32_e32 vcc, s11, v1
	s_and_saveexec_b64 s[20:21], vcc
	s_cbranch_execz .LBB259_19
; %bb.21:                               ;   in Loop: Header=BB259_20 Depth=1
	global_load_dwordx2 v[4:5], v[2:3], off
	s_waitcnt vmcnt(0)
	v_mul_f64 v[4:5], v[4:5], s[8:9]
	global_store_dwordx2 v[2:3], v[4:5], off
	s_branch .LBB259_19
.LBB259_22:
	s_mov_b64 s[2:3], 0
.LBB259_23:
	s_andn2_b64 vcc, exec, s[2:3]
	s_cbranch_vccnz .LBB259_41
; %bb.24:
	v_cmp_gt_i32_e32 vcc, s10, v0
	s_and_saveexec_b64 s[2:3], vcc
	s_cbranch_execz .LBB259_26
; %bb.25:
	s_load_dword s13, s[0:1], 0x48
	v_lshlrev_b32_e32 v1, 3, v0
	s_waitcnt lgkmcnt(0)
	v_mad_i64_i32 v[2:3], s[20:21], s13, v0, 0
	v_lshl_add_u64 v[2:3], v[2:3], 3, s[18:19]
	flat_load_dwordx2 v[2:3], v[2:3]
	s_waitcnt vmcnt(0) lgkmcnt(0)
	v_mul_f64 v[2:3], v[2:3], s[14:15]
	ds_write_b64 v1, v[2:3]
.LBB259_26:
	s_or_b64 exec, exec, s[2:3]
	s_cmp_lt_i32 s11, 1
	s_waitcnt lgkmcnt(0)
	s_barrier
	s_cbranch_scc1 .LBB259_41
; %bb.27:
	s_load_dword s0, s[0:1], 0x28
	s_lshl_b64 s[2:3], s[6:7], 3
	s_add_u32 s6, s4, s2
	s_addc_u32 s7, s5, s3
	s_ashr_i32 s13, s12, 31
	s_waitcnt lgkmcnt(0)
	s_ashr_i32 s1, s0, 31
	s_cmp_gt_i32 s10, 0
	s_cselect_b64 s[2:3], -1, 0
	s_and_b32 s22, s10, 7
	s_cmp_gt_u32 s10, 7
	s_cselect_b64 s[4:5], -1, 0
	s_and_b32 s10, s10, 0x7ffffff8
	s_cmp_lg_u32 s22, 0
	v_mad_i64_i32 v[2:3], s[20:21], s0, v0, 0
	s_cselect_b64 s[18:19], -1, 0
	v_lshl_add_u64 v[2:3], v[2:3], 3, s[16:17]
	s_lshl_b64 s[16:17], s[0:1], 11
	v_cmp_neq_f64_e64 s[0:1], s[8:9], 0
	s_mov_b32 s15, 0
	s_mov_b32 s23, 0
	v_cndmask_b32_e64 v1, 0, 1, s[0:1]
	v_cmp_ne_u32_e64 s[0:1], 1, v1
	v_cndmask_b32_e64 v1, 0, 1, s[2:3]
	v_cmp_ne_u32_e64 s[2:3], 1, v1
	;; [unrolled: 2-line block ×3, first 2 shown]
	s_branch .LBB259_30
.LBB259_28:                             ;   in Loop: Header=BB259_30 Depth=1
	global_store_dwordx2 v[4:5], v[6:7], off
.LBB259_29:                             ;   in Loop: Header=BB259_30 Depth=1
	s_or_b64 exec, exec, s[20:21]
	s_addk_i32 s23, 0x100
	s_cmp_ge_i32 s23, s11
	v_lshl_add_u64 v[2:3], v[2:3], 0, s[16:17]
	s_cbranch_scc1 .LBB259_41
.LBB259_30:                             ; =>This Loop Header: Depth=1
                                        ;     Child Loop BB259_36 Depth 2
                                        ;     Child Loop BB259_40 Depth 2
	v_add_u32_e32 v1, s23, v0
	v_cmp_gt_i32_e32 vcc, s11, v1
	s_and_saveexec_b64 s[20:21], vcc
	s_cbranch_execz .LBB259_29
; %bb.31:                               ;   in Loop: Header=BB259_30 Depth=1
	v_mad_u64_u32 v[4:5], s[24:25], v1, s12, 0
	v_mov_b32_e32 v6, v5
	v_mad_u64_u32 v[6:7], s[24:25], v1, s13, v[6:7]
	v_mov_b32_e32 v5, v6
	s_and_b64 vcc, exec, s[0:1]
	v_lshl_add_u64 v[4:5], v[4:5], 3, s[6:7]
	s_cbranch_vccnz .LBB259_33
; %bb.32:                               ;   in Loop: Header=BB259_30 Depth=1
	global_load_dwordx2 v[6:7], v[4:5], off
	s_waitcnt vmcnt(0)
	v_mul_f64 v[6:7], v[6:7], s[8:9]
	s_and_b64 vcc, exec, s[2:3]
	s_cbranch_vccz .LBB259_34
	s_branch .LBB259_28
.LBB259_33:                             ;   in Loop: Header=BB259_30 Depth=1
	v_mov_b64_e32 v[6:7], 0
	s_and_b64 vcc, exec, s[2:3]
	s_cbranch_vccnz .LBB259_28
.LBB259_34:                             ;   in Loop: Header=BB259_30 Depth=1
	s_mov_b32 s14, 0
	s_and_b64 vcc, exec, s[4:5]
	s_cbranch_vccnz .LBB259_38
; %bb.35:                               ;   in Loop: Header=BB259_30 Depth=1
	s_mov_b32 s24, 0
	v_mov_b64_e32 v[8:9], v[2:3]
.LBB259_36:                             ;   Parent Loop BB259_30 Depth=1
                                        ; =>  This Inner Loop Header: Depth=2
	flat_load_dwordx4 v[10:13], v[8:9]
	flat_load_dwordx4 v[14:17], v[8:9] offset:16
	flat_load_dwordx4 v[18:21], v[8:9] offset:32
	;; [unrolled: 1-line block ×3, first 2 shown]
	v_mov_b32_e32 v1, s14
	ds_read_b128 v[26:29], v1
	ds_read_b128 v[30:33], v1 offset:16
	ds_read_b128 v[34:37], v1 offset:32
	;; [unrolled: 1-line block ×3, first 2 shown]
	s_add_i32 s24, s24, 8
	s_add_i32 s14, s14, 64
	v_lshl_add_u64 v[8:9], v[8:9], 0, 64
	s_cmp_eq_u32 s10, s24
	s_waitcnt vmcnt(0) lgkmcnt(0)
	v_fmac_f64_e32 v[6:7], v[26:27], v[10:11]
	v_fmac_f64_e32 v[6:7], v[28:29], v[12:13]
	;; [unrolled: 1-line block ×8, first 2 shown]
	s_cbranch_scc0 .LBB259_36
; %bb.37:                               ;   in Loop: Header=BB259_30 Depth=1
	s_mov_b32 s14, s10
.LBB259_38:                             ;   in Loop: Header=BB259_30 Depth=1
	s_andn2_b64 vcc, exec, s[18:19]
	s_cbranch_vccnz .LBB259_28
; %bb.39:                               ;   in Loop: Header=BB259_30 Depth=1
	s_lshl_b32 s24, s14, 3
	v_lshl_add_u64 v[8:9], s[14:15], 3, v[2:3]
	s_mov_b32 s14, s22
.LBB259_40:                             ;   Parent Loop BB259_30 Depth=1
                                        ; =>  This Inner Loop Header: Depth=2
	flat_load_dwordx2 v[10:11], v[8:9]
	v_mov_b32_e32 v1, s24
	ds_read_b64 v[12:13], v1
	s_add_i32 s24, s24, 8
	s_add_i32 s14, s14, -1
	v_lshl_add_u64 v[8:9], v[8:9], 0, 8
	s_cmp_lg_u32 s14, 0
	s_waitcnt vmcnt(0) lgkmcnt(0)
	v_fmac_f64_e32 v[6:7], v[12:13], v[10:11]
	s_cbranch_scc1 .LBB259_40
	s_branch .LBB259_28
.LBB259_41:
	s_endpgm
	.section	.rodata,"a",@progbits
	.p2align	6, 0x0
	.amdhsa_kernel _ZL22rocblas_gemvtsm_kernelILb0ELi256EPKddKPdEviiT2_lPKT1_lilS7_lilS4_lPT3_lil
		.amdhsa_group_segment_fixed_size 512
		.amdhsa_private_segment_fixed_size 0
		.amdhsa_kernarg_size 136
		.amdhsa_user_sgpr_count 2
		.amdhsa_user_sgpr_dispatch_ptr 0
		.amdhsa_user_sgpr_queue_ptr 0
		.amdhsa_user_sgpr_kernarg_segment_ptr 1
		.amdhsa_user_sgpr_dispatch_id 0
		.amdhsa_user_sgpr_kernarg_preload_length 0
		.amdhsa_user_sgpr_kernarg_preload_offset 0
		.amdhsa_user_sgpr_private_segment_size 0
		.amdhsa_uses_dynamic_stack 0
		.amdhsa_enable_private_segment 0
		.amdhsa_system_sgpr_workgroup_id_x 1
		.amdhsa_system_sgpr_workgroup_id_y 0
		.amdhsa_system_sgpr_workgroup_id_z 0
		.amdhsa_system_sgpr_workgroup_info 0
		.amdhsa_system_vgpr_workitem_id 0
		.amdhsa_next_free_vgpr 42
		.amdhsa_next_free_sgpr 26
		.amdhsa_accum_offset 44
		.amdhsa_reserve_vcc 1
		.amdhsa_float_round_mode_32 0
		.amdhsa_float_round_mode_16_64 0
		.amdhsa_float_denorm_mode_32 3
		.amdhsa_float_denorm_mode_16_64 3
		.amdhsa_dx10_clamp 1
		.amdhsa_ieee_mode 1
		.amdhsa_fp16_overflow 0
		.amdhsa_tg_split 0
		.amdhsa_exception_fp_ieee_invalid_op 0
		.amdhsa_exception_fp_denorm_src 0
		.amdhsa_exception_fp_ieee_div_zero 0
		.amdhsa_exception_fp_ieee_overflow 0
		.amdhsa_exception_fp_ieee_underflow 0
		.amdhsa_exception_fp_ieee_inexact 0
		.amdhsa_exception_int_div_zero 0
	.end_amdhsa_kernel
	.section	.text._ZL22rocblas_gemvtsm_kernelILb0ELi256EPKddKPdEviiT2_lPKT1_lilS7_lilS4_lPT3_lil,"axG",@progbits,_ZL22rocblas_gemvtsm_kernelILb0ELi256EPKddKPdEviiT2_lPKT1_lilS7_lilS4_lPT3_lil,comdat
.Lfunc_end259:
	.size	_ZL22rocblas_gemvtsm_kernelILb0ELi256EPKddKPdEviiT2_lPKT1_lilS7_lilS4_lPT3_lil, .Lfunc_end259-_ZL22rocblas_gemvtsm_kernelILb0ELi256EPKddKPdEviiT2_lPKT1_lilS7_lilS4_lPT3_lil
                                        ; -- End function
	.section	.AMDGPU.csdata,"",@progbits
; Kernel info:
; codeLenInByte = 1184
; NumSgprs: 32
; NumVgprs: 42
; NumAgprs: 0
; TotalNumVgprs: 42
; ScratchSize: 0
; MemoryBound: 0
; FloatMode: 240
; IeeeMode: 1
; LDSByteSize: 512 bytes/workgroup (compile time only)
; SGPRBlocks: 3
; VGPRBlocks: 5
; NumSGPRsForWavesPerEU: 32
; NumVGPRsForWavesPerEU: 42
; AccumOffset: 44
; Occupancy: 8
; WaveLimiterHint : 1
; COMPUTE_PGM_RSRC2:SCRATCH_EN: 0
; COMPUTE_PGM_RSRC2:USER_SGPR: 2
; COMPUTE_PGM_RSRC2:TRAP_HANDLER: 0
; COMPUTE_PGM_RSRC2:TGID_X_EN: 1
; COMPUTE_PGM_RSRC2:TGID_Y_EN: 0
; COMPUTE_PGM_RSRC2:TGID_Z_EN: 0
; COMPUTE_PGM_RSRC2:TIDIG_COMP_CNT: 0
; COMPUTE_PGM_RSRC3_GFX90A:ACCUM_OFFSET: 10
; COMPUTE_PGM_RSRC3_GFX90A:TG_SPLIT: 0
	.section	.text._ZL23rocblas_gemvt_sn_kernelILb0ELi256ELi4EiPKdS1_dEviiT4_lPKT3_lilS5_lilPT5_i,"axG",@progbits,_ZL23rocblas_gemvt_sn_kernelILb0ELi256ELi4EiPKdS1_dEviiT4_lPKT3_lilS5_lilPT5_i,comdat
	.globl	_ZL23rocblas_gemvt_sn_kernelILb0ELi256ELi4EiPKdS1_dEviiT4_lPKT3_lilS5_lilPT5_i ; -- Begin function _ZL23rocblas_gemvt_sn_kernelILb0ELi256ELi4EiPKdS1_dEviiT4_lPKT3_lilS5_lilPT5_i
	.p2align	8
	.type	_ZL23rocblas_gemvt_sn_kernelILb0ELi256ELi4EiPKdS1_dEviiT4_lPKT3_lilS5_lilPT5_i,@function
_ZL23rocblas_gemvt_sn_kernelILb0ELi256ELi4EiPKdS1_dEviiT4_lPKT3_lilS5_lilPT5_i: ; @_ZL23rocblas_gemvt_sn_kernelILb0ELi256ELi4EiPKdS1_dEviiT4_lPKT3_lilS5_lilPT5_i
; %bb.0:
	s_load_dwordx8 s[4:11], s[0:1], 0x8
	s_mov_b32 s12, s3
	s_mov_b32 s13, 0
	s_mov_b64 s[24:25], 0
	s_waitcnt lgkmcnt(0)
	s_mul_i32 s3, s3, s7
	s_mul_hi_u32 s7, s12, s6
	s_add_i32 s7, s7, s3
	s_mul_i32 s6, s12, s6
	s_lshl_b64 s[6:7], s[6:7], 3
	s_add_u32 s4, s4, s6
	s_addc_u32 s5, s5, s7
	s_load_dwordx2 s[22:23], s[4:5], 0x0
	s_mov_b64 s[4:5], 0
	s_waitcnt lgkmcnt(0)
	v_cmp_eq_f64_e64 s[6:7], s[22:23], 0
	v_cmp_neq_f64_e64 s[14:15], s[22:23], 0
	s_and_b64 vcc, exec, s[6:7]
	s_cbranch_vccnz .LBB260_2
; %bb.1:
	s_lshl_b64 s[4:5], s[12:13], 3
	s_add_u32 s4, s8, s4
	s_addc_u32 s5, s9, s5
	s_load_dwordx2 s[4:5], s[4:5], 0x0
	s_lshl_b64 s[8:9], s[10:11], 3
	s_waitcnt lgkmcnt(0)
	s_add_u32 s4, s4, s8
	s_addc_u32 s5, s5, s9
.LBB260_2:
	s_andn2_b64 vcc, exec, s[14:15]
	s_cbranch_vccnz .LBB260_4
; %bb.3:
	s_load_dwordx4 s[8:11], s[0:1], 0x38
	s_lshl_b64 s[14:15], s[12:13], 3
	s_waitcnt lgkmcnt(0)
	s_add_u32 s8, s8, s14
	s_addc_u32 s9, s9, s15
	s_load_dwordx2 s[8:9], s[8:9], 0x0
	s_lshl_b64 s[10:11], s[10:11], 3
	s_waitcnt lgkmcnt(0)
	s_add_u32 s24, s8, s10
	s_addc_u32 s25, s9, s11
.LBB260_4:
	s_load_dwordx2 s[26:27], s[0:1], 0x0
	s_load_dwordx2 s[8:9], s[0:1], 0x58
	s_load_dword s28, s[0:1], 0x68
	s_mov_b32 s29, 0
	s_waitcnt lgkmcnt(0)
	s_ashr_i32 s13, s27, 31
	s_mul_hi_u32 s3, s27, s12
	s_mul_i32 s10, s13, s12
	s_add_i32 s3, s3, s10
	s_mul_i32 s10, s27, s12
	s_mul_i32 s3, s3, s28
	s_mul_hi_u32 s11, s10, s28
	s_add_i32 s11, s11, s3
	s_mul_i32 s10, s10, s28
	s_lshl_b64 s[10:11], s[10:11], 3
	s_add_u32 s50, s8, s10
	s_addc_u32 s51, s9, s11
	s_andn2_b64 vcc, exec, s[6:7]
	s_mov_b64 s[6:7], -1
	s_cbranch_vccnz .LBB260_9
; %bb.5:
	s_cmp_gt_i32 s27, 0
	v_cmp_eq_u32_e32 vcc, 0, v0
	s_cselect_b64 s[6:7], -1, 0
	s_and_b64 s[8:9], vcc, s[6:7]
	s_and_saveexec_b64 s[6:7], s[8:9]
	s_cbranch_execz .LBB260_8
; %bb.6:
	s_mov_b32 s3, 0
	s_lshl_b64 s[8:9], s[2:3], 3
	s_add_u32 s8, s50, s8
	v_mov_b32_e32 v2, 0
	s_addc_u32 s9, s51, s9
	s_lshl_b64 s[10:11], s[28:29], 3
	v_mov_b32_e32 v3, v2
	s_mov_b32 s3, s27
.LBB260_7:                              ; =>This Inner Loop Header: Depth=1
	s_add_i32 s3, s3, -1
	global_store_dwordx2 v2, v[2:3], s[8:9]
	s_add_u32 s8, s8, s10
	s_addc_u32 s9, s9, s11
	s_cmp_eq_u32 s3, 0
	s_cbranch_scc0 .LBB260_7
.LBB260_8:
	s_or_b64 exec, exec, s[6:7]
	s_mov_b64 s[6:7], 0
.LBB260_9:
	s_andn2_b64 vcc, exec, s[6:7]
	s_cbranch_vccnz .LBB260_83
; %bb.10:
	s_load_dword s30, s[0:1], 0x28
	s_load_dword s29, s[0:1], 0x48
	s_lshl_b32 s0, s2, 10
	v_lshl_or_b32 v2, v0, 2, s0
	s_lshr_b32 s0, s13, 30
	s_add_i32 s0, s27, s0
	s_and_b32 s3, s0, -4
	s_ashr_i32 s0, s26, 31
	s_lshr_b32 s0, s0, 30
	s_add_i32 s0, s26, s0
	s_and_b32 s0, s0, -4
	v_ashrrev_i32_e32 v3, 31, v2
	s_sub_i32 s33, s26, s0
	v_lshl_add_u64 v[10:11], v[2:3], 3, s[4:5]
	s_cmp_lt_i32 s3, 1
	v_add_u32_e32 v37, 4, v2
	v_add_u32_e32 v38, s33, v2
	v_and_b32_e32 v1, 63, v0
	v_cmp_gt_u32_e64 s[0:1], 64, v0
	v_mbcnt_lo_u32_b32 v36, -1, 0
	v_cmp_gt_u32_e64 s[4:5], 4, v0
	v_lshrrev_b32_e32 v13, 3, v0
	v_cmp_eq_u32_e64 s[6:7], 0, v0
	s_waitcnt lgkmcnt(0)
	v_mul_lo_u32 v12, v2, s29
	s_cbranch_scc1 .LBB260_58
; %bb.11:
	v_mbcnt_hi_u32_b32 v3, -1, v36
	v_and_b32_e32 v4, 63, v3
	v_cmp_gt_u32_e32 vcc, 32, v4
	v_mul_lo_u32 v14, v2, s29
	v_add_u32_e32 v2, s29, v14
	v_cndmask_b32_e64 v5, 0, 1, vcc
	v_lshlrev_b32_e32 v5, 5, v5
	v_cmp_gt_u32_e32 vcc, 48, v4
	v_add_lshl_u32 v39, v5, v3, 2
	s_mov_b32 s35, 0
	v_cndmask_b32_e64 v5, 0, 1, vcc
	v_lshlrev_b32_e32 v5, 4, v5
	v_cmp_gt_u32_e32 vcc, 56, v4
	v_add_lshl_u32 v40, v5, v3, 2
	s_cmp_gt_i32 s33, 0
	v_cndmask_b32_e64 v5, 0, 1, vcc
	v_lshlrev_b32_e32 v5, 3, v5
	v_cmp_gt_u32_e32 vcc, 60, v4
	v_add_lshl_u32 v41, v5, v3, 2
	s_cselect_b64 s[36:37], -1, 0
	v_cndmask_b32_e64 v5, 0, 1, vcc
	v_lshlrev_b32_e32 v5, 2, v5
	v_cmp_gt_u32_e32 vcc, 62, v4
	v_add_lshl_u32 v42, v5, v3, 2
	v_ashrrev_i32_e32 v15, 31, v14
	v_cndmask_b32_e64 v5, 0, 1, vcc
	v_lshlrev_b32_e32 v5, 1, v5
	v_cmp_ne_u32_e32 vcc, 63, v4
	v_add_lshl_u32 v43, v5, v3, 2
	s_mov_b32 s31, s35
	v_addc_co_u32_e32 v3, vcc, 0, v3, vcc
	v_lshlrev_b32_e32 v44, 2, v3
	v_ashrrev_i32_e32 v3, 31, v2
	v_lshl_add_u64 v[18:19], v[2:3], 3, s[24:25]
	v_add_u32_e32 v2, s29, v2
	v_ashrrev_i32_e32 v3, 31, v2
	v_lshl_add_u64 v[20:21], v[2:3], 3, s[24:25]
	v_add_u32_e32 v2, s29, v2
	v_ashrrev_i32_e32 v3, 31, v2
	s_lshl_b32 s34, s30, 1
	v_cmp_ge_i32_e64 s[8:9], s26, v37
	v_cmp_ge_i32_e64 s[10:11], s26, v38
	v_cmp_eq_u32_e64 s[12:13], 0, v1
	v_lshlrev_b32_e32 v45, 3, v1
	v_and_b32_e32 v46, 24, v13
	v_lshl_add_u64 v[16:17], v[14:15], 3, s[24:25]
	v_lshl_add_u64 v[22:23], v[2:3], 3, s[24:25]
	s_lshl_b32 s52, s30, 2
	s_mul_i32 s53, s30, 3
	s_mov_b32 s54, s35
	v_mov_b32_e32 v24, 0
	s_mov_b32 s38, s35
	s_mov_b64 s[40:41], s[34:35]
	s_mov_b64 s[42:43], s[30:31]
	s_mov_b32 s31, 0
                                        ; implicit-def: $vgpr2_vgpr3_vgpr4_vgpr5_vgpr6_vgpr7_vgpr8_vgpr9
	s_branch .LBB260_13
.LBB260_12:                             ;   in Loop: Header=BB260_13 Depth=1
	s_or_b64 exec, exec, s[14:15]
	s_add_i32 s31, s31, 4
	s_add_u32 s42, s42, s52
	s_addc_u32 s43, s43, 0
	s_add_u32 s40, s40, s52
	s_addc_u32 s41, s41, 0
	;; [unrolled: 2-line block ×3, first 2 shown]
	s_add_i32 s38, s38, s52
	s_cmp_ge_i32 s31, s3
	s_cbranch_scc1 .LBB260_59
.LBB260_13:                             ; =>This Loop Header: Depth=1
                                        ;     Child Loop BB260_44 Depth 2
                                        ;     Child Loop BB260_47 Depth 2
                                        ; implicit-def: $vgpr26_vgpr27
                                        ; implicit-def: $vgpr28_vgpr29
                                        ; implicit-def: $vgpr32_vgpr33
                                        ; implicit-def: $vgpr30_vgpr31
	s_and_saveexec_b64 s[14:15], s[8:9]
	s_xor_b64 s[14:15], exec, s[14:15]
	s_cbranch_execnz .LBB260_40
; %bb.14:                               ;   in Loop: Header=BB260_13 Depth=1
	s_andn2_saveexec_b64 s[44:45], s[14:15]
	s_cbranch_execnz .LBB260_41
.LBB260_15:                             ;   in Loop: Header=BB260_13 Depth=1
	s_or_b64 exec, exec, s[44:45]
	s_and_saveexec_b64 s[14:15], s[0:1]
	s_cbranch_execz .LBB260_17
.LBB260_16:                             ;   in Loop: Header=BB260_13 Depth=1
	v_mov_b32_e32 v25, v24
	ds_write_b64 v45, v[24:25]
.LBB260_17:                             ;   in Loop: Header=BB260_13 Depth=1
	s_or_b64 exec, exec, s[14:15]
	ds_bpermute_b32 v34, v39, v30
	ds_bpermute_b32 v35, v39, v31
	s_waitcnt lgkmcnt(0)
	s_barrier
	v_add_f64 v[30:31], v[30:31], v[34:35]
	ds_bpermute_b32 v34, v40, v30
	ds_bpermute_b32 v35, v40, v31
	s_waitcnt lgkmcnt(0)
	v_add_f64 v[30:31], v[30:31], v[34:35]
	ds_bpermute_b32 v34, v41, v30
	ds_bpermute_b32 v35, v41, v31
	s_waitcnt lgkmcnt(0)
	;; [unrolled: 4-line block ×4, first 2 shown]
	v_add_f64 v[30:31], v[30:31], v[34:35]
	ds_bpermute_b32 v34, v44, v30
	ds_bpermute_b32 v35, v44, v31
	s_and_saveexec_b64 s[14:15], s[12:13]
	s_cbranch_execz .LBB260_19
; %bb.18:                               ;   in Loop: Header=BB260_13 Depth=1
	s_waitcnt lgkmcnt(0)
	v_add_f64 v[30:31], v[30:31], v[34:35]
	ds_write_b64 v46, v[30:31]
.LBB260_19:                             ;   in Loop: Header=BB260_13 Depth=1
	s_or_b64 exec, exec, s[14:15]
	v_mov_b64_e32 v[30:31], 0
	s_waitcnt lgkmcnt(0)
	s_barrier
	s_and_saveexec_b64 s[14:15], s[4:5]
	s_cbranch_execnz .LBB260_49
; %bb.20:                               ;   in Loop: Header=BB260_13 Depth=1
	s_or_b64 exec, exec, s[14:15]
	s_and_saveexec_b64 s[14:15], s[0:1]
	s_cbranch_execnz .LBB260_50
.LBB260_21:                             ;   in Loop: Header=BB260_13 Depth=1
	s_or_b64 exec, exec, s[14:15]
	s_and_saveexec_b64 s[14:15], s[0:1]
	s_cbranch_execz .LBB260_23
.LBB260_22:                             ;   in Loop: Header=BB260_13 Depth=1
	v_mov_b32_e32 v25, v24
	ds_write_b64 v45, v[24:25]
.LBB260_23:                             ;   in Loop: Header=BB260_13 Depth=1
	s_or_b64 exec, exec, s[14:15]
	ds_bpermute_b32 v34, v39, v32
	ds_bpermute_b32 v35, v39, v33
	s_waitcnt lgkmcnt(0)
	s_barrier
	v_add_f64 v[32:33], v[32:33], v[34:35]
	ds_bpermute_b32 v34, v40, v32
	ds_bpermute_b32 v35, v40, v33
	s_waitcnt lgkmcnt(0)
	v_add_f64 v[32:33], v[32:33], v[34:35]
	ds_bpermute_b32 v34, v41, v32
	ds_bpermute_b32 v35, v41, v33
	s_waitcnt lgkmcnt(0)
	;; [unrolled: 4-line block ×4, first 2 shown]
	v_add_f64 v[32:33], v[32:33], v[34:35]
	ds_bpermute_b32 v34, v44, v32
	ds_bpermute_b32 v35, v44, v33
	s_and_saveexec_b64 s[14:15], s[12:13]
	s_cbranch_execz .LBB260_25
; %bb.24:                               ;   in Loop: Header=BB260_13 Depth=1
	s_waitcnt lgkmcnt(0)
	v_add_f64 v[32:33], v[32:33], v[34:35]
	ds_write_b64 v46, v[32:33]
.LBB260_25:                             ;   in Loop: Header=BB260_13 Depth=1
	s_or_b64 exec, exec, s[14:15]
	v_mov_b64_e32 v[32:33], 0
	s_waitcnt lgkmcnt(0)
	s_barrier
	s_and_saveexec_b64 s[14:15], s[4:5]
	s_cbranch_execnz .LBB260_51
; %bb.26:                               ;   in Loop: Header=BB260_13 Depth=1
	s_or_b64 exec, exec, s[14:15]
	s_and_saveexec_b64 s[14:15], s[0:1]
	s_cbranch_execnz .LBB260_52
.LBB260_27:                             ;   in Loop: Header=BB260_13 Depth=1
	s_or_b64 exec, exec, s[14:15]
	s_and_saveexec_b64 s[14:15], s[0:1]
	s_cbranch_execz .LBB260_29
.LBB260_28:                             ;   in Loop: Header=BB260_13 Depth=1
	v_mov_b32_e32 v25, v24
	ds_write_b64 v45, v[24:25]
.LBB260_29:                             ;   in Loop: Header=BB260_13 Depth=1
	s_or_b64 exec, exec, s[14:15]
	ds_bpermute_b32 v34, v39, v28
	ds_bpermute_b32 v35, v39, v29
	s_waitcnt lgkmcnt(0)
	s_barrier
	v_add_f64 v[28:29], v[28:29], v[34:35]
	ds_bpermute_b32 v34, v40, v28
	ds_bpermute_b32 v35, v40, v29
	s_waitcnt lgkmcnt(0)
	v_add_f64 v[28:29], v[28:29], v[34:35]
	ds_bpermute_b32 v34, v41, v28
	ds_bpermute_b32 v35, v41, v29
	s_waitcnt lgkmcnt(0)
	;; [unrolled: 4-line block ×4, first 2 shown]
	v_add_f64 v[28:29], v[28:29], v[34:35]
	ds_bpermute_b32 v34, v44, v28
	ds_bpermute_b32 v35, v44, v29
	s_and_saveexec_b64 s[14:15], s[12:13]
	s_cbranch_execz .LBB260_31
; %bb.30:                               ;   in Loop: Header=BB260_13 Depth=1
	s_waitcnt lgkmcnt(0)
	v_add_f64 v[28:29], v[28:29], v[34:35]
	ds_write_b64 v46, v[28:29]
.LBB260_31:                             ;   in Loop: Header=BB260_13 Depth=1
	s_or_b64 exec, exec, s[14:15]
	v_mov_b64_e32 v[28:29], 0
	s_waitcnt lgkmcnt(0)
	s_barrier
	s_and_saveexec_b64 s[14:15], s[4:5]
	s_cbranch_execnz .LBB260_53
; %bb.32:                               ;   in Loop: Header=BB260_13 Depth=1
	s_or_b64 exec, exec, s[14:15]
	s_and_saveexec_b64 s[14:15], s[0:1]
	s_cbranch_execnz .LBB260_54
.LBB260_33:                             ;   in Loop: Header=BB260_13 Depth=1
	s_or_b64 exec, exec, s[14:15]
	s_and_saveexec_b64 s[14:15], s[0:1]
	s_cbranch_execz .LBB260_35
.LBB260_34:                             ;   in Loop: Header=BB260_13 Depth=1
	v_mov_b32_e32 v25, v24
	ds_write_b64 v45, v[24:25]
.LBB260_35:                             ;   in Loop: Header=BB260_13 Depth=1
	s_or_b64 exec, exec, s[14:15]
	ds_bpermute_b32 v34, v39, v26
	ds_bpermute_b32 v35, v39, v27
	s_waitcnt lgkmcnt(0)
	s_barrier
	v_add_f64 v[26:27], v[26:27], v[34:35]
	ds_bpermute_b32 v34, v40, v26
	ds_bpermute_b32 v35, v40, v27
	s_waitcnt lgkmcnt(0)
	v_add_f64 v[26:27], v[26:27], v[34:35]
	ds_bpermute_b32 v34, v41, v26
	ds_bpermute_b32 v35, v41, v27
	s_waitcnt lgkmcnt(0)
	;; [unrolled: 4-line block ×4, first 2 shown]
	v_add_f64 v[26:27], v[26:27], v[34:35]
	ds_bpermute_b32 v34, v44, v26
	ds_bpermute_b32 v35, v44, v27
	s_and_saveexec_b64 s[14:15], s[12:13]
	s_cbranch_execz .LBB260_37
; %bb.36:                               ;   in Loop: Header=BB260_13 Depth=1
	s_waitcnt lgkmcnt(0)
	v_add_f64 v[26:27], v[26:27], v[34:35]
	ds_write_b64 v46, v[26:27]
.LBB260_37:                             ;   in Loop: Header=BB260_13 Depth=1
	s_or_b64 exec, exec, s[14:15]
	v_mov_b64_e32 v[26:27], 0
	s_waitcnt lgkmcnt(0)
	s_barrier
	s_and_saveexec_b64 s[14:15], s[4:5]
	s_cbranch_execnz .LBB260_55
; %bb.38:                               ;   in Loop: Header=BB260_13 Depth=1
	s_or_b64 exec, exec, s[14:15]
	s_and_saveexec_b64 s[14:15], s[0:1]
	s_cbranch_execnz .LBB260_56
.LBB260_39:                             ;   in Loop: Header=BB260_13 Depth=1
	s_or_b64 exec, exec, s[14:15]
	s_and_saveexec_b64 s[14:15], s[6:7]
	s_cbranch_execz .LBB260_12
	s_branch .LBB260_57
.LBB260_40:                             ;   in Loop: Header=BB260_13 Depth=1
	s_mul_i32 s16, s31, s30
	s_ashr_i32 s17, s16, 31
	v_lshl_add_u64 v[30:31], s[16:17], 3, v[10:11]
	s_add_i32 s16, s16, s30
	s_ashr_i32 s17, s16, 31
	v_lshl_add_u64 v[72:73], s[16:17], 3, v[10:11]
	s_add_i32 s16, s16, s30
	s_ashr_i32 s17, s16, 31
	flat_load_dwordx2 v[2:3], v[16:17]
	flat_load_dwordx2 v[4:5], v[18:19]
	;; [unrolled: 1-line block ×3, first 2 shown]
	flat_load_dwordx4 v[32:35], v[72:73]
	v_lshl_add_u64 v[74:75], s[16:17], 3, v[10:11]
	s_waitcnt lgkmcnt(0)
	flat_load_dwordx4 v[26:29], v[30:31]
	flat_load_dwordx4 v[48:51], v[74:75]
	s_add_i32 s16, s16, s30
	s_ashr_i32 s17, s16, 31
	v_lshl_add_u64 v[76:77], s[16:17], 3, v[10:11]
	flat_load_dwordx4 v[52:55], v[30:31] offset:16
	flat_load_dwordx4 v[56:59], v[76:77]
	flat_load_dwordx4 v[60:63], v[72:73] offset:16
	flat_load_dwordx2 v[8:9], v[22:23]
	flat_load_dwordx4 v[64:67], v[74:75] offset:16
	flat_load_dwordx4 v[68:71], v[76:77] offset:16
	s_waitcnt vmcnt(0) lgkmcnt(0)
	v_fma_f64 v[32:33], v[2:3], v[32:33], 0
	v_fma_f64 v[30:31], v[2:3], v[26:27], 0
	v_fmac_f64_e32 v[30:31], v[4:5], v[28:29]
	v_fma_f64 v[28:29], v[2:3], v[48:49], 0
	v_fma_f64 v[26:27], v[2:3], v[56:57], 0
	v_fmac_f64_e32 v[32:33], v[4:5], v[34:35]
	v_fmac_f64_e32 v[28:29], v[4:5], v[50:51]
	;; [unrolled: 1-line block ×11, first 2 shown]
	s_andn2_saveexec_b64 s[44:45], s[14:15]
	s_cbranch_execz .LBB260_15
.LBB260_41:                             ;   in Loop: Header=BB260_13 Depth=1
	s_waitcnt lgkmcnt(0)
	v_mov_b64_e32 v[26:27], 0
	v_mov_b64_e32 v[28:29], v[26:27]
	v_mov_b64_e32 v[32:33], v[26:27]
	v_mov_b64_e32 v[30:31], v[26:27]
	s_and_saveexec_b64 s[46:47], s[10:11]
	s_cbranch_execz .LBB260_48
; %bb.42:                               ;   in Loop: Header=BB260_13 Depth=1
	v_cndmask_b32_e64 v15, 0, 1, s[36:37]
	v_cmp_ne_u32_e64 s[14:15], 1, v15
	s_andn2_b64 vcc, exec, s[36:37]
	s_cbranch_vccnz .LBB260_45
; %bb.43:                               ;   in Loop: Header=BB260_13 Depth=1
	s_mov_b64 s[48:49], 0
	v_mov_b32_e32 v26, v14
.LBB260_44:                             ;   Parent Loop BB260_13 Depth=1
                                        ; =>  This Inner Loop Header: Depth=2
	v_ashrrev_i32_e32 v27, 31, v26
	v_lshl_add_u64 v[28:29], v[26:27], 3, s[24:25]
	flat_load_dwordx2 v[28:29], v[28:29]
	s_cmp_eq_u32 s48, 3
	s_cselect_b64 vcc, -1, 0
	s_cmp_eq_u32 s48, 2
	s_cselect_b64 s[16:17], -1, 0
	s_cmp_eq_u32 s48, 1
	s_cselect_b64 s[18:19], -1, 0
	;; [unrolled: 2-line block ×3, first 2 shown]
	s_add_u32 s48, s48, 1
	s_addc_u32 s49, s49, 0
	v_add_u32_e32 v26, s29, v26
	s_cmp_eq_u32 s33, s48
	s_waitcnt vmcnt(0) lgkmcnt(0)
	v_cndmask_b32_e32 v9, v9, v29, vcc
	v_cndmask_b32_e32 v8, v8, v28, vcc
	v_cndmask_b32_e64 v7, v7, v29, s[16:17]
	v_cndmask_b32_e64 v6, v6, v28, s[16:17]
	;; [unrolled: 1-line block ×6, first 2 shown]
	s_cbranch_scc0 .LBB260_44
.LBB260_45:                             ;   in Loop: Header=BB260_13 Depth=1
	v_mov_b64_e32 v[26:27], 0
	s_and_b64 vcc, exec, s[14:15]
	v_mov_b64_e32 v[28:29], v[26:27]
	v_mov_b64_e32 v[32:33], v[26:27]
	;; [unrolled: 1-line block ×3, first 2 shown]
	s_cbranch_vccnz .LBB260_48
; %bb.46:                               ;   in Loop: Header=BB260_13 Depth=1
	s_ashr_i32 s39, s38, 31
	v_mov_b64_e32 v[30:31], 0
	v_lshl_add_u64 v[34:35], s[38:39], 3, v[10:11]
	s_mov_b64 s[18:19], 0
	v_mov_b64_e32 v[32:33], v[30:31]
	v_mov_b64_e32 v[28:29], v[30:31]
	;; [unrolled: 1-line block ×3, first 2 shown]
.LBB260_47:                             ;   Parent Loop BB260_13 Depth=1
                                        ; =>  This Inner Loop Header: Depth=2
	s_cmp_eq_u32 s18, 1
	s_cselect_b64 vcc, -1, 0
	s_cmp_eq_u32 s18, 2
	s_cselect_b64 s[14:15], -1, 0
	s_cmp_eq_u32 s18, 3
	s_cselect_b64 s[16:17], -1, 0
	s_add_i32 s20, s42, s18
	s_add_i32 s48, s40, s18
	s_add_i32 s56, s53, s18
	s_ashr_i32 s21, s20, 31
	s_ashr_i32 s49, s48, 31
	;; [unrolled: 1-line block ×3, first 2 shown]
	v_lshl_add_u64 v[50:51], s[20:21], 3, v[10:11]
	v_lshl_add_u64 v[52:53], s[48:49], 3, v[10:11]
	;; [unrolled: 1-line block ×3, first 2 shown]
	flat_load_dwordx2 v[48:49], v[34:35]
	s_nop 0
	flat_load_dwordx2 v[50:51], v[50:51]
	s_nop 0
	;; [unrolled: 2-line block ×3, first 2 shown]
	flat_load_dwordx2 v[54:55], v[54:55]
	v_cndmask_b32_e32 v15, v3, v5, vcc
	v_cndmask_b32_e64 v15, v15, v7, s[14:15]
	v_cndmask_b32_e32 v25, v2, v4, vcc
	v_cndmask_b32_e64 v57, v15, v9, s[16:17]
	v_cndmask_b32_e64 v15, v25, v6, s[14:15]
	s_add_u32 s18, s18, 1
	v_cndmask_b32_e64 v56, v15, v8, s[16:17]
	s_addc_u32 s19, s19, 0
	v_lshl_add_u64 v[34:35], v[34:35], 0, 8
	s_cmp_lg_u32 s33, s18
	s_waitcnt vmcnt(0) lgkmcnt(0)
	v_fmac_f64_e32 v[32:33], v[56:57], v[50:51]
	v_fmac_f64_e32 v[30:31], v[56:57], v[48:49]
	;; [unrolled: 1-line block ×4, first 2 shown]
	s_cbranch_scc1 .LBB260_47
.LBB260_48:                             ;   in Loop: Header=BB260_13 Depth=1
	s_or_b64 exec, exec, s[46:47]
	s_or_b64 exec, exec, s[44:45]
	s_and_saveexec_b64 s[14:15], s[0:1]
	s_cbranch_execnz .LBB260_16
	s_branch .LBB260_17
.LBB260_49:                             ;   in Loop: Header=BB260_13 Depth=1
	ds_read_b64 v[30:31], v45
	s_or_b64 exec, exec, s[14:15]
	s_and_saveexec_b64 s[14:15], s[0:1]
	s_cbranch_execz .LBB260_21
.LBB260_50:                             ;   in Loop: Header=BB260_13 Depth=1
	s_waitcnt lgkmcnt(0)
	ds_bpermute_b32 v34, v43, v30
	ds_bpermute_b32 v35, v43, v31
	s_waitcnt lgkmcnt(0)
	v_add_f64 v[30:31], v[30:31], v[34:35]
	ds_bpermute_b32 v34, v44, v30
	ds_bpermute_b32 v35, v44, v31
	s_waitcnt lgkmcnt(0)
	v_add_f64 v[30:31], v[30:31], v[34:35]
	s_or_b64 exec, exec, s[14:15]
	s_and_saveexec_b64 s[14:15], s[0:1]
	s_cbranch_execnz .LBB260_22
	s_branch .LBB260_23
.LBB260_51:                             ;   in Loop: Header=BB260_13 Depth=1
	ds_read_b64 v[32:33], v45
	s_or_b64 exec, exec, s[14:15]
	s_and_saveexec_b64 s[14:15], s[0:1]
	s_cbranch_execz .LBB260_27
.LBB260_52:                             ;   in Loop: Header=BB260_13 Depth=1
	s_waitcnt lgkmcnt(0)
	ds_bpermute_b32 v34, v43, v32
	ds_bpermute_b32 v35, v43, v33
	s_waitcnt lgkmcnt(0)
	v_add_f64 v[32:33], v[32:33], v[34:35]
	ds_bpermute_b32 v34, v44, v32
	ds_bpermute_b32 v35, v44, v33
	s_waitcnt lgkmcnt(0)
	v_add_f64 v[32:33], v[32:33], v[34:35]
	s_or_b64 exec, exec, s[14:15]
	s_and_saveexec_b64 s[14:15], s[0:1]
	s_cbranch_execnz .LBB260_28
	s_branch .LBB260_29
.LBB260_53:                             ;   in Loop: Header=BB260_13 Depth=1
	ds_read_b64 v[28:29], v45
	s_or_b64 exec, exec, s[14:15]
	s_and_saveexec_b64 s[14:15], s[0:1]
	s_cbranch_execz .LBB260_33
.LBB260_54:                             ;   in Loop: Header=BB260_13 Depth=1
	s_waitcnt lgkmcnt(0)
	ds_bpermute_b32 v34, v43, v28
	ds_bpermute_b32 v35, v43, v29
	s_waitcnt lgkmcnt(0)
	v_add_f64 v[28:29], v[28:29], v[34:35]
	ds_bpermute_b32 v34, v44, v28
	ds_bpermute_b32 v35, v44, v29
	s_waitcnt lgkmcnt(0)
	v_add_f64 v[28:29], v[28:29], v[34:35]
	s_or_b64 exec, exec, s[14:15]
	s_and_saveexec_b64 s[14:15], s[0:1]
	s_cbranch_execnz .LBB260_34
	s_branch .LBB260_35
.LBB260_55:                             ;   in Loop: Header=BB260_13 Depth=1
	ds_read_b64 v[26:27], v45
	s_or_b64 exec, exec, s[14:15]
	s_and_saveexec_b64 s[14:15], s[0:1]
	s_cbranch_execz .LBB260_39
.LBB260_56:                             ;   in Loop: Header=BB260_13 Depth=1
	s_waitcnt lgkmcnt(0)
	ds_bpermute_b32 v34, v43, v26
	ds_bpermute_b32 v35, v43, v27
	s_waitcnt lgkmcnt(0)
	v_add_f64 v[26:27], v[26:27], v[34:35]
	ds_bpermute_b32 v34, v44, v26
	ds_bpermute_b32 v35, v44, v27
	s_waitcnt lgkmcnt(0)
	v_add_f64 v[26:27], v[26:27], v[34:35]
	s_or_b64 exec, exec, s[14:15]
	s_and_saveexec_b64 s[14:15], s[6:7]
	s_cbranch_execz .LBB260_12
.LBB260_57:                             ;   in Loop: Header=BB260_13 Depth=1
	s_mul_i32 s16, s31, s28
	s_add_i32 s34, s16, s2
	s_lshl_b64 s[16:17], s[34:35], 3
	s_add_u32 s16, s50, s16
	v_mul_f64 v[30:31], s[22:23], v[30:31]
	s_addc_u32 s17, s51, s17
	s_add_i32 s34, s34, s28
	global_store_dwordx2 v24, v[30:31], s[16:17]
	s_lshl_b64 s[16:17], s[34:35], 3
	s_add_u32 s16, s50, s16
	v_mul_f64 v[30:31], s[22:23], v[32:33]
	s_addc_u32 s17, s51, s17
	s_add_i32 s34, s34, s28
	global_store_dwordx2 v24, v[30:31], s[16:17]
	;; [unrolled: 6-line block ×3, first 2 shown]
	s_lshl_b64 s[16:17], s[34:35], 3
	s_add_u32 s16, s50, s16
	s_waitcnt lgkmcnt(0)
	v_mul_f64 v[26:27], s[22:23], v[26:27]
	s_addc_u32 s17, s51, s17
	global_store_dwordx2 v24, v[26:27], s[16:17]
	s_branch .LBB260_12
.LBB260_58:
	s_mov_b32 s31, 0
                                        ; implicit-def: $vgpr2_vgpr3_vgpr4_vgpr5_vgpr6_vgpr7_vgpr8_vgpr9
.LBB260_59:
	s_cmp_ge_i32 s31, s27
	s_cbranch_scc1 .LBB260_83
; %bb.60:
	v_mbcnt_hi_u32_b32 v14, -1, v36
	v_and_b32_e32 v15, 63, v14
	v_cmp_gt_u32_e32 vcc, 32, v15
	s_mov_b32 s3, 0
	s_cmp_gt_i32 s33, 0
	v_cndmask_b32_e64 v16, 0, 1, vcc
	v_lshlrev_b32_e32 v16, 5, v16
	v_cmp_gt_u32_e32 vcc, 48, v15
	s_waitcnt lgkmcnt(0)
	v_add_lshl_u32 v27, v16, v14, 2
	s_cselect_b64 s[34:35], -1, 0
	v_cndmask_b32_e64 v16, 0, 1, vcc
	v_lshlrev_b32_e32 v16, 4, v16
	v_cmp_gt_u32_e32 vcc, 56, v15
	v_add_lshl_u32 v28, v16, v14, 2
	s_lshl_b64 s[14:15], s[2:3], 3
	v_cndmask_b32_e64 v16, 0, 1, vcc
	v_lshlrev_b32_e32 v16, 3, v16
	v_cmp_gt_u32_e32 vcc, 60, v15
	v_add_lshl_u32 v29, v16, v14, 2
	v_and_b32_e32 v33, 24, v13
	v_cndmask_b32_e64 v16, 0, 1, vcc
	v_lshlrev_b32_e32 v16, 2, v16
	v_cmp_gt_u32_e32 vcc, 62, v15
	v_add_lshl_u32 v30, v16, v14, 2
	s_add_u32 s2, s50, s14
	v_cndmask_b32_e64 v16, 0, 1, vcc
	v_lshlrev_b32_e32 v16, 1, v16
	v_add_lshl_u32 v31, v16, v14, 2
	v_add_u32_e32 v16, s29, v12
	v_cmp_ne_u32_e32 vcc, 63, v15
	v_add_u32_e32 v18, s29, v16
	v_ashrrev_i32_e32 v17, 31, v16
	v_addc_co_u32_e32 v14, vcc, 0, v14, vcc
	v_ashrrev_i32_e32 v19, 31, v18
	v_lshlrev_b32_e32 v32, 2, v14
	v_lshl_add_u64 v[14:15], v[16:17], 3, s[24:25]
	v_lshl_add_u64 v[16:17], v[18:19], 3, s[24:25]
	v_add_u32_e32 v18, s29, v18
	v_ashrrev_i32_e32 v13, 31, v12
	v_ashrrev_i32_e32 v19, 31, v18
	v_cmp_ge_i32_e64 s[0:1], s26, v37
	v_cmp_ge_i32_e64 s[4:5], s26, v38
	v_cmp_gt_u32_e64 s[6:7], 64, v0
	v_lshlrev_b32_e32 v26, 3, v1
	v_cmp_eq_u32_e64 s[8:9], 0, v1
	v_cmp_gt_u32_e64 s[10:11], 4, v0
	v_cmp_eq_u32_e64 s[12:13], 0, v0
	s_addc_u32 s26, s51, s15
	v_lshl_add_u64 v[0:1], v[12:13], 3, s[24:25]
	v_lshl_add_u64 v[18:19], v[18:19], 3, s[24:25]
	s_mul_i32 s36, s31, s30
	v_mov_b32_e32 v20, 0
	s_branch .LBB260_62
.LBB260_61:                             ;   in Loop: Header=BB260_62 Depth=1
	s_or_b64 exec, exec, s[14:15]
	s_add_i32 s31, s31, 1
	s_add_i32 s36, s36, s30
	s_cmp_ge_i32 s31, s27
	s_cbranch_scc1 .LBB260_83
.LBB260_62:                             ; =>This Loop Header: Depth=1
                                        ;     Child Loop BB260_75 Depth 2
                                        ;     Child Loop BB260_78 Depth 2
	s_waitcnt lgkmcnt(0)
	v_mov_b32_e32 v22, s3
	v_mov_b32_e32 v23, s3
	s_and_saveexec_b64 s[14:15], s[0:1]
	s_xor_b64 s[14:15], exec, s[14:15]
	s_cbranch_execnz .LBB260_71
; %bb.63:                               ;   in Loop: Header=BB260_62 Depth=1
	s_andn2_saveexec_b64 s[38:39], s[14:15]
	s_cbranch_execnz .LBB260_72
.LBB260_64:                             ;   in Loop: Header=BB260_62 Depth=1
	s_or_b64 exec, exec, s[38:39]
	s_and_saveexec_b64 s[14:15], s[6:7]
	s_cbranch_execz .LBB260_66
.LBB260_65:                             ;   in Loop: Header=BB260_62 Depth=1
	v_mov_b32_e32 v21, v20
	ds_write_b64 v26, v[20:21]
.LBB260_66:                             ;   in Loop: Header=BB260_62 Depth=1
	s_or_b64 exec, exec, s[14:15]
	ds_bpermute_b32 v24, v27, v22
	ds_bpermute_b32 v25, v27, v23
	s_waitcnt lgkmcnt(0)
	s_barrier
	v_add_f64 v[22:23], v[22:23], v[24:25]
	ds_bpermute_b32 v24, v28, v22
	ds_bpermute_b32 v25, v28, v23
	s_waitcnt lgkmcnt(0)
	v_add_f64 v[22:23], v[22:23], v[24:25]
	ds_bpermute_b32 v24, v29, v22
	ds_bpermute_b32 v25, v29, v23
	s_waitcnt lgkmcnt(0)
	;; [unrolled: 4-line block ×4, first 2 shown]
	v_add_f64 v[22:23], v[22:23], v[24:25]
	ds_bpermute_b32 v24, v32, v22
	ds_bpermute_b32 v25, v32, v23
	s_and_saveexec_b64 s[14:15], s[8:9]
	s_cbranch_execz .LBB260_68
; %bb.67:                               ;   in Loop: Header=BB260_62 Depth=1
	s_waitcnt lgkmcnt(0)
	v_add_f64 v[22:23], v[22:23], v[24:25]
	ds_write_b64 v33, v[22:23]
.LBB260_68:                             ;   in Loop: Header=BB260_62 Depth=1
	s_or_b64 exec, exec, s[14:15]
	v_mov_b64_e32 v[22:23], 0
	s_waitcnt lgkmcnt(0)
	s_barrier
	s_and_saveexec_b64 s[14:15], s[10:11]
	s_cbranch_execnz .LBB260_80
; %bb.69:                               ;   in Loop: Header=BB260_62 Depth=1
	s_or_b64 exec, exec, s[14:15]
	s_and_saveexec_b64 s[14:15], s[6:7]
	s_cbranch_execnz .LBB260_81
.LBB260_70:                             ;   in Loop: Header=BB260_62 Depth=1
	s_or_b64 exec, exec, s[14:15]
	s_and_saveexec_b64 s[14:15], s[12:13]
	s_cbranch_execz .LBB260_61
	s_branch .LBB260_82
.LBB260_71:                             ;   in Loop: Header=BB260_62 Depth=1
	s_mul_i32 s16, s31, s30
	s_ashr_i32 s17, s16, 31
	v_lshl_add_u64 v[38:39], s[16:17], 3, v[10:11]
	flat_load_dwordx4 v[22:25], v[38:39]
	flat_load_dwordx4 v[34:37], v[38:39] offset:16
	flat_load_dwordx2 v[2:3], v[0:1]
	flat_load_dwordx2 v[4:5], v[14:15]
	;; [unrolled: 1-line block ×4, first 2 shown]
	s_waitcnt vmcnt(0) lgkmcnt(0)
	v_fma_f64 v[22:23], v[2:3], v[22:23], 0
	v_fmac_f64_e32 v[22:23], v[4:5], v[24:25]
	v_fmac_f64_e32 v[22:23], v[6:7], v[34:35]
	;; [unrolled: 1-line block ×3, first 2 shown]
	s_andn2_saveexec_b64 s[38:39], s[14:15]
	s_cbranch_execz .LBB260_64
.LBB260_72:                             ;   in Loop: Header=BB260_62 Depth=1
	s_and_saveexec_b64 s[40:41], s[4:5]
	s_cbranch_execz .LBB260_79
; %bb.73:                               ;   in Loop: Header=BB260_62 Depth=1
	v_cndmask_b32_e64 v13, 0, 1, s[34:35]
	v_cmp_ne_u32_e64 s[14:15], 1, v13
	s_andn2_b64 vcc, exec, s[34:35]
	s_cbranch_vccnz .LBB260_76
; %bb.74:                               ;   in Loop: Header=BB260_62 Depth=1
	s_mov_b64 s[42:43], 0
	v_mov_b32_e32 v24, v12
.LBB260_75:                             ;   Parent Loop BB260_62 Depth=1
                                        ; =>  This Inner Loop Header: Depth=2
	v_ashrrev_i32_e32 v25, 31, v24
	v_lshl_add_u64 v[34:35], v[24:25], 3, s[24:25]
	flat_load_dwordx2 v[34:35], v[34:35]
	s_cmp_eq_u32 s42, 3
	s_cselect_b64 vcc, -1, 0
	s_cmp_eq_u32 s42, 2
	s_cselect_b64 s[16:17], -1, 0
	s_cmp_eq_u32 s42, 1
	s_cselect_b64 s[18:19], -1, 0
	;; [unrolled: 2-line block ×3, first 2 shown]
	s_add_u32 s42, s42, 1
	s_addc_u32 s43, s43, 0
	v_add_u32_e32 v24, s29, v24
	s_cmp_eq_u32 s33, s42
	s_waitcnt vmcnt(0) lgkmcnt(0)
	v_cndmask_b32_e32 v9, v9, v35, vcc
	v_cndmask_b32_e32 v8, v8, v34, vcc
	v_cndmask_b32_e64 v7, v7, v35, s[16:17]
	v_cndmask_b32_e64 v6, v6, v34, s[16:17]
	;; [unrolled: 1-line block ×6, first 2 shown]
	s_cbranch_scc0 .LBB260_75
.LBB260_76:                             ;   in Loop: Header=BB260_62 Depth=1
	s_and_b64 vcc, exec, s[14:15]
	s_cbranch_vccnz .LBB260_79
; %bb.77:                               ;   in Loop: Header=BB260_62 Depth=1
	s_ashr_i32 s37, s36, 31
	v_lshl_add_u64 v[24:25], s[36:37], 3, v[10:11]
	s_mov_b64 s[16:17], 0
.LBB260_78:                             ;   Parent Loop BB260_62 Depth=1
                                        ; =>  This Inner Loop Header: Depth=2
	flat_load_dwordx2 v[34:35], v[24:25]
	s_cmp_eq_u32 s16, 1
	s_cselect_b64 vcc, -1, 0
	s_cmp_eq_u32 s16, 2
	v_cndmask_b32_e32 v13, v3, v5, vcc
	s_cselect_b64 s[14:15], -1, 0
	s_cmp_eq_u32 s16, 3
	v_cndmask_b32_e64 v13, v13, v7, s[14:15]
	v_cndmask_b32_e32 v21, v2, v4, vcc
	s_cselect_b64 vcc, -1, 0
	v_cndmask_b32_e32 v37, v13, v9, vcc
	v_cndmask_b32_e64 v13, v21, v6, s[14:15]
	s_add_u32 s16, s16, 1
	v_cndmask_b32_e32 v36, v13, v8, vcc
	s_addc_u32 s17, s17, 0
	v_lshl_add_u64 v[24:25], v[24:25], 0, 8
	s_cmp_lg_u32 s33, s16
	s_waitcnt vmcnt(0) lgkmcnt(0)
	v_fmac_f64_e32 v[22:23], v[36:37], v[34:35]
	s_cbranch_scc1 .LBB260_78
.LBB260_79:                             ;   in Loop: Header=BB260_62 Depth=1
	s_or_b64 exec, exec, s[40:41]
	s_or_b64 exec, exec, s[38:39]
	s_and_saveexec_b64 s[14:15], s[6:7]
	s_cbranch_execnz .LBB260_65
	s_branch .LBB260_66
.LBB260_80:                             ;   in Loop: Header=BB260_62 Depth=1
	ds_read_b64 v[22:23], v26
	s_or_b64 exec, exec, s[14:15]
	s_and_saveexec_b64 s[14:15], s[6:7]
	s_cbranch_execz .LBB260_70
.LBB260_81:                             ;   in Loop: Header=BB260_62 Depth=1
	s_waitcnt lgkmcnt(0)
	ds_bpermute_b32 v24, v31, v22
	ds_bpermute_b32 v25, v31, v23
	s_waitcnt lgkmcnt(0)
	v_add_f64 v[22:23], v[22:23], v[24:25]
	ds_bpermute_b32 v24, v32, v22
	ds_bpermute_b32 v25, v32, v23
	s_waitcnt lgkmcnt(0)
	v_add_f64 v[22:23], v[22:23], v[24:25]
	s_or_b64 exec, exec, s[14:15]
	s_and_saveexec_b64 s[14:15], s[12:13]
	s_cbranch_execz .LBB260_61
.LBB260_82:                             ;   in Loop: Header=BB260_62 Depth=1
	s_mul_hi_u32 s17, s31, s28
	s_mul_i32 s16, s31, s28
	s_lshl_b64 s[16:17], s[16:17], 3
	s_add_u32 s16, s2, s16
	s_waitcnt lgkmcnt(0)
	v_mul_f64 v[22:23], s[22:23], v[22:23]
	s_addc_u32 s17, s26, s17
	global_store_dwordx2 v20, v[22:23], s[16:17]
	s_branch .LBB260_61
.LBB260_83:
	s_endpgm
	.section	.rodata,"a",@progbits
	.p2align	6, 0x0
	.amdhsa_kernel _ZL23rocblas_gemvt_sn_kernelILb0ELi256ELi4EiPKdS1_dEviiT4_lPKT3_lilS5_lilPT5_i
		.amdhsa_group_segment_fixed_size 512
		.amdhsa_private_segment_fixed_size 0
		.amdhsa_kernarg_size 360
		.amdhsa_user_sgpr_count 2
		.amdhsa_user_sgpr_dispatch_ptr 0
		.amdhsa_user_sgpr_queue_ptr 0
		.amdhsa_user_sgpr_kernarg_segment_ptr 1
		.amdhsa_user_sgpr_dispatch_id 0
		.amdhsa_user_sgpr_kernarg_preload_length 0
		.amdhsa_user_sgpr_kernarg_preload_offset 0
		.amdhsa_user_sgpr_private_segment_size 0
		.amdhsa_uses_dynamic_stack 0
		.amdhsa_enable_private_segment 0
		.amdhsa_system_sgpr_workgroup_id_x 1
		.amdhsa_system_sgpr_workgroup_id_y 0
		.amdhsa_system_sgpr_workgroup_id_z 1
		.amdhsa_system_sgpr_workgroup_info 0
		.amdhsa_system_vgpr_workitem_id 0
		.amdhsa_next_free_vgpr 78
		.amdhsa_next_free_sgpr 58
		.amdhsa_accum_offset 80
		.amdhsa_reserve_vcc 1
		.amdhsa_float_round_mode_32 0
		.amdhsa_float_round_mode_16_64 0
		.amdhsa_float_denorm_mode_32 3
		.amdhsa_float_denorm_mode_16_64 3
		.amdhsa_dx10_clamp 1
		.amdhsa_ieee_mode 1
		.amdhsa_fp16_overflow 0
		.amdhsa_tg_split 0
		.amdhsa_exception_fp_ieee_invalid_op 0
		.amdhsa_exception_fp_denorm_src 0
		.amdhsa_exception_fp_ieee_div_zero 0
		.amdhsa_exception_fp_ieee_overflow 0
		.amdhsa_exception_fp_ieee_underflow 0
		.amdhsa_exception_fp_ieee_inexact 0
		.amdhsa_exception_int_div_zero 0
	.end_amdhsa_kernel
	.section	.text._ZL23rocblas_gemvt_sn_kernelILb0ELi256ELi4EiPKdS1_dEviiT4_lPKT3_lilS5_lilPT5_i,"axG",@progbits,_ZL23rocblas_gemvt_sn_kernelILb0ELi256ELi4EiPKdS1_dEviiT4_lPKT3_lilS5_lilPT5_i,comdat
.Lfunc_end260:
	.size	_ZL23rocblas_gemvt_sn_kernelILb0ELi256ELi4EiPKdS1_dEviiT4_lPKT3_lilS5_lilPT5_i, .Lfunc_end260-_ZL23rocblas_gemvt_sn_kernelILb0ELi256ELi4EiPKdS1_dEviiT4_lPKT3_lilS5_lilPT5_i
                                        ; -- End function
	.section	.AMDGPU.csdata,"",@progbits
; Kernel info:
; codeLenInByte = 4328
; NumSgprs: 64
; NumVgprs: 78
; NumAgprs: 0
; TotalNumVgprs: 78
; ScratchSize: 0
; MemoryBound: 1
; FloatMode: 240
; IeeeMode: 1
; LDSByteSize: 512 bytes/workgroup (compile time only)
; SGPRBlocks: 7
; VGPRBlocks: 9
; NumSGPRsForWavesPerEU: 64
; NumVGPRsForWavesPerEU: 78
; AccumOffset: 80
; Occupancy: 6
; WaveLimiterHint : 0
; COMPUTE_PGM_RSRC2:SCRATCH_EN: 0
; COMPUTE_PGM_RSRC2:USER_SGPR: 2
; COMPUTE_PGM_RSRC2:TRAP_HANDLER: 0
; COMPUTE_PGM_RSRC2:TGID_X_EN: 1
; COMPUTE_PGM_RSRC2:TGID_Y_EN: 0
; COMPUTE_PGM_RSRC2:TGID_Z_EN: 1
; COMPUTE_PGM_RSRC2:TIDIG_COMP_CNT: 0
; COMPUTE_PGM_RSRC3_GFX90A:ACCUM_OFFSET: 19
; COMPUTE_PGM_RSRC3_GFX90A:TG_SPLIT: 0
	.section	.text._ZL23rocblas_gemvt_sn_kernelILb0ELi256ELi4ElPKdS1_dEviiT4_lPKT3_lilS5_lilPT5_i,"axG",@progbits,_ZL23rocblas_gemvt_sn_kernelILb0ELi256ELi4ElPKdS1_dEviiT4_lPKT3_lilS5_lilPT5_i,comdat
	.globl	_ZL23rocblas_gemvt_sn_kernelILb0ELi256ELi4ElPKdS1_dEviiT4_lPKT3_lilS5_lilPT5_i ; -- Begin function _ZL23rocblas_gemvt_sn_kernelILb0ELi256ELi4ElPKdS1_dEviiT4_lPKT3_lilS5_lilPT5_i
	.p2align	8
	.type	_ZL23rocblas_gemvt_sn_kernelILb0ELi256ELi4ElPKdS1_dEviiT4_lPKT3_lilS5_lilPT5_i,@function
_ZL23rocblas_gemvt_sn_kernelILb0ELi256ELi4ElPKdS1_dEviiT4_lPKT3_lilS5_lilPT5_i: ; @_ZL23rocblas_gemvt_sn_kernelILb0ELi256ELi4ElPKdS1_dEviiT4_lPKT3_lilS5_lilPT5_i
; %bb.0:
	s_load_dwordx8 s[4:11], s[0:1], 0x8
	s_mov_b32 s12, s3
	s_mov_b32 s13, 0
	s_mov_b64 s[34:35], 0
	s_mov_b64 s[30:31], 0
	s_waitcnt lgkmcnt(0)
	s_mul_i32 s3, s3, s7
	s_mul_hi_u32 s7, s12, s6
	s_add_i32 s7, s7, s3
	s_mul_i32 s6, s12, s6
	s_lshl_b64 s[6:7], s[6:7], 3
	s_add_u32 s4, s4, s6
	s_addc_u32 s5, s5, s7
	s_load_dwordx2 s[22:23], s[4:5], 0x0
	s_waitcnt lgkmcnt(0)
	v_cmp_eq_f64_e64 s[4:5], s[22:23], 0
	v_cmp_neq_f64_e64 s[6:7], s[22:23], 0
	s_and_b64 vcc, exec, s[4:5]
	s_cbranch_vccnz .LBB261_2
; %bb.1:
	s_lshl_b64 s[14:15], s[12:13], 3
	s_add_u32 s8, s8, s14
	s_addc_u32 s9, s9, s15
	s_load_dwordx2 s[8:9], s[8:9], 0x0
	s_lshl_b64 s[10:11], s[10:11], 3
	s_waitcnt lgkmcnt(0)
	s_add_u32 s30, s8, s10
	s_addc_u32 s31, s9, s11
.LBB261_2:
	s_andn2_b64 vcc, exec, s[6:7]
	s_cbranch_vccnz .LBB261_4
; %bb.3:
	s_load_dwordx4 s[8:11], s[0:1], 0x38
	s_lshl_b64 s[6:7], s[12:13], 3
	s_waitcnt lgkmcnt(0)
	s_add_u32 s6, s8, s6
	s_addc_u32 s7, s9, s7
	s_load_dwordx2 s[6:7], s[6:7], 0x0
	s_lshl_b64 s[8:9], s[10:11], 3
	s_waitcnt lgkmcnt(0)
	s_add_u32 s34, s6, s8
	s_addc_u32 s35, s7, s9
.LBB261_4:
	s_load_dwordx2 s[24:25], s[0:1], 0x0
	s_load_dwordx2 s[6:7], s[0:1], 0x58
	s_load_dword s26, s[0:1], 0x68
	s_mov_b32 s27, 0
	s_waitcnt lgkmcnt(0)
	s_ashr_i32 s10, s25, 31
	s_mul_hi_u32 s3, s25, s12
	s_mul_i32 s8, s10, s12
	s_add_i32 s3, s3, s8
	s_mul_i32 s8, s25, s12
	s_mul_i32 s3, s3, s26
	s_mul_hi_u32 s9, s8, s26
	s_add_i32 s9, s9, s3
	s_mul_i32 s8, s8, s26
	s_lshl_b64 s[8:9], s[8:9], 3
	s_add_u32 s33, s6, s8
	s_addc_u32 s56, s7, s9
	s_andn2_b64 vcc, exec, s[4:5]
	s_mov_b64 s[4:5], -1
	s_cbranch_vccnz .LBB261_9
; %bb.5:
	s_cmp_gt_i32 s25, 0
	v_cmp_eq_u32_e32 vcc, 0, v0
	s_cselect_b64 s[4:5], -1, 0
	s_and_b64 s[6:7], vcc, s[4:5]
	s_and_saveexec_b64 s[4:5], s[6:7]
	s_cbranch_execz .LBB261_8
; %bb.6:
	s_mov_b32 s3, 0
	s_lshl_b64 s[6:7], s[2:3], 3
	s_add_u32 s6, s33, s6
	v_mov_b32_e32 v2, 0
	s_addc_u32 s7, s56, s7
	s_lshl_b64 s[8:9], s[26:27], 3
	v_mov_b32_e32 v3, v2
	s_mov_b32 s3, s25
.LBB261_7:                              ; =>This Inner Loop Header: Depth=1
	s_add_i32 s3, s3, -1
	global_store_dwordx2 v2, v[2:3], s[6:7]
	s_add_u32 s6, s6, s8
	s_addc_u32 s7, s7, s9
	s_cmp_eq_u32 s3, 0
	s_cbranch_scc0 .LBB261_7
.LBB261_8:
	s_or_b64 exec, exec, s[4:5]
	s_mov_b64 s[4:5], 0
.LBB261_9:
	s_andn2_b64 vcc, exec, s[4:5]
	s_cbranch_vccnz .LBB261_83
; %bb.10:
	s_load_dword s28, s[0:1], 0x28
	s_load_dword s36, s[0:1], 0x48
	s_lshl_b32 s0, s2, 10
	v_lshl_or_b32 v12, v0, 2, s0
	s_lshr_b32 s0, s10, 30
	s_add_i32 s0, s25, s0
	s_and_b32 s57, s0, -4
	s_ashr_i32 s0, s24, 31
	s_lshr_b32 s0, s0, 30
	s_add_i32 s0, s24, s0
	s_and_b32 s0, s0, -4
	s_waitcnt lgkmcnt(0)
	s_ashr_i32 s29, s28, 31
	s_ashr_i32 s37, s36, 31
	v_ashrrev_i32_e32 v13, 31, v12
	s_sub_i32 s27, s24, s0
	v_lshl_add_u64 v[10:11], v[12:13], 3, s[30:31]
	s_cmp_lt_i32 s57, 1
	v_add_u32_e32 v41, 4, v12
	v_add_u32_e32 v42, s27, v12
	v_and_b32_e32 v1, 63, v0
	v_cmp_gt_u32_e64 s[0:1], 64, v0
	v_mbcnt_lo_u32_b32 v40, -1, 0
	v_cmp_gt_u32_e64 s[4:5], 4, v0
	v_lshrrev_b32_e32 v39, 3, v0
	v_cmp_eq_u32_e64 s[6:7], 0, v0
	v_or_b32_e32 v38, 1, v12
	v_or_b32_e32 v37, 2, v12
	;; [unrolled: 1-line block ×3, first 2 shown]
	s_cbranch_scc1 .LBB261_58
; %bb.11:
	v_mbcnt_hi_u32_b32 v2, -1, v40
	v_and_b32_e32 v3, 63, v2
	v_cmp_gt_u32_e32 vcc, 32, v3
	s_mov_b32 s3, 0
	s_cmp_gt_i32 s27, 0
	v_cndmask_b32_e64 v4, 0, 1, vcc
	v_lshlrev_b32_e32 v4, 5, v4
	v_cmp_gt_u32_e32 vcc, 48, v3
	v_add_lshl_u32 v43, v4, v2, 2
	s_cselect_b64 s[38:39], -1, 0
	v_cndmask_b32_e64 v4, 0, 1, vcc
	v_lshlrev_b32_e32 v4, 4, v4
	v_cmp_gt_u32_e32 vcc, 56, v3
	v_add_lshl_u32 v44, v4, v2, 2
	s_lshl_b64 s[14:15], s[2:3], 3
	v_cndmask_b32_e64 v4, 0, 1, vcc
	v_lshlrev_b32_e32 v4, 3, v4
	v_cmp_gt_u32_e32 vcc, 60, v3
	v_add_lshl_u32 v45, v4, v2, 2
	s_add_u32 s58, s33, s14
	v_cndmask_b32_e64 v4, 0, 1, vcc
	v_lshlrev_b32_e32 v4, 2, v4
	v_cmp_gt_u32_e32 vcc, 62, v3
	v_add_lshl_u32 v46, v4, v2, 2
	s_addc_u32 s59, s56, s15
	v_cndmask_b32_e64 v4, 0, 1, vcc
	v_lshlrev_b32_e32 v4, 1, v4
	v_cmp_ne_u32_e32 vcc, 63, v3
	v_add_lshl_u32 v47, v4, v2, 2
	v_cmp_ge_i32_e64 s[8:9], s24, v41
	v_addc_co_u32_e32 v2, vcc, 0, v2, vcc
	v_lshlrev_b32_e32 v48, 2, v2
	v_mad_i64_i32 v[2:3], s[14:15], s36, v12, 0
	v_lshl_add_u64 v[14:15], v[2:3], 3, s[34:35]
	v_mad_i64_i32 v[2:3], s[14:15], s36, v38, 0
	v_lshl_add_u64 v[16:17], v[2:3], 3, s[34:35]
	;; [unrolled: 2-line block ×3, first 2 shown]
	v_mad_i64_i32 v[2:3], s[14:15], s36, v36, 0
	v_cmp_ge_i32_e64 s[10:11], s24, v42
	v_cmp_eq_u32_e64 s[12:13], 0, v1
	v_lshlrev_b32_e32 v49, 3, v1
	v_and_b32_e32 v50, 24, v39
	v_lshl_add_u64 v[20:21], v[2:3], 3, s[34:35]
	s_lshl_b64 s[40:41], s[36:37], 3
	s_mul_hi_i32 s43, s28, 24
	s_mul_i32 s42, s28, 24
	s_lshl_b64 s[44:45], s[28:29], 5
	s_lshl_b64 s[46:47], s[28:29], 4
	;; [unrolled: 1-line block ×3, first 2 shown]
	v_mov_b32_e32 v22, 0
	v_mov_b64_e32 v[24:25], v[10:11]
                                        ; implicit-def: $vgpr2_vgpr3_vgpr4_vgpr5_vgpr6_vgpr7_vgpr8_vgpr9
	s_branch .LBB261_13
.LBB261_12:                             ;   in Loop: Header=BB261_13 Depth=1
	s_or_b64 exec, exec, s[14:15]
	s_add_i32 s3, s3, 4
	s_cmp_ge_i32 s3, s57
	v_lshl_add_u64 v[24:25], v[24:25], 0, s[44:45]
	s_cbranch_scc1 .LBB261_59
.LBB261_13:                             ; =>This Loop Header: Depth=1
                                        ;     Child Loop BB261_44 Depth 2
                                        ;     Child Loop BB261_47 Depth 2
                                        ; implicit-def: $vgpr26_vgpr27
                                        ; implicit-def: $vgpr28_vgpr29
                                        ; implicit-def: $vgpr32_vgpr33
                                        ; implicit-def: $vgpr30_vgpr31
	s_and_saveexec_b64 s[14:15], s[8:9]
	s_xor_b64 s[14:15], exec, s[14:15]
	s_cbranch_execnz .LBB261_40
; %bb.14:                               ;   in Loop: Header=BB261_13 Depth=1
	s_andn2_saveexec_b64 s[50:51], s[14:15]
	s_cbranch_execnz .LBB261_41
.LBB261_15:                             ;   in Loop: Header=BB261_13 Depth=1
	s_or_b64 exec, exec, s[50:51]
	s_and_saveexec_b64 s[14:15], s[0:1]
	s_cbranch_execz .LBB261_17
.LBB261_16:                             ;   in Loop: Header=BB261_13 Depth=1
	v_mov_b32_e32 v23, v22
	ds_write_b64 v49, v[22:23]
.LBB261_17:                             ;   in Loop: Header=BB261_13 Depth=1
	s_or_b64 exec, exec, s[14:15]
	ds_bpermute_b32 v34, v43, v30
	ds_bpermute_b32 v35, v43, v31
	s_waitcnt lgkmcnt(0)
	s_barrier
	v_add_f64 v[30:31], v[30:31], v[34:35]
	ds_bpermute_b32 v34, v44, v30
	ds_bpermute_b32 v35, v44, v31
	s_waitcnt lgkmcnt(0)
	v_add_f64 v[30:31], v[30:31], v[34:35]
	ds_bpermute_b32 v34, v45, v30
	ds_bpermute_b32 v35, v45, v31
	s_waitcnt lgkmcnt(0)
	;; [unrolled: 4-line block ×4, first 2 shown]
	v_add_f64 v[30:31], v[30:31], v[34:35]
	ds_bpermute_b32 v34, v48, v30
	ds_bpermute_b32 v35, v48, v31
	s_and_saveexec_b64 s[14:15], s[12:13]
	s_cbranch_execz .LBB261_19
; %bb.18:                               ;   in Loop: Header=BB261_13 Depth=1
	s_waitcnt lgkmcnt(0)
	v_add_f64 v[30:31], v[30:31], v[34:35]
	ds_write_b64 v50, v[30:31]
.LBB261_19:                             ;   in Loop: Header=BB261_13 Depth=1
	s_or_b64 exec, exec, s[14:15]
	v_mov_b64_e32 v[30:31], 0
	s_waitcnt lgkmcnt(0)
	s_barrier
	s_and_saveexec_b64 s[14:15], s[4:5]
	s_cbranch_execnz .LBB261_49
; %bb.20:                               ;   in Loop: Header=BB261_13 Depth=1
	s_or_b64 exec, exec, s[14:15]
	s_and_saveexec_b64 s[14:15], s[0:1]
	s_cbranch_execnz .LBB261_50
.LBB261_21:                             ;   in Loop: Header=BB261_13 Depth=1
	s_or_b64 exec, exec, s[14:15]
	s_and_saveexec_b64 s[14:15], s[0:1]
	s_cbranch_execz .LBB261_23
.LBB261_22:                             ;   in Loop: Header=BB261_13 Depth=1
	v_mov_b32_e32 v23, v22
	ds_write_b64 v49, v[22:23]
.LBB261_23:                             ;   in Loop: Header=BB261_13 Depth=1
	s_or_b64 exec, exec, s[14:15]
	ds_bpermute_b32 v34, v43, v32
	ds_bpermute_b32 v35, v43, v33
	s_waitcnt lgkmcnt(0)
	s_barrier
	v_add_f64 v[32:33], v[32:33], v[34:35]
	ds_bpermute_b32 v34, v44, v32
	ds_bpermute_b32 v35, v44, v33
	s_waitcnt lgkmcnt(0)
	v_add_f64 v[32:33], v[32:33], v[34:35]
	ds_bpermute_b32 v34, v45, v32
	ds_bpermute_b32 v35, v45, v33
	s_waitcnt lgkmcnt(0)
	;; [unrolled: 4-line block ×4, first 2 shown]
	v_add_f64 v[32:33], v[32:33], v[34:35]
	ds_bpermute_b32 v34, v48, v32
	ds_bpermute_b32 v35, v48, v33
	s_and_saveexec_b64 s[14:15], s[12:13]
	s_cbranch_execz .LBB261_25
; %bb.24:                               ;   in Loop: Header=BB261_13 Depth=1
	s_waitcnt lgkmcnt(0)
	v_add_f64 v[32:33], v[32:33], v[34:35]
	ds_write_b64 v50, v[32:33]
.LBB261_25:                             ;   in Loop: Header=BB261_13 Depth=1
	s_or_b64 exec, exec, s[14:15]
	v_mov_b64_e32 v[32:33], 0
	s_waitcnt lgkmcnt(0)
	s_barrier
	s_and_saveexec_b64 s[14:15], s[4:5]
	s_cbranch_execnz .LBB261_51
; %bb.26:                               ;   in Loop: Header=BB261_13 Depth=1
	s_or_b64 exec, exec, s[14:15]
	s_and_saveexec_b64 s[14:15], s[0:1]
	s_cbranch_execnz .LBB261_52
.LBB261_27:                             ;   in Loop: Header=BB261_13 Depth=1
	s_or_b64 exec, exec, s[14:15]
	s_and_saveexec_b64 s[14:15], s[0:1]
	s_cbranch_execz .LBB261_29
.LBB261_28:                             ;   in Loop: Header=BB261_13 Depth=1
	v_mov_b32_e32 v23, v22
	ds_write_b64 v49, v[22:23]
.LBB261_29:                             ;   in Loop: Header=BB261_13 Depth=1
	s_or_b64 exec, exec, s[14:15]
	ds_bpermute_b32 v34, v43, v28
	ds_bpermute_b32 v35, v43, v29
	s_waitcnt lgkmcnt(0)
	s_barrier
	v_add_f64 v[28:29], v[28:29], v[34:35]
	ds_bpermute_b32 v34, v44, v28
	ds_bpermute_b32 v35, v44, v29
	s_waitcnt lgkmcnt(0)
	v_add_f64 v[28:29], v[28:29], v[34:35]
	ds_bpermute_b32 v34, v45, v28
	ds_bpermute_b32 v35, v45, v29
	s_waitcnt lgkmcnt(0)
	;; [unrolled: 4-line block ×4, first 2 shown]
	v_add_f64 v[28:29], v[28:29], v[34:35]
	ds_bpermute_b32 v34, v48, v28
	ds_bpermute_b32 v35, v48, v29
	s_and_saveexec_b64 s[14:15], s[12:13]
	s_cbranch_execz .LBB261_31
; %bb.30:                               ;   in Loop: Header=BB261_13 Depth=1
	s_waitcnt lgkmcnt(0)
	v_add_f64 v[28:29], v[28:29], v[34:35]
	ds_write_b64 v50, v[28:29]
.LBB261_31:                             ;   in Loop: Header=BB261_13 Depth=1
	s_or_b64 exec, exec, s[14:15]
	v_mov_b64_e32 v[28:29], 0
	s_waitcnt lgkmcnt(0)
	s_barrier
	s_and_saveexec_b64 s[14:15], s[4:5]
	s_cbranch_execnz .LBB261_53
; %bb.32:                               ;   in Loop: Header=BB261_13 Depth=1
	s_or_b64 exec, exec, s[14:15]
	s_and_saveexec_b64 s[14:15], s[0:1]
	s_cbranch_execnz .LBB261_54
.LBB261_33:                             ;   in Loop: Header=BB261_13 Depth=1
	s_or_b64 exec, exec, s[14:15]
	s_and_saveexec_b64 s[14:15], s[0:1]
	s_cbranch_execz .LBB261_35
.LBB261_34:                             ;   in Loop: Header=BB261_13 Depth=1
	v_mov_b32_e32 v23, v22
	ds_write_b64 v49, v[22:23]
.LBB261_35:                             ;   in Loop: Header=BB261_13 Depth=1
	s_or_b64 exec, exec, s[14:15]
	ds_bpermute_b32 v34, v43, v26
	ds_bpermute_b32 v35, v43, v27
	s_waitcnt lgkmcnt(0)
	s_barrier
	v_add_f64 v[26:27], v[26:27], v[34:35]
	ds_bpermute_b32 v34, v44, v26
	ds_bpermute_b32 v35, v44, v27
	s_waitcnt lgkmcnt(0)
	v_add_f64 v[26:27], v[26:27], v[34:35]
	ds_bpermute_b32 v34, v45, v26
	ds_bpermute_b32 v35, v45, v27
	s_waitcnt lgkmcnt(0)
	;; [unrolled: 4-line block ×4, first 2 shown]
	v_add_f64 v[26:27], v[26:27], v[34:35]
	ds_bpermute_b32 v34, v48, v26
	ds_bpermute_b32 v35, v48, v27
	s_and_saveexec_b64 s[14:15], s[12:13]
	s_cbranch_execz .LBB261_37
; %bb.36:                               ;   in Loop: Header=BB261_13 Depth=1
	s_waitcnt lgkmcnt(0)
	v_add_f64 v[26:27], v[26:27], v[34:35]
	ds_write_b64 v50, v[26:27]
.LBB261_37:                             ;   in Loop: Header=BB261_13 Depth=1
	s_or_b64 exec, exec, s[14:15]
	v_mov_b64_e32 v[26:27], 0
	s_waitcnt lgkmcnt(0)
	s_barrier
	s_and_saveexec_b64 s[14:15], s[4:5]
	s_cbranch_execnz .LBB261_55
; %bb.38:                               ;   in Loop: Header=BB261_13 Depth=1
	s_or_b64 exec, exec, s[14:15]
	s_and_saveexec_b64 s[14:15], s[0:1]
	s_cbranch_execnz .LBB261_56
.LBB261_39:                             ;   in Loop: Header=BB261_13 Depth=1
	s_or_b64 exec, exec, s[14:15]
	s_and_saveexec_b64 s[14:15], s[6:7]
	s_cbranch_execz .LBB261_12
	s_branch .LBB261_57
.LBB261_40:                             ;   in Loop: Header=BB261_13 Depth=1
	s_mul_i32 s16, s3, s29
	s_mul_hi_u32 s17, s3, s28
	s_add_i32 s17, s17, s16
	s_mul_i32 s16, s3, s28
	s_waitcnt lgkmcnt(0)
	v_lshl_add_u64 v[26:27], s[16:17], 3, v[10:11]
	s_or_b32 s16, s3, 1
	s_mul_i32 s17, s16, s29
	s_mul_hi_u32 s18, s16, s28
	s_add_i32 s17, s18, s17
	s_mul_i32 s16, s16, s28
	v_lshl_add_u64 v[28:29], s[16:17], 3, v[10:11]
	s_or_b32 s16, s3, 2
	s_mul_i32 s17, s16, s29
	s_mul_hi_u32 s18, s16, s28
	s_add_i32 s17, s18, s17
	s_mul_i32 s16, s16, s28
	v_lshl_add_u64 v[30:31], s[16:17], 3, v[10:11]
	s_or_b32 s16, s3, 3
	flat_load_dwordx2 v[2:3], v[14:15]
	flat_load_dwordx4 v[32:35], v[26:27]
	flat_load_dwordx4 v[52:55], v[28:29]
	;; [unrolled: 1-line block ×3, first 2 shown]
	s_mul_i32 s17, s16, s29
	s_mul_hi_u32 s18, s16, s28
	s_add_i32 s17, s18, s17
	s_mul_i32 s16, s16, s28
	v_lshl_add_u64 v[80:81], s[16:17], 3, v[10:11]
	flat_load_dwordx4 v[60:63], v[80:81]
	flat_load_dwordx2 v[4:5], v[16:17]
	flat_load_dwordx2 v[6:7], v[18:19]
	flat_load_dwordx4 v[64:67], v[26:27] offset:16
	flat_load_dwordx4 v[68:71], v[28:29] offset:16
	;; [unrolled: 1-line block ×4, first 2 shown]
	flat_load_dwordx2 v[8:9], v[20:21]
	s_waitcnt vmcnt(0) lgkmcnt(0)
	v_fma_f64 v[30:31], v[2:3], v[32:33], 0
	v_fma_f64 v[32:33], v[2:3], v[52:53], 0
	;; [unrolled: 1-line block ×4, first 2 shown]
	v_fmac_f64_e32 v[30:31], v[4:5], v[34:35]
	v_fmac_f64_e32 v[32:33], v[4:5], v[54:55]
	;; [unrolled: 1-line block ×12, first 2 shown]
	s_andn2_saveexec_b64 s[50:51], s[14:15]
	s_cbranch_execz .LBB261_15
.LBB261_41:                             ;   in Loop: Header=BB261_13 Depth=1
	s_waitcnt lgkmcnt(0)
	v_mov_b64_e32 v[26:27], 0
	v_mov_b64_e32 v[28:29], v[26:27]
	;; [unrolled: 1-line block ×4, first 2 shown]
	s_and_saveexec_b64 s[52:53], s[10:11]
	s_cbranch_execz .LBB261_48
; %bb.42:                               ;   in Loop: Header=BB261_13 Depth=1
	v_cndmask_b32_e64 v23, 0, 1, s[38:39]
	v_cmp_ne_u32_e64 s[14:15], 1, v23
	s_andn2_b64 vcc, exec, s[38:39]
	s_cbranch_vccnz .LBB261_45
; %bb.43:                               ;   in Loop: Header=BB261_13 Depth=1
	s_mov_b64 s[54:55], 0
	v_mov_b64_e32 v[26:27], v[14:15]
.LBB261_44:                             ;   Parent Loop BB261_13 Depth=1
                                        ; =>  This Inner Loop Header: Depth=2
	flat_load_dwordx2 v[28:29], v[26:27]
	s_cmp_eq_u32 s54, 3
	s_cselect_b64 vcc, -1, 0
	s_cmp_eq_u32 s54, 2
	s_cselect_b64 s[16:17], -1, 0
	s_cmp_eq_u32 s54, 1
	s_cselect_b64 s[18:19], -1, 0
	;; [unrolled: 2-line block ×3, first 2 shown]
	s_add_u32 s54, s54, 1
	s_addc_u32 s55, s55, 0
	v_lshl_add_u64 v[26:27], v[26:27], 0, s[40:41]
	s_cmp_eq_u32 s27, s54
	s_waitcnt vmcnt(0) lgkmcnt(0)
	v_cndmask_b32_e32 v9, v9, v29, vcc
	v_cndmask_b32_e32 v8, v8, v28, vcc
	v_cndmask_b32_e64 v7, v7, v29, s[16:17]
	v_cndmask_b32_e64 v6, v6, v28, s[16:17]
	;; [unrolled: 1-line block ×6, first 2 shown]
	s_cbranch_scc0 .LBB261_44
.LBB261_45:                             ;   in Loop: Header=BB261_13 Depth=1
	v_mov_b64_e32 v[26:27], 0
	s_and_b64 vcc, exec, s[14:15]
	v_mov_b64_e32 v[28:29], v[26:27]
	v_mov_b64_e32 v[32:33], v[26:27]
	;; [unrolled: 1-line block ×3, first 2 shown]
	s_cbranch_vccnz .LBB261_48
; %bb.46:                               ;   in Loop: Header=BB261_13 Depth=1
	v_mov_b64_e32 v[30:31], 0
	s_mov_b64 s[16:17], 0
	v_mov_b64_e32 v[34:35], v[24:25]
	v_mov_b64_e32 v[32:33], v[30:31]
	;; [unrolled: 1-line block ×4, first 2 shown]
.LBB261_47:                             ;   Parent Loop BB261_13 Depth=1
                                        ; =>  This Inner Loop Header: Depth=2
	v_lshl_add_u64 v[54:55], v[34:35], 0, s[48:49]
	v_lshl_add_u64 v[56:57], v[34:35], 0, s[46:47]
	;; [unrolled: 1-line block ×3, first 2 shown]
	flat_load_dwordx2 v[52:53], v[34:35]
	s_nop 0
	flat_load_dwordx2 v[54:55], v[54:55]
	s_nop 0
	;; [unrolled: 2-line block ×3, first 2 shown]
	flat_load_dwordx2 v[58:59], v[58:59]
	s_cmp_eq_u32 s16, 1
	s_cselect_b64 vcc, -1, 0
	s_cmp_eq_u32 s16, 2
	v_cndmask_b32_e32 v23, v3, v5, vcc
	s_cselect_b64 s[14:15], -1, 0
	s_cmp_eq_u32 s16, 3
	v_cndmask_b32_e64 v23, v23, v7, s[14:15]
	v_cndmask_b32_e32 v51, v2, v4, vcc
	s_cselect_b64 vcc, -1, 0
	v_cndmask_b32_e32 v61, v23, v9, vcc
	v_cndmask_b32_e64 v23, v51, v6, s[14:15]
	s_add_u32 s16, s16, 1
	v_cndmask_b32_e32 v60, v23, v8, vcc
	s_addc_u32 s17, s17, 0
	v_lshl_add_u64 v[34:35], v[34:35], 0, 8
	s_cmp_lg_u32 s27, s16
	s_waitcnt vmcnt(0) lgkmcnt(0)
	v_fmac_f64_e32 v[32:33], v[60:61], v[54:55]
	v_fmac_f64_e32 v[30:31], v[60:61], v[52:53]
	;; [unrolled: 1-line block ×4, first 2 shown]
	s_cbranch_scc1 .LBB261_47
.LBB261_48:                             ;   in Loop: Header=BB261_13 Depth=1
	s_or_b64 exec, exec, s[52:53]
	s_or_b64 exec, exec, s[50:51]
	s_and_saveexec_b64 s[14:15], s[0:1]
	s_cbranch_execnz .LBB261_16
	s_branch .LBB261_17
.LBB261_49:                             ;   in Loop: Header=BB261_13 Depth=1
	ds_read_b64 v[30:31], v49
	s_or_b64 exec, exec, s[14:15]
	s_and_saveexec_b64 s[14:15], s[0:1]
	s_cbranch_execz .LBB261_21
.LBB261_50:                             ;   in Loop: Header=BB261_13 Depth=1
	s_waitcnt lgkmcnt(0)
	ds_bpermute_b32 v34, v47, v30
	ds_bpermute_b32 v35, v47, v31
	s_waitcnt lgkmcnt(0)
	v_add_f64 v[30:31], v[30:31], v[34:35]
	ds_bpermute_b32 v34, v48, v30
	ds_bpermute_b32 v35, v48, v31
	s_waitcnt lgkmcnt(0)
	v_add_f64 v[30:31], v[30:31], v[34:35]
	s_or_b64 exec, exec, s[14:15]
	s_and_saveexec_b64 s[14:15], s[0:1]
	s_cbranch_execnz .LBB261_22
	s_branch .LBB261_23
.LBB261_51:                             ;   in Loop: Header=BB261_13 Depth=1
	ds_read_b64 v[32:33], v49
	s_or_b64 exec, exec, s[14:15]
	s_and_saveexec_b64 s[14:15], s[0:1]
	s_cbranch_execz .LBB261_27
.LBB261_52:                             ;   in Loop: Header=BB261_13 Depth=1
	s_waitcnt lgkmcnt(0)
	ds_bpermute_b32 v34, v47, v32
	ds_bpermute_b32 v35, v47, v33
	s_waitcnt lgkmcnt(0)
	v_add_f64 v[32:33], v[32:33], v[34:35]
	ds_bpermute_b32 v34, v48, v32
	ds_bpermute_b32 v35, v48, v33
	s_waitcnt lgkmcnt(0)
	v_add_f64 v[32:33], v[32:33], v[34:35]
	s_or_b64 exec, exec, s[14:15]
	s_and_saveexec_b64 s[14:15], s[0:1]
	s_cbranch_execnz .LBB261_28
	s_branch .LBB261_29
.LBB261_53:                             ;   in Loop: Header=BB261_13 Depth=1
	ds_read_b64 v[28:29], v49
	s_or_b64 exec, exec, s[14:15]
	s_and_saveexec_b64 s[14:15], s[0:1]
	s_cbranch_execz .LBB261_33
.LBB261_54:                             ;   in Loop: Header=BB261_13 Depth=1
	s_waitcnt lgkmcnt(0)
	ds_bpermute_b32 v34, v47, v28
	ds_bpermute_b32 v35, v47, v29
	s_waitcnt lgkmcnt(0)
	v_add_f64 v[28:29], v[28:29], v[34:35]
	ds_bpermute_b32 v34, v48, v28
	ds_bpermute_b32 v35, v48, v29
	s_waitcnt lgkmcnt(0)
	v_add_f64 v[28:29], v[28:29], v[34:35]
	s_or_b64 exec, exec, s[14:15]
	s_and_saveexec_b64 s[14:15], s[0:1]
	s_cbranch_execnz .LBB261_34
	s_branch .LBB261_35
.LBB261_55:                             ;   in Loop: Header=BB261_13 Depth=1
	ds_read_b64 v[26:27], v49
	s_or_b64 exec, exec, s[14:15]
	s_and_saveexec_b64 s[14:15], s[0:1]
	s_cbranch_execz .LBB261_39
.LBB261_56:                             ;   in Loop: Header=BB261_13 Depth=1
	s_waitcnt lgkmcnt(0)
	ds_bpermute_b32 v34, v47, v26
	ds_bpermute_b32 v35, v47, v27
	s_waitcnt lgkmcnt(0)
	v_add_f64 v[26:27], v[26:27], v[34:35]
	ds_bpermute_b32 v34, v48, v26
	ds_bpermute_b32 v35, v48, v27
	s_waitcnt lgkmcnt(0)
	v_add_f64 v[26:27], v[26:27], v[34:35]
	s_or_b64 exec, exec, s[14:15]
	s_and_saveexec_b64 s[14:15], s[6:7]
	s_cbranch_execz .LBB261_12
.LBB261_57:                             ;   in Loop: Header=BB261_13 Depth=1
	s_mul_hi_u32 s17, s3, s26
	s_mul_i32 s16, s3, s26
	s_lshl_b64 s[16:17], s[16:17], 3
	s_add_u32 s16, s58, s16
	v_mul_f64 v[30:31], s[22:23], v[30:31]
	s_addc_u32 s17, s59, s17
	global_store_dwordx2 v22, v[30:31], s[16:17]
	s_or_b32 s16, s3, 1
	s_mul_hi_u32 s17, s16, s26
	s_mul_i32 s16, s16, s26
	s_lshl_b64 s[16:17], s[16:17], 3
	s_add_u32 s16, s58, s16
	v_mul_f64 v[30:31], s[22:23], v[32:33]
	s_addc_u32 s17, s59, s17
	global_store_dwordx2 v22, v[30:31], s[16:17]
	s_or_b32 s16, s3, 2
	;; [unrolled: 8-line block ×3, first 2 shown]
	s_mul_hi_u32 s17, s16, s26
	s_mul_i32 s16, s16, s26
	s_lshl_b64 s[16:17], s[16:17], 3
	s_add_u32 s16, s58, s16
	s_waitcnt lgkmcnt(0)
	v_mul_f64 v[26:27], s[22:23], v[26:27]
	s_addc_u32 s17, s59, s17
	global_store_dwordx2 v22, v[26:27], s[16:17]
	s_branch .LBB261_12
.LBB261_58:
	s_mov_b32 s3, 0
                                        ; implicit-def: $vgpr2_vgpr3_vgpr4_vgpr5_vgpr6_vgpr7_vgpr8_vgpr9
.LBB261_59:
	s_cmp_ge_i32 s3, s25
	s_cbranch_scc1 .LBB261_83
; %bb.60:
	v_mbcnt_hi_u32_b32 v14, -1, v40
	v_and_b32_e32 v15, 63, v14
	v_cmp_gt_u32_e32 vcc, 32, v15
	s_mov_b32 s39, 0
	s_cmp_gt_i32 s27, 0
	v_cndmask_b32_e64 v16, 0, 1, vcc
	v_lshlrev_b32_e32 v16, 5, v16
	v_cmp_gt_u32_e32 vcc, 48, v15
	s_waitcnt lgkmcnt(0)
	v_add_lshl_u32 v27, v16, v14, 2
	s_mov_b32 s38, s2
	v_cndmask_b32_e64 v16, 0, 1, vcc
	v_lshlrev_b32_e32 v16, 4, v16
	v_cmp_gt_u32_e32 vcc, 56, v15
	v_add_lshl_u32 v28, v16, v14, 2
	s_cselect_b64 s[40:41], -1, 0
	v_cndmask_b32_e64 v16, 0, 1, vcc
	v_lshlrev_b32_e32 v16, 3, v16
	v_cmp_gt_u32_e32 vcc, 60, v15
	v_add_lshl_u32 v29, v16, v14, 2
	s_lshl_b64 s[14:15], s[38:39], 3
	v_cndmask_b32_e64 v16, 0, 1, vcc
	v_lshlrev_b32_e32 v16, 2, v16
	v_cmp_gt_u32_e32 vcc, 62, v15
	v_add_lshl_u32 v30, v16, v14, 2
	s_add_u32 s2, s33, s14
	v_cndmask_b32_e64 v16, 0, 1, vcc
	v_lshlrev_b32_e32 v16, 1, v16
	v_cmp_ne_u32_e32 vcc, 63, v15
	v_add_lshl_u32 v31, v16, v14, 2
	v_cmp_ge_i32_e64 s[0:1], s24, v41
	v_addc_co_u32_e32 v14, vcc, 0, v14, vcc
	v_cmp_ge_i32_e64 s[4:5], s24, v42
	v_cmp_gt_u32_e64 s[6:7], 64, v0
	v_lshlrev_b32_e32 v26, 3, v1
	v_lshlrev_b32_e32 v32, 2, v14
	v_cmp_eq_u32_e64 s[8:9], 0, v1
	v_cmp_gt_u32_e64 s[10:11], 4, v0
	v_cmp_eq_u32_e64 s[12:13], 0, v0
	s_addc_u32 s24, s56, s15
	v_mad_i64_i32 v[0:1], s[14:15], s36, v12, 0
	v_mad_i64_i32 v[14:15], s[14:15], s36, v38, 0
	;; [unrolled: 1-line block ×4, first 2 shown]
	s_mul_i32 s14, s29, s3
	s_mul_hi_u32 s15, s28, s3
	s_add_i32 s15, s15, s14
	s_mul_i32 s14, s28, s3
	v_lshl_add_u64 v[0:1], v[0:1], 3, s[34:35]
	v_lshl_add_u64 v[14:15], v[14:15], 3, s[34:35]
	;; [unrolled: 1-line block ×4, first 2 shown]
	s_lshl_b64 s[34:35], s[36:37], 3
	s_lshl_b64 s[14:15], s[14:15], 3
	s_add_u32 s14, s30, s14
	s_addc_u32 s15, s31, s15
	v_and_b32_e32 v33, 24, v39
	v_lshl_add_u64 v[12:13], v[12:13], 3, s[14:15]
	s_lshl_b64 s[30:31], s[28:29], 3
	v_mov_b32_e32 v20, 0
	s_branch .LBB261_62
.LBB261_61:                             ;   in Loop: Header=BB261_62 Depth=1
	s_or_b64 exec, exec, s[14:15]
	s_add_i32 s3, s3, 1
	s_cmp_ge_i32 s3, s25
	v_lshl_add_u64 v[12:13], v[12:13], 0, s[30:31]
	s_cbranch_scc1 .LBB261_83
.LBB261_62:                             ; =>This Loop Header: Depth=1
                                        ;     Child Loop BB261_75 Depth 2
                                        ;     Child Loop BB261_78 Depth 2
	s_waitcnt lgkmcnt(0)
	v_mov_b32_e32 v22, s39
	v_mov_b32_e32 v23, s39
	s_and_saveexec_b64 s[14:15], s[0:1]
	s_xor_b64 s[14:15], exec, s[14:15]
	s_cbranch_execnz .LBB261_71
; %bb.63:                               ;   in Loop: Header=BB261_62 Depth=1
	s_andn2_saveexec_b64 s[36:37], s[14:15]
	s_cbranch_execnz .LBB261_72
.LBB261_64:                             ;   in Loop: Header=BB261_62 Depth=1
	s_or_b64 exec, exec, s[36:37]
	s_and_saveexec_b64 s[14:15], s[6:7]
	s_cbranch_execz .LBB261_66
.LBB261_65:                             ;   in Loop: Header=BB261_62 Depth=1
	v_mov_b32_e32 v21, v20
	ds_write_b64 v26, v[20:21]
.LBB261_66:                             ;   in Loop: Header=BB261_62 Depth=1
	s_or_b64 exec, exec, s[14:15]
	ds_bpermute_b32 v24, v27, v22
	ds_bpermute_b32 v25, v27, v23
	s_waitcnt lgkmcnt(0)
	s_barrier
	v_add_f64 v[22:23], v[22:23], v[24:25]
	ds_bpermute_b32 v24, v28, v22
	ds_bpermute_b32 v25, v28, v23
	s_waitcnt lgkmcnt(0)
	v_add_f64 v[22:23], v[22:23], v[24:25]
	ds_bpermute_b32 v24, v29, v22
	ds_bpermute_b32 v25, v29, v23
	s_waitcnt lgkmcnt(0)
	;; [unrolled: 4-line block ×4, first 2 shown]
	v_add_f64 v[22:23], v[22:23], v[24:25]
	ds_bpermute_b32 v24, v32, v22
	ds_bpermute_b32 v25, v32, v23
	s_and_saveexec_b64 s[14:15], s[8:9]
	s_cbranch_execz .LBB261_68
; %bb.67:                               ;   in Loop: Header=BB261_62 Depth=1
	s_waitcnt lgkmcnt(0)
	v_add_f64 v[22:23], v[22:23], v[24:25]
	ds_write_b64 v33, v[22:23]
.LBB261_68:                             ;   in Loop: Header=BB261_62 Depth=1
	s_or_b64 exec, exec, s[14:15]
	v_mov_b64_e32 v[22:23], 0
	s_waitcnt lgkmcnt(0)
	s_barrier
	s_and_saveexec_b64 s[14:15], s[10:11]
	s_cbranch_execnz .LBB261_80
; %bb.69:                               ;   in Loop: Header=BB261_62 Depth=1
	s_or_b64 exec, exec, s[14:15]
	s_and_saveexec_b64 s[14:15], s[6:7]
	s_cbranch_execnz .LBB261_81
.LBB261_70:                             ;   in Loop: Header=BB261_62 Depth=1
	s_or_b64 exec, exec, s[14:15]
	s_and_saveexec_b64 s[14:15], s[12:13]
	s_cbranch_execz .LBB261_61
	s_branch .LBB261_82
.LBB261_71:                             ;   in Loop: Header=BB261_62 Depth=1
	flat_load_dwordx2 v[2:3], v[0:1]
	s_mul_i32 s16, s3, s29
	s_mul_hi_u32 s17, s3, s28
	s_add_i32 s17, s17, s16
	s_mul_i32 s16, s3, s28
	v_lshl_add_u64 v[38:39], s[16:17], 3, v[10:11]
	flat_load_dwordx4 v[22:25], v[38:39]
	flat_load_dwordx2 v[4:5], v[14:15]
	flat_load_dwordx2 v[6:7], v[16:17]
	flat_load_dwordx4 v[34:37], v[38:39] offset:16
	flat_load_dwordx2 v[8:9], v[18:19]
	s_waitcnt vmcnt(0) lgkmcnt(0)
	v_fma_f64 v[22:23], v[2:3], v[22:23], 0
	v_fmac_f64_e32 v[22:23], v[4:5], v[24:25]
	v_fmac_f64_e32 v[22:23], v[6:7], v[34:35]
	;; [unrolled: 1-line block ×3, first 2 shown]
	s_andn2_saveexec_b64 s[36:37], s[14:15]
	s_cbranch_execz .LBB261_64
.LBB261_72:                             ;   in Loop: Header=BB261_62 Depth=1
	s_and_saveexec_b64 s[42:43], s[4:5]
	s_cbranch_execz .LBB261_79
; %bb.73:                               ;   in Loop: Header=BB261_62 Depth=1
	v_cndmask_b32_e64 v21, 0, 1, s[40:41]
	v_cmp_ne_u32_e64 s[14:15], 1, v21
	s_andn2_b64 vcc, exec, s[40:41]
	s_cbranch_vccnz .LBB261_76
; %bb.74:                               ;   in Loop: Header=BB261_62 Depth=1
	s_mov_b64 s[44:45], 0
	v_mov_b64_e32 v[24:25], v[0:1]
.LBB261_75:                             ;   Parent Loop BB261_62 Depth=1
                                        ; =>  This Inner Loop Header: Depth=2
	flat_load_dwordx2 v[34:35], v[24:25]
	s_cmp_eq_u32 s44, 3
	s_cselect_b64 vcc, -1, 0
	s_cmp_eq_u32 s44, 2
	s_cselect_b64 s[16:17], -1, 0
	s_cmp_eq_u32 s44, 1
	s_cselect_b64 s[18:19], -1, 0
	;; [unrolled: 2-line block ×3, first 2 shown]
	s_add_u32 s44, s44, 1
	s_addc_u32 s45, s45, 0
	v_lshl_add_u64 v[24:25], v[24:25], 0, s[34:35]
	s_cmp_eq_u32 s27, s44
	s_waitcnt vmcnt(0) lgkmcnt(0)
	v_cndmask_b32_e32 v9, v9, v35, vcc
	v_cndmask_b32_e32 v8, v8, v34, vcc
	v_cndmask_b32_e64 v7, v7, v35, s[16:17]
	v_cndmask_b32_e64 v6, v6, v34, s[16:17]
	;; [unrolled: 1-line block ×6, first 2 shown]
	s_cbranch_scc0 .LBB261_75
.LBB261_76:                             ;   in Loop: Header=BB261_62 Depth=1
	s_and_b64 vcc, exec, s[14:15]
	s_cbranch_vccnz .LBB261_79
; %bb.77:                               ;   in Loop: Header=BB261_62 Depth=1
	s_mov_b64 s[16:17], 0
	v_mov_b64_e32 v[24:25], v[12:13]
.LBB261_78:                             ;   Parent Loop BB261_62 Depth=1
                                        ; =>  This Inner Loop Header: Depth=2
	flat_load_dwordx2 v[34:35], v[24:25]
	s_cmp_eq_u32 s16, 1
	s_cselect_b64 vcc, -1, 0
	s_cmp_eq_u32 s16, 2
	v_cndmask_b32_e32 v21, v3, v5, vcc
	s_cselect_b64 s[14:15], -1, 0
	s_cmp_eq_u32 s16, 3
	v_cndmask_b32_e64 v21, v21, v7, s[14:15]
	v_cndmask_b32_e32 v36, v2, v4, vcc
	s_cselect_b64 vcc, -1, 0
	v_cndmask_b32_e32 v37, v21, v9, vcc
	v_cndmask_b32_e64 v21, v36, v6, s[14:15]
	s_add_u32 s16, s16, 1
	v_cndmask_b32_e32 v36, v21, v8, vcc
	s_addc_u32 s17, s17, 0
	v_lshl_add_u64 v[24:25], v[24:25], 0, 8
	s_cmp_lg_u32 s27, s16
	s_waitcnt vmcnt(0) lgkmcnt(0)
	v_fmac_f64_e32 v[22:23], v[36:37], v[34:35]
	s_cbranch_scc1 .LBB261_78
.LBB261_79:                             ;   in Loop: Header=BB261_62 Depth=1
	s_or_b64 exec, exec, s[42:43]
	s_or_b64 exec, exec, s[36:37]
	s_and_saveexec_b64 s[14:15], s[6:7]
	s_cbranch_execnz .LBB261_65
	s_branch .LBB261_66
.LBB261_80:                             ;   in Loop: Header=BB261_62 Depth=1
	ds_read_b64 v[22:23], v26
	s_or_b64 exec, exec, s[14:15]
	s_and_saveexec_b64 s[14:15], s[6:7]
	s_cbranch_execz .LBB261_70
.LBB261_81:                             ;   in Loop: Header=BB261_62 Depth=1
	s_waitcnt lgkmcnt(0)
	ds_bpermute_b32 v24, v31, v22
	ds_bpermute_b32 v25, v31, v23
	s_waitcnt lgkmcnt(0)
	v_add_f64 v[22:23], v[22:23], v[24:25]
	ds_bpermute_b32 v24, v32, v22
	ds_bpermute_b32 v25, v32, v23
	s_waitcnt lgkmcnt(0)
	v_add_f64 v[22:23], v[22:23], v[24:25]
	s_or_b64 exec, exec, s[14:15]
	s_and_saveexec_b64 s[14:15], s[12:13]
	s_cbranch_execz .LBB261_61
.LBB261_82:                             ;   in Loop: Header=BB261_62 Depth=1
	s_mul_hi_u32 s17, s3, s26
	s_mul_i32 s16, s3, s26
	s_lshl_b64 s[16:17], s[16:17], 3
	s_add_u32 s16, s2, s16
	s_waitcnt lgkmcnt(0)
	v_mul_f64 v[22:23], s[22:23], v[22:23]
	s_addc_u32 s17, s24, s17
	global_store_dwordx2 v20, v[22:23], s[16:17]
	s_branch .LBB261_61
.LBB261_83:
	s_endpgm
	.section	.rodata,"a",@progbits
	.p2align	6, 0x0
	.amdhsa_kernel _ZL23rocblas_gemvt_sn_kernelILb0ELi256ELi4ElPKdS1_dEviiT4_lPKT3_lilS5_lilPT5_i
		.amdhsa_group_segment_fixed_size 512
		.amdhsa_private_segment_fixed_size 0
		.amdhsa_kernarg_size 360
		.amdhsa_user_sgpr_count 2
		.amdhsa_user_sgpr_dispatch_ptr 0
		.amdhsa_user_sgpr_queue_ptr 0
		.amdhsa_user_sgpr_kernarg_segment_ptr 1
		.amdhsa_user_sgpr_dispatch_id 0
		.amdhsa_user_sgpr_kernarg_preload_length 0
		.amdhsa_user_sgpr_kernarg_preload_offset 0
		.amdhsa_user_sgpr_private_segment_size 0
		.amdhsa_uses_dynamic_stack 0
		.amdhsa_enable_private_segment 0
		.amdhsa_system_sgpr_workgroup_id_x 1
		.amdhsa_system_sgpr_workgroup_id_y 0
		.amdhsa_system_sgpr_workgroup_id_z 1
		.amdhsa_system_sgpr_workgroup_info 0
		.amdhsa_system_vgpr_workitem_id 0
		.amdhsa_next_free_vgpr 82
		.amdhsa_next_free_sgpr 60
		.amdhsa_accum_offset 84
		.amdhsa_reserve_vcc 1
		.amdhsa_float_round_mode_32 0
		.amdhsa_float_round_mode_16_64 0
		.amdhsa_float_denorm_mode_32 3
		.amdhsa_float_denorm_mode_16_64 3
		.amdhsa_dx10_clamp 1
		.amdhsa_ieee_mode 1
		.amdhsa_fp16_overflow 0
		.amdhsa_tg_split 0
		.amdhsa_exception_fp_ieee_invalid_op 0
		.amdhsa_exception_fp_denorm_src 0
		.amdhsa_exception_fp_ieee_div_zero 0
		.amdhsa_exception_fp_ieee_overflow 0
		.amdhsa_exception_fp_ieee_underflow 0
		.amdhsa_exception_fp_ieee_inexact 0
		.amdhsa_exception_int_div_zero 0
	.end_amdhsa_kernel
	.section	.text._ZL23rocblas_gemvt_sn_kernelILb0ELi256ELi4ElPKdS1_dEviiT4_lPKT3_lilS5_lilPT5_i,"axG",@progbits,_ZL23rocblas_gemvt_sn_kernelILb0ELi256ELi4ElPKdS1_dEviiT4_lPKT3_lilS5_lilPT5_i,comdat
.Lfunc_end261:
	.size	_ZL23rocblas_gemvt_sn_kernelILb0ELi256ELi4ElPKdS1_dEviiT4_lPKT3_lilS5_lilPT5_i, .Lfunc_end261-_ZL23rocblas_gemvt_sn_kernelILb0ELi256ELi4ElPKdS1_dEviiT4_lPKT3_lilS5_lilPT5_i
                                        ; -- End function
	.section	.AMDGPU.csdata,"",@progbits
; Kernel info:
; codeLenInByte = 4384
; NumSgprs: 66
; NumVgprs: 82
; NumAgprs: 0
; TotalNumVgprs: 82
; ScratchSize: 0
; MemoryBound: 1
; FloatMode: 240
; IeeeMode: 1
; LDSByteSize: 512 bytes/workgroup (compile time only)
; SGPRBlocks: 8
; VGPRBlocks: 10
; NumSGPRsForWavesPerEU: 66
; NumVGPRsForWavesPerEU: 82
; AccumOffset: 84
; Occupancy: 5
; WaveLimiterHint : 0
; COMPUTE_PGM_RSRC2:SCRATCH_EN: 0
; COMPUTE_PGM_RSRC2:USER_SGPR: 2
; COMPUTE_PGM_RSRC2:TRAP_HANDLER: 0
; COMPUTE_PGM_RSRC2:TGID_X_EN: 1
; COMPUTE_PGM_RSRC2:TGID_Y_EN: 0
; COMPUTE_PGM_RSRC2:TGID_Z_EN: 1
; COMPUTE_PGM_RSRC2:TIDIG_COMP_CNT: 0
; COMPUTE_PGM_RSRC3_GFX90A:ACCUM_OFFSET: 20
; COMPUTE_PGM_RSRC3_GFX90A:TG_SPLIT: 0
	.section	.text._ZL23rocblas_gemvt_sn_reduceILi256ELi8EdPKdKPdEviT2_lPT3_lilPT1_i,"axG",@progbits,_ZL23rocblas_gemvt_sn_reduceILi256ELi8EdPKdKPdEviT2_lPT3_lilPT1_i,comdat
	.globl	_ZL23rocblas_gemvt_sn_reduceILi256ELi8EdPKdKPdEviT2_lPT3_lilPT1_i ; -- Begin function _ZL23rocblas_gemvt_sn_reduceILi256ELi8EdPKdKPdEviT2_lPT3_lilPT1_i
	.p2align	8
	.type	_ZL23rocblas_gemvt_sn_reduceILi256ELi8EdPKdKPdEviT2_lPT3_lilPT1_i,@function
_ZL23rocblas_gemvt_sn_reduceILi256ELi8EdPKdKPdEviT2_lPT3_lilPT1_i: ; @_ZL23rocblas_gemvt_sn_reduceILi256ELi8EdPKdKPdEviT2_lPT3_lilPT1_i
; %bb.0:
	s_load_dword s2, s[0:1], 0x0
	s_load_dwordx8 s[8:15], s[0:1], 0x8
	s_mov_b32 s5, 0
	s_lshl_b64 s[6:7], s[4:5], 3
	v_lshlrev_b32_e32 v1, 3, v0
	s_waitcnt lgkmcnt(0)
	s_ashr_i32 s16, s2, 31
	s_add_u32 s6, s12, s6
	s_mul_i32 s11, s4, s11
	s_mul_hi_u32 s12, s4, s10
	s_addc_u32 s7, s13, s7
	s_add_i32 s11, s12, s11
	s_mul_i32 s10, s4, s10
	s_lshl_b64 s[12:13], s[10:11], 3
	s_load_dwordx2 s[6:7], s[6:7], 0x0
	s_add_u32 s8, s8, s12
	s_load_dwordx2 s[10:11], s[0:1], 0x38
	s_load_dword s12, s[0:1], 0x4c
	s_addc_u32 s9, s9, s13
	s_add_u32 s18, s0, 0x48
	s_addc_u32 s19, s1, 0
	s_load_dwordx2 s[8:9], s[8:9], 0x0
	s_waitcnt lgkmcnt(0)
	s_mul_i32 s4, s12, s4
	s_add_i32 s4, s4, s3
	s_mul_i32 s12, s4, s16
	s_mul_hi_u32 s13, s4, s2
	s_add_i32 s13, s13, s12
	s_mul_i32 s12, s4, s2
	s_lshr_b32 s4, s16, 29
	s_add_i32 s4, s2, s4
	s_and_b32 s20, s4, -8
	v_cmp_gt_i32_e32 vcc, s20, v1
	v_mov_b64_e32 v[2:3], 0
	s_and_saveexec_b64 s[16:17], vcc
	s_cbranch_execz .LBB262_4
; %bb.1:
	s_load_dword s4, s[18:19], 0xc
	s_lshl_b64 s[18:19], s[12:13], 3
	v_lshlrev_b32_e32 v2, 6, v0
	v_mov_b32_e32 v3, 0
	s_waitcnt lgkmcnt(0)
	s_and_b32 s4, s4, 0xffff
	s_lshl_b32 s21, s4, 3
	s_add_u32 s18, s10, s18
	s_addc_u32 s19, s11, s19
	v_lshl_add_u64 v[2:3], s[18:19], 0, v[2:3]
	s_lshl_b32 s4, s4, 6
	v_lshl_add_u64 v[4:5], v[2:3], 0, 56
	s_mov_b64 s[18:19], 0
	v_mov_b64_e32 v[2:3], 0
.LBB262_2:                              ; =>This Inner Loop Header: Depth=1
	global_load_dwordx4 v[6:9], v[4:5], off offset:-56
	global_load_dwordx4 v[10:13], v[4:5], off offset:-40
	;; [unrolled: 1-line block ×4, first 2 shown]
	v_add_u32_e32 v1, s21, v1
	v_cmp_le_i32_e32 vcc, s20, v1
	v_lshl_add_u64 v[4:5], v[4:5], 0, s[4:5]
	s_or_b64 s[18:19], vcc, s[18:19]
	s_waitcnt vmcnt(3)
	v_add_f64 v[2:3], v[2:3], v[6:7]
	v_add_f64 v[2:3], v[2:3], v[8:9]
	s_waitcnt vmcnt(2)
	v_add_f64 v[2:3], v[2:3], v[10:11]
	v_add_f64 v[2:3], v[2:3], v[12:13]
	;; [unrolled: 3-line block ×4, first 2 shown]
	s_andn2_b64 exec, exec, s[18:19]
	s_cbranch_execnz .LBB262_2
; %bb.3:
	s_or_b64 exec, exec, s[18:19]
.LBB262_4:
	s_or_b64 exec, exec, s[16:17]
	s_sub_i32 s4, s2, s20
	v_cmp_gt_u32_e32 vcc, s4, v0
	s_and_saveexec_b64 s[4:5], vcc
	s_cbranch_execz .LBB262_6
; %bb.5:
	s_lshl_b64 s[12:13], s[12:13], 3
	s_add_u32 s10, s10, s12
	s_addc_u32 s11, s11, s13
	v_xad_u32 v4, v0, -1, s2
	v_mov_b32_e32 v5, 0
	v_lshl_add_u64 v[4:5], v[4:5], 3, s[10:11]
	global_load_dwordx2 v[4:5], v[4:5], off
	s_waitcnt vmcnt(0)
	v_add_f64 v[2:3], v[2:3], v[4:5]
.LBB262_6:
	s_or_b64 exec, exec, s[4:5]
	v_and_b32_e32 v6, 63, v0
	v_cmp_gt_u32_e32 vcc, 64, v0
	v_lshlrev_b32_e32 v1, 3, v6
	s_and_saveexec_b64 s[4:5], vcc
	s_cbranch_execz .LBB262_8
; %bb.7:
	v_mov_b32_e32 v4, 0
	v_mov_b32_e32 v5, v4
	ds_write_b64 v1, v[4:5]
.LBB262_8:
	s_or_b64 exec, exec, s[4:5]
	v_mbcnt_lo_u32_b32 v4, -1, 0
	v_mbcnt_hi_u32_b32 v8, -1, v4
	v_and_b32_e32 v9, 63, v8
	v_cmp_gt_u32_e64 s[4:5], 32, v9
	s_waitcnt lgkmcnt(0)
	s_barrier
	v_cndmask_b32_e64 v4, 0, 1, s[4:5]
	v_lshlrev_b32_e32 v4, 5, v4
	v_add_lshl_u32 v5, v4, v8, 2
	ds_bpermute_b32 v4, v5, v2
	ds_bpermute_b32 v5, v5, v3
	v_cmp_gt_u32_e64 s[4:5], 48, v9
	s_waitcnt lgkmcnt(0)
	v_add_f64 v[2:3], v[2:3], v[4:5]
	v_cndmask_b32_e64 v7, 0, 1, s[4:5]
	v_lshlrev_b32_e32 v4, 4, v7
	v_add_lshl_u32 v5, v4, v8, 2
	ds_bpermute_b32 v4, v5, v2
	ds_bpermute_b32 v5, v5, v3
	v_cmp_gt_u32_e64 s[4:5], 56, v9
	s_waitcnt lgkmcnt(0)
	v_add_f64 v[2:3], v[2:3], v[4:5]
	;; [unrolled: 8-line block ×4, first 2 shown]
	v_cndmask_b32_e64 v4, 0, 1, s[4:5]
	v_lshlrev_b32_e32 v4, 1, v4
	v_add_lshl_u32 v7, v4, v8, 2
	ds_bpermute_b32 v4, v7, v2
	ds_bpermute_b32 v5, v7, v3
	v_cmp_ne_u32_e64 s[4:5], 63, v9
	s_waitcnt lgkmcnt(0)
	v_add_f64 v[2:3], v[2:3], v[4:5]
	v_addc_co_u32_e64 v4, s[4:5], 0, v8, s[4:5]
	v_lshlrev_b32_e32 v8, 2, v4
	ds_bpermute_b32 v4, v8, v2
	ds_bpermute_b32 v5, v8, v3
	v_cmp_eq_u32_e64 s[4:5], 0, v6
	s_and_saveexec_b64 s[10:11], s[4:5]
	s_cbranch_execz .LBB262_10
; %bb.9:
	v_lshrrev_b32_e32 v6, 3, v0
	v_and_b32_e32 v6, 24, v6
	s_waitcnt lgkmcnt(0)
	v_add_f64 v[2:3], v[2:3], v[4:5]
	ds_write_b64 v6, v[2:3]
.LBB262_10:
	s_or_b64 exec, exec, s[10:11]
	v_cmp_gt_u32_e64 s[4:5], 4, v0
	v_mov_b64_e32 v[2:3], 0
	s_waitcnt lgkmcnt(0)
	s_barrier
	s_and_saveexec_b64 s[10:11], s[4:5]
	s_cbranch_execnz .LBB262_14
; %bb.11:
	s_or_b64 exec, exec, s[10:11]
	s_and_saveexec_b64 s[4:5], vcc
	s_cbranch_execnz .LBB262_15
.LBB262_12:
	s_or_b64 exec, exec, s[4:5]
	v_cmp_eq_u32_e32 vcc, 0, v0
	s_and_saveexec_b64 s[4:5], vcc
	s_cbranch_execnz .LBB262_16
.LBB262_13:
	s_endpgm
.LBB262_14:
	ds_read_b64 v[2:3], v1
	s_or_b64 exec, exec, s[10:11]
	s_and_saveexec_b64 s[4:5], vcc
	s_cbranch_execz .LBB262_12
.LBB262_15:
	s_waitcnt lgkmcnt(0)
	ds_bpermute_b32 v4, v7, v2
	ds_bpermute_b32 v5, v7, v3
	s_waitcnt lgkmcnt(0)
	v_add_f64 v[2:3], v[2:3], v[4:5]
	ds_bpermute_b32 v4, v8, v2
	ds_bpermute_b32 v5, v8, v3
	s_waitcnt lgkmcnt(0)
	v_add_f64 v[2:3], v[2:3], v[4:5]
	s_or_b64 exec, exec, s[4:5]
	v_cmp_eq_u32_e32 vcc, 0, v0
	s_and_saveexec_b64 s[4:5], vcc
	s_cbranch_execz .LBB262_13
.LBB262_16:
	s_load_dword s5, s[0:1], 0x28
	s_lshl_b64 s[0:1], s[14:15], 3
	v_cmp_eq_f64_e64 s[10:11], s[8:9], 0
	s_waitcnt lgkmcnt(0)
	s_ashr_i32 s4, s5, 31
	s_mul_hi_u32 s12, s5, s3
	s_add_u32 s2, s6, s0
	s_mul_i32 s0, s4, s3
	s_addc_u32 s4, s7, s1
	s_add_i32 s1, s12, s0
	s_mul_i32 s0, s5, s3
	s_and_b64 vcc, exec, s[10:11]
	s_cbranch_vccnz .LBB262_18
; %bb.17:
	s_lshl_b64 s[6:7], s[0:1], 3
	s_add_u32 s6, s2, s6
	s_addc_u32 s7, s4, s7
	s_load_dwordx2 s[6:7], s[6:7], 0x0
	s_waitcnt lgkmcnt(0)
	v_mov_b64_e32 v[0:1], s[6:7]
	v_fmac_f64_e32 v[2:3], s[8:9], v[0:1]
.LBB262_18:
	s_lshl_b64 s[0:1], s[0:1], 3
	s_add_u32 s0, s2, s0
	s_addc_u32 s1, s4, s1
	v_mov_b32_e32 v0, 0
	global_store_dwordx2 v0, v[2:3], s[0:1]
	s_endpgm
	.section	.rodata,"a",@progbits
	.p2align	6, 0x0
	.amdhsa_kernel _ZL23rocblas_gemvt_sn_reduceILi256ELi8EdPKdKPdEviT2_lPT3_lilPT1_i
		.amdhsa_group_segment_fixed_size 512
		.amdhsa_private_segment_fixed_size 0
		.amdhsa_kernarg_size 328
		.amdhsa_user_sgpr_count 2
		.amdhsa_user_sgpr_dispatch_ptr 0
		.amdhsa_user_sgpr_queue_ptr 0
		.amdhsa_user_sgpr_kernarg_segment_ptr 1
		.amdhsa_user_sgpr_dispatch_id 0
		.amdhsa_user_sgpr_kernarg_preload_length 0
		.amdhsa_user_sgpr_kernarg_preload_offset 0
		.amdhsa_user_sgpr_private_segment_size 0
		.amdhsa_uses_dynamic_stack 0
		.amdhsa_enable_private_segment 0
		.amdhsa_system_sgpr_workgroup_id_x 1
		.amdhsa_system_sgpr_workgroup_id_y 1
		.amdhsa_system_sgpr_workgroup_id_z 1
		.amdhsa_system_sgpr_workgroup_info 0
		.amdhsa_system_vgpr_workitem_id 0
		.amdhsa_next_free_vgpr 22
		.amdhsa_next_free_sgpr 22
		.amdhsa_accum_offset 24
		.amdhsa_reserve_vcc 1
		.amdhsa_float_round_mode_32 0
		.amdhsa_float_round_mode_16_64 0
		.amdhsa_float_denorm_mode_32 3
		.amdhsa_float_denorm_mode_16_64 3
		.amdhsa_dx10_clamp 1
		.amdhsa_ieee_mode 1
		.amdhsa_fp16_overflow 0
		.amdhsa_tg_split 0
		.amdhsa_exception_fp_ieee_invalid_op 0
		.amdhsa_exception_fp_denorm_src 0
		.amdhsa_exception_fp_ieee_div_zero 0
		.amdhsa_exception_fp_ieee_overflow 0
		.amdhsa_exception_fp_ieee_underflow 0
		.amdhsa_exception_fp_ieee_inexact 0
		.amdhsa_exception_int_div_zero 0
	.end_amdhsa_kernel
	.section	.text._ZL23rocblas_gemvt_sn_reduceILi256ELi8EdPKdKPdEviT2_lPT3_lilPT1_i,"axG",@progbits,_ZL23rocblas_gemvt_sn_reduceILi256ELi8EdPKdKPdEviT2_lPT3_lilPT1_i,comdat
.Lfunc_end262:
	.size	_ZL23rocblas_gemvt_sn_reduceILi256ELi8EdPKdKPdEviT2_lPT3_lilPT1_i, .Lfunc_end262-_ZL23rocblas_gemvt_sn_reduceILi256ELi8EdPKdKPdEviT2_lPT3_lilPT1_i
                                        ; -- End function
	.section	.AMDGPU.csdata,"",@progbits
; Kernel info:
; codeLenInByte = 1172
; NumSgprs: 28
; NumVgprs: 22
; NumAgprs: 0
; TotalNumVgprs: 22
; ScratchSize: 0
; MemoryBound: 1
; FloatMode: 240
; IeeeMode: 1
; LDSByteSize: 512 bytes/workgroup (compile time only)
; SGPRBlocks: 3
; VGPRBlocks: 2
; NumSGPRsForWavesPerEU: 28
; NumVGPRsForWavesPerEU: 22
; AccumOffset: 24
; Occupancy: 8
; WaveLimiterHint : 1
; COMPUTE_PGM_RSRC2:SCRATCH_EN: 0
; COMPUTE_PGM_RSRC2:USER_SGPR: 2
; COMPUTE_PGM_RSRC2:TRAP_HANDLER: 0
; COMPUTE_PGM_RSRC2:TGID_X_EN: 1
; COMPUTE_PGM_RSRC2:TGID_Y_EN: 1
; COMPUTE_PGM_RSRC2:TGID_Z_EN: 1
; COMPUTE_PGM_RSRC2:TIDIG_COMP_CNT: 0
; COMPUTE_PGM_RSRC3_GFX90A:ACCUM_OFFSET: 5
; COMPUTE_PGM_RSRC3_GFX90A:TG_SPLIT: 0
	.section	.text._ZL23rocblas_gemvt_sn_kernelILb0ELi256ELi4EiPKdddEviiT4_lPKT3_lilS5_lilPT5_i,"axG",@progbits,_ZL23rocblas_gemvt_sn_kernelILb0ELi256ELi4EiPKdddEviiT4_lPKT3_lilS5_lilPT5_i,comdat
	.globl	_ZL23rocblas_gemvt_sn_kernelILb0ELi256ELi4EiPKdddEviiT4_lPKT3_lilS5_lilPT5_i ; -- Begin function _ZL23rocblas_gemvt_sn_kernelILb0ELi256ELi4EiPKdddEviiT4_lPKT3_lilS5_lilPT5_i
	.p2align	8
	.type	_ZL23rocblas_gemvt_sn_kernelILb0ELi256ELi4EiPKdddEviiT4_lPKT3_lilS5_lilPT5_i,@function
_ZL23rocblas_gemvt_sn_kernelILb0ELi256ELi4EiPKdddEviiT4_lPKT3_lilS5_lilPT5_i: ; @_ZL23rocblas_gemvt_sn_kernelILb0ELi256ELi4EiPKdddEviiT4_lPKT3_lilS5_lilPT5_i
; %bb.0:
	s_load_dwordx2 s[22:23], s[0:1], 0x8
	s_mov_b32 s8, s3
	s_mov_b64 s[12:13], 0
	s_waitcnt lgkmcnt(0)
	v_cmp_neq_f64_e64 s[10:11], s[22:23], 0
	v_cmp_eq_f64_e64 s[6:7], s[22:23], 0
	s_and_b64 vcc, exec, s[10:11]
	s_cbranch_vccnz .LBB263_2
; %bb.1:
	s_mov_b32 s9, 0
	s_mov_b64 s[4:5], 0
	s_andn2_b64 vcc, exec, s[12:13]
	s_cbranch_vccz .LBB263_3
	s_branch .LBB263_4
.LBB263_2:
                                        ; implicit-def: $sgpr4_sgpr5
.LBB263_3:
	s_load_dwordx4 s[12:15], s[0:1], 0x18
	s_mov_b32 s9, 0
	s_lshl_b64 s[4:5], s[8:9], 3
	s_waitcnt lgkmcnt(0)
	s_add_u32 s4, s12, s4
	s_addc_u32 s5, s13, s5
	s_load_dwordx2 s[4:5], s[4:5], 0x0
	s_lshl_b64 s[12:13], s[14:15], 3
	s_waitcnt lgkmcnt(0)
	s_add_u32 s4, s4, s12
	s_addc_u32 s5, s5, s13
.LBB263_4:
	s_andn2_b64 vcc, exec, s[10:11]
	s_cbranch_vccnz .LBB263_6
; %bb.5:
	s_load_dwordx4 s[12:15], s[0:1], 0x38
	s_lshl_b64 s[10:11], s[8:9], 3
	s_waitcnt lgkmcnt(0)
	s_add_u32 s10, s12, s10
	s_addc_u32 s11, s13, s11
	s_load_dwordx2 s[10:11], s[10:11], 0x0
	s_lshl_b64 s[12:13], s[14:15], 3
	s_waitcnt lgkmcnt(0)
	s_add_u32 s24, s10, s12
	s_addc_u32 s25, s11, s13
	s_branch .LBB263_7
.LBB263_6:
	s_mov_b64 s[24:25], 0
.LBB263_7:
	s_load_dwordx2 s[26:27], s[0:1], 0x0
	s_load_dwordx2 s[10:11], s[0:1], 0x58
	s_load_dword s28, s[0:1], 0x68
	s_mov_b32 s29, 0
	s_waitcnt lgkmcnt(0)
	s_ashr_i32 s12, s27, 31
	s_mul_hi_u32 s3, s8, s27
	s_mul_i32 s13, s8, s12
	s_add_i32 s3, s3, s13
	s_mul_i32 s9, s9, s27
	s_add_i32 s3, s3, s9
	s_mul_i32 s8, s8, s27
	s_mul_i32 s3, s3, s28
	s_mul_hi_u32 s9, s8, s28
	s_add_i32 s9, s9, s3
	s_mul_i32 s8, s8, s28
	s_lshl_b64 s[8:9], s[8:9], 3
	s_add_u32 s50, s10, s8
	s_addc_u32 s51, s11, s9
	s_andn2_b64 vcc, exec, s[6:7]
	s_mov_b64 s[6:7], -1
	s_cbranch_vccnz .LBB263_12
; %bb.8:
	s_cmp_gt_i32 s27, 0
	v_cmp_eq_u32_e32 vcc, 0, v0
	s_cselect_b64 s[6:7], -1, 0
	s_and_b64 s[8:9], vcc, s[6:7]
	s_and_saveexec_b64 s[6:7], s[8:9]
	s_cbranch_execz .LBB263_11
; %bb.9:
	s_mov_b32 s3, 0
	s_lshl_b64 s[8:9], s[2:3], 3
	s_add_u32 s8, s50, s8
	v_mov_b32_e32 v2, 0
	s_addc_u32 s9, s51, s9
	s_lshl_b64 s[10:11], s[28:29], 3
	v_mov_b32_e32 v3, v2
	s_mov_b32 s3, s27
.LBB263_10:                             ; =>This Inner Loop Header: Depth=1
	s_add_i32 s3, s3, -1
	global_store_dwordx2 v2, v[2:3], s[8:9]
	s_add_u32 s8, s8, s10
	s_addc_u32 s9, s9, s11
	s_cmp_eq_u32 s3, 0
	s_cbranch_scc0 .LBB263_10
.LBB263_11:
	s_or_b64 exec, exec, s[6:7]
	s_mov_b64 s[6:7], 0
.LBB263_12:
	s_andn2_b64 vcc, exec, s[6:7]
	s_cbranch_vccnz .LBB263_86
; %bb.13:
	s_load_dword s30, s[0:1], 0x28
	s_load_dword s29, s[0:1], 0x48
	s_lshl_b32 s0, s2, 10
	v_lshl_or_b32 v2, v0, 2, s0
	s_lshr_b32 s0, s12, 30
	s_add_i32 s0, s27, s0
	s_and_b32 s3, s0, -4
	s_ashr_i32 s0, s26, 31
	s_lshr_b32 s0, s0, 30
	s_add_i32 s0, s26, s0
	s_and_b32 s0, s0, -4
	v_ashrrev_i32_e32 v3, 31, v2
	s_sub_i32 s33, s26, s0
	v_lshl_add_u64 v[10:11], v[2:3], 3, s[4:5]
	s_cmp_lt_i32 s3, 1
	v_add_u32_e32 v37, 4, v2
	v_add_u32_e32 v38, s33, v2
	v_and_b32_e32 v1, 63, v0
	v_cmp_gt_u32_e64 s[0:1], 64, v0
	v_mbcnt_lo_u32_b32 v36, -1, 0
	v_cmp_gt_u32_e64 s[4:5], 4, v0
	v_lshrrev_b32_e32 v13, 3, v0
	v_cmp_eq_u32_e64 s[6:7], 0, v0
	s_waitcnt lgkmcnt(0)
	v_mul_lo_u32 v12, v2, s29
	s_cbranch_scc1 .LBB263_61
; %bb.14:
	v_mbcnt_hi_u32_b32 v3, -1, v36
	v_and_b32_e32 v4, 63, v3
	v_cmp_gt_u32_e32 vcc, 32, v4
	v_mul_lo_u32 v14, v2, s29
	v_add_u32_e32 v2, s29, v14
	v_cndmask_b32_e64 v5, 0, 1, vcc
	v_lshlrev_b32_e32 v5, 5, v5
	v_cmp_gt_u32_e32 vcc, 48, v4
	v_add_lshl_u32 v39, v5, v3, 2
	s_mov_b32 s35, 0
	v_cndmask_b32_e64 v5, 0, 1, vcc
	v_lshlrev_b32_e32 v5, 4, v5
	v_cmp_gt_u32_e32 vcc, 56, v4
	v_add_lshl_u32 v40, v5, v3, 2
	s_cmp_gt_i32 s33, 0
	v_cndmask_b32_e64 v5, 0, 1, vcc
	v_lshlrev_b32_e32 v5, 3, v5
	v_cmp_gt_u32_e32 vcc, 60, v4
	v_add_lshl_u32 v41, v5, v3, 2
	s_cselect_b64 s[36:37], -1, 0
	v_cndmask_b32_e64 v5, 0, 1, vcc
	v_lshlrev_b32_e32 v5, 2, v5
	v_cmp_gt_u32_e32 vcc, 62, v4
	v_add_lshl_u32 v42, v5, v3, 2
	v_ashrrev_i32_e32 v15, 31, v14
	v_cndmask_b32_e64 v5, 0, 1, vcc
	v_lshlrev_b32_e32 v5, 1, v5
	v_cmp_ne_u32_e32 vcc, 63, v4
	v_add_lshl_u32 v43, v5, v3, 2
	s_mov_b32 s31, s35
	v_addc_co_u32_e32 v3, vcc, 0, v3, vcc
	v_lshlrev_b32_e32 v44, 2, v3
	v_ashrrev_i32_e32 v3, 31, v2
	v_lshl_add_u64 v[18:19], v[2:3], 3, s[24:25]
	v_add_u32_e32 v2, s29, v2
	v_ashrrev_i32_e32 v3, 31, v2
	v_lshl_add_u64 v[20:21], v[2:3], 3, s[24:25]
	v_add_u32_e32 v2, s29, v2
	v_ashrrev_i32_e32 v3, 31, v2
	s_lshl_b32 s34, s30, 1
	v_cmp_ge_i32_e64 s[8:9], s26, v37
	v_cmp_ge_i32_e64 s[10:11], s26, v38
	v_cmp_eq_u32_e64 s[12:13], 0, v1
	v_lshlrev_b32_e32 v45, 3, v1
	v_and_b32_e32 v46, 24, v13
	v_lshl_add_u64 v[16:17], v[14:15], 3, s[24:25]
	v_lshl_add_u64 v[22:23], v[2:3], 3, s[24:25]
	s_lshl_b32 s52, s30, 2
	s_mul_i32 s53, s30, 3
	s_mov_b32 s54, s35
	v_mov_b32_e32 v24, 0
	s_mov_b32 s38, s35
	s_mov_b64 s[40:41], s[34:35]
	s_mov_b64 s[42:43], s[30:31]
	s_mov_b32 s31, 0
                                        ; implicit-def: $vgpr2_vgpr3_vgpr4_vgpr5_vgpr6_vgpr7_vgpr8_vgpr9
	s_branch .LBB263_16
.LBB263_15:                             ;   in Loop: Header=BB263_16 Depth=1
	s_or_b64 exec, exec, s[14:15]
	s_add_i32 s31, s31, 4
	s_add_u32 s42, s42, s52
	s_addc_u32 s43, s43, 0
	s_add_u32 s40, s40, s52
	s_addc_u32 s41, s41, 0
	;; [unrolled: 2-line block ×3, first 2 shown]
	s_add_i32 s38, s38, s52
	s_cmp_ge_i32 s31, s3
	s_cbranch_scc1 .LBB263_62
.LBB263_16:                             ; =>This Loop Header: Depth=1
                                        ;     Child Loop BB263_47 Depth 2
                                        ;     Child Loop BB263_50 Depth 2
                                        ; implicit-def: $vgpr26_vgpr27
                                        ; implicit-def: $vgpr28_vgpr29
                                        ; implicit-def: $vgpr32_vgpr33
                                        ; implicit-def: $vgpr30_vgpr31
	s_and_saveexec_b64 s[14:15], s[8:9]
	s_xor_b64 s[14:15], exec, s[14:15]
	s_cbranch_execnz .LBB263_43
; %bb.17:                               ;   in Loop: Header=BB263_16 Depth=1
	s_andn2_saveexec_b64 s[44:45], s[14:15]
	s_cbranch_execnz .LBB263_44
.LBB263_18:                             ;   in Loop: Header=BB263_16 Depth=1
	s_or_b64 exec, exec, s[44:45]
	s_and_saveexec_b64 s[14:15], s[0:1]
	s_cbranch_execz .LBB263_20
.LBB263_19:                             ;   in Loop: Header=BB263_16 Depth=1
	v_mov_b32_e32 v25, v24
	ds_write_b64 v45, v[24:25]
.LBB263_20:                             ;   in Loop: Header=BB263_16 Depth=1
	s_or_b64 exec, exec, s[14:15]
	ds_bpermute_b32 v34, v39, v30
	ds_bpermute_b32 v35, v39, v31
	s_waitcnt lgkmcnt(0)
	s_barrier
	v_add_f64 v[30:31], v[30:31], v[34:35]
	ds_bpermute_b32 v34, v40, v30
	ds_bpermute_b32 v35, v40, v31
	s_waitcnt lgkmcnt(0)
	v_add_f64 v[30:31], v[30:31], v[34:35]
	ds_bpermute_b32 v34, v41, v30
	ds_bpermute_b32 v35, v41, v31
	s_waitcnt lgkmcnt(0)
	v_add_f64 v[30:31], v[30:31], v[34:35]
	ds_bpermute_b32 v34, v42, v30
	ds_bpermute_b32 v35, v42, v31
	s_waitcnt lgkmcnt(0)
	v_add_f64 v[30:31], v[30:31], v[34:35]
	ds_bpermute_b32 v34, v43, v30
	ds_bpermute_b32 v35, v43, v31
	s_waitcnt lgkmcnt(0)
	v_add_f64 v[30:31], v[30:31], v[34:35]
	ds_bpermute_b32 v34, v44, v30
	ds_bpermute_b32 v35, v44, v31
	s_and_saveexec_b64 s[14:15], s[12:13]
	s_cbranch_execz .LBB263_22
; %bb.21:                               ;   in Loop: Header=BB263_16 Depth=1
	s_waitcnt lgkmcnt(0)
	v_add_f64 v[30:31], v[30:31], v[34:35]
	ds_write_b64 v46, v[30:31]
.LBB263_22:                             ;   in Loop: Header=BB263_16 Depth=1
	s_or_b64 exec, exec, s[14:15]
	v_mov_b64_e32 v[30:31], 0
	s_waitcnt lgkmcnt(0)
	s_barrier
	s_and_saveexec_b64 s[14:15], s[4:5]
	s_cbranch_execnz .LBB263_52
; %bb.23:                               ;   in Loop: Header=BB263_16 Depth=1
	s_or_b64 exec, exec, s[14:15]
	s_and_saveexec_b64 s[14:15], s[0:1]
	s_cbranch_execnz .LBB263_53
.LBB263_24:                             ;   in Loop: Header=BB263_16 Depth=1
	s_or_b64 exec, exec, s[14:15]
	s_and_saveexec_b64 s[14:15], s[0:1]
	s_cbranch_execz .LBB263_26
.LBB263_25:                             ;   in Loop: Header=BB263_16 Depth=1
	v_mov_b32_e32 v25, v24
	ds_write_b64 v45, v[24:25]
.LBB263_26:                             ;   in Loop: Header=BB263_16 Depth=1
	s_or_b64 exec, exec, s[14:15]
	ds_bpermute_b32 v34, v39, v32
	ds_bpermute_b32 v35, v39, v33
	s_waitcnt lgkmcnt(0)
	s_barrier
	v_add_f64 v[32:33], v[32:33], v[34:35]
	ds_bpermute_b32 v34, v40, v32
	ds_bpermute_b32 v35, v40, v33
	s_waitcnt lgkmcnt(0)
	v_add_f64 v[32:33], v[32:33], v[34:35]
	ds_bpermute_b32 v34, v41, v32
	ds_bpermute_b32 v35, v41, v33
	s_waitcnt lgkmcnt(0)
	v_add_f64 v[32:33], v[32:33], v[34:35]
	ds_bpermute_b32 v34, v42, v32
	ds_bpermute_b32 v35, v42, v33
	s_waitcnt lgkmcnt(0)
	v_add_f64 v[32:33], v[32:33], v[34:35]
	ds_bpermute_b32 v34, v43, v32
	ds_bpermute_b32 v35, v43, v33
	s_waitcnt lgkmcnt(0)
	v_add_f64 v[32:33], v[32:33], v[34:35]
	ds_bpermute_b32 v34, v44, v32
	ds_bpermute_b32 v35, v44, v33
	s_and_saveexec_b64 s[14:15], s[12:13]
	s_cbranch_execz .LBB263_28
; %bb.27:                               ;   in Loop: Header=BB263_16 Depth=1
	s_waitcnt lgkmcnt(0)
	v_add_f64 v[32:33], v[32:33], v[34:35]
	ds_write_b64 v46, v[32:33]
.LBB263_28:                             ;   in Loop: Header=BB263_16 Depth=1
	s_or_b64 exec, exec, s[14:15]
	v_mov_b64_e32 v[32:33], 0
	s_waitcnt lgkmcnt(0)
	s_barrier
	s_and_saveexec_b64 s[14:15], s[4:5]
	s_cbranch_execnz .LBB263_54
; %bb.29:                               ;   in Loop: Header=BB263_16 Depth=1
	s_or_b64 exec, exec, s[14:15]
	s_and_saveexec_b64 s[14:15], s[0:1]
	s_cbranch_execnz .LBB263_55
.LBB263_30:                             ;   in Loop: Header=BB263_16 Depth=1
	s_or_b64 exec, exec, s[14:15]
	s_and_saveexec_b64 s[14:15], s[0:1]
	s_cbranch_execz .LBB263_32
.LBB263_31:                             ;   in Loop: Header=BB263_16 Depth=1
	v_mov_b32_e32 v25, v24
	ds_write_b64 v45, v[24:25]
.LBB263_32:                             ;   in Loop: Header=BB263_16 Depth=1
	s_or_b64 exec, exec, s[14:15]
	ds_bpermute_b32 v34, v39, v28
	ds_bpermute_b32 v35, v39, v29
	s_waitcnt lgkmcnt(0)
	s_barrier
	v_add_f64 v[28:29], v[28:29], v[34:35]
	ds_bpermute_b32 v34, v40, v28
	ds_bpermute_b32 v35, v40, v29
	s_waitcnt lgkmcnt(0)
	v_add_f64 v[28:29], v[28:29], v[34:35]
	ds_bpermute_b32 v34, v41, v28
	ds_bpermute_b32 v35, v41, v29
	s_waitcnt lgkmcnt(0)
	;; [unrolled: 4-line block ×4, first 2 shown]
	v_add_f64 v[28:29], v[28:29], v[34:35]
	ds_bpermute_b32 v34, v44, v28
	ds_bpermute_b32 v35, v44, v29
	s_and_saveexec_b64 s[14:15], s[12:13]
	s_cbranch_execz .LBB263_34
; %bb.33:                               ;   in Loop: Header=BB263_16 Depth=1
	s_waitcnt lgkmcnt(0)
	v_add_f64 v[28:29], v[28:29], v[34:35]
	ds_write_b64 v46, v[28:29]
.LBB263_34:                             ;   in Loop: Header=BB263_16 Depth=1
	s_or_b64 exec, exec, s[14:15]
	v_mov_b64_e32 v[28:29], 0
	s_waitcnt lgkmcnt(0)
	s_barrier
	s_and_saveexec_b64 s[14:15], s[4:5]
	s_cbranch_execnz .LBB263_56
; %bb.35:                               ;   in Loop: Header=BB263_16 Depth=1
	s_or_b64 exec, exec, s[14:15]
	s_and_saveexec_b64 s[14:15], s[0:1]
	s_cbranch_execnz .LBB263_57
.LBB263_36:                             ;   in Loop: Header=BB263_16 Depth=1
	s_or_b64 exec, exec, s[14:15]
	s_and_saveexec_b64 s[14:15], s[0:1]
	s_cbranch_execz .LBB263_38
.LBB263_37:                             ;   in Loop: Header=BB263_16 Depth=1
	v_mov_b32_e32 v25, v24
	ds_write_b64 v45, v[24:25]
.LBB263_38:                             ;   in Loop: Header=BB263_16 Depth=1
	s_or_b64 exec, exec, s[14:15]
	ds_bpermute_b32 v34, v39, v26
	ds_bpermute_b32 v35, v39, v27
	s_waitcnt lgkmcnt(0)
	s_barrier
	v_add_f64 v[26:27], v[26:27], v[34:35]
	ds_bpermute_b32 v34, v40, v26
	ds_bpermute_b32 v35, v40, v27
	s_waitcnt lgkmcnt(0)
	v_add_f64 v[26:27], v[26:27], v[34:35]
	ds_bpermute_b32 v34, v41, v26
	ds_bpermute_b32 v35, v41, v27
	s_waitcnt lgkmcnt(0)
	;; [unrolled: 4-line block ×4, first 2 shown]
	v_add_f64 v[26:27], v[26:27], v[34:35]
	ds_bpermute_b32 v34, v44, v26
	ds_bpermute_b32 v35, v44, v27
	s_and_saveexec_b64 s[14:15], s[12:13]
	s_cbranch_execz .LBB263_40
; %bb.39:                               ;   in Loop: Header=BB263_16 Depth=1
	s_waitcnt lgkmcnt(0)
	v_add_f64 v[26:27], v[26:27], v[34:35]
	ds_write_b64 v46, v[26:27]
.LBB263_40:                             ;   in Loop: Header=BB263_16 Depth=1
	s_or_b64 exec, exec, s[14:15]
	v_mov_b64_e32 v[26:27], 0
	s_waitcnt lgkmcnt(0)
	s_barrier
	s_and_saveexec_b64 s[14:15], s[4:5]
	s_cbranch_execnz .LBB263_58
; %bb.41:                               ;   in Loop: Header=BB263_16 Depth=1
	s_or_b64 exec, exec, s[14:15]
	s_and_saveexec_b64 s[14:15], s[0:1]
	s_cbranch_execnz .LBB263_59
.LBB263_42:                             ;   in Loop: Header=BB263_16 Depth=1
	s_or_b64 exec, exec, s[14:15]
	s_and_saveexec_b64 s[14:15], s[6:7]
	s_cbranch_execz .LBB263_15
	s_branch .LBB263_60
.LBB263_43:                             ;   in Loop: Header=BB263_16 Depth=1
	s_mul_i32 s16, s31, s30
	s_ashr_i32 s17, s16, 31
	v_lshl_add_u64 v[30:31], s[16:17], 3, v[10:11]
	s_add_i32 s16, s16, s30
	s_ashr_i32 s17, s16, 31
	v_lshl_add_u64 v[72:73], s[16:17], 3, v[10:11]
	s_add_i32 s16, s16, s30
	s_ashr_i32 s17, s16, 31
	flat_load_dwordx2 v[2:3], v[16:17]
	flat_load_dwordx2 v[4:5], v[18:19]
	;; [unrolled: 1-line block ×3, first 2 shown]
	flat_load_dwordx4 v[32:35], v[72:73]
	v_lshl_add_u64 v[74:75], s[16:17], 3, v[10:11]
	s_waitcnt lgkmcnt(0)
	flat_load_dwordx4 v[26:29], v[30:31]
	flat_load_dwordx4 v[48:51], v[74:75]
	s_add_i32 s16, s16, s30
	s_ashr_i32 s17, s16, 31
	v_lshl_add_u64 v[76:77], s[16:17], 3, v[10:11]
	flat_load_dwordx4 v[52:55], v[30:31] offset:16
	flat_load_dwordx4 v[56:59], v[76:77]
	flat_load_dwordx4 v[60:63], v[72:73] offset:16
	flat_load_dwordx2 v[8:9], v[22:23]
	flat_load_dwordx4 v[64:67], v[74:75] offset:16
	flat_load_dwordx4 v[68:71], v[76:77] offset:16
	s_waitcnt vmcnt(0) lgkmcnt(0)
	v_fma_f64 v[32:33], v[2:3], v[32:33], 0
	v_fma_f64 v[30:31], v[2:3], v[26:27], 0
	v_fmac_f64_e32 v[30:31], v[4:5], v[28:29]
	v_fma_f64 v[28:29], v[2:3], v[48:49], 0
	v_fma_f64 v[26:27], v[2:3], v[56:57], 0
	v_fmac_f64_e32 v[32:33], v[4:5], v[34:35]
	v_fmac_f64_e32 v[28:29], v[4:5], v[50:51]
	;; [unrolled: 1-line block ×11, first 2 shown]
	s_andn2_saveexec_b64 s[44:45], s[14:15]
	s_cbranch_execz .LBB263_18
.LBB263_44:                             ;   in Loop: Header=BB263_16 Depth=1
	s_waitcnt lgkmcnt(0)
	v_mov_b64_e32 v[26:27], 0
	v_mov_b64_e32 v[28:29], v[26:27]
	;; [unrolled: 1-line block ×4, first 2 shown]
	s_and_saveexec_b64 s[46:47], s[10:11]
	s_cbranch_execz .LBB263_51
; %bb.45:                               ;   in Loop: Header=BB263_16 Depth=1
	v_cndmask_b32_e64 v15, 0, 1, s[36:37]
	v_cmp_ne_u32_e64 s[14:15], 1, v15
	s_andn2_b64 vcc, exec, s[36:37]
	s_cbranch_vccnz .LBB263_48
; %bb.46:                               ;   in Loop: Header=BB263_16 Depth=1
	s_mov_b64 s[48:49], 0
	v_mov_b32_e32 v26, v14
.LBB263_47:                             ;   Parent Loop BB263_16 Depth=1
                                        ; =>  This Inner Loop Header: Depth=2
	v_ashrrev_i32_e32 v27, 31, v26
	v_lshl_add_u64 v[28:29], v[26:27], 3, s[24:25]
	flat_load_dwordx2 v[28:29], v[28:29]
	s_cmp_eq_u32 s48, 3
	s_cselect_b64 vcc, -1, 0
	s_cmp_eq_u32 s48, 2
	s_cselect_b64 s[16:17], -1, 0
	s_cmp_eq_u32 s48, 1
	s_cselect_b64 s[18:19], -1, 0
	;; [unrolled: 2-line block ×3, first 2 shown]
	s_add_u32 s48, s48, 1
	s_addc_u32 s49, s49, 0
	v_add_u32_e32 v26, s29, v26
	s_cmp_eq_u32 s33, s48
	s_waitcnt vmcnt(0) lgkmcnt(0)
	v_cndmask_b32_e32 v9, v9, v29, vcc
	v_cndmask_b32_e32 v8, v8, v28, vcc
	v_cndmask_b32_e64 v7, v7, v29, s[16:17]
	v_cndmask_b32_e64 v6, v6, v28, s[16:17]
	v_cndmask_b32_e64 v5, v5, v29, s[18:19]
	v_cndmask_b32_e64 v4, v4, v28, s[18:19]
	v_cndmask_b32_e64 v3, v3, v29, s[20:21]
	v_cndmask_b32_e64 v2, v2, v28, s[20:21]
	s_cbranch_scc0 .LBB263_47
.LBB263_48:                             ;   in Loop: Header=BB263_16 Depth=1
	v_mov_b64_e32 v[26:27], 0
	s_and_b64 vcc, exec, s[14:15]
	v_mov_b64_e32 v[28:29], v[26:27]
	v_mov_b64_e32 v[32:33], v[26:27]
	;; [unrolled: 1-line block ×3, first 2 shown]
	s_cbranch_vccnz .LBB263_51
; %bb.49:                               ;   in Loop: Header=BB263_16 Depth=1
	s_ashr_i32 s39, s38, 31
	v_mov_b64_e32 v[30:31], 0
	v_lshl_add_u64 v[34:35], s[38:39], 3, v[10:11]
	s_mov_b64 s[18:19], 0
	v_mov_b64_e32 v[32:33], v[30:31]
	v_mov_b64_e32 v[28:29], v[30:31]
	;; [unrolled: 1-line block ×3, first 2 shown]
.LBB263_50:                             ;   Parent Loop BB263_16 Depth=1
                                        ; =>  This Inner Loop Header: Depth=2
	s_cmp_eq_u32 s18, 1
	s_cselect_b64 vcc, -1, 0
	s_cmp_eq_u32 s18, 2
	s_cselect_b64 s[14:15], -1, 0
	s_cmp_eq_u32 s18, 3
	s_cselect_b64 s[16:17], -1, 0
	s_add_i32 s20, s42, s18
	s_add_i32 s48, s40, s18
	;; [unrolled: 1-line block ×3, first 2 shown]
	s_ashr_i32 s21, s20, 31
	s_ashr_i32 s49, s48, 31
	;; [unrolled: 1-line block ×3, first 2 shown]
	v_lshl_add_u64 v[50:51], s[20:21], 3, v[10:11]
	v_lshl_add_u64 v[52:53], s[48:49], 3, v[10:11]
	;; [unrolled: 1-line block ×3, first 2 shown]
	flat_load_dwordx2 v[48:49], v[34:35]
	s_nop 0
	flat_load_dwordx2 v[50:51], v[50:51]
	s_nop 0
	;; [unrolled: 2-line block ×3, first 2 shown]
	flat_load_dwordx2 v[54:55], v[54:55]
	v_cndmask_b32_e32 v15, v3, v5, vcc
	v_cndmask_b32_e64 v15, v15, v7, s[14:15]
	v_cndmask_b32_e32 v25, v2, v4, vcc
	v_cndmask_b32_e64 v57, v15, v9, s[16:17]
	v_cndmask_b32_e64 v15, v25, v6, s[14:15]
	s_add_u32 s18, s18, 1
	v_cndmask_b32_e64 v56, v15, v8, s[16:17]
	s_addc_u32 s19, s19, 0
	v_lshl_add_u64 v[34:35], v[34:35], 0, 8
	s_cmp_lg_u32 s33, s18
	s_waitcnt vmcnt(0) lgkmcnt(0)
	v_fmac_f64_e32 v[32:33], v[56:57], v[50:51]
	v_fmac_f64_e32 v[30:31], v[56:57], v[48:49]
	;; [unrolled: 1-line block ×4, first 2 shown]
	s_cbranch_scc1 .LBB263_50
.LBB263_51:                             ;   in Loop: Header=BB263_16 Depth=1
	s_or_b64 exec, exec, s[46:47]
	s_or_b64 exec, exec, s[44:45]
	s_and_saveexec_b64 s[14:15], s[0:1]
	s_cbranch_execnz .LBB263_19
	s_branch .LBB263_20
.LBB263_52:                             ;   in Loop: Header=BB263_16 Depth=1
	ds_read_b64 v[30:31], v45
	s_or_b64 exec, exec, s[14:15]
	s_and_saveexec_b64 s[14:15], s[0:1]
	s_cbranch_execz .LBB263_24
.LBB263_53:                             ;   in Loop: Header=BB263_16 Depth=1
	s_waitcnt lgkmcnt(0)
	ds_bpermute_b32 v34, v43, v30
	ds_bpermute_b32 v35, v43, v31
	s_waitcnt lgkmcnt(0)
	v_add_f64 v[30:31], v[30:31], v[34:35]
	ds_bpermute_b32 v34, v44, v30
	ds_bpermute_b32 v35, v44, v31
	s_waitcnt lgkmcnt(0)
	v_add_f64 v[30:31], v[30:31], v[34:35]
	s_or_b64 exec, exec, s[14:15]
	s_and_saveexec_b64 s[14:15], s[0:1]
	s_cbranch_execnz .LBB263_25
	s_branch .LBB263_26
.LBB263_54:                             ;   in Loop: Header=BB263_16 Depth=1
	ds_read_b64 v[32:33], v45
	s_or_b64 exec, exec, s[14:15]
	s_and_saveexec_b64 s[14:15], s[0:1]
	s_cbranch_execz .LBB263_30
.LBB263_55:                             ;   in Loop: Header=BB263_16 Depth=1
	s_waitcnt lgkmcnt(0)
	ds_bpermute_b32 v34, v43, v32
	ds_bpermute_b32 v35, v43, v33
	s_waitcnt lgkmcnt(0)
	v_add_f64 v[32:33], v[32:33], v[34:35]
	ds_bpermute_b32 v34, v44, v32
	ds_bpermute_b32 v35, v44, v33
	s_waitcnt lgkmcnt(0)
	v_add_f64 v[32:33], v[32:33], v[34:35]
	s_or_b64 exec, exec, s[14:15]
	s_and_saveexec_b64 s[14:15], s[0:1]
	s_cbranch_execnz .LBB263_31
	s_branch .LBB263_32
.LBB263_56:                             ;   in Loop: Header=BB263_16 Depth=1
	ds_read_b64 v[28:29], v45
	s_or_b64 exec, exec, s[14:15]
	s_and_saveexec_b64 s[14:15], s[0:1]
	s_cbranch_execz .LBB263_36
.LBB263_57:                             ;   in Loop: Header=BB263_16 Depth=1
	s_waitcnt lgkmcnt(0)
	ds_bpermute_b32 v34, v43, v28
	ds_bpermute_b32 v35, v43, v29
	s_waitcnt lgkmcnt(0)
	v_add_f64 v[28:29], v[28:29], v[34:35]
	ds_bpermute_b32 v34, v44, v28
	ds_bpermute_b32 v35, v44, v29
	s_waitcnt lgkmcnt(0)
	v_add_f64 v[28:29], v[28:29], v[34:35]
	s_or_b64 exec, exec, s[14:15]
	s_and_saveexec_b64 s[14:15], s[0:1]
	s_cbranch_execnz .LBB263_37
	s_branch .LBB263_38
.LBB263_58:                             ;   in Loop: Header=BB263_16 Depth=1
	ds_read_b64 v[26:27], v45
	s_or_b64 exec, exec, s[14:15]
	s_and_saveexec_b64 s[14:15], s[0:1]
	s_cbranch_execz .LBB263_42
.LBB263_59:                             ;   in Loop: Header=BB263_16 Depth=1
	s_waitcnt lgkmcnt(0)
	ds_bpermute_b32 v34, v43, v26
	ds_bpermute_b32 v35, v43, v27
	s_waitcnt lgkmcnt(0)
	v_add_f64 v[26:27], v[26:27], v[34:35]
	ds_bpermute_b32 v34, v44, v26
	ds_bpermute_b32 v35, v44, v27
	s_waitcnt lgkmcnt(0)
	v_add_f64 v[26:27], v[26:27], v[34:35]
	s_or_b64 exec, exec, s[14:15]
	s_and_saveexec_b64 s[14:15], s[6:7]
	s_cbranch_execz .LBB263_15
.LBB263_60:                             ;   in Loop: Header=BB263_16 Depth=1
	s_mul_i32 s16, s31, s28
	s_add_i32 s34, s16, s2
	s_lshl_b64 s[16:17], s[34:35], 3
	s_add_u32 s16, s50, s16
	v_mul_f64 v[30:31], v[30:31], s[22:23]
	s_addc_u32 s17, s51, s17
	s_add_i32 s34, s34, s28
	global_store_dwordx2 v24, v[30:31], s[16:17]
	s_lshl_b64 s[16:17], s[34:35], 3
	s_add_u32 s16, s50, s16
	v_mul_f64 v[30:31], v[32:33], s[22:23]
	s_addc_u32 s17, s51, s17
	s_add_i32 s34, s34, s28
	global_store_dwordx2 v24, v[30:31], s[16:17]
	;; [unrolled: 6-line block ×3, first 2 shown]
	s_lshl_b64 s[16:17], s[34:35], 3
	s_add_u32 s16, s50, s16
	s_waitcnt lgkmcnt(0)
	v_mul_f64 v[26:27], v[26:27], s[22:23]
	s_addc_u32 s17, s51, s17
	global_store_dwordx2 v24, v[26:27], s[16:17]
	s_branch .LBB263_15
.LBB263_61:
	s_mov_b32 s31, 0
                                        ; implicit-def: $vgpr2_vgpr3_vgpr4_vgpr5_vgpr6_vgpr7_vgpr8_vgpr9
.LBB263_62:
	s_cmp_ge_i32 s31, s27
	s_cbranch_scc1 .LBB263_86
; %bb.63:
	v_mbcnt_hi_u32_b32 v14, -1, v36
	v_and_b32_e32 v15, 63, v14
	v_cmp_gt_u32_e32 vcc, 32, v15
	s_mov_b32 s3, 0
	s_cmp_gt_i32 s33, 0
	v_cndmask_b32_e64 v16, 0, 1, vcc
	v_lshlrev_b32_e32 v16, 5, v16
	v_cmp_gt_u32_e32 vcc, 48, v15
	s_waitcnt lgkmcnt(0)
	v_add_lshl_u32 v27, v16, v14, 2
	s_cselect_b64 s[34:35], -1, 0
	v_cndmask_b32_e64 v16, 0, 1, vcc
	v_lshlrev_b32_e32 v16, 4, v16
	v_cmp_gt_u32_e32 vcc, 56, v15
	v_add_lshl_u32 v28, v16, v14, 2
	s_lshl_b64 s[14:15], s[2:3], 3
	v_cndmask_b32_e64 v16, 0, 1, vcc
	v_lshlrev_b32_e32 v16, 3, v16
	v_cmp_gt_u32_e32 vcc, 60, v15
	v_add_lshl_u32 v29, v16, v14, 2
	v_and_b32_e32 v33, 24, v13
	v_cndmask_b32_e64 v16, 0, 1, vcc
	v_lshlrev_b32_e32 v16, 2, v16
	v_cmp_gt_u32_e32 vcc, 62, v15
	v_add_lshl_u32 v30, v16, v14, 2
	s_add_u32 s2, s50, s14
	v_cndmask_b32_e64 v16, 0, 1, vcc
	v_lshlrev_b32_e32 v16, 1, v16
	v_add_lshl_u32 v31, v16, v14, 2
	v_add_u32_e32 v16, s29, v12
	v_cmp_ne_u32_e32 vcc, 63, v15
	v_add_u32_e32 v18, s29, v16
	v_ashrrev_i32_e32 v17, 31, v16
	v_addc_co_u32_e32 v14, vcc, 0, v14, vcc
	v_ashrrev_i32_e32 v19, 31, v18
	v_lshlrev_b32_e32 v32, 2, v14
	v_lshl_add_u64 v[14:15], v[16:17], 3, s[24:25]
	v_lshl_add_u64 v[16:17], v[18:19], 3, s[24:25]
	v_add_u32_e32 v18, s29, v18
	v_ashrrev_i32_e32 v13, 31, v12
	v_ashrrev_i32_e32 v19, 31, v18
	v_cmp_ge_i32_e64 s[0:1], s26, v37
	v_cmp_ge_i32_e64 s[4:5], s26, v38
	v_cmp_gt_u32_e64 s[6:7], 64, v0
	v_lshlrev_b32_e32 v26, 3, v1
	v_cmp_eq_u32_e64 s[8:9], 0, v1
	v_cmp_gt_u32_e64 s[10:11], 4, v0
	v_cmp_eq_u32_e64 s[12:13], 0, v0
	s_addc_u32 s26, s51, s15
	v_lshl_add_u64 v[0:1], v[12:13], 3, s[24:25]
	v_lshl_add_u64 v[18:19], v[18:19], 3, s[24:25]
	s_mul_i32 s36, s31, s30
	v_mov_b32_e32 v20, 0
	s_branch .LBB263_65
.LBB263_64:                             ;   in Loop: Header=BB263_65 Depth=1
	s_or_b64 exec, exec, s[14:15]
	s_add_i32 s31, s31, 1
	s_add_i32 s36, s36, s30
	s_cmp_ge_i32 s31, s27
	s_cbranch_scc1 .LBB263_86
.LBB263_65:                             ; =>This Loop Header: Depth=1
                                        ;     Child Loop BB263_78 Depth 2
                                        ;     Child Loop BB263_81 Depth 2
	s_waitcnt lgkmcnt(0)
	v_mov_b32_e32 v22, s3
	v_mov_b32_e32 v23, s3
	s_and_saveexec_b64 s[14:15], s[0:1]
	s_xor_b64 s[14:15], exec, s[14:15]
	s_cbranch_execnz .LBB263_74
; %bb.66:                               ;   in Loop: Header=BB263_65 Depth=1
	s_andn2_saveexec_b64 s[38:39], s[14:15]
	s_cbranch_execnz .LBB263_75
.LBB263_67:                             ;   in Loop: Header=BB263_65 Depth=1
	s_or_b64 exec, exec, s[38:39]
	s_and_saveexec_b64 s[14:15], s[6:7]
	s_cbranch_execz .LBB263_69
.LBB263_68:                             ;   in Loop: Header=BB263_65 Depth=1
	v_mov_b32_e32 v21, v20
	ds_write_b64 v26, v[20:21]
.LBB263_69:                             ;   in Loop: Header=BB263_65 Depth=1
	s_or_b64 exec, exec, s[14:15]
	ds_bpermute_b32 v24, v27, v22
	ds_bpermute_b32 v25, v27, v23
	s_waitcnt lgkmcnt(0)
	s_barrier
	v_add_f64 v[22:23], v[22:23], v[24:25]
	ds_bpermute_b32 v24, v28, v22
	ds_bpermute_b32 v25, v28, v23
	s_waitcnt lgkmcnt(0)
	v_add_f64 v[22:23], v[22:23], v[24:25]
	ds_bpermute_b32 v24, v29, v22
	ds_bpermute_b32 v25, v29, v23
	s_waitcnt lgkmcnt(0)
	;; [unrolled: 4-line block ×4, first 2 shown]
	v_add_f64 v[22:23], v[22:23], v[24:25]
	ds_bpermute_b32 v24, v32, v22
	ds_bpermute_b32 v25, v32, v23
	s_and_saveexec_b64 s[14:15], s[8:9]
	s_cbranch_execz .LBB263_71
; %bb.70:                               ;   in Loop: Header=BB263_65 Depth=1
	s_waitcnt lgkmcnt(0)
	v_add_f64 v[22:23], v[22:23], v[24:25]
	ds_write_b64 v33, v[22:23]
.LBB263_71:                             ;   in Loop: Header=BB263_65 Depth=1
	s_or_b64 exec, exec, s[14:15]
	v_mov_b64_e32 v[22:23], 0
	s_waitcnt lgkmcnt(0)
	s_barrier
	s_and_saveexec_b64 s[14:15], s[10:11]
	s_cbranch_execnz .LBB263_83
; %bb.72:                               ;   in Loop: Header=BB263_65 Depth=1
	s_or_b64 exec, exec, s[14:15]
	s_and_saveexec_b64 s[14:15], s[6:7]
	s_cbranch_execnz .LBB263_84
.LBB263_73:                             ;   in Loop: Header=BB263_65 Depth=1
	s_or_b64 exec, exec, s[14:15]
	s_and_saveexec_b64 s[14:15], s[12:13]
	s_cbranch_execz .LBB263_64
	s_branch .LBB263_85
.LBB263_74:                             ;   in Loop: Header=BB263_65 Depth=1
	s_mul_i32 s16, s31, s30
	s_ashr_i32 s17, s16, 31
	v_lshl_add_u64 v[38:39], s[16:17], 3, v[10:11]
	flat_load_dwordx4 v[22:25], v[38:39]
	flat_load_dwordx4 v[34:37], v[38:39] offset:16
	flat_load_dwordx2 v[2:3], v[0:1]
	flat_load_dwordx2 v[4:5], v[14:15]
	;; [unrolled: 1-line block ×4, first 2 shown]
	s_waitcnt vmcnt(0) lgkmcnt(0)
	v_fma_f64 v[22:23], v[2:3], v[22:23], 0
	v_fmac_f64_e32 v[22:23], v[4:5], v[24:25]
	v_fmac_f64_e32 v[22:23], v[6:7], v[34:35]
	;; [unrolled: 1-line block ×3, first 2 shown]
	s_andn2_saveexec_b64 s[38:39], s[14:15]
	s_cbranch_execz .LBB263_67
.LBB263_75:                             ;   in Loop: Header=BB263_65 Depth=1
	s_and_saveexec_b64 s[40:41], s[4:5]
	s_cbranch_execz .LBB263_82
; %bb.76:                               ;   in Loop: Header=BB263_65 Depth=1
	v_cndmask_b32_e64 v13, 0, 1, s[34:35]
	v_cmp_ne_u32_e64 s[14:15], 1, v13
	s_andn2_b64 vcc, exec, s[34:35]
	s_cbranch_vccnz .LBB263_79
; %bb.77:                               ;   in Loop: Header=BB263_65 Depth=1
	s_mov_b64 s[42:43], 0
	v_mov_b32_e32 v24, v12
.LBB263_78:                             ;   Parent Loop BB263_65 Depth=1
                                        ; =>  This Inner Loop Header: Depth=2
	v_ashrrev_i32_e32 v25, 31, v24
	v_lshl_add_u64 v[34:35], v[24:25], 3, s[24:25]
	flat_load_dwordx2 v[34:35], v[34:35]
	s_cmp_eq_u32 s42, 3
	s_cselect_b64 vcc, -1, 0
	s_cmp_eq_u32 s42, 2
	s_cselect_b64 s[16:17], -1, 0
	s_cmp_eq_u32 s42, 1
	s_cselect_b64 s[18:19], -1, 0
	;; [unrolled: 2-line block ×3, first 2 shown]
	s_add_u32 s42, s42, 1
	s_addc_u32 s43, s43, 0
	v_add_u32_e32 v24, s29, v24
	s_cmp_eq_u32 s33, s42
	s_waitcnt vmcnt(0) lgkmcnt(0)
	v_cndmask_b32_e32 v9, v9, v35, vcc
	v_cndmask_b32_e32 v8, v8, v34, vcc
	v_cndmask_b32_e64 v7, v7, v35, s[16:17]
	v_cndmask_b32_e64 v6, v6, v34, s[16:17]
	;; [unrolled: 1-line block ×6, first 2 shown]
	s_cbranch_scc0 .LBB263_78
.LBB263_79:                             ;   in Loop: Header=BB263_65 Depth=1
	s_and_b64 vcc, exec, s[14:15]
	s_cbranch_vccnz .LBB263_82
; %bb.80:                               ;   in Loop: Header=BB263_65 Depth=1
	s_ashr_i32 s37, s36, 31
	v_lshl_add_u64 v[24:25], s[36:37], 3, v[10:11]
	s_mov_b64 s[16:17], 0
.LBB263_81:                             ;   Parent Loop BB263_65 Depth=1
                                        ; =>  This Inner Loop Header: Depth=2
	flat_load_dwordx2 v[34:35], v[24:25]
	s_cmp_eq_u32 s16, 1
	s_cselect_b64 vcc, -1, 0
	s_cmp_eq_u32 s16, 2
	v_cndmask_b32_e32 v13, v3, v5, vcc
	s_cselect_b64 s[14:15], -1, 0
	s_cmp_eq_u32 s16, 3
	v_cndmask_b32_e64 v13, v13, v7, s[14:15]
	v_cndmask_b32_e32 v21, v2, v4, vcc
	s_cselect_b64 vcc, -1, 0
	v_cndmask_b32_e32 v37, v13, v9, vcc
	v_cndmask_b32_e64 v13, v21, v6, s[14:15]
	s_add_u32 s16, s16, 1
	v_cndmask_b32_e32 v36, v13, v8, vcc
	s_addc_u32 s17, s17, 0
	v_lshl_add_u64 v[24:25], v[24:25], 0, 8
	s_cmp_lg_u32 s33, s16
	s_waitcnt vmcnt(0) lgkmcnt(0)
	v_fmac_f64_e32 v[22:23], v[36:37], v[34:35]
	s_cbranch_scc1 .LBB263_81
.LBB263_82:                             ;   in Loop: Header=BB263_65 Depth=1
	s_or_b64 exec, exec, s[40:41]
	s_or_b64 exec, exec, s[38:39]
	s_and_saveexec_b64 s[14:15], s[6:7]
	s_cbranch_execnz .LBB263_68
	s_branch .LBB263_69
.LBB263_83:                             ;   in Loop: Header=BB263_65 Depth=1
	ds_read_b64 v[22:23], v26
	s_or_b64 exec, exec, s[14:15]
	s_and_saveexec_b64 s[14:15], s[6:7]
	s_cbranch_execz .LBB263_73
.LBB263_84:                             ;   in Loop: Header=BB263_65 Depth=1
	s_waitcnt lgkmcnt(0)
	ds_bpermute_b32 v24, v31, v22
	ds_bpermute_b32 v25, v31, v23
	s_waitcnt lgkmcnt(0)
	v_add_f64 v[22:23], v[22:23], v[24:25]
	ds_bpermute_b32 v24, v32, v22
	ds_bpermute_b32 v25, v32, v23
	s_waitcnt lgkmcnt(0)
	v_add_f64 v[22:23], v[22:23], v[24:25]
	s_or_b64 exec, exec, s[14:15]
	s_and_saveexec_b64 s[14:15], s[12:13]
	s_cbranch_execz .LBB263_64
.LBB263_85:                             ;   in Loop: Header=BB263_65 Depth=1
	s_mul_hi_u32 s17, s31, s28
	s_mul_i32 s16, s31, s28
	s_lshl_b64 s[16:17], s[16:17], 3
	s_add_u32 s16, s2, s16
	s_waitcnt lgkmcnt(0)
	v_mul_f64 v[22:23], v[22:23], s[22:23]
	s_addc_u32 s17, s26, s17
	global_store_dwordx2 v20, v[22:23], s[16:17]
	s_branch .LBB263_64
.LBB263_86:
	s_endpgm
	.section	.rodata,"a",@progbits
	.p2align	6, 0x0
	.amdhsa_kernel _ZL23rocblas_gemvt_sn_kernelILb0ELi256ELi4EiPKdddEviiT4_lPKT3_lilS5_lilPT5_i
		.amdhsa_group_segment_fixed_size 512
		.amdhsa_private_segment_fixed_size 0
		.amdhsa_kernarg_size 360
		.amdhsa_user_sgpr_count 2
		.amdhsa_user_sgpr_dispatch_ptr 0
		.amdhsa_user_sgpr_queue_ptr 0
		.amdhsa_user_sgpr_kernarg_segment_ptr 1
		.amdhsa_user_sgpr_dispatch_id 0
		.amdhsa_user_sgpr_kernarg_preload_length 0
		.amdhsa_user_sgpr_kernarg_preload_offset 0
		.amdhsa_user_sgpr_private_segment_size 0
		.amdhsa_uses_dynamic_stack 0
		.amdhsa_enable_private_segment 0
		.amdhsa_system_sgpr_workgroup_id_x 1
		.amdhsa_system_sgpr_workgroup_id_y 0
		.amdhsa_system_sgpr_workgroup_id_z 1
		.amdhsa_system_sgpr_workgroup_info 0
		.amdhsa_system_vgpr_workitem_id 0
		.amdhsa_next_free_vgpr 78
		.amdhsa_next_free_sgpr 58
		.amdhsa_accum_offset 80
		.amdhsa_reserve_vcc 1
		.amdhsa_float_round_mode_32 0
		.amdhsa_float_round_mode_16_64 0
		.amdhsa_float_denorm_mode_32 3
		.amdhsa_float_denorm_mode_16_64 3
		.amdhsa_dx10_clamp 1
		.amdhsa_ieee_mode 1
		.amdhsa_fp16_overflow 0
		.amdhsa_tg_split 0
		.amdhsa_exception_fp_ieee_invalid_op 0
		.amdhsa_exception_fp_denorm_src 0
		.amdhsa_exception_fp_ieee_div_zero 0
		.amdhsa_exception_fp_ieee_overflow 0
		.amdhsa_exception_fp_ieee_underflow 0
		.amdhsa_exception_fp_ieee_inexact 0
		.amdhsa_exception_int_div_zero 0
	.end_amdhsa_kernel
	.section	.text._ZL23rocblas_gemvt_sn_kernelILb0ELi256ELi4EiPKdddEviiT4_lPKT3_lilS5_lilPT5_i,"axG",@progbits,_ZL23rocblas_gemvt_sn_kernelILb0ELi256ELi4EiPKdddEviiT4_lPKT3_lilS5_lilPT5_i,comdat
.Lfunc_end263:
	.size	_ZL23rocblas_gemvt_sn_kernelILb0ELi256ELi4EiPKdddEviiT4_lPKT3_lilS5_lilPT5_i, .Lfunc_end263-_ZL23rocblas_gemvt_sn_kernelILb0ELi256ELi4EiPKdddEviiT4_lPKT3_lilS5_lilPT5_i
                                        ; -- End function
	.section	.AMDGPU.csdata,"",@progbits
; Kernel info:
; codeLenInByte = 4332
; NumSgprs: 64
; NumVgprs: 78
; NumAgprs: 0
; TotalNumVgprs: 78
; ScratchSize: 0
; MemoryBound: 1
; FloatMode: 240
; IeeeMode: 1
; LDSByteSize: 512 bytes/workgroup (compile time only)
; SGPRBlocks: 7
; VGPRBlocks: 9
; NumSGPRsForWavesPerEU: 64
; NumVGPRsForWavesPerEU: 78
; AccumOffset: 80
; Occupancy: 6
; WaveLimiterHint : 0
; COMPUTE_PGM_RSRC2:SCRATCH_EN: 0
; COMPUTE_PGM_RSRC2:USER_SGPR: 2
; COMPUTE_PGM_RSRC2:TRAP_HANDLER: 0
; COMPUTE_PGM_RSRC2:TGID_X_EN: 1
; COMPUTE_PGM_RSRC2:TGID_Y_EN: 0
; COMPUTE_PGM_RSRC2:TGID_Z_EN: 1
; COMPUTE_PGM_RSRC2:TIDIG_COMP_CNT: 0
; COMPUTE_PGM_RSRC3_GFX90A:ACCUM_OFFSET: 19
; COMPUTE_PGM_RSRC3_GFX90A:TG_SPLIT: 0
	.section	.text._ZL23rocblas_gemvt_sn_kernelILb0ELi256ELi4ElPKdddEviiT4_lPKT3_lilS5_lilPT5_i,"axG",@progbits,_ZL23rocblas_gemvt_sn_kernelILb0ELi256ELi4ElPKdddEviiT4_lPKT3_lilS5_lilPT5_i,comdat
	.globl	_ZL23rocblas_gemvt_sn_kernelILb0ELi256ELi4ElPKdddEviiT4_lPKT3_lilS5_lilPT5_i ; -- Begin function _ZL23rocblas_gemvt_sn_kernelILb0ELi256ELi4ElPKdddEviiT4_lPKT3_lilS5_lilPT5_i
	.p2align	8
	.type	_ZL23rocblas_gemvt_sn_kernelILb0ELi256ELi4ElPKdddEviiT4_lPKT3_lilS5_lilPT5_i,@function
_ZL23rocblas_gemvt_sn_kernelILb0ELi256ELi4ElPKdddEviiT4_lPKT3_lilS5_lilPT5_i: ; @_ZL23rocblas_gemvt_sn_kernelILb0ELi256ELi4ElPKdddEviiT4_lPKT3_lilS5_lilPT5_i
; %bb.0:
	s_load_dwordx2 s[22:23], s[0:1], 0x8
	s_mov_b32 s6, s3
	s_mov_b64 s[10:11], 0
	s_waitcnt lgkmcnt(0)
	v_cmp_neq_f64_e64 s[8:9], s[22:23], 0
	v_cmp_eq_f64_e64 s[4:5], s[22:23], 0
	s_and_b64 vcc, exec, s[8:9]
	s_cbranch_vccnz .LBB264_2
; %bb.1:
	s_mov_b32 s7, 0
	s_mov_b64 s[30:31], 0
	s_andn2_b64 vcc, exec, s[10:11]
	s_cbranch_vccz .LBB264_3
	s_branch .LBB264_4
.LBB264_2:
                                        ; implicit-def: $sgpr30_sgpr31
.LBB264_3:
	s_load_dwordx4 s[12:15], s[0:1], 0x18
	s_mov_b32 s7, 0
	s_lshl_b64 s[10:11], s[6:7], 3
	s_waitcnt lgkmcnt(0)
	s_add_u32 s10, s12, s10
	s_addc_u32 s11, s13, s11
	s_load_dwordx2 s[10:11], s[10:11], 0x0
	s_lshl_b64 s[12:13], s[14:15], 3
	s_waitcnt lgkmcnt(0)
	s_add_u32 s30, s10, s12
	s_addc_u32 s31, s11, s13
.LBB264_4:
	s_andn2_b64 vcc, exec, s[8:9]
	s_cbranch_vccnz .LBB264_6
; %bb.5:
	s_load_dwordx4 s[8:11], s[0:1], 0x38
	s_lshl_b64 s[12:13], s[6:7], 3
	s_waitcnt lgkmcnt(0)
	s_add_u32 s8, s8, s12
	s_addc_u32 s9, s9, s13
	s_load_dwordx2 s[8:9], s[8:9], 0x0
	s_lshl_b64 s[10:11], s[10:11], 3
	s_waitcnt lgkmcnt(0)
	s_add_u32 s34, s8, s10
	s_addc_u32 s35, s9, s11
	s_branch .LBB264_7
.LBB264_6:
	s_mov_b64 s[34:35], 0
.LBB264_7:
	s_load_dwordx2 s[24:25], s[0:1], 0x0
	s_load_dwordx2 s[8:9], s[0:1], 0x58
	s_load_dword s26, s[0:1], 0x68
	s_mov_b32 s27, 0
	s_waitcnt lgkmcnt(0)
	s_ashr_i32 s10, s25, 31
	s_mul_hi_u32 s3, s6, s25
	s_mul_i32 s11, s6, s10
	s_add_i32 s3, s3, s11
	s_mul_i32 s7, s7, s25
	s_add_i32 s3, s3, s7
	s_mul_i32 s6, s6, s25
	s_mul_i32 s3, s3, s26
	s_mul_hi_u32 s7, s6, s26
	s_add_i32 s7, s7, s3
	s_mul_i32 s6, s6, s26
	s_lshl_b64 s[6:7], s[6:7], 3
	s_add_u32 s33, s8, s6
	s_addc_u32 s56, s9, s7
	s_andn2_b64 vcc, exec, s[4:5]
	s_mov_b64 s[4:5], -1
	s_cbranch_vccnz .LBB264_12
; %bb.8:
	s_cmp_gt_i32 s25, 0
	v_cmp_eq_u32_e32 vcc, 0, v0
	s_cselect_b64 s[4:5], -1, 0
	s_and_b64 s[6:7], vcc, s[4:5]
	s_and_saveexec_b64 s[4:5], s[6:7]
	s_cbranch_execz .LBB264_11
; %bb.9:
	s_mov_b32 s3, 0
	s_lshl_b64 s[6:7], s[2:3], 3
	s_add_u32 s6, s33, s6
	v_mov_b32_e32 v2, 0
	s_addc_u32 s7, s56, s7
	s_lshl_b64 s[8:9], s[26:27], 3
	v_mov_b32_e32 v3, v2
	s_mov_b32 s3, s25
.LBB264_10:                             ; =>This Inner Loop Header: Depth=1
	s_add_i32 s3, s3, -1
	global_store_dwordx2 v2, v[2:3], s[6:7]
	s_add_u32 s6, s6, s8
	s_addc_u32 s7, s7, s9
	s_cmp_eq_u32 s3, 0
	s_cbranch_scc0 .LBB264_10
.LBB264_11:
	s_or_b64 exec, exec, s[4:5]
	s_mov_b64 s[4:5], 0
.LBB264_12:
	s_andn2_b64 vcc, exec, s[4:5]
	s_cbranch_vccnz .LBB264_86
; %bb.13:
	s_load_dword s28, s[0:1], 0x28
	s_load_dword s36, s[0:1], 0x48
	s_lshl_b32 s0, s2, 10
	v_lshl_or_b32 v12, v0, 2, s0
	s_lshr_b32 s0, s10, 30
	s_add_i32 s0, s25, s0
	s_and_b32 s57, s0, -4
	s_ashr_i32 s0, s24, 31
	s_lshr_b32 s0, s0, 30
	s_add_i32 s0, s24, s0
	s_and_b32 s0, s0, -4
	s_waitcnt lgkmcnt(0)
	s_ashr_i32 s29, s28, 31
	s_ashr_i32 s37, s36, 31
	v_ashrrev_i32_e32 v13, 31, v12
	s_sub_i32 s27, s24, s0
	v_lshl_add_u64 v[10:11], v[12:13], 3, s[30:31]
	s_cmp_lt_i32 s57, 1
	v_add_u32_e32 v41, 4, v12
	v_add_u32_e32 v42, s27, v12
	v_and_b32_e32 v1, 63, v0
	v_cmp_gt_u32_e64 s[0:1], 64, v0
	v_mbcnt_lo_u32_b32 v40, -1, 0
	v_cmp_gt_u32_e64 s[4:5], 4, v0
	v_lshrrev_b32_e32 v39, 3, v0
	v_cmp_eq_u32_e64 s[6:7], 0, v0
	v_or_b32_e32 v38, 1, v12
	v_or_b32_e32 v37, 2, v12
	;; [unrolled: 1-line block ×3, first 2 shown]
	s_cbranch_scc1 .LBB264_61
; %bb.14:
	v_mbcnt_hi_u32_b32 v2, -1, v40
	v_and_b32_e32 v3, 63, v2
	v_cmp_gt_u32_e32 vcc, 32, v3
	s_mov_b32 s3, 0
	s_cmp_gt_i32 s27, 0
	v_cndmask_b32_e64 v4, 0, 1, vcc
	v_lshlrev_b32_e32 v4, 5, v4
	v_cmp_gt_u32_e32 vcc, 48, v3
	v_add_lshl_u32 v43, v4, v2, 2
	s_cselect_b64 s[38:39], -1, 0
	v_cndmask_b32_e64 v4, 0, 1, vcc
	v_lshlrev_b32_e32 v4, 4, v4
	v_cmp_gt_u32_e32 vcc, 56, v3
	v_add_lshl_u32 v44, v4, v2, 2
	s_lshl_b64 s[14:15], s[2:3], 3
	v_cndmask_b32_e64 v4, 0, 1, vcc
	v_lshlrev_b32_e32 v4, 3, v4
	v_cmp_gt_u32_e32 vcc, 60, v3
	v_add_lshl_u32 v45, v4, v2, 2
	s_add_u32 s58, s33, s14
	v_cndmask_b32_e64 v4, 0, 1, vcc
	v_lshlrev_b32_e32 v4, 2, v4
	v_cmp_gt_u32_e32 vcc, 62, v3
	v_add_lshl_u32 v46, v4, v2, 2
	s_addc_u32 s59, s56, s15
	v_cndmask_b32_e64 v4, 0, 1, vcc
	v_lshlrev_b32_e32 v4, 1, v4
	v_cmp_ne_u32_e32 vcc, 63, v3
	v_add_lshl_u32 v47, v4, v2, 2
	v_cmp_ge_i32_e64 s[8:9], s24, v41
	v_addc_co_u32_e32 v2, vcc, 0, v2, vcc
	v_lshlrev_b32_e32 v48, 2, v2
	v_mad_i64_i32 v[2:3], s[14:15], s36, v12, 0
	v_lshl_add_u64 v[14:15], v[2:3], 3, s[34:35]
	v_mad_i64_i32 v[2:3], s[14:15], s36, v38, 0
	v_lshl_add_u64 v[16:17], v[2:3], 3, s[34:35]
	;; [unrolled: 2-line block ×3, first 2 shown]
	v_mad_i64_i32 v[2:3], s[14:15], s36, v36, 0
	v_cmp_ge_i32_e64 s[10:11], s24, v42
	v_cmp_eq_u32_e64 s[12:13], 0, v1
	v_lshlrev_b32_e32 v49, 3, v1
	v_and_b32_e32 v50, 24, v39
	v_lshl_add_u64 v[20:21], v[2:3], 3, s[34:35]
	s_lshl_b64 s[40:41], s[36:37], 3
	s_mul_hi_i32 s43, s28, 24
	s_mul_i32 s42, s28, 24
	s_lshl_b64 s[44:45], s[28:29], 5
	s_lshl_b64 s[46:47], s[28:29], 4
	;; [unrolled: 1-line block ×3, first 2 shown]
	v_mov_b32_e32 v22, 0
	v_mov_b64_e32 v[24:25], v[10:11]
                                        ; implicit-def: $vgpr2_vgpr3_vgpr4_vgpr5_vgpr6_vgpr7_vgpr8_vgpr9
	s_branch .LBB264_16
.LBB264_15:                             ;   in Loop: Header=BB264_16 Depth=1
	s_or_b64 exec, exec, s[14:15]
	s_add_i32 s3, s3, 4
	s_cmp_ge_i32 s3, s57
	v_lshl_add_u64 v[24:25], v[24:25], 0, s[44:45]
	s_cbranch_scc1 .LBB264_62
.LBB264_16:                             ; =>This Loop Header: Depth=1
                                        ;     Child Loop BB264_47 Depth 2
                                        ;     Child Loop BB264_50 Depth 2
                                        ; implicit-def: $vgpr26_vgpr27
                                        ; implicit-def: $vgpr28_vgpr29
                                        ; implicit-def: $vgpr32_vgpr33
                                        ; implicit-def: $vgpr30_vgpr31
	s_and_saveexec_b64 s[14:15], s[8:9]
	s_xor_b64 s[14:15], exec, s[14:15]
	s_cbranch_execnz .LBB264_43
; %bb.17:                               ;   in Loop: Header=BB264_16 Depth=1
	s_andn2_saveexec_b64 s[50:51], s[14:15]
	s_cbranch_execnz .LBB264_44
.LBB264_18:                             ;   in Loop: Header=BB264_16 Depth=1
	s_or_b64 exec, exec, s[50:51]
	s_and_saveexec_b64 s[14:15], s[0:1]
	s_cbranch_execz .LBB264_20
.LBB264_19:                             ;   in Loop: Header=BB264_16 Depth=1
	v_mov_b32_e32 v23, v22
	ds_write_b64 v49, v[22:23]
.LBB264_20:                             ;   in Loop: Header=BB264_16 Depth=1
	s_or_b64 exec, exec, s[14:15]
	ds_bpermute_b32 v34, v43, v30
	ds_bpermute_b32 v35, v43, v31
	s_waitcnt lgkmcnt(0)
	s_barrier
	v_add_f64 v[30:31], v[30:31], v[34:35]
	ds_bpermute_b32 v34, v44, v30
	ds_bpermute_b32 v35, v44, v31
	s_waitcnt lgkmcnt(0)
	v_add_f64 v[30:31], v[30:31], v[34:35]
	ds_bpermute_b32 v34, v45, v30
	ds_bpermute_b32 v35, v45, v31
	s_waitcnt lgkmcnt(0)
	;; [unrolled: 4-line block ×4, first 2 shown]
	v_add_f64 v[30:31], v[30:31], v[34:35]
	ds_bpermute_b32 v34, v48, v30
	ds_bpermute_b32 v35, v48, v31
	s_and_saveexec_b64 s[14:15], s[12:13]
	s_cbranch_execz .LBB264_22
; %bb.21:                               ;   in Loop: Header=BB264_16 Depth=1
	s_waitcnt lgkmcnt(0)
	v_add_f64 v[30:31], v[30:31], v[34:35]
	ds_write_b64 v50, v[30:31]
.LBB264_22:                             ;   in Loop: Header=BB264_16 Depth=1
	s_or_b64 exec, exec, s[14:15]
	v_mov_b64_e32 v[30:31], 0
	s_waitcnt lgkmcnt(0)
	s_barrier
	s_and_saveexec_b64 s[14:15], s[4:5]
	s_cbranch_execnz .LBB264_52
; %bb.23:                               ;   in Loop: Header=BB264_16 Depth=1
	s_or_b64 exec, exec, s[14:15]
	s_and_saveexec_b64 s[14:15], s[0:1]
	s_cbranch_execnz .LBB264_53
.LBB264_24:                             ;   in Loop: Header=BB264_16 Depth=1
	s_or_b64 exec, exec, s[14:15]
	s_and_saveexec_b64 s[14:15], s[0:1]
	s_cbranch_execz .LBB264_26
.LBB264_25:                             ;   in Loop: Header=BB264_16 Depth=1
	v_mov_b32_e32 v23, v22
	ds_write_b64 v49, v[22:23]
.LBB264_26:                             ;   in Loop: Header=BB264_16 Depth=1
	s_or_b64 exec, exec, s[14:15]
	ds_bpermute_b32 v34, v43, v32
	ds_bpermute_b32 v35, v43, v33
	s_waitcnt lgkmcnt(0)
	s_barrier
	v_add_f64 v[32:33], v[32:33], v[34:35]
	ds_bpermute_b32 v34, v44, v32
	ds_bpermute_b32 v35, v44, v33
	s_waitcnt lgkmcnt(0)
	v_add_f64 v[32:33], v[32:33], v[34:35]
	ds_bpermute_b32 v34, v45, v32
	ds_bpermute_b32 v35, v45, v33
	s_waitcnt lgkmcnt(0)
	;; [unrolled: 4-line block ×4, first 2 shown]
	v_add_f64 v[32:33], v[32:33], v[34:35]
	ds_bpermute_b32 v34, v48, v32
	ds_bpermute_b32 v35, v48, v33
	s_and_saveexec_b64 s[14:15], s[12:13]
	s_cbranch_execz .LBB264_28
; %bb.27:                               ;   in Loop: Header=BB264_16 Depth=1
	s_waitcnt lgkmcnt(0)
	v_add_f64 v[32:33], v[32:33], v[34:35]
	ds_write_b64 v50, v[32:33]
.LBB264_28:                             ;   in Loop: Header=BB264_16 Depth=1
	s_or_b64 exec, exec, s[14:15]
	v_mov_b64_e32 v[32:33], 0
	s_waitcnt lgkmcnt(0)
	s_barrier
	s_and_saveexec_b64 s[14:15], s[4:5]
	s_cbranch_execnz .LBB264_54
; %bb.29:                               ;   in Loop: Header=BB264_16 Depth=1
	s_or_b64 exec, exec, s[14:15]
	s_and_saveexec_b64 s[14:15], s[0:1]
	s_cbranch_execnz .LBB264_55
.LBB264_30:                             ;   in Loop: Header=BB264_16 Depth=1
	s_or_b64 exec, exec, s[14:15]
	s_and_saveexec_b64 s[14:15], s[0:1]
	s_cbranch_execz .LBB264_32
.LBB264_31:                             ;   in Loop: Header=BB264_16 Depth=1
	v_mov_b32_e32 v23, v22
	ds_write_b64 v49, v[22:23]
.LBB264_32:                             ;   in Loop: Header=BB264_16 Depth=1
	s_or_b64 exec, exec, s[14:15]
	ds_bpermute_b32 v34, v43, v28
	ds_bpermute_b32 v35, v43, v29
	s_waitcnt lgkmcnt(0)
	s_barrier
	v_add_f64 v[28:29], v[28:29], v[34:35]
	ds_bpermute_b32 v34, v44, v28
	ds_bpermute_b32 v35, v44, v29
	s_waitcnt lgkmcnt(0)
	v_add_f64 v[28:29], v[28:29], v[34:35]
	ds_bpermute_b32 v34, v45, v28
	ds_bpermute_b32 v35, v45, v29
	s_waitcnt lgkmcnt(0)
	;; [unrolled: 4-line block ×4, first 2 shown]
	v_add_f64 v[28:29], v[28:29], v[34:35]
	ds_bpermute_b32 v34, v48, v28
	ds_bpermute_b32 v35, v48, v29
	s_and_saveexec_b64 s[14:15], s[12:13]
	s_cbranch_execz .LBB264_34
; %bb.33:                               ;   in Loop: Header=BB264_16 Depth=1
	s_waitcnt lgkmcnt(0)
	v_add_f64 v[28:29], v[28:29], v[34:35]
	ds_write_b64 v50, v[28:29]
.LBB264_34:                             ;   in Loop: Header=BB264_16 Depth=1
	s_or_b64 exec, exec, s[14:15]
	v_mov_b64_e32 v[28:29], 0
	s_waitcnt lgkmcnt(0)
	s_barrier
	s_and_saveexec_b64 s[14:15], s[4:5]
	s_cbranch_execnz .LBB264_56
; %bb.35:                               ;   in Loop: Header=BB264_16 Depth=1
	s_or_b64 exec, exec, s[14:15]
	s_and_saveexec_b64 s[14:15], s[0:1]
	s_cbranch_execnz .LBB264_57
.LBB264_36:                             ;   in Loop: Header=BB264_16 Depth=1
	s_or_b64 exec, exec, s[14:15]
	s_and_saveexec_b64 s[14:15], s[0:1]
	s_cbranch_execz .LBB264_38
.LBB264_37:                             ;   in Loop: Header=BB264_16 Depth=1
	v_mov_b32_e32 v23, v22
	ds_write_b64 v49, v[22:23]
.LBB264_38:                             ;   in Loop: Header=BB264_16 Depth=1
	s_or_b64 exec, exec, s[14:15]
	ds_bpermute_b32 v34, v43, v26
	ds_bpermute_b32 v35, v43, v27
	s_waitcnt lgkmcnt(0)
	s_barrier
	v_add_f64 v[26:27], v[26:27], v[34:35]
	ds_bpermute_b32 v34, v44, v26
	ds_bpermute_b32 v35, v44, v27
	s_waitcnt lgkmcnt(0)
	v_add_f64 v[26:27], v[26:27], v[34:35]
	ds_bpermute_b32 v34, v45, v26
	ds_bpermute_b32 v35, v45, v27
	s_waitcnt lgkmcnt(0)
	;; [unrolled: 4-line block ×4, first 2 shown]
	v_add_f64 v[26:27], v[26:27], v[34:35]
	ds_bpermute_b32 v34, v48, v26
	ds_bpermute_b32 v35, v48, v27
	s_and_saveexec_b64 s[14:15], s[12:13]
	s_cbranch_execz .LBB264_40
; %bb.39:                               ;   in Loop: Header=BB264_16 Depth=1
	s_waitcnt lgkmcnt(0)
	v_add_f64 v[26:27], v[26:27], v[34:35]
	ds_write_b64 v50, v[26:27]
.LBB264_40:                             ;   in Loop: Header=BB264_16 Depth=1
	s_or_b64 exec, exec, s[14:15]
	v_mov_b64_e32 v[26:27], 0
	s_waitcnt lgkmcnt(0)
	s_barrier
	s_and_saveexec_b64 s[14:15], s[4:5]
	s_cbranch_execnz .LBB264_58
; %bb.41:                               ;   in Loop: Header=BB264_16 Depth=1
	s_or_b64 exec, exec, s[14:15]
	s_and_saveexec_b64 s[14:15], s[0:1]
	s_cbranch_execnz .LBB264_59
.LBB264_42:                             ;   in Loop: Header=BB264_16 Depth=1
	s_or_b64 exec, exec, s[14:15]
	s_and_saveexec_b64 s[14:15], s[6:7]
	s_cbranch_execz .LBB264_15
	s_branch .LBB264_60
.LBB264_43:                             ;   in Loop: Header=BB264_16 Depth=1
	s_mul_i32 s16, s3, s29
	s_mul_hi_u32 s17, s3, s28
	s_add_i32 s17, s17, s16
	s_mul_i32 s16, s3, s28
	s_waitcnt lgkmcnt(0)
	v_lshl_add_u64 v[26:27], s[16:17], 3, v[10:11]
	s_or_b32 s16, s3, 1
	s_mul_i32 s17, s16, s29
	s_mul_hi_u32 s18, s16, s28
	s_add_i32 s17, s18, s17
	s_mul_i32 s16, s16, s28
	v_lshl_add_u64 v[28:29], s[16:17], 3, v[10:11]
	s_or_b32 s16, s3, 2
	s_mul_i32 s17, s16, s29
	s_mul_hi_u32 s18, s16, s28
	s_add_i32 s17, s18, s17
	s_mul_i32 s16, s16, s28
	v_lshl_add_u64 v[30:31], s[16:17], 3, v[10:11]
	s_or_b32 s16, s3, 3
	flat_load_dwordx2 v[2:3], v[14:15]
	flat_load_dwordx4 v[32:35], v[26:27]
	flat_load_dwordx4 v[52:55], v[28:29]
	;; [unrolled: 1-line block ×3, first 2 shown]
	s_mul_i32 s17, s16, s29
	s_mul_hi_u32 s18, s16, s28
	s_add_i32 s17, s18, s17
	s_mul_i32 s16, s16, s28
	v_lshl_add_u64 v[80:81], s[16:17], 3, v[10:11]
	flat_load_dwordx4 v[60:63], v[80:81]
	flat_load_dwordx2 v[4:5], v[16:17]
	flat_load_dwordx2 v[6:7], v[18:19]
	flat_load_dwordx4 v[64:67], v[26:27] offset:16
	flat_load_dwordx4 v[68:71], v[28:29] offset:16
	;; [unrolled: 1-line block ×4, first 2 shown]
	flat_load_dwordx2 v[8:9], v[20:21]
	s_waitcnt vmcnt(0) lgkmcnt(0)
	v_fma_f64 v[30:31], v[2:3], v[32:33], 0
	v_fma_f64 v[32:33], v[2:3], v[52:53], 0
	;; [unrolled: 1-line block ×4, first 2 shown]
	v_fmac_f64_e32 v[30:31], v[4:5], v[34:35]
	v_fmac_f64_e32 v[32:33], v[4:5], v[54:55]
	;; [unrolled: 1-line block ×12, first 2 shown]
	s_andn2_saveexec_b64 s[50:51], s[14:15]
	s_cbranch_execz .LBB264_18
.LBB264_44:                             ;   in Loop: Header=BB264_16 Depth=1
	s_waitcnt lgkmcnt(0)
	v_mov_b64_e32 v[26:27], 0
	v_mov_b64_e32 v[28:29], v[26:27]
	;; [unrolled: 1-line block ×4, first 2 shown]
	s_and_saveexec_b64 s[52:53], s[10:11]
	s_cbranch_execz .LBB264_51
; %bb.45:                               ;   in Loop: Header=BB264_16 Depth=1
	v_cndmask_b32_e64 v23, 0, 1, s[38:39]
	v_cmp_ne_u32_e64 s[14:15], 1, v23
	s_andn2_b64 vcc, exec, s[38:39]
	s_cbranch_vccnz .LBB264_48
; %bb.46:                               ;   in Loop: Header=BB264_16 Depth=1
	s_mov_b64 s[54:55], 0
	v_mov_b64_e32 v[26:27], v[14:15]
.LBB264_47:                             ;   Parent Loop BB264_16 Depth=1
                                        ; =>  This Inner Loop Header: Depth=2
	flat_load_dwordx2 v[28:29], v[26:27]
	s_cmp_eq_u32 s54, 3
	s_cselect_b64 vcc, -1, 0
	s_cmp_eq_u32 s54, 2
	s_cselect_b64 s[16:17], -1, 0
	s_cmp_eq_u32 s54, 1
	s_cselect_b64 s[18:19], -1, 0
	;; [unrolled: 2-line block ×3, first 2 shown]
	s_add_u32 s54, s54, 1
	s_addc_u32 s55, s55, 0
	v_lshl_add_u64 v[26:27], v[26:27], 0, s[40:41]
	s_cmp_eq_u32 s27, s54
	s_waitcnt vmcnt(0) lgkmcnt(0)
	v_cndmask_b32_e32 v9, v9, v29, vcc
	v_cndmask_b32_e32 v8, v8, v28, vcc
	v_cndmask_b32_e64 v7, v7, v29, s[16:17]
	v_cndmask_b32_e64 v6, v6, v28, s[16:17]
	;; [unrolled: 1-line block ×6, first 2 shown]
	s_cbranch_scc0 .LBB264_47
.LBB264_48:                             ;   in Loop: Header=BB264_16 Depth=1
	v_mov_b64_e32 v[26:27], 0
	s_and_b64 vcc, exec, s[14:15]
	v_mov_b64_e32 v[28:29], v[26:27]
	v_mov_b64_e32 v[32:33], v[26:27]
	;; [unrolled: 1-line block ×3, first 2 shown]
	s_cbranch_vccnz .LBB264_51
; %bb.49:                               ;   in Loop: Header=BB264_16 Depth=1
	v_mov_b64_e32 v[30:31], 0
	s_mov_b64 s[16:17], 0
	v_mov_b64_e32 v[34:35], v[24:25]
	v_mov_b64_e32 v[32:33], v[30:31]
	;; [unrolled: 1-line block ×4, first 2 shown]
.LBB264_50:                             ;   Parent Loop BB264_16 Depth=1
                                        ; =>  This Inner Loop Header: Depth=2
	v_lshl_add_u64 v[54:55], v[34:35], 0, s[48:49]
	v_lshl_add_u64 v[56:57], v[34:35], 0, s[46:47]
	;; [unrolled: 1-line block ×3, first 2 shown]
	flat_load_dwordx2 v[52:53], v[34:35]
	s_nop 0
	flat_load_dwordx2 v[54:55], v[54:55]
	s_nop 0
	flat_load_dwordx2 v[56:57], v[56:57]
	s_nop 0
	flat_load_dwordx2 v[58:59], v[58:59]
	s_cmp_eq_u32 s16, 1
	s_cselect_b64 vcc, -1, 0
	s_cmp_eq_u32 s16, 2
	v_cndmask_b32_e32 v23, v3, v5, vcc
	s_cselect_b64 s[14:15], -1, 0
	s_cmp_eq_u32 s16, 3
	v_cndmask_b32_e64 v23, v23, v7, s[14:15]
	v_cndmask_b32_e32 v51, v2, v4, vcc
	s_cselect_b64 vcc, -1, 0
	v_cndmask_b32_e32 v61, v23, v9, vcc
	v_cndmask_b32_e64 v23, v51, v6, s[14:15]
	s_add_u32 s16, s16, 1
	v_cndmask_b32_e32 v60, v23, v8, vcc
	s_addc_u32 s17, s17, 0
	v_lshl_add_u64 v[34:35], v[34:35], 0, 8
	s_cmp_lg_u32 s27, s16
	s_waitcnt vmcnt(0) lgkmcnt(0)
	v_fmac_f64_e32 v[32:33], v[60:61], v[54:55]
	v_fmac_f64_e32 v[30:31], v[60:61], v[52:53]
	;; [unrolled: 1-line block ×4, first 2 shown]
	s_cbranch_scc1 .LBB264_50
.LBB264_51:                             ;   in Loop: Header=BB264_16 Depth=1
	s_or_b64 exec, exec, s[52:53]
	s_or_b64 exec, exec, s[50:51]
	s_and_saveexec_b64 s[14:15], s[0:1]
	s_cbranch_execnz .LBB264_19
	s_branch .LBB264_20
.LBB264_52:                             ;   in Loop: Header=BB264_16 Depth=1
	ds_read_b64 v[30:31], v49
	s_or_b64 exec, exec, s[14:15]
	s_and_saveexec_b64 s[14:15], s[0:1]
	s_cbranch_execz .LBB264_24
.LBB264_53:                             ;   in Loop: Header=BB264_16 Depth=1
	s_waitcnt lgkmcnt(0)
	ds_bpermute_b32 v34, v47, v30
	ds_bpermute_b32 v35, v47, v31
	s_waitcnt lgkmcnt(0)
	v_add_f64 v[30:31], v[30:31], v[34:35]
	ds_bpermute_b32 v34, v48, v30
	ds_bpermute_b32 v35, v48, v31
	s_waitcnt lgkmcnt(0)
	v_add_f64 v[30:31], v[30:31], v[34:35]
	s_or_b64 exec, exec, s[14:15]
	s_and_saveexec_b64 s[14:15], s[0:1]
	s_cbranch_execnz .LBB264_25
	s_branch .LBB264_26
.LBB264_54:                             ;   in Loop: Header=BB264_16 Depth=1
	ds_read_b64 v[32:33], v49
	s_or_b64 exec, exec, s[14:15]
	s_and_saveexec_b64 s[14:15], s[0:1]
	s_cbranch_execz .LBB264_30
.LBB264_55:                             ;   in Loop: Header=BB264_16 Depth=1
	s_waitcnt lgkmcnt(0)
	ds_bpermute_b32 v34, v47, v32
	ds_bpermute_b32 v35, v47, v33
	s_waitcnt lgkmcnt(0)
	v_add_f64 v[32:33], v[32:33], v[34:35]
	ds_bpermute_b32 v34, v48, v32
	ds_bpermute_b32 v35, v48, v33
	s_waitcnt lgkmcnt(0)
	v_add_f64 v[32:33], v[32:33], v[34:35]
	s_or_b64 exec, exec, s[14:15]
	s_and_saveexec_b64 s[14:15], s[0:1]
	s_cbranch_execnz .LBB264_31
	s_branch .LBB264_32
.LBB264_56:                             ;   in Loop: Header=BB264_16 Depth=1
	ds_read_b64 v[28:29], v49
	s_or_b64 exec, exec, s[14:15]
	s_and_saveexec_b64 s[14:15], s[0:1]
	s_cbranch_execz .LBB264_36
.LBB264_57:                             ;   in Loop: Header=BB264_16 Depth=1
	s_waitcnt lgkmcnt(0)
	ds_bpermute_b32 v34, v47, v28
	ds_bpermute_b32 v35, v47, v29
	s_waitcnt lgkmcnt(0)
	v_add_f64 v[28:29], v[28:29], v[34:35]
	ds_bpermute_b32 v34, v48, v28
	ds_bpermute_b32 v35, v48, v29
	s_waitcnt lgkmcnt(0)
	v_add_f64 v[28:29], v[28:29], v[34:35]
	s_or_b64 exec, exec, s[14:15]
	s_and_saveexec_b64 s[14:15], s[0:1]
	s_cbranch_execnz .LBB264_37
	s_branch .LBB264_38
.LBB264_58:                             ;   in Loop: Header=BB264_16 Depth=1
	ds_read_b64 v[26:27], v49
	s_or_b64 exec, exec, s[14:15]
	s_and_saveexec_b64 s[14:15], s[0:1]
	s_cbranch_execz .LBB264_42
.LBB264_59:                             ;   in Loop: Header=BB264_16 Depth=1
	s_waitcnt lgkmcnt(0)
	ds_bpermute_b32 v34, v47, v26
	ds_bpermute_b32 v35, v47, v27
	s_waitcnt lgkmcnt(0)
	v_add_f64 v[26:27], v[26:27], v[34:35]
	ds_bpermute_b32 v34, v48, v26
	ds_bpermute_b32 v35, v48, v27
	s_waitcnt lgkmcnt(0)
	v_add_f64 v[26:27], v[26:27], v[34:35]
	s_or_b64 exec, exec, s[14:15]
	s_and_saveexec_b64 s[14:15], s[6:7]
	s_cbranch_execz .LBB264_15
.LBB264_60:                             ;   in Loop: Header=BB264_16 Depth=1
	s_mul_hi_u32 s17, s3, s26
	s_mul_i32 s16, s3, s26
	s_lshl_b64 s[16:17], s[16:17], 3
	s_add_u32 s16, s58, s16
	v_mul_f64 v[30:31], v[30:31], s[22:23]
	s_addc_u32 s17, s59, s17
	global_store_dwordx2 v22, v[30:31], s[16:17]
	s_or_b32 s16, s3, 1
	s_mul_hi_u32 s17, s16, s26
	s_mul_i32 s16, s16, s26
	s_lshl_b64 s[16:17], s[16:17], 3
	s_add_u32 s16, s58, s16
	v_mul_f64 v[30:31], v[32:33], s[22:23]
	s_addc_u32 s17, s59, s17
	global_store_dwordx2 v22, v[30:31], s[16:17]
	s_or_b32 s16, s3, 2
	;; [unrolled: 8-line block ×3, first 2 shown]
	s_mul_hi_u32 s17, s16, s26
	s_mul_i32 s16, s16, s26
	s_lshl_b64 s[16:17], s[16:17], 3
	s_add_u32 s16, s58, s16
	s_waitcnt lgkmcnt(0)
	v_mul_f64 v[26:27], v[26:27], s[22:23]
	s_addc_u32 s17, s59, s17
	global_store_dwordx2 v22, v[26:27], s[16:17]
	s_branch .LBB264_15
.LBB264_61:
	s_mov_b32 s3, 0
                                        ; implicit-def: $vgpr2_vgpr3_vgpr4_vgpr5_vgpr6_vgpr7_vgpr8_vgpr9
.LBB264_62:
	s_cmp_ge_i32 s3, s25
	s_cbranch_scc1 .LBB264_86
; %bb.63:
	v_mbcnt_hi_u32_b32 v14, -1, v40
	v_and_b32_e32 v15, 63, v14
	v_cmp_gt_u32_e32 vcc, 32, v15
	s_mov_b32 s39, 0
	s_cmp_gt_i32 s27, 0
	v_cndmask_b32_e64 v16, 0, 1, vcc
	v_lshlrev_b32_e32 v16, 5, v16
	v_cmp_gt_u32_e32 vcc, 48, v15
	s_waitcnt lgkmcnt(0)
	v_add_lshl_u32 v27, v16, v14, 2
	s_mov_b32 s38, s2
	v_cndmask_b32_e64 v16, 0, 1, vcc
	v_lshlrev_b32_e32 v16, 4, v16
	v_cmp_gt_u32_e32 vcc, 56, v15
	v_add_lshl_u32 v28, v16, v14, 2
	s_cselect_b64 s[40:41], -1, 0
	v_cndmask_b32_e64 v16, 0, 1, vcc
	v_lshlrev_b32_e32 v16, 3, v16
	v_cmp_gt_u32_e32 vcc, 60, v15
	v_add_lshl_u32 v29, v16, v14, 2
	s_lshl_b64 s[14:15], s[38:39], 3
	v_cndmask_b32_e64 v16, 0, 1, vcc
	v_lshlrev_b32_e32 v16, 2, v16
	v_cmp_gt_u32_e32 vcc, 62, v15
	v_add_lshl_u32 v30, v16, v14, 2
	s_add_u32 s2, s33, s14
	v_cndmask_b32_e64 v16, 0, 1, vcc
	v_lshlrev_b32_e32 v16, 1, v16
	v_cmp_ne_u32_e32 vcc, 63, v15
	v_add_lshl_u32 v31, v16, v14, 2
	v_cmp_ge_i32_e64 s[0:1], s24, v41
	v_addc_co_u32_e32 v14, vcc, 0, v14, vcc
	v_cmp_ge_i32_e64 s[4:5], s24, v42
	v_cmp_gt_u32_e64 s[6:7], 64, v0
	v_lshlrev_b32_e32 v26, 3, v1
	v_lshlrev_b32_e32 v32, 2, v14
	v_cmp_eq_u32_e64 s[8:9], 0, v1
	v_cmp_gt_u32_e64 s[10:11], 4, v0
	v_cmp_eq_u32_e64 s[12:13], 0, v0
	s_addc_u32 s24, s56, s15
	v_mad_i64_i32 v[0:1], s[14:15], s36, v12, 0
	v_mad_i64_i32 v[14:15], s[14:15], s36, v38, 0
	;; [unrolled: 1-line block ×4, first 2 shown]
	s_mul_i32 s14, s29, s3
	s_mul_hi_u32 s15, s28, s3
	s_add_i32 s15, s15, s14
	s_mul_i32 s14, s28, s3
	v_lshl_add_u64 v[0:1], v[0:1], 3, s[34:35]
	v_lshl_add_u64 v[14:15], v[14:15], 3, s[34:35]
	;; [unrolled: 1-line block ×4, first 2 shown]
	s_lshl_b64 s[34:35], s[36:37], 3
	s_lshl_b64 s[14:15], s[14:15], 3
	s_add_u32 s14, s30, s14
	s_addc_u32 s15, s31, s15
	v_and_b32_e32 v33, 24, v39
	v_lshl_add_u64 v[12:13], v[12:13], 3, s[14:15]
	s_lshl_b64 s[30:31], s[28:29], 3
	v_mov_b32_e32 v20, 0
	s_branch .LBB264_65
.LBB264_64:                             ;   in Loop: Header=BB264_65 Depth=1
	s_or_b64 exec, exec, s[14:15]
	s_add_i32 s3, s3, 1
	s_cmp_ge_i32 s3, s25
	v_lshl_add_u64 v[12:13], v[12:13], 0, s[30:31]
	s_cbranch_scc1 .LBB264_86
.LBB264_65:                             ; =>This Loop Header: Depth=1
                                        ;     Child Loop BB264_78 Depth 2
                                        ;     Child Loop BB264_81 Depth 2
	s_waitcnt lgkmcnt(0)
	v_mov_b32_e32 v22, s39
	v_mov_b32_e32 v23, s39
	s_and_saveexec_b64 s[14:15], s[0:1]
	s_xor_b64 s[14:15], exec, s[14:15]
	s_cbranch_execnz .LBB264_74
; %bb.66:                               ;   in Loop: Header=BB264_65 Depth=1
	s_andn2_saveexec_b64 s[36:37], s[14:15]
	s_cbranch_execnz .LBB264_75
.LBB264_67:                             ;   in Loop: Header=BB264_65 Depth=1
	s_or_b64 exec, exec, s[36:37]
	s_and_saveexec_b64 s[14:15], s[6:7]
	s_cbranch_execz .LBB264_69
.LBB264_68:                             ;   in Loop: Header=BB264_65 Depth=1
	v_mov_b32_e32 v21, v20
	ds_write_b64 v26, v[20:21]
.LBB264_69:                             ;   in Loop: Header=BB264_65 Depth=1
	s_or_b64 exec, exec, s[14:15]
	ds_bpermute_b32 v24, v27, v22
	ds_bpermute_b32 v25, v27, v23
	s_waitcnt lgkmcnt(0)
	s_barrier
	v_add_f64 v[22:23], v[22:23], v[24:25]
	ds_bpermute_b32 v24, v28, v22
	ds_bpermute_b32 v25, v28, v23
	s_waitcnt lgkmcnt(0)
	v_add_f64 v[22:23], v[22:23], v[24:25]
	ds_bpermute_b32 v24, v29, v22
	ds_bpermute_b32 v25, v29, v23
	s_waitcnt lgkmcnt(0)
	;; [unrolled: 4-line block ×4, first 2 shown]
	v_add_f64 v[22:23], v[22:23], v[24:25]
	ds_bpermute_b32 v24, v32, v22
	ds_bpermute_b32 v25, v32, v23
	s_and_saveexec_b64 s[14:15], s[8:9]
	s_cbranch_execz .LBB264_71
; %bb.70:                               ;   in Loop: Header=BB264_65 Depth=1
	s_waitcnt lgkmcnt(0)
	v_add_f64 v[22:23], v[22:23], v[24:25]
	ds_write_b64 v33, v[22:23]
.LBB264_71:                             ;   in Loop: Header=BB264_65 Depth=1
	s_or_b64 exec, exec, s[14:15]
	v_mov_b64_e32 v[22:23], 0
	s_waitcnt lgkmcnt(0)
	s_barrier
	s_and_saveexec_b64 s[14:15], s[10:11]
	s_cbranch_execnz .LBB264_83
; %bb.72:                               ;   in Loop: Header=BB264_65 Depth=1
	s_or_b64 exec, exec, s[14:15]
	s_and_saveexec_b64 s[14:15], s[6:7]
	s_cbranch_execnz .LBB264_84
.LBB264_73:                             ;   in Loop: Header=BB264_65 Depth=1
	s_or_b64 exec, exec, s[14:15]
	s_and_saveexec_b64 s[14:15], s[12:13]
	s_cbranch_execz .LBB264_64
	s_branch .LBB264_85
.LBB264_74:                             ;   in Loop: Header=BB264_65 Depth=1
	flat_load_dwordx2 v[2:3], v[0:1]
	s_mul_i32 s16, s3, s29
	s_mul_hi_u32 s17, s3, s28
	s_add_i32 s17, s17, s16
	s_mul_i32 s16, s3, s28
	v_lshl_add_u64 v[38:39], s[16:17], 3, v[10:11]
	flat_load_dwordx4 v[22:25], v[38:39]
	flat_load_dwordx2 v[4:5], v[14:15]
	flat_load_dwordx2 v[6:7], v[16:17]
	flat_load_dwordx4 v[34:37], v[38:39] offset:16
	flat_load_dwordx2 v[8:9], v[18:19]
	s_waitcnt vmcnt(0) lgkmcnt(0)
	v_fma_f64 v[22:23], v[2:3], v[22:23], 0
	v_fmac_f64_e32 v[22:23], v[4:5], v[24:25]
	v_fmac_f64_e32 v[22:23], v[6:7], v[34:35]
	;; [unrolled: 1-line block ×3, first 2 shown]
	s_andn2_saveexec_b64 s[36:37], s[14:15]
	s_cbranch_execz .LBB264_67
.LBB264_75:                             ;   in Loop: Header=BB264_65 Depth=1
	s_and_saveexec_b64 s[42:43], s[4:5]
	s_cbranch_execz .LBB264_82
; %bb.76:                               ;   in Loop: Header=BB264_65 Depth=1
	v_cndmask_b32_e64 v21, 0, 1, s[40:41]
	v_cmp_ne_u32_e64 s[14:15], 1, v21
	s_andn2_b64 vcc, exec, s[40:41]
	s_cbranch_vccnz .LBB264_79
; %bb.77:                               ;   in Loop: Header=BB264_65 Depth=1
	s_mov_b64 s[44:45], 0
	v_mov_b64_e32 v[24:25], v[0:1]
.LBB264_78:                             ;   Parent Loop BB264_65 Depth=1
                                        ; =>  This Inner Loop Header: Depth=2
	flat_load_dwordx2 v[34:35], v[24:25]
	s_cmp_eq_u32 s44, 3
	s_cselect_b64 vcc, -1, 0
	s_cmp_eq_u32 s44, 2
	s_cselect_b64 s[16:17], -1, 0
	s_cmp_eq_u32 s44, 1
	s_cselect_b64 s[18:19], -1, 0
	s_cmp_eq_u32 s44, 0
	s_cselect_b64 s[20:21], -1, 0
	s_add_u32 s44, s44, 1
	s_addc_u32 s45, s45, 0
	v_lshl_add_u64 v[24:25], v[24:25], 0, s[34:35]
	s_cmp_eq_u32 s27, s44
	s_waitcnt vmcnt(0) lgkmcnt(0)
	v_cndmask_b32_e32 v9, v9, v35, vcc
	v_cndmask_b32_e32 v8, v8, v34, vcc
	v_cndmask_b32_e64 v7, v7, v35, s[16:17]
	v_cndmask_b32_e64 v6, v6, v34, s[16:17]
	;; [unrolled: 1-line block ×6, first 2 shown]
	s_cbranch_scc0 .LBB264_78
.LBB264_79:                             ;   in Loop: Header=BB264_65 Depth=1
	s_and_b64 vcc, exec, s[14:15]
	s_cbranch_vccnz .LBB264_82
; %bb.80:                               ;   in Loop: Header=BB264_65 Depth=1
	s_mov_b64 s[16:17], 0
	v_mov_b64_e32 v[24:25], v[12:13]
.LBB264_81:                             ;   Parent Loop BB264_65 Depth=1
                                        ; =>  This Inner Loop Header: Depth=2
	flat_load_dwordx2 v[34:35], v[24:25]
	s_cmp_eq_u32 s16, 1
	s_cselect_b64 vcc, -1, 0
	s_cmp_eq_u32 s16, 2
	v_cndmask_b32_e32 v21, v3, v5, vcc
	s_cselect_b64 s[14:15], -1, 0
	s_cmp_eq_u32 s16, 3
	v_cndmask_b32_e64 v21, v21, v7, s[14:15]
	v_cndmask_b32_e32 v36, v2, v4, vcc
	s_cselect_b64 vcc, -1, 0
	v_cndmask_b32_e32 v37, v21, v9, vcc
	v_cndmask_b32_e64 v21, v36, v6, s[14:15]
	s_add_u32 s16, s16, 1
	v_cndmask_b32_e32 v36, v21, v8, vcc
	s_addc_u32 s17, s17, 0
	v_lshl_add_u64 v[24:25], v[24:25], 0, 8
	s_cmp_lg_u32 s27, s16
	s_waitcnt vmcnt(0) lgkmcnt(0)
	v_fmac_f64_e32 v[22:23], v[36:37], v[34:35]
	s_cbranch_scc1 .LBB264_81
.LBB264_82:                             ;   in Loop: Header=BB264_65 Depth=1
	s_or_b64 exec, exec, s[42:43]
	s_or_b64 exec, exec, s[36:37]
	s_and_saveexec_b64 s[14:15], s[6:7]
	s_cbranch_execnz .LBB264_68
	s_branch .LBB264_69
.LBB264_83:                             ;   in Loop: Header=BB264_65 Depth=1
	ds_read_b64 v[22:23], v26
	s_or_b64 exec, exec, s[14:15]
	s_and_saveexec_b64 s[14:15], s[6:7]
	s_cbranch_execz .LBB264_73
.LBB264_84:                             ;   in Loop: Header=BB264_65 Depth=1
	s_waitcnt lgkmcnt(0)
	ds_bpermute_b32 v24, v31, v22
	ds_bpermute_b32 v25, v31, v23
	s_waitcnt lgkmcnt(0)
	v_add_f64 v[22:23], v[22:23], v[24:25]
	ds_bpermute_b32 v24, v32, v22
	ds_bpermute_b32 v25, v32, v23
	s_waitcnt lgkmcnt(0)
	v_add_f64 v[22:23], v[22:23], v[24:25]
	s_or_b64 exec, exec, s[14:15]
	s_and_saveexec_b64 s[14:15], s[12:13]
	s_cbranch_execz .LBB264_64
.LBB264_85:                             ;   in Loop: Header=BB264_65 Depth=1
	s_mul_hi_u32 s17, s3, s26
	s_mul_i32 s16, s3, s26
	s_lshl_b64 s[16:17], s[16:17], 3
	s_add_u32 s16, s2, s16
	s_waitcnt lgkmcnt(0)
	v_mul_f64 v[22:23], v[22:23], s[22:23]
	s_addc_u32 s17, s24, s17
	global_store_dwordx2 v20, v[22:23], s[16:17]
	s_branch .LBB264_64
.LBB264_86:
	s_endpgm
	.section	.rodata,"a",@progbits
	.p2align	6, 0x0
	.amdhsa_kernel _ZL23rocblas_gemvt_sn_kernelILb0ELi256ELi4ElPKdddEviiT4_lPKT3_lilS5_lilPT5_i
		.amdhsa_group_segment_fixed_size 512
		.amdhsa_private_segment_fixed_size 0
		.amdhsa_kernarg_size 360
		.amdhsa_user_sgpr_count 2
		.amdhsa_user_sgpr_dispatch_ptr 0
		.amdhsa_user_sgpr_queue_ptr 0
		.amdhsa_user_sgpr_kernarg_segment_ptr 1
		.amdhsa_user_sgpr_dispatch_id 0
		.amdhsa_user_sgpr_kernarg_preload_length 0
		.amdhsa_user_sgpr_kernarg_preload_offset 0
		.amdhsa_user_sgpr_private_segment_size 0
		.amdhsa_uses_dynamic_stack 0
		.amdhsa_enable_private_segment 0
		.amdhsa_system_sgpr_workgroup_id_x 1
		.amdhsa_system_sgpr_workgroup_id_y 0
		.amdhsa_system_sgpr_workgroup_id_z 1
		.amdhsa_system_sgpr_workgroup_info 0
		.amdhsa_system_vgpr_workitem_id 0
		.amdhsa_next_free_vgpr 82
		.amdhsa_next_free_sgpr 60
		.amdhsa_accum_offset 84
		.amdhsa_reserve_vcc 1
		.amdhsa_float_round_mode_32 0
		.amdhsa_float_round_mode_16_64 0
		.amdhsa_float_denorm_mode_32 3
		.amdhsa_float_denorm_mode_16_64 3
		.amdhsa_dx10_clamp 1
		.amdhsa_ieee_mode 1
		.amdhsa_fp16_overflow 0
		.amdhsa_tg_split 0
		.amdhsa_exception_fp_ieee_invalid_op 0
		.amdhsa_exception_fp_denorm_src 0
		.amdhsa_exception_fp_ieee_div_zero 0
		.amdhsa_exception_fp_ieee_overflow 0
		.amdhsa_exception_fp_ieee_underflow 0
		.amdhsa_exception_fp_ieee_inexact 0
		.amdhsa_exception_int_div_zero 0
	.end_amdhsa_kernel
	.section	.text._ZL23rocblas_gemvt_sn_kernelILb0ELi256ELi4ElPKdddEviiT4_lPKT3_lilS5_lilPT5_i,"axG",@progbits,_ZL23rocblas_gemvt_sn_kernelILb0ELi256ELi4ElPKdddEviiT4_lPKT3_lilS5_lilPT5_i,comdat
.Lfunc_end264:
	.size	_ZL23rocblas_gemvt_sn_kernelILb0ELi256ELi4ElPKdddEviiT4_lPKT3_lilS5_lilPT5_i, .Lfunc_end264-_ZL23rocblas_gemvt_sn_kernelILb0ELi256ELi4ElPKdddEviiT4_lPKT3_lilS5_lilPT5_i
                                        ; -- End function
	.section	.AMDGPU.csdata,"",@progbits
; Kernel info:
; codeLenInByte = 4388
; NumSgprs: 66
; NumVgprs: 82
; NumAgprs: 0
; TotalNumVgprs: 82
; ScratchSize: 0
; MemoryBound: 1
; FloatMode: 240
; IeeeMode: 1
; LDSByteSize: 512 bytes/workgroup (compile time only)
; SGPRBlocks: 8
; VGPRBlocks: 10
; NumSGPRsForWavesPerEU: 66
; NumVGPRsForWavesPerEU: 82
; AccumOffset: 84
; Occupancy: 5
; WaveLimiterHint : 0
; COMPUTE_PGM_RSRC2:SCRATCH_EN: 0
; COMPUTE_PGM_RSRC2:USER_SGPR: 2
; COMPUTE_PGM_RSRC2:TRAP_HANDLER: 0
; COMPUTE_PGM_RSRC2:TGID_X_EN: 1
; COMPUTE_PGM_RSRC2:TGID_Y_EN: 0
; COMPUTE_PGM_RSRC2:TGID_Z_EN: 1
; COMPUTE_PGM_RSRC2:TIDIG_COMP_CNT: 0
; COMPUTE_PGM_RSRC3_GFX90A:ACCUM_OFFSET: 20
; COMPUTE_PGM_RSRC3_GFX90A:TG_SPLIT: 0
	.section	.text._ZL23rocblas_gemvt_sn_reduceILi256ELi8EddKPdEviT2_lPT3_lilPT1_i,"axG",@progbits,_ZL23rocblas_gemvt_sn_reduceILi256ELi8EddKPdEviT2_lPT3_lilPT1_i,comdat
	.globl	_ZL23rocblas_gemvt_sn_reduceILi256ELi8EddKPdEviT2_lPT3_lilPT1_i ; -- Begin function _ZL23rocblas_gemvt_sn_reduceILi256ELi8EddKPdEviT2_lPT3_lilPT1_i
	.p2align	8
	.type	_ZL23rocblas_gemvt_sn_reduceILi256ELi8EddKPdEviT2_lPT3_lilPT1_i,@function
_ZL23rocblas_gemvt_sn_reduceILi256ELi8EddKPdEviT2_lPT3_lilPT1_i: ; @_ZL23rocblas_gemvt_sn_reduceILi256ELi8EddKPdEviT2_lPT3_lilPT1_i
; %bb.0:
	s_load_dword s2, s[0:1], 0x0
	s_load_dwordx4 s[8:11], s[0:1], 0x18
	s_mov_b32 s5, 0
	s_lshl_b64 s[6:7], s[4:5], 3
	v_lshlrev_b32_e32 v1, 3, v0
	s_waitcnt lgkmcnt(0)
	s_ashr_i32 s14, s2, 31
	s_add_u32 s6, s8, s6
	s_load_dwordx2 s[12:13], s[0:1], 0x38
	s_load_dword s8, s[0:1], 0x4c
	s_addc_u32 s7, s9, s7
	s_add_u32 s16, s0, 0x48
	s_addc_u32 s17, s1, 0
	s_load_dwordx2 s[6:7], s[6:7], 0x0
	s_waitcnt lgkmcnt(0)
	s_mul_i32 s4, s8, s4
	s_add_i32 s4, s4, s3
	s_mul_i32 s8, s4, s14
	s_mul_hi_u32 s9, s4, s2
	s_add_i32 s9, s9, s8
	s_mul_i32 s8, s4, s2
	s_lshr_b32 s4, s14, 29
	s_add_i32 s4, s2, s4
	s_and_b32 s18, s4, -8
	v_cmp_gt_i32_e32 vcc, s18, v1
	v_mov_b64_e32 v[2:3], 0
	s_and_saveexec_b64 s[14:15], vcc
	s_cbranch_execz .LBB265_4
; %bb.1:
	s_load_dword s4, s[16:17], 0xc
	s_lshl_b64 s[16:17], s[8:9], 3
	v_lshlrev_b32_e32 v2, 6, v0
	v_mov_b32_e32 v3, 0
	s_waitcnt lgkmcnt(0)
	s_and_b32 s4, s4, 0xffff
	s_lshl_b32 s19, s4, 3
	s_add_u32 s16, s12, s16
	s_addc_u32 s17, s13, s17
	v_lshl_add_u64 v[2:3], s[16:17], 0, v[2:3]
	s_lshl_b32 s4, s4, 6
	v_lshl_add_u64 v[4:5], v[2:3], 0, 56
	s_mov_b64 s[16:17], 0
	v_mov_b64_e32 v[2:3], 0
.LBB265_2:                              ; =>This Inner Loop Header: Depth=1
	global_load_dwordx4 v[6:9], v[4:5], off offset:-56
	global_load_dwordx4 v[10:13], v[4:5], off offset:-40
	;; [unrolled: 1-line block ×4, first 2 shown]
	v_add_u32_e32 v1, s19, v1
	v_cmp_le_i32_e32 vcc, s18, v1
	v_lshl_add_u64 v[4:5], v[4:5], 0, s[4:5]
	s_or_b64 s[16:17], vcc, s[16:17]
	s_waitcnt vmcnt(3)
	v_add_f64 v[2:3], v[2:3], v[6:7]
	v_add_f64 v[2:3], v[2:3], v[8:9]
	s_waitcnt vmcnt(2)
	v_add_f64 v[2:3], v[2:3], v[10:11]
	v_add_f64 v[2:3], v[2:3], v[12:13]
	s_waitcnt vmcnt(1)
	v_add_f64 v[2:3], v[2:3], v[14:15]
	v_add_f64 v[2:3], v[2:3], v[16:17]
	s_waitcnt vmcnt(0)
	v_add_f64 v[2:3], v[2:3], v[18:19]
	v_add_f64 v[2:3], v[2:3], v[20:21]
	s_andn2_b64 exec, exec, s[16:17]
	s_cbranch_execnz .LBB265_2
; %bb.3:
	s_or_b64 exec, exec, s[16:17]
.LBB265_4:
	s_or_b64 exec, exec, s[14:15]
	s_sub_i32 s4, s2, s18
	v_cmp_gt_u32_e32 vcc, s4, v0
	s_and_saveexec_b64 s[4:5], vcc
	s_cbranch_execz .LBB265_6
; %bb.5:
	s_lshl_b64 s[8:9], s[8:9], 3
	s_add_u32 s8, s12, s8
	s_addc_u32 s9, s13, s9
	v_xad_u32 v4, v0, -1, s2
	v_mov_b32_e32 v5, 0
	v_lshl_add_u64 v[4:5], v[4:5], 3, s[8:9]
	global_load_dwordx2 v[4:5], v[4:5], off
	s_waitcnt vmcnt(0)
	v_add_f64 v[2:3], v[2:3], v[4:5]
.LBB265_6:
	s_or_b64 exec, exec, s[4:5]
	v_and_b32_e32 v6, 63, v0
	v_cmp_gt_u32_e32 vcc, 64, v0
	v_lshlrev_b32_e32 v1, 3, v6
	s_and_saveexec_b64 s[4:5], vcc
	s_cbranch_execz .LBB265_8
; %bb.7:
	v_mov_b32_e32 v4, 0
	v_mov_b32_e32 v5, v4
	ds_write_b64 v1, v[4:5]
.LBB265_8:
	s_or_b64 exec, exec, s[4:5]
	v_mbcnt_lo_u32_b32 v4, -1, 0
	v_mbcnt_hi_u32_b32 v8, -1, v4
	v_and_b32_e32 v9, 63, v8
	v_cmp_gt_u32_e64 s[4:5], 32, v9
	s_waitcnt lgkmcnt(0)
	s_barrier
	v_cndmask_b32_e64 v4, 0, 1, s[4:5]
	v_lshlrev_b32_e32 v4, 5, v4
	v_add_lshl_u32 v5, v4, v8, 2
	ds_bpermute_b32 v4, v5, v2
	ds_bpermute_b32 v5, v5, v3
	v_cmp_gt_u32_e64 s[4:5], 48, v9
	s_waitcnt lgkmcnt(0)
	v_add_f64 v[2:3], v[2:3], v[4:5]
	v_cndmask_b32_e64 v7, 0, 1, s[4:5]
	v_lshlrev_b32_e32 v4, 4, v7
	v_add_lshl_u32 v5, v4, v8, 2
	ds_bpermute_b32 v4, v5, v2
	ds_bpermute_b32 v5, v5, v3
	v_cmp_gt_u32_e64 s[4:5], 56, v9
	s_waitcnt lgkmcnt(0)
	v_add_f64 v[2:3], v[2:3], v[4:5]
	;; [unrolled: 8-line block ×4, first 2 shown]
	v_cndmask_b32_e64 v4, 0, 1, s[4:5]
	v_lshlrev_b32_e32 v4, 1, v4
	v_add_lshl_u32 v7, v4, v8, 2
	ds_bpermute_b32 v4, v7, v2
	ds_bpermute_b32 v5, v7, v3
	v_cmp_ne_u32_e64 s[4:5], 63, v9
	s_waitcnt lgkmcnt(0)
	v_add_f64 v[2:3], v[2:3], v[4:5]
	v_addc_co_u32_e64 v4, s[4:5], 0, v8, s[4:5]
	v_lshlrev_b32_e32 v8, 2, v4
	ds_bpermute_b32 v4, v8, v2
	ds_bpermute_b32 v5, v8, v3
	v_cmp_eq_u32_e64 s[4:5], 0, v6
	s_and_saveexec_b64 s[8:9], s[4:5]
	s_cbranch_execz .LBB265_10
; %bb.9:
	v_lshrrev_b32_e32 v6, 3, v0
	v_and_b32_e32 v6, 24, v6
	s_waitcnt lgkmcnt(0)
	v_add_f64 v[2:3], v[2:3], v[4:5]
	ds_write_b64 v6, v[2:3]
.LBB265_10:
	s_or_b64 exec, exec, s[8:9]
	v_cmp_gt_u32_e64 s[4:5], 4, v0
	v_mov_b64_e32 v[2:3], 0
	s_waitcnt lgkmcnt(0)
	s_barrier
	s_and_saveexec_b64 s[8:9], s[4:5]
	s_cbranch_execnz .LBB265_14
; %bb.11:
	s_or_b64 exec, exec, s[8:9]
	s_and_saveexec_b64 s[4:5], vcc
	s_cbranch_execnz .LBB265_15
.LBB265_12:
	s_or_b64 exec, exec, s[4:5]
	v_cmp_eq_u32_e32 vcc, 0, v0
	s_and_saveexec_b64 s[4:5], vcc
	s_cbranch_execnz .LBB265_16
.LBB265_13:
	s_endpgm
.LBB265_14:
	ds_read_b64 v[2:3], v1
	s_or_b64 exec, exec, s[8:9]
	s_and_saveexec_b64 s[4:5], vcc
	s_cbranch_execz .LBB265_12
.LBB265_15:
	s_waitcnt lgkmcnt(0)
	ds_bpermute_b32 v4, v7, v2
	ds_bpermute_b32 v5, v7, v3
	s_waitcnt lgkmcnt(0)
	v_add_f64 v[2:3], v[2:3], v[4:5]
	ds_bpermute_b32 v4, v8, v2
	ds_bpermute_b32 v5, v8, v3
	s_waitcnt lgkmcnt(0)
	v_add_f64 v[2:3], v[2:3], v[4:5]
	s_or_b64 exec, exec, s[4:5]
	v_cmp_eq_u32_e32 vcc, 0, v0
	s_and_saveexec_b64 s[4:5], vcc
	s_cbranch_execz .LBB265_13
.LBB265_16:
	s_load_dword s12, s[0:1], 0x28
	s_load_dwordx2 s[4:5], s[0:1], 0x8
	s_lshl_b64 s[0:1], s[10:11], 3
	s_waitcnt lgkmcnt(0)
	s_ashr_i32 s10, s12, 31
	v_cmp_eq_f64_e64 s[8:9], s[4:5], 0
	s_mul_hi_u32 s11, s12, s3
	s_add_u32 s2, s6, s0
	s_mul_i32 s10, s10, s3
	s_addc_u32 s6, s7, s1
	s_add_i32 s1, s11, s10
	s_mul_i32 s0, s12, s3
	s_and_b64 vcc, exec, s[8:9]
	s_cbranch_vccnz .LBB265_18
; %bb.17:
	s_lshl_b64 s[8:9], s[0:1], 3
	s_add_u32 s8, s2, s8
	s_addc_u32 s9, s6, s9
	s_load_dwordx2 s[8:9], s[8:9], 0x0
	v_mov_b64_e32 v[0:1], s[4:5]
	s_waitcnt lgkmcnt(0)
	v_fmac_f64_e32 v[2:3], s[8:9], v[0:1]
.LBB265_18:
	s_lshl_b64 s[0:1], s[0:1], 3
	s_add_u32 s0, s2, s0
	s_addc_u32 s1, s6, s1
	v_mov_b32_e32 v0, 0
	global_store_dwordx2 v0, v[2:3], s[0:1]
	s_endpgm
	.section	.rodata,"a",@progbits
	.p2align	6, 0x0
	.amdhsa_kernel _ZL23rocblas_gemvt_sn_reduceILi256ELi8EddKPdEviT2_lPT3_lilPT1_i
		.amdhsa_group_segment_fixed_size 512
		.amdhsa_private_segment_fixed_size 0
		.amdhsa_kernarg_size 328
		.amdhsa_user_sgpr_count 2
		.amdhsa_user_sgpr_dispatch_ptr 0
		.amdhsa_user_sgpr_queue_ptr 0
		.amdhsa_user_sgpr_kernarg_segment_ptr 1
		.amdhsa_user_sgpr_dispatch_id 0
		.amdhsa_user_sgpr_kernarg_preload_length 0
		.amdhsa_user_sgpr_kernarg_preload_offset 0
		.amdhsa_user_sgpr_private_segment_size 0
		.amdhsa_uses_dynamic_stack 0
		.amdhsa_enable_private_segment 0
		.amdhsa_system_sgpr_workgroup_id_x 1
		.amdhsa_system_sgpr_workgroup_id_y 1
		.amdhsa_system_sgpr_workgroup_id_z 1
		.amdhsa_system_sgpr_workgroup_info 0
		.amdhsa_system_vgpr_workitem_id 0
		.amdhsa_next_free_vgpr 22
		.amdhsa_next_free_sgpr 20
		.amdhsa_accum_offset 24
		.amdhsa_reserve_vcc 1
		.amdhsa_float_round_mode_32 0
		.amdhsa_float_round_mode_16_64 0
		.amdhsa_float_denorm_mode_32 3
		.amdhsa_float_denorm_mode_16_64 3
		.amdhsa_dx10_clamp 1
		.amdhsa_ieee_mode 1
		.amdhsa_fp16_overflow 0
		.amdhsa_tg_split 0
		.amdhsa_exception_fp_ieee_invalid_op 0
		.amdhsa_exception_fp_denorm_src 0
		.amdhsa_exception_fp_ieee_div_zero 0
		.amdhsa_exception_fp_ieee_overflow 0
		.amdhsa_exception_fp_ieee_underflow 0
		.amdhsa_exception_fp_ieee_inexact 0
		.amdhsa_exception_int_div_zero 0
	.end_amdhsa_kernel
	.section	.text._ZL23rocblas_gemvt_sn_reduceILi256ELi8EddKPdEviT2_lPT3_lilPT1_i,"axG",@progbits,_ZL23rocblas_gemvt_sn_reduceILi256ELi8EddKPdEviT2_lPT3_lilPT1_i,comdat
.Lfunc_end265:
	.size	_ZL23rocblas_gemvt_sn_reduceILi256ELi8EddKPdEviT2_lPT3_lilPT1_i, .Lfunc_end265-_ZL23rocblas_gemvt_sn_reduceILi256ELi8EddKPdEviT2_lPT3_lilPT1_i
                                        ; -- End function
	.section	.AMDGPU.csdata,"",@progbits
; Kernel info:
; codeLenInByte = 1144
; NumSgprs: 26
; NumVgprs: 22
; NumAgprs: 0
; TotalNumVgprs: 22
; ScratchSize: 0
; MemoryBound: 1
; FloatMode: 240
; IeeeMode: 1
; LDSByteSize: 512 bytes/workgroup (compile time only)
; SGPRBlocks: 3
; VGPRBlocks: 2
; NumSGPRsForWavesPerEU: 26
; NumVGPRsForWavesPerEU: 22
; AccumOffset: 24
; Occupancy: 8
; WaveLimiterHint : 1
; COMPUTE_PGM_RSRC2:SCRATCH_EN: 0
; COMPUTE_PGM_RSRC2:USER_SGPR: 2
; COMPUTE_PGM_RSRC2:TRAP_HANDLER: 0
; COMPUTE_PGM_RSRC2:TGID_X_EN: 1
; COMPUTE_PGM_RSRC2:TGID_Y_EN: 1
; COMPUTE_PGM_RSRC2:TGID_Z_EN: 1
; COMPUTE_PGM_RSRC2:TIDIG_COMP_CNT: 0
; COMPUTE_PGM_RSRC3_GFX90A:ACCUM_OFFSET: 5
; COMPUTE_PGM_RSRC3_GFX90A:TG_SPLIT: 0
	.section	.text._ZL36rocblas_gemvt_double_buffered_kernelILb0ELi128ELi4ELi16EPKdS1_KPdEviiT4_lPKT3_lilS7_lilPT5_lili,"axG",@progbits,_ZL36rocblas_gemvt_double_buffered_kernelILb0ELi128ELi4ELi16EPKdS1_KPdEviiT4_lPKT3_lilS7_lilPT5_lili,comdat
	.globl	_ZL36rocblas_gemvt_double_buffered_kernelILb0ELi128ELi4ELi16EPKdS1_KPdEviiT4_lPKT3_lilS7_lilPT5_lili ; -- Begin function _ZL36rocblas_gemvt_double_buffered_kernelILb0ELi128ELi4ELi16EPKdS1_KPdEviiT4_lPKT3_lilS7_lilPT5_lili
	.p2align	8
	.type	_ZL36rocblas_gemvt_double_buffered_kernelILb0ELi128ELi4ELi16EPKdS1_KPdEviiT4_lPKT3_lilS7_lilPT5_lili,@function
_ZL36rocblas_gemvt_double_buffered_kernelILb0ELi128ELi4ELi16EPKdS1_KPdEviiT4_lPKT3_lilS7_lilPT5_lili: ; @_ZL36rocblas_gemvt_double_buffered_kernelILb0ELi128ELi4ELi16EPKdS1_KPdEviiT4_lPKT3_lilS7_lilPT5_lili
; %bb.0:
	s_load_dwordx8 s[8:15], s[0:1], 0x8
	s_waitcnt lgkmcnt(0)
	s_mul_i32 s5, s4, s11
	s_mul_hi_u32 s6, s4, s10
	s_add_i32 s7, s6, s5
	s_mul_i32 s6, s4, s10
	s_lshl_b64 s[6:7], s[6:7], 3
	s_add_u32 s6, s8, s6
	s_addc_u32 s7, s9, s7
	s_load_dwordx2 s[6:7], s[6:7], 0x0
	s_waitcnt lgkmcnt(0)
	v_cmp_eq_f64_e64 s[8:9], s[6:7], 0
	s_and_b64 vcc, exec, s[8:9]
	s_cbranch_vccnz .LBB266_10
; %bb.1:
	s_load_dword s5, s[0:1], 0x84
	s_load_dword s8, s[0:1], 0x0
	s_waitcnt lgkmcnt(0)
	v_cvt_f32_u32_e32 v1, s5
	s_ashr_i32 s9, s8, 31
	s_lshr_b32 s9, s9, 25
	s_sub_i32 s10, 0, s5
	v_rcp_iflag_f32_e32 v1, v1
	s_add_i32 s8, s8, s9
	s_ashr_i32 s8, s8, 7
	v_mul_f32_e32 v1, 0x4f7ffffe, v1
	v_cvt_u32_f32_e32 v1, v1
	s_nop 0
	v_readfirstlane_b32 s9, v1
	s_mul_i32 s10, s10, s9
	s_mul_hi_u32 s10, s9, s10
	s_add_i32 s9, s9, s10
	s_mul_hi_u32 s9, s8, s9
	s_mul_i32 s10, s9, s5
	s_sub_i32 s10, s8, s10
	s_add_i32 s11, s9, 1
	s_sub_i32 s16, s10, s5
	s_cmp_ge_u32 s10, s5
	s_cselect_b32 s9, s11, s9
	s_cselect_b32 s10, s16, s10
	s_add_i32 s11, s9, 1
	s_cmp_ge_u32 s10, s5
	s_cselect_b32 s25, s11, s9
	s_mul_i32 s5, s25, s5
	s_sub_i32 s24, s8, s5
	s_cmp_lt_u32 s3, s24
	s_cselect_b64 s[8:9], -1, 0
	s_cmp_lg_u64 s[8:9], 0
	s_addc_u32 s22, s25, 0
	s_cmp_eq_u32 s22, 0
	s_mov_b32 s5, 0
	s_cbranch_scc1 .LBB266_10
; %bb.2:
	s_load_dwordx4 s[8:11], s[0:1], 0x58
	s_lshl_b64 s[16:17], s[4:5], 3
	v_and_b32_e32 v172, 0x3ff, v0
	v_bfe_u32 v173, v0, 10, 10
	v_lshl_add_u32 v4, v173, 7, v172
	s_waitcnt lgkmcnt(0)
	s_add_u32 s4, s8, s16
	s_addc_u32 s5, s9, s17
	s_load_dwordx2 s[8:9], s[4:5], 0x0
	s_lshl_b32 s4, s2, 7
	v_and_b32_e32 v0, 63, v172
	s_ashr_i32 s5, s4, 31
	v_lshrrev_b32_e32 v174, 2, v4
	v_mov_b64_e32 v[70:71], 0
	v_and_b32_e32 v175, 0x7ff0, v174
	s_cmp_lt_i32 s22, 1
	v_lshlrev_b32_e32 v2, 3, v0
	v_mov_b64_e32 v[72:73], v[70:71]
	v_mov_b64_e32 v[76:77], v[70:71]
	;; [unrolled: 1-line block ×15, first 2 shown]
	s_cbranch_scc1 .LBB266_8
; %bb.3:
	s_load_dword s20, s[0:1], 0x28
	s_load_dwordx4 s[28:31], s[0:1], 0x38
	s_load_dword s18, s[0:1], 0x48
	s_mul_i32 s25, s25, s3
	v_cvt_f64_i32_e32 v[10:11], s3
	s_waitcnt lgkmcnt(0)
	s_ashr_i32 s21, s20, 31
	s_add_u32 s12, s12, s16
	s_addc_u32 s13, s13, s17
	s_load_dwordx2 s[12:13], s[12:13], 0x0
	s_add_u32 s16, s28, s16
	s_addc_u32 s17, s29, s17
	v_cvt_f64_u32_e32 v[12:13], s24
	s_load_dwordx2 s[16:17], s[16:17], 0x0
	v_cvt_f64_u32_e32 v[8:9], s25
	v_min_f64 v[10:11], v[10:11], v[12:13]
	v_add_f64 v[8:9], v[10:11], v[8:9]
	s_ashr_i32 s19, s18, 31
	s_lshl_b64 s[14:15], s[14:15], 3
	v_cvt_i32_f64_e32 v3, v[8:9]
	s_waitcnt lgkmcnt(0)
	s_add_u32 s14, s12, s14
	v_lshlrev_b32_e32 v8, 7, v3
	s_addc_u32 s15, s13, s15
	s_lshl_b64 s[12:13], s[30:31], 3
	v_ashrrev_i32_e32 v9, 31, v8
	s_add_u32 s12, s16, s12
	s_mul_hi_i32 s3, s20, s4
	s_mul_i32 s2, s20, s4
	v_lshlrev_b64 v[60:61], 3, v[8:9]
	v_mov_b32_e32 v1, 0
	s_addc_u32 s13, s17, s13
	s_lshl_b64 s[2:3], s[2:3], 3
	v_lshl_add_u64 v[68:69], s[14:15], 0, v[60:61]
	v_mad_i64_i32 v[6:7], s[26:27], s20, v175, v[0:1]
	v_lshl_add_u64 v[8:9], v[68:69], 0, s[2:3]
	v_lshl_add_u64 v[6:7], v[6:7], 3, v[8:9]
	v_mov_b32_e32 v3, 0x78
	v_mad_i64_i32 v[8:9], s[2:3], s20, v3, v[6:7]
	s_lshl_b64 s[2:3], s[20:21], 3
	s_nop 0
	v_mov_b32_e32 v3, s3
	v_subrev_co_u32_e32 v12, vcc, s2, v8
	v_lshlrev_b32_e32 v4, 1, v4
	s_nop 0
	v_subb_co_u32_e32 v13, vcc, v9, v3, vcc
	v_subrev_co_u32_e32 v14, vcc, s2, v12
	global_load_dwordx2 v[10:11], v[12:13], off
	s_nop 0
	v_subb_co_u32_e32 v15, vcc, v13, v3, vcc
	global_load_dwordx2 v[12:13], v[14:15], off
	v_subrev_co_u32_e32 v14, vcc, s2, v14
	v_and_b32_e32 v4, 0x7ff80, v4
	s_nop 0
	v_subb_co_u32_e32 v15, vcc, v15, v3, vcc
	global_load_dwordx2 v[16:17], v[14:15], off
	v_subrev_co_u32_e32 v14, vcc, s2, v14
	v_mov_b32_e32 v5, v1
	s_nop 0
	v_subb_co_u32_e32 v15, vcc, v15, v3, vcc
	global_load_dwordx2 v[20:21], v[14:15], off
	v_subrev_co_u32_e32 v14, vcc, s2, v14
	v_lshl_add_u64 v[70:71], s[4:5], 3, v[4:5]
	s_nop 0
	v_subb_co_u32_e32 v15, vcc, v15, v3, vcc
	global_load_dwordx2 v[22:23], v[14:15], off
	v_subrev_co_u32_e32 v14, vcc, s2, v14
	v_lshl_add_u64 v[4:5], v[70:71], 0, 8
	s_nop 0
	v_subb_co_u32_e32 v15, vcc, v15, v3, vcc
	global_load_dwordx2 v[26:27], v[14:15], off
	v_subrev_co_u32_e32 v14, vcc, s2, v14
	s_lshl_b64 s[14:15], s[18:19], 10
	s_nop 0
	v_subb_co_u32_e32 v15, vcc, v15, v3, vcc
	global_load_dwordx2 v[30:31], v[14:15], off
	v_subrev_co_u32_e32 v14, vcc, s2, v14
	s_mov_b32 s23, 0
	s_nop 0
	v_subb_co_u32_e32 v15, vcc, v15, v3, vcc
	global_load_dwordx2 v[32:33], v[14:15], off
	v_subrev_co_u32_e32 v14, vcc, s2, v14
	s_add_i32 s24, s22, -1
	s_nop 0
	v_subb_co_u32_e32 v15, vcc, v15, v3, vcc
	global_load_dwordx2 v[36:37], v[14:15], off
	v_subrev_co_u32_e32 v14, vcc, s2, v14
	s_waitcnt vmcnt(8)
	v_mov_b64_e32 v[132:133], v[10:11]
	v_subb_co_u32_e32 v15, vcc, v15, v3, vcc
	global_load_dwordx2 v[38:39], v[14:15], off
	v_subrev_co_u32_e32 v14, vcc, s2, v14
	s_waitcnt vmcnt(8)
	v_mov_b64_e32 v[130:131], v[12:13]
	;; [unrolled: 5-line block ×5, first 2 shown]
	v_subb_co_u32_e32 v15, vcc, v15, v3, vcc
	global_load_dwordx2 v[52:53], v[14:15], off
	global_load_dwordx2 v[54:55], v[8:9], off
	;; [unrolled: 1-line block ×3, first 2 shown]
	v_mov_b32_e32 v3, v1
	v_mad_u64_u32 v[6:7], s[16:17], v4, s20, v[68:69]
	v_mul_lo_u32 v1, v4, s21
	v_mul_lo_u32 v4, v5, s20
	v_add3_u32 v7, v4, v7, v1
	s_mov_b64 s[16:17], 0x400
	v_lshl_add_u64 v[4:5], v[6:7], 0, s[16:17]
	v_lshl_add_u64 v[6:7], v[70:71], 0, 16
	v_mad_u64_u32 v[8:9], s[26:27], v6, s20, v[68:69]
	v_mul_lo_u32 v1, v6, s21
	v_mul_lo_u32 v6, v7, s20
	v_add3_u32 v9, v6, v9, v1
	v_lshl_add_u64 v[6:7], v[8:9], 0, s[16:17]
	v_lshl_add_u64 v[8:9], v[70:71], 0, 24
	v_mad_u64_u32 v[14:15], s[26:27], v8, s20, v[68:69]
	v_mul_lo_u32 v1, v8, s21
	v_mul_lo_u32 v8, v9, s20
	v_add3_u32 v15, v8, v15, v1
	;; [unrolled: 6-line block ×7, first 2 shown]
	s_mov_b64 s[26:27], 0x48
	v_lshl_add_u64 v[34:35], v[40:41], 0, s[16:17]
	v_lshl_add_u64 v[40:41], v[70:71], 0, s[26:27]
	v_mad_u64_u32 v[46:47], s[26:27], v40, s20, v[68:69]
	v_mul_lo_u32 v1, v40, s21
	v_mul_lo_u32 v40, v41, s20
	v_add3_u32 v47, v40, v47, v1
	s_mov_b64 s[26:27], 0x50
	v_lshl_add_u64 v[40:41], v[46:47], 0, s[16:17]
	v_lshl_add_u64 v[46:47], v[70:71], 0, s[26:27]
	v_mad_u64_u32 v[50:51], s[26:27], v46, s20, v[68:69]
	v_mul_lo_u32 v1, v46, s21
	v_mul_lo_u32 v46, v47, s20
	v_add3_u32 v51, v46, v51, v1
	s_mov_b64 s[26:27], 0x58
	v_lshl_add_u64 v[46:47], v[50:51], 0, s[16:17]
	v_lshl_add_u64 v[50:51], v[70:71], 0, s[26:27]
	v_mad_u64_u32 v[58:59], s[26:27], v50, s20, v[68:69]
	v_mul_lo_u32 v1, v50, s21
	v_mul_lo_u32 v50, v51, s20
	v_add3_u32 v59, v50, v59, v1
	s_mov_b64 s[26:27], 0x60
	v_lshl_add_u64 v[50:51], v[58:59], 0, s[16:17]
	v_lshl_add_u64 v[58:59], v[70:71], 0, s[26:27]
	v_mad_u64_u32 v[62:63], s[26:27], v58, s20, v[68:69]
	v_mul_lo_u32 v1, v58, s21
	v_mul_lo_u32 v58, v59, s20
	v_add3_u32 v63, v58, v63, v1
	s_mov_b64 s[26:27], 0x68
	v_lshl_add_u64 v[58:59], v[62:63], 0, s[16:17]
	v_lshl_add_u64 v[62:63], v[70:71], 0, s[26:27]
	v_mad_u64_u32 v[64:65], s[26:27], v62, s20, v[68:69]
	v_mul_lo_u32 v1, v62, s21
	v_mul_lo_u32 v62, v63, s20
	v_add3_u32 v65, v62, v65, v1
	s_mov_b64 s[26:27], 0x70
	v_lshl_add_u64 v[62:63], v[64:65], 0, s[16:17]
	v_lshl_add_u64 v[64:65], v[70:71], 0, s[26:27]
	v_mad_u64_u32 v[66:67], s[26:27], v64, s20, v[68:69]
	v_mul_lo_u32 v1, v64, s21
	v_mul_lo_u32 v64, v65, s20
	v_add3_u32 v67, v64, v67, v1
	s_mov_b64 s[26:27], 0x78
	v_lshl_add_u64 v[64:65], v[66:67], 0, s[16:17]
	v_lshl_add_u64 v[66:67], v[70:71], 0, s[26:27]
	v_mad_u64_u32 v[72:73], s[26:27], v66, s20, v[68:69]
	v_mul_lo_u32 v1, v66, s21
	v_mul_lo_u32 v66, v67, s20
	v_add3_u32 v73, v66, v73, v1
	v_mad_u64_u32 v[68:69], s[26:27], v70, s20, v[68:69]
	v_mul_lo_u32 v1, v70, s21
	v_mul_lo_u32 v70, v71, s20
	v_add3_u32 v69, v70, v69, v1
	v_or_b32_e32 v1, v60, v2
	v_mul_lo_u32 v60, v61, s18
	v_mul_lo_u32 v61, v1, s19
	v_mad_u64_u32 v[78:79], s[20:21], v1, s18, 0
	v_or_b32_e32 v1, 0x200, v1
	v_add3_u32 v79, v79, v61, v60
	v_mul_lo_u32 v61, v1, s19
	v_mad_u64_u32 v[102:103], s[18:19], v1, s18, 0
	v_add3_u32 v103, v103, v61, v60
	v_mov_b64_e32 v[60:61], 0
	v_lshl_add_u64 v[66:67], v[72:73], 0, s[16:17]
	s_mov_b64 s[18:19], 0x200
	v_mov_b64_e32 v[100:101], v[60:61]
	v_mov_b64_e32 v[96:97], v[60:61]
	;; [unrolled: 1-line block ×15, first 2 shown]
	s_waitcnt vmcnt(0)
	v_mov_b64_e32 v[104:105], v[56:57]
	v_mov_b64_e32 v[106:107], v[52:53]
	;; [unrolled: 1-line block ×11, first 2 shown]
.LBB266_4:                              ; =>This Inner Loop Header: Depth=1
	v_lshl_add_u64 v[170:171], v[68:69], 0, v[2:3]
	v_lshl_add_u64 v[136:137], v[170:171], 0, s[18:19]
	;; [unrolled: 1-line block ×15, first 2 shown]
	global_load_dwordx2 v[136:137], v[170:171], off offset:512
	s_nop 0
	global_load_dwordx2 v[138:139], v[138:139], off
	s_nop 0
	global_load_dwordx2 v[140:141], v[140:141], off
	;; [unrolled: 2-line block ×3, first 2 shown]
	v_lshl_add_u64 v[166:167], v[164:165], 0, s[2:3]
	global_load_dwordx2 v[144:145], v[146:147], off
	v_lshl_add_u64 v[168:169], s[12:13], 0, v[78:79]
	global_load_dwordx2 v[146:147], v[148:149], off
	s_cmp_lg_u32 s24, s23
	global_load_dwordx2 v[148:149], v[150:151], off
	s_nop 0
	global_load_dwordx2 v[150:151], v[152:153], off
	s_nop 0
	;; [unrolled: 2-line block ×8, first 2 shown]
	global_load_dwordx2 v[164:165], v[166:167], off
	v_lshl_add_u64 v[166:167], v[166:167], 0, s[2:3]
	global_load_dwordx2 v[166:167], v[166:167], off
	s_nop 0
	global_load_dwordx2 v[168:169], v[168:169], off
	s_cbranch_scc0 .LBB266_6
; %bb.5:                                ;   in Loop: Header=BB266_4 Depth=1
	v_lshl_add_u64 v[106:107], v[4:5], 0, v[2:3]
	v_lshl_add_u64 v[108:109], v[6:7], 0, v[2:3]
	;; [unrolled: 1-line block ×15, first 2 shown]
	global_load_dwordx2 v[104:105], v[170:171], off offset:1024
	s_nop 0
	global_load_dwordx2 v[106:107], v[106:107], off
	s_nop 0
	global_load_dwordx2 v[108:109], v[108:109], off
	;; [unrolled: 2-line block ×15, first 2 shown]
.LBB266_6:                              ;   in Loop: Header=BB266_4 Depth=1
	v_lshl_add_u64 v[170:171], s[12:13], 0, v[102:103]
	global_load_dwordx2 v[170:171], v[170:171], off
	s_add_i32 s23, s23, 1
	s_add_u32 s12, s12, s14
	s_waitcnt vmcnt(1)
	v_fmac_f64_e32 v[60:61], v[56:57], v[168:169]
	v_fmac_f64_e32 v[100:101], v[52:53], v[168:169]
	;; [unrolled: 1-line block ×16, first 2 shown]
	s_addc_u32 s13, s13, s15
	v_lshl_add_u64 v[4:5], v[4:5], 0, s[16:17]
	v_lshl_add_u64 v[6:7], v[6:7], 0, s[16:17]
	v_lshl_add_u64 v[8:9], v[8:9], 0, s[16:17]
	v_lshl_add_u64 v[14:15], v[14:15], 0, s[16:17]
	v_lshl_add_u64 v[18:19], v[18:19], 0, s[16:17]
	v_lshl_add_u64 v[24:25], v[24:25], 0, s[16:17]
	v_lshl_add_u64 v[28:29], v[28:29], 0, s[16:17]
	v_lshl_add_u64 v[34:35], v[34:35], 0, s[16:17]
	v_lshl_add_u64 v[40:41], v[40:41], 0, s[16:17]
	v_lshl_add_u64 v[46:47], v[46:47], 0, s[16:17]
	v_lshl_add_u64 v[50:51], v[50:51], 0, s[16:17]
	v_lshl_add_u64 v[58:59], v[58:59], 0, s[16:17]
	v_lshl_add_u64 v[62:63], v[62:63], 0, s[16:17]
	v_lshl_add_u64 v[64:65], v[64:65], 0, s[16:17]
	v_lshl_add_u64 v[66:67], v[66:67], 0, s[16:17]
	s_cmp_ge_i32 s23, s22
	v_lshl_add_u64 v[68:69], v[68:69], 0, s[16:17]
	s_waitcnt vmcnt(0)
	v_fmac_f64_e32 v[60:61], v[136:137], v[170:171]
	v_fmac_f64_e32 v[100:101], v[138:139], v[170:171]
	;; [unrolled: 1-line block ×16, first 2 shown]
	s_cbranch_scc1 .LBB266_8
; %bb.7:                                ;   in Loop: Header=BB266_4 Depth=1
	v_mov_b64_e32 v[56:57], v[104:105]
	v_mov_b64_e32 v[52:53], v[106:107]
	;; [unrolled: 1-line block ×16, first 2 shown]
	s_branch .LBB266_4
.LBB266_8:
	v_lshl_or_b32 v1, v175, 9, v2
	ds_write2st64_b64 v1, v[60:61], v[100:101] offset1:1
	ds_write2st64_b64 v1, v[96:97], v[98:99] offset0:2 offset1:3
	ds_write2st64_b64 v1, v[92:93], v[94:95] offset0:4 offset1:5
	;; [unrolled: 1-line block ×6, first 2 shown]
	ds_write_b64 v1, v[72:73] offset:7168
	v_lshlrev_b32_e32 v1, 3, v172
	v_lshlrev_b32_e32 v2, 9, v174
	s_movk_i32 s2, 0x1e00
	v_or3_b32 v1, v2, v1, s2
	v_cmp_eq_u32_e32 vcc, 0, v173
	ds_write_b64 v1, v[70:71]
	s_waitcnt lgkmcnt(0)
	s_barrier
	s_and_saveexec_b64 s[2:3], vcc
	s_cbranch_execz .LBB266_10
; %bb.9:
	v_lshlrev_b32_e32 v12, 6, v172
	v_add_u32_e32 v1, 1, v172
	v_and_or_b32 v1, v1, 63, v12
	v_lshlrev_b32_e32 v2, 3, v1
	v_add_u32_e32 v1, 2, v172
	v_or_b32_e32 v13, v0, v12
	v_and_or_b32 v1, v1, 63, v12
	v_lshlrev_b32_e32 v0, 3, v13
	v_lshlrev_b32_e32 v4, 3, v1
	v_add_u32_e32 v1, 3, v172
	v_and_or_b32 v6, v1, 63, v12
	ds_read_b64 v[0:1], v0
	ds_read_b64 v[2:3], v2
	;; [unrolled: 1-line block ×3, first 2 shown]
	v_lshlrev_b32_e32 v6, 3, v6
	ds_read_b64 v[6:7], v6
	s_waitcnt lgkmcnt(3)
	v_add_f64 v[0:1], v[0:1], 0
	s_waitcnt lgkmcnt(2)
	v_add_f64 v[0:1], v[0:1], v[2:3]
	v_add_u32_e32 v3, 5, v172
	v_and_or_b32 v3, v3, 63, v12
	s_waitcnt lgkmcnt(1)
	v_add_f64 v[0:1], v[0:1], v[4:5]
	v_lshlrev_b32_e32 v4, 3, v3
	v_add_u32_e32 v3, 6, v172
	v_and_or_b32 v3, v3, 63, v12
	v_add_u32_e32 v2, 4, v172
	v_lshlrev_b32_e32 v8, 3, v3
	v_add_u32_e32 v3, 7, v172
	v_and_or_b32 v2, v2, 63, v12
	v_and_or_b32 v3, v3, 63, v12
	v_lshlrev_b32_e32 v2, 3, v2
	v_lshlrev_b32_e32 v10, 3, v3
	ds_read_b64 v[2:3], v2
	ds_read_b64 v[4:5], v4
	;; [unrolled: 1-line block ×4, first 2 shown]
	s_waitcnt lgkmcnt(4)
	v_add_f64 v[0:1], v[0:1], v[6:7]
	s_waitcnt lgkmcnt(3)
	v_add_f64 v[0:1], v[0:1], v[2:3]
	v_add_u32_e32 v3, 9, v172
	v_and_or_b32 v3, v3, 63, v12
	s_waitcnt lgkmcnt(2)
	v_add_f64 v[0:1], v[0:1], v[4:5]
	v_add_u32_e32 v2, 8, v172
	v_lshlrev_b32_e32 v4, 3, v3
	v_add_u32_e32 v3, 10, v172
	v_and_or_b32 v2, v2, 63, v12
	v_and_or_b32 v3, v3, 63, v12
	v_lshlrev_b32_e32 v2, 3, v2
	v_lshlrev_b32_e32 v6, 3, v3
	v_add_u32_e32 v3, 11, v172
	s_waitcnt lgkmcnt(1)
	v_add_f64 v[0:1], v[0:1], v[8:9]
	v_and_or_b32 v8, v3, 63, v12
	ds_read_b64 v[2:3], v2
	ds_read_b64 v[4:5], v4
	;; [unrolled: 1-line block ×3, first 2 shown]
	s_waitcnt lgkmcnt(3)
	v_add_f64 v[0:1], v[0:1], v[10:11]
	v_lshlrev_b32_e32 v8, 3, v8
	s_waitcnt lgkmcnt(2)
	v_add_f64 v[0:1], v[0:1], v[2:3]
	v_add_u32_e32 v3, 13, v172
	v_and_or_b32 v3, v3, 63, v12
	s_waitcnt lgkmcnt(1)
	v_add_f64 v[0:1], v[0:1], v[4:5]
	v_lshlrev_b32_e32 v4, 3, v3
	v_add_u32_e32 v3, 14, v172
	ds_read_b64 v[8:9], v8
	v_and_or_b32 v3, v3, 63, v12
	s_waitcnt lgkmcnt(1)
	v_add_f64 v[0:1], v[0:1], v[6:7]
	v_add_u32_e32 v2, 12, v172
	v_lshlrev_b32_e32 v6, 3, v3
	v_add_u32_e32 v3, 15, v172
	v_and_or_b32 v2, v2, 63, v12
	v_and_or_b32 v3, v3, 63, v12
	v_lshlrev_b32_e32 v2, 3, v2
	v_lshlrev_b32_e32 v10, 3, v3
	ds_read_b64 v[2:3], v2
	ds_read_b64 v[4:5], v4
	;; [unrolled: 1-line block ×4, first 2 shown]
	s_waitcnt lgkmcnt(4)
	v_add_f64 v[0:1], v[0:1], v[8:9]
	s_waitcnt lgkmcnt(3)
	v_add_f64 v[0:1], v[0:1], v[2:3]
	v_add_u32_e32 v3, 17, v172
	v_and_or_b32 v3, v3, 63, v12
	s_waitcnt lgkmcnt(2)
	v_add_f64 v[0:1], v[0:1], v[4:5]
	v_add_u32_e32 v2, 16, v172
	v_lshlrev_b32_e32 v4, 3, v3
	v_add_u32_e32 v3, 18, v172
	v_and_or_b32 v2, v2, 63, v12
	v_and_or_b32 v3, v3, 63, v12
	s_waitcnt lgkmcnt(1)
	v_add_f64 v[0:1], v[0:1], v[6:7]
	v_lshlrev_b32_e32 v2, 3, v2
	v_lshlrev_b32_e32 v6, 3, v3
	v_add_u32_e32 v3, 19, v172
	v_and_or_b32 v8, v3, 63, v12
	ds_read_b64 v[2:3], v2
	ds_read_b64 v[4:5], v4
	;; [unrolled: 1-line block ×3, first 2 shown]
	s_waitcnt lgkmcnt(3)
	v_add_f64 v[0:1], v[0:1], v[10:11]
	v_lshlrev_b32_e32 v8, 3, v8
	s_waitcnt lgkmcnt(2)
	v_add_f64 v[0:1], v[0:1], v[2:3]
	v_add_u32_e32 v3, 21, v172
	v_and_or_b32 v3, v3, 63, v12
	s_waitcnt lgkmcnt(1)
	v_add_f64 v[0:1], v[0:1], v[4:5]
	v_lshlrev_b32_e32 v4, 3, v3
	v_add_u32_e32 v3, 22, v172
	ds_read_b64 v[8:9], v8
	v_and_or_b32 v3, v3, 63, v12
	s_waitcnt lgkmcnt(1)
	v_add_f64 v[0:1], v[0:1], v[6:7]
	v_add_u32_e32 v2, 20, v172
	v_lshlrev_b32_e32 v6, 3, v3
	v_add_u32_e32 v3, 23, v172
	v_and_or_b32 v2, v2, 63, v12
	v_and_or_b32 v3, v3, 63, v12
	v_lshlrev_b32_e32 v2, 3, v2
	v_lshlrev_b32_e32 v10, 3, v3
	ds_read_b64 v[2:3], v2
	ds_read_b64 v[4:5], v4
	;; [unrolled: 1-line block ×4, first 2 shown]
	s_waitcnt lgkmcnt(4)
	v_add_f64 v[0:1], v[0:1], v[8:9]
	s_waitcnt lgkmcnt(3)
	v_add_f64 v[0:1], v[0:1], v[2:3]
	v_add_u32_e32 v3, 25, v172
	v_and_or_b32 v3, v3, 63, v12
	s_waitcnt lgkmcnt(2)
	v_add_f64 v[0:1], v[0:1], v[4:5]
	v_add_u32_e32 v2, 24, v172
	v_lshlrev_b32_e32 v4, 3, v3
	v_add_u32_e32 v3, 26, v172
	v_and_or_b32 v2, v2, 63, v12
	v_and_or_b32 v3, v3, 63, v12
	s_waitcnt lgkmcnt(1)
	v_add_f64 v[0:1], v[0:1], v[6:7]
	v_lshlrev_b32_e32 v2, 3, v2
	v_lshlrev_b32_e32 v6, 3, v3
	v_add_u32_e32 v3, 27, v172
	v_and_or_b32 v8, v3, 63, v12
	ds_read_b64 v[2:3], v2
	ds_read_b64 v[4:5], v4
	;; [unrolled: 1-line block ×3, first 2 shown]
	s_waitcnt lgkmcnt(3)
	v_add_f64 v[0:1], v[0:1], v[10:11]
	v_lshlrev_b32_e32 v8, 3, v8
	s_waitcnt lgkmcnt(2)
	v_add_f64 v[0:1], v[0:1], v[2:3]
	v_add_u32_e32 v3, 29, v172
	v_and_or_b32 v3, v3, 63, v12
	s_waitcnt lgkmcnt(1)
	v_add_f64 v[0:1], v[0:1], v[4:5]
	v_lshlrev_b32_e32 v4, 3, v3
	v_add_u32_e32 v3, 30, v172
	ds_read_b64 v[8:9], v8
	v_and_or_b32 v3, v3, 63, v12
	s_waitcnt lgkmcnt(1)
	v_add_f64 v[0:1], v[0:1], v[6:7]
	v_add_u32_e32 v2, 28, v172
	v_lshlrev_b32_e32 v6, 3, v3
	v_add_u32_e32 v3, 31, v172
	v_and_or_b32 v2, v2, 63, v12
	v_and_or_b32 v3, v3, 63, v12
	v_lshlrev_b32_e32 v2, 3, v2
	v_lshlrev_b32_e32 v10, 3, v3
	ds_read_b64 v[2:3], v2
	ds_read_b64 v[4:5], v4
	;; [unrolled: 1-line block ×4, first 2 shown]
	s_waitcnt lgkmcnt(4)
	v_add_f64 v[0:1], v[0:1], v[8:9]
	s_waitcnt lgkmcnt(3)
	v_add_f64 v[0:1], v[0:1], v[2:3]
	v_add_u32_e32 v3, 33, v172
	v_and_or_b32 v3, v3, 63, v12
	s_waitcnt lgkmcnt(2)
	v_add_f64 v[0:1], v[0:1], v[4:5]
	v_lshlrev_b32_e32 v4, 3, v3
	v_add_u32_e32 v3, 34, v172
	v_xor_b32_e32 v2, 32, v13
	v_and_or_b32 v3, v3, 63, v12
	s_waitcnt lgkmcnt(1)
	v_add_f64 v[0:1], v[0:1], v[6:7]
	v_lshlrev_b32_e32 v2, 3, v2
	v_lshlrev_b32_e32 v6, 3, v3
	v_add_u32_e32 v3, 35, v172
	v_and_or_b32 v8, v3, 63, v12
	ds_read_b64 v[2:3], v2
	ds_read_b64 v[4:5], v4
	ds_read_b64 v[6:7], v6
	s_waitcnt lgkmcnt(3)
	v_add_f64 v[0:1], v[0:1], v[10:11]
	v_lshlrev_b32_e32 v8, 3, v8
	s_waitcnt lgkmcnt(2)
	v_add_f64 v[0:1], v[0:1], v[2:3]
	v_add_u32_e32 v3, 37, v172
	v_and_or_b32 v3, v3, 63, v12
	s_waitcnt lgkmcnt(1)
	v_add_f64 v[0:1], v[0:1], v[4:5]
	v_lshlrev_b32_e32 v4, 3, v3
	v_add_u32_e32 v3, 38, v172
	ds_read_b64 v[8:9], v8
	v_and_or_b32 v3, v3, 63, v12
	s_waitcnt lgkmcnt(1)
	v_add_f64 v[0:1], v[0:1], v[6:7]
	v_add_u32_e32 v2, 36, v172
	v_lshlrev_b32_e32 v6, 3, v3
	v_add_u32_e32 v3, 39, v172
	v_and_or_b32 v2, v2, 63, v12
	v_and_or_b32 v3, v3, 63, v12
	v_lshlrev_b32_e32 v2, 3, v2
	v_lshlrev_b32_e32 v10, 3, v3
	ds_read_b64 v[2:3], v2
	ds_read_b64 v[4:5], v4
	ds_read_b64 v[6:7], v6
	ds_read_b64 v[10:11], v10
	s_waitcnt lgkmcnt(4)
	v_add_f64 v[0:1], v[0:1], v[8:9]
	s_waitcnt lgkmcnt(3)
	v_add_f64 v[0:1], v[0:1], v[2:3]
	v_add_u32_e32 v3, 41, v172
	v_and_or_b32 v3, v3, 63, v12
	s_waitcnt lgkmcnt(2)
	v_add_f64 v[0:1], v[0:1], v[4:5]
	v_add_u32_e32 v2, 40, v172
	v_lshlrev_b32_e32 v4, 3, v3
	v_add_u32_e32 v3, 42, v172
	v_and_or_b32 v2, v2, 63, v12
	v_and_or_b32 v3, v3, 63, v12
	s_waitcnt lgkmcnt(1)
	v_add_f64 v[0:1], v[0:1], v[6:7]
	v_lshlrev_b32_e32 v2, 3, v2
	v_lshlrev_b32_e32 v6, 3, v3
	v_add_u32_e32 v3, 43, v172
	v_and_or_b32 v8, v3, 63, v12
	ds_read_b64 v[2:3], v2
	ds_read_b64 v[4:5], v4
	ds_read_b64 v[6:7], v6
	s_waitcnt lgkmcnt(3)
	v_add_f64 v[0:1], v[0:1], v[10:11]
	v_lshlrev_b32_e32 v8, 3, v8
	s_waitcnt lgkmcnt(2)
	v_add_f64 v[0:1], v[0:1], v[2:3]
	v_add_u32_e32 v3, 45, v172
	v_and_or_b32 v3, v3, 63, v12
	s_waitcnt lgkmcnt(1)
	v_add_f64 v[0:1], v[0:1], v[4:5]
	v_lshlrev_b32_e32 v4, 3, v3
	v_add_u32_e32 v3, 46, v172
	ds_read_b64 v[8:9], v8
	v_and_or_b32 v3, v3, 63, v12
	s_waitcnt lgkmcnt(1)
	v_add_f64 v[0:1], v[0:1], v[6:7]
	v_add_u32_e32 v2, 44, v172
	v_lshlrev_b32_e32 v6, 3, v3
	v_add_u32_e32 v3, 47, v172
	v_and_or_b32 v2, v2, 63, v12
	v_and_or_b32 v3, v3, 63, v12
	v_lshlrev_b32_e32 v2, 3, v2
	v_lshlrev_b32_e32 v10, 3, v3
	ds_read_b64 v[2:3], v2
	ds_read_b64 v[4:5], v4
	ds_read_b64 v[6:7], v6
	ds_read_b64 v[10:11], v10
	s_waitcnt lgkmcnt(4)
	v_add_f64 v[0:1], v[0:1], v[8:9]
	s_waitcnt lgkmcnt(3)
	v_add_f64 v[0:1], v[0:1], v[2:3]
	v_add_u32_e32 v3, 49, v172
	v_and_or_b32 v3, v3, 63, v12
	s_waitcnt lgkmcnt(2)
	v_add_f64 v[0:1], v[0:1], v[4:5]
	v_add_u32_e32 v2, 48, v172
	v_lshlrev_b32_e32 v4, 3, v3
	v_add_u32_e32 v3, 50, v172
	v_and_or_b32 v2, v2, 63, v12
	;; [unrolled: 48-line block ×3, first 2 shown]
	v_and_or_b32 v3, v3, 63, v12
	s_waitcnt lgkmcnt(1)
	v_add_f64 v[0:1], v[0:1], v[6:7]
	v_lshlrev_b32_e32 v2, 3, v2
	v_lshlrev_b32_e32 v6, 3, v3
	v_add_u32_e32 v3, 59, v172
	v_and_or_b32 v8, v3, 63, v12
	ds_read_b64 v[2:3], v2
	ds_read_b64 v[4:5], v4
	;; [unrolled: 1-line block ×3, first 2 shown]
	s_waitcnt lgkmcnt(3)
	v_add_f64 v[0:1], v[0:1], v[10:11]
	v_lshlrev_b32_e32 v8, 3, v8
	s_waitcnt lgkmcnt(2)
	v_add_f64 v[0:1], v[0:1], v[2:3]
	v_add_u32_e32 v3, 61, v172
	v_and_or_b32 v3, v3, 63, v12
	s_waitcnt lgkmcnt(1)
	v_add_f64 v[0:1], v[0:1], v[4:5]
	v_lshlrev_b32_e32 v4, 3, v3
	v_add_u32_e32 v3, 62, v172
	ds_read_b64 v[8:9], v8
	v_and_or_b32 v3, v3, 63, v12
	s_load_dword s2, s[0:1], 0x68
	s_waitcnt lgkmcnt(0)
	v_add_f64 v[0:1], v[0:1], v[6:7]
	v_add_u32_e32 v2, 60, v172
	v_lshlrev_b32_e32 v6, 3, v3
	v_add_u32_e32 v3, -1, v172
	v_and_or_b32 v2, v2, 63, v12
	v_and_or_b32 v3, v3, 63, v12
	v_lshlrev_b32_e32 v2, 3, v2
	v_lshlrev_b32_e32 v10, 3, v3
	s_lshl_b64 s[0:1], s[10:11], 3
	ds_read_b64 v[2:3], v2
	ds_read_b64 v[4:5], v4
	;; [unrolled: 1-line block ×4, first 2 shown]
	s_add_u32 s3, s8, s0
	v_add_f64 v[0:1], v[0:1], v[8:9]
	s_addc_u32 s5, s9, s1
	s_mul_hi_i32 s1, s2, s4
	s_mul_i32 s0, s2, s4
	s_waitcnt lgkmcnt(3)
	v_add_f64 v[0:1], v[0:1], v[2:3]
	s_lshl_b64 s[0:1], s[0:1], 3
	s_waitcnt lgkmcnt(2)
	v_add_f64 v[0:1], v[0:1], v[4:5]
	s_add_u32 s0, s3, s0
	s_waitcnt lgkmcnt(1)
	v_add_f64 v[0:1], v[0:1], v[6:7]
	s_addc_u32 s1, s5, s1
	s_waitcnt lgkmcnt(0)
	v_add_f64 v[0:1], v[0:1], v[10:11]
	v_mad_i64_i32 v[2:3], s[2:3], s2, v172, 0
	v_lshl_add_u64 v[2:3], v[2:3], 3, s[0:1]
	v_mul_f64 v[0:1], s[6:7], v[0:1]
	global_atomic_add_f64 v[2:3], v[0:1], off
.LBB266_10:
	s_endpgm
	.section	.rodata,"a",@progbits
	.p2align	6, 0x0
	.amdhsa_kernel _ZL36rocblas_gemvt_double_buffered_kernelILb0ELi128ELi4ELi16EPKdS1_KPdEviiT4_lPKT3_lilS7_lilPT5_lili
		.amdhsa_group_segment_fixed_size 65536
		.amdhsa_private_segment_fixed_size 0
		.amdhsa_kernarg_size 384
		.amdhsa_user_sgpr_count 2
		.amdhsa_user_sgpr_dispatch_ptr 0
		.amdhsa_user_sgpr_queue_ptr 0
		.amdhsa_user_sgpr_kernarg_segment_ptr 1
		.amdhsa_user_sgpr_dispatch_id 0
		.amdhsa_user_sgpr_kernarg_preload_length 0
		.amdhsa_user_sgpr_kernarg_preload_offset 0
		.amdhsa_user_sgpr_private_segment_size 0
		.amdhsa_uses_dynamic_stack 0
		.amdhsa_enable_private_segment 0
		.amdhsa_system_sgpr_workgroup_id_x 1
		.amdhsa_system_sgpr_workgroup_id_y 1
		.amdhsa_system_sgpr_workgroup_id_z 1
		.amdhsa_system_sgpr_workgroup_info 0
		.amdhsa_system_vgpr_workitem_id 1
		.amdhsa_next_free_vgpr 176
		.amdhsa_next_free_sgpr 32
		.amdhsa_accum_offset 176
		.amdhsa_reserve_vcc 1
		.amdhsa_float_round_mode_32 0
		.amdhsa_float_round_mode_16_64 0
		.amdhsa_float_denorm_mode_32 3
		.amdhsa_float_denorm_mode_16_64 3
		.amdhsa_dx10_clamp 1
		.amdhsa_ieee_mode 1
		.amdhsa_fp16_overflow 0
		.amdhsa_tg_split 0
		.amdhsa_exception_fp_ieee_invalid_op 0
		.amdhsa_exception_fp_denorm_src 0
		.amdhsa_exception_fp_ieee_div_zero 0
		.amdhsa_exception_fp_ieee_overflow 0
		.amdhsa_exception_fp_ieee_underflow 0
		.amdhsa_exception_fp_ieee_inexact 0
		.amdhsa_exception_int_div_zero 0
	.end_amdhsa_kernel
	.section	.text._ZL36rocblas_gemvt_double_buffered_kernelILb0ELi128ELi4ELi16EPKdS1_KPdEviiT4_lPKT3_lilS7_lilPT5_lili,"axG",@progbits,_ZL36rocblas_gemvt_double_buffered_kernelILb0ELi128ELi4ELi16EPKdS1_KPdEviiT4_lPKT3_lilS7_lilPT5_lili,comdat
.Lfunc_end266:
	.size	_ZL36rocblas_gemvt_double_buffered_kernelILb0ELi128ELi4ELi16EPKdS1_KPdEviiT4_lPKT3_lilS7_lilPT5_lili, .Lfunc_end266-_ZL36rocblas_gemvt_double_buffered_kernelILb0ELi128ELi4ELi16EPKdS1_KPdEviiT4_lPKT3_lilS7_lilPT5_lili
                                        ; -- End function
	.section	.AMDGPU.csdata,"",@progbits
; Kernel info:
; codeLenInByte = 5464
; NumSgprs: 38
; NumVgprs: 176
; NumAgprs: 0
; TotalNumVgprs: 176
; ScratchSize: 0
; MemoryBound: 0
; FloatMode: 240
; IeeeMode: 1
; LDSByteSize: 65536 bytes/workgroup (compile time only)
; SGPRBlocks: 4
; VGPRBlocks: 21
; NumSGPRsForWavesPerEU: 38
; NumVGPRsForWavesPerEU: 176
; AccumOffset: 176
; Occupancy: 2
; WaveLimiterHint : 1
; COMPUTE_PGM_RSRC2:SCRATCH_EN: 0
; COMPUTE_PGM_RSRC2:USER_SGPR: 2
; COMPUTE_PGM_RSRC2:TRAP_HANDLER: 0
; COMPUTE_PGM_RSRC2:TGID_X_EN: 1
; COMPUTE_PGM_RSRC2:TGID_Y_EN: 1
; COMPUTE_PGM_RSRC2:TGID_Z_EN: 1
; COMPUTE_PGM_RSRC2:TIDIG_COMP_CNT: 1
; COMPUTE_PGM_RSRC3_GFX90A:ACCUM_OFFSET: 43
; COMPUTE_PGM_RSRC3_GFX90A:TG_SPLIT: 0
	.section	.text._ZL36rocblas_gemvt_double_buffered_kernelILb0ELi128ELi4ELi16EPKddKPdEviiT4_lPKT3_lilS7_lilPT5_lili,"axG",@progbits,_ZL36rocblas_gemvt_double_buffered_kernelILb0ELi128ELi4ELi16EPKddKPdEviiT4_lPKT3_lilS7_lilPT5_lili,comdat
	.globl	_ZL36rocblas_gemvt_double_buffered_kernelILb0ELi128ELi4ELi16EPKddKPdEviiT4_lPKT3_lilS7_lilPT5_lili ; -- Begin function _ZL36rocblas_gemvt_double_buffered_kernelILb0ELi128ELi4ELi16EPKddKPdEviiT4_lPKT3_lilS7_lilPT5_lili
	.p2align	8
	.type	_ZL36rocblas_gemvt_double_buffered_kernelILb0ELi128ELi4ELi16EPKddKPdEviiT4_lPKT3_lilS7_lilPT5_lili,@function
_ZL36rocblas_gemvt_double_buffered_kernelILb0ELi128ELi4ELi16EPKddKPdEviiT4_lPKT3_lilS7_lilPT5_lili: ; @_ZL36rocblas_gemvt_double_buffered_kernelILb0ELi128ELi4ELi16EPKddKPdEviiT4_lPKT3_lilS7_lilPT5_lili
; %bb.0:
	s_load_dwordx2 s[6:7], s[0:1], 0x8
	s_waitcnt lgkmcnt(0)
	v_cmp_eq_f64_e64 s[8:9], s[6:7], 0
	s_and_b64 vcc, exec, s[8:9]
	s_cbranch_vccnz .LBB267_10
; %bb.1:
	s_load_dword s5, s[0:1], 0x84
	s_load_dword s8, s[0:1], 0x0
	s_waitcnt lgkmcnt(0)
	v_cvt_f32_u32_e32 v1, s5
	s_ashr_i32 s9, s8, 31
	s_lshr_b32 s9, s9, 25
	s_sub_i32 s10, 0, s5
	v_rcp_iflag_f32_e32 v1, v1
	s_add_i32 s8, s8, s9
	s_ashr_i32 s8, s8, 7
	v_mul_f32_e32 v1, 0x4f7ffffe, v1
	v_cvt_u32_f32_e32 v1, v1
	s_nop 0
	v_readfirstlane_b32 s9, v1
	s_mul_i32 s10, s10, s9
	s_mul_hi_u32 s10, s9, s10
	s_add_i32 s9, s9, s10
	s_mul_hi_u32 s9, s8, s9
	s_mul_i32 s10, s9, s5
	s_sub_i32 s10, s8, s10
	s_add_i32 s11, s9, 1
	s_sub_i32 s12, s10, s5
	s_cmp_ge_u32 s10, s5
	s_cselect_b32 s9, s11, s9
	s_cselect_b32 s10, s12, s10
	s_add_i32 s11, s9, 1
	s_cmp_ge_u32 s10, s5
	s_cselect_b32 s15, s11, s9
	s_mul_i32 s5, s15, s5
	s_sub_i32 s14, s8, s5
	s_cmp_lt_u32 s3, s14
	s_cselect_b64 s[8:9], -1, 0
	s_cmp_lg_u64 s[8:9], 0
	s_addc_u32 s22, s15, 0
	s_cmp_eq_u32 s22, 0
	s_mov_b32 s5, 0
	s_cbranch_scc1 .LBB267_10
; %bb.2:
	s_load_dwordx4 s[8:11], s[0:1], 0x58
	s_lshl_b64 s[12:13], s[4:5], 3
	v_and_b32_e32 v172, 0x3ff, v0
	v_bfe_u32 v173, v0, 10, 10
	v_lshl_add_u32 v4, v173, 7, v172
	s_waitcnt lgkmcnt(0)
	s_add_u32 s4, s8, s12
	s_addc_u32 s5, s9, s13
	s_load_dwordx2 s[8:9], s[4:5], 0x0
	s_lshl_b32 s4, s2, 7
	v_and_b32_e32 v0, 63, v172
	s_ashr_i32 s5, s4, 31
	v_lshrrev_b32_e32 v174, 2, v4
	v_mov_b64_e32 v[70:71], 0
	v_and_b32_e32 v175, 0x7ff0, v174
	s_cmp_lt_i32 s22, 1
	v_lshlrev_b32_e32 v2, 3, v0
	v_mov_b64_e32 v[72:73], v[70:71]
	v_mov_b64_e32 v[76:77], v[70:71]
	;; [unrolled: 1-line block ×15, first 2 shown]
	s_cbranch_scc1 .LBB267_8
; %bb.3:
	s_load_dword s20, s[0:1], 0x28
	s_load_dwordx4 s[24:27], s[0:1], 0x18
	s_load_dwordx4 s[28:31], s[0:1], 0x38
	s_load_dword s18, s[0:1], 0x48
	s_mul_i32 s15, s15, s3
	s_waitcnt lgkmcnt(0)
	s_ashr_i32 s21, s20, 31
	s_add_u32 s16, s24, s12
	s_addc_u32 s17, s25, s13
	s_load_dwordx2 s[16:17], s[16:17], 0x0
	s_add_u32 s12, s28, s12
	s_addc_u32 s13, s29, s13
	v_cvt_f64_i32_e32 v[10:11], s3
	v_cvt_f64_u32_e32 v[12:13], s14
	s_load_dwordx2 s[12:13], s[12:13], 0x0
	v_mov_b32_e32 v1, 0
	v_cvt_f64_u32_e32 v[8:9], s15
	v_min_f64 v[10:11], v[10:11], v[12:13]
	v_mad_i64_i32 v[6:7], s[24:25], s20, v175, v[0:1]
	v_add_f64 v[8:9], v[10:11], v[8:9]
	s_ashr_i32 s19, s18, 31
	s_lshl_b64 s[24:25], s[26:27], 3
	v_cvt_i32_f64_e32 v3, v[8:9]
	s_waitcnt lgkmcnt(0)
	s_add_u32 s16, s16, s24
	v_lshlrev_b32_e32 v8, 7, v3
	s_addc_u32 s17, s17, s25
	s_lshl_b64 s[24:25], s[30:31], 3
	v_ashrrev_i32_e32 v9, 31, v8
	s_add_u32 s12, s12, s24
	s_mul_hi_i32 s3, s20, s4
	s_mul_i32 s2, s20, s4
	v_lshlrev_b64 v[60:61], 3, v[8:9]
	s_addc_u32 s13, s13, s25
	s_lshl_b64 s[2:3], s[2:3], 3
	v_lshl_add_u64 v[68:69], s[16:17], 0, v[60:61]
	v_lshl_add_u64 v[8:9], v[68:69], 0, s[2:3]
	;; [unrolled: 1-line block ×3, first 2 shown]
	v_mov_b32_e32 v3, 0x78
	v_mad_i64_i32 v[8:9], s[2:3], s20, v3, v[6:7]
	s_lshl_b64 s[2:3], s[20:21], 3
	s_nop 0
	v_mov_b32_e32 v3, s3
	v_subrev_co_u32_e32 v12, vcc, s2, v8
	v_lshlrev_b32_e32 v4, 1, v4
	s_nop 0
	v_subb_co_u32_e32 v13, vcc, v9, v3, vcc
	v_subrev_co_u32_e32 v14, vcc, s2, v12
	global_load_dwordx2 v[10:11], v[12:13], off
	s_nop 0
	v_subb_co_u32_e32 v15, vcc, v13, v3, vcc
	global_load_dwordx2 v[12:13], v[14:15], off
	v_subrev_co_u32_e32 v14, vcc, s2, v14
	v_and_b32_e32 v4, 0x7ff80, v4
	s_nop 0
	v_subb_co_u32_e32 v15, vcc, v15, v3, vcc
	global_load_dwordx2 v[16:17], v[14:15], off
	v_subrev_co_u32_e32 v14, vcc, s2, v14
	v_mov_b32_e32 v5, v1
	s_nop 0
	v_subb_co_u32_e32 v15, vcc, v15, v3, vcc
	global_load_dwordx2 v[20:21], v[14:15], off
	v_subrev_co_u32_e32 v14, vcc, s2, v14
	v_lshl_add_u64 v[70:71], s[4:5], 3, v[4:5]
	s_nop 0
	v_subb_co_u32_e32 v15, vcc, v15, v3, vcc
	global_load_dwordx2 v[22:23], v[14:15], off
	v_subrev_co_u32_e32 v14, vcc, s2, v14
	v_lshl_add_u64 v[4:5], v[70:71], 0, 8
	s_nop 0
	v_subb_co_u32_e32 v15, vcc, v15, v3, vcc
	global_load_dwordx2 v[26:27], v[14:15], off
	v_subrev_co_u32_e32 v14, vcc, s2, v14
	s_lshl_b64 s[14:15], s[18:19], 10
	s_nop 0
	v_subb_co_u32_e32 v15, vcc, v15, v3, vcc
	global_load_dwordx2 v[30:31], v[14:15], off
	v_subrev_co_u32_e32 v14, vcc, s2, v14
	s_mov_b32 s23, 0
	s_nop 0
	v_subb_co_u32_e32 v15, vcc, v15, v3, vcc
	global_load_dwordx2 v[32:33], v[14:15], off
	v_subrev_co_u32_e32 v14, vcc, s2, v14
	s_add_i32 s24, s22, -1
	s_nop 0
	v_subb_co_u32_e32 v15, vcc, v15, v3, vcc
	global_load_dwordx2 v[36:37], v[14:15], off
	v_subrev_co_u32_e32 v14, vcc, s2, v14
	s_waitcnt vmcnt(8)
	v_mov_b64_e32 v[132:133], v[10:11]
	v_subb_co_u32_e32 v15, vcc, v15, v3, vcc
	global_load_dwordx2 v[38:39], v[14:15], off
	v_subrev_co_u32_e32 v14, vcc, s2, v14
	s_waitcnt vmcnt(8)
	v_mov_b64_e32 v[130:131], v[12:13]
	;; [unrolled: 5-line block ×5, first 2 shown]
	v_subb_co_u32_e32 v15, vcc, v15, v3, vcc
	global_load_dwordx2 v[52:53], v[14:15], off
	global_load_dwordx2 v[54:55], v[8:9], off
	;; [unrolled: 1-line block ×3, first 2 shown]
	v_mov_b32_e32 v3, v1
	v_mad_u64_u32 v[6:7], s[16:17], v4, s20, v[68:69]
	v_mul_lo_u32 v1, v4, s21
	v_mul_lo_u32 v4, v5, s20
	v_add3_u32 v7, v4, v7, v1
	s_mov_b64 s[16:17], 0x400
	v_lshl_add_u64 v[4:5], v[6:7], 0, s[16:17]
	v_lshl_add_u64 v[6:7], v[70:71], 0, 16
	v_mad_u64_u32 v[8:9], s[26:27], v6, s20, v[68:69]
	v_mul_lo_u32 v1, v6, s21
	v_mul_lo_u32 v6, v7, s20
	v_add3_u32 v9, v6, v9, v1
	v_lshl_add_u64 v[6:7], v[8:9], 0, s[16:17]
	v_lshl_add_u64 v[8:9], v[70:71], 0, 24
	v_mad_u64_u32 v[14:15], s[26:27], v8, s20, v[68:69]
	v_mul_lo_u32 v1, v8, s21
	v_mul_lo_u32 v8, v9, s20
	v_add3_u32 v15, v8, v15, v1
	;; [unrolled: 6-line block ×7, first 2 shown]
	s_mov_b64 s[26:27], 0x48
	v_lshl_add_u64 v[34:35], v[40:41], 0, s[16:17]
	v_lshl_add_u64 v[40:41], v[70:71], 0, s[26:27]
	v_mad_u64_u32 v[46:47], s[26:27], v40, s20, v[68:69]
	v_mul_lo_u32 v1, v40, s21
	v_mul_lo_u32 v40, v41, s20
	v_add3_u32 v47, v40, v47, v1
	s_mov_b64 s[26:27], 0x50
	v_lshl_add_u64 v[40:41], v[46:47], 0, s[16:17]
	v_lshl_add_u64 v[46:47], v[70:71], 0, s[26:27]
	v_mad_u64_u32 v[50:51], s[26:27], v46, s20, v[68:69]
	v_mul_lo_u32 v1, v46, s21
	v_mul_lo_u32 v46, v47, s20
	v_add3_u32 v51, v46, v51, v1
	;; [unrolled: 7-line block ×7, first 2 shown]
	v_mad_u64_u32 v[68:69], s[26:27], v70, s20, v[68:69]
	v_mul_lo_u32 v1, v70, s21
	v_mul_lo_u32 v70, v71, s20
	v_add3_u32 v69, v70, v69, v1
	v_or_b32_e32 v1, v60, v2
	v_mul_lo_u32 v60, v61, s18
	v_mul_lo_u32 v61, v1, s19
	v_mad_u64_u32 v[78:79], s[20:21], v1, s18, 0
	v_or_b32_e32 v1, 0x200, v1
	v_add3_u32 v79, v79, v61, v60
	v_mul_lo_u32 v61, v1, s19
	v_mad_u64_u32 v[102:103], s[18:19], v1, s18, 0
	v_add3_u32 v103, v103, v61, v60
	v_mov_b64_e32 v[60:61], 0
	v_lshl_add_u64 v[66:67], v[72:73], 0, s[16:17]
	s_mov_b64 s[18:19], 0x200
	v_mov_b64_e32 v[100:101], v[60:61]
	v_mov_b64_e32 v[96:97], v[60:61]
	;; [unrolled: 1-line block ×15, first 2 shown]
	s_waitcnt vmcnt(0)
	v_mov_b64_e32 v[104:105], v[56:57]
	v_mov_b64_e32 v[106:107], v[52:53]
	;; [unrolled: 1-line block ×11, first 2 shown]
.LBB267_4:                              ; =>This Inner Loop Header: Depth=1
	v_lshl_add_u64 v[170:171], v[68:69], 0, v[2:3]
	v_lshl_add_u64 v[136:137], v[170:171], 0, s[18:19]
	;; [unrolled: 1-line block ×15, first 2 shown]
	global_load_dwordx2 v[136:137], v[170:171], off offset:512
	s_nop 0
	global_load_dwordx2 v[138:139], v[138:139], off
	s_nop 0
	global_load_dwordx2 v[140:141], v[140:141], off
	;; [unrolled: 2-line block ×3, first 2 shown]
	v_lshl_add_u64 v[166:167], v[164:165], 0, s[2:3]
	global_load_dwordx2 v[144:145], v[146:147], off
	v_lshl_add_u64 v[168:169], s[12:13], 0, v[78:79]
	global_load_dwordx2 v[146:147], v[148:149], off
	s_cmp_lg_u32 s24, s23
	global_load_dwordx2 v[148:149], v[150:151], off
	s_nop 0
	global_load_dwordx2 v[150:151], v[152:153], off
	s_nop 0
	;; [unrolled: 2-line block ×8, first 2 shown]
	global_load_dwordx2 v[164:165], v[166:167], off
	v_lshl_add_u64 v[166:167], v[166:167], 0, s[2:3]
	global_load_dwordx2 v[166:167], v[166:167], off
	s_nop 0
	global_load_dwordx2 v[168:169], v[168:169], off
	s_cbranch_scc0 .LBB267_6
; %bb.5:                                ;   in Loop: Header=BB267_4 Depth=1
	v_lshl_add_u64 v[106:107], v[4:5], 0, v[2:3]
	v_lshl_add_u64 v[108:109], v[6:7], 0, v[2:3]
	;; [unrolled: 1-line block ×15, first 2 shown]
	global_load_dwordx2 v[104:105], v[170:171], off offset:1024
	s_nop 0
	global_load_dwordx2 v[106:107], v[106:107], off
	s_nop 0
	global_load_dwordx2 v[108:109], v[108:109], off
	;; [unrolled: 2-line block ×15, first 2 shown]
.LBB267_6:                              ;   in Loop: Header=BB267_4 Depth=1
	v_lshl_add_u64 v[170:171], s[12:13], 0, v[102:103]
	global_load_dwordx2 v[170:171], v[170:171], off
	s_add_i32 s23, s23, 1
	s_add_u32 s12, s12, s14
	s_waitcnt vmcnt(1)
	v_fmac_f64_e32 v[60:61], v[56:57], v[168:169]
	v_fmac_f64_e32 v[100:101], v[52:53], v[168:169]
	;; [unrolled: 1-line block ×16, first 2 shown]
	s_addc_u32 s13, s13, s15
	v_lshl_add_u64 v[4:5], v[4:5], 0, s[16:17]
	v_lshl_add_u64 v[6:7], v[6:7], 0, s[16:17]
	;; [unrolled: 1-line block ×15, first 2 shown]
	s_cmp_ge_i32 s23, s22
	v_lshl_add_u64 v[68:69], v[68:69], 0, s[16:17]
	s_waitcnt vmcnt(0)
	v_fmac_f64_e32 v[60:61], v[136:137], v[170:171]
	v_fmac_f64_e32 v[100:101], v[138:139], v[170:171]
	v_fmac_f64_e32 v[96:97], v[140:141], v[170:171]
	v_fmac_f64_e32 v[98:99], v[142:143], v[170:171]
	v_fmac_f64_e32 v[92:93], v[144:145], v[170:171]
	v_fmac_f64_e32 v[94:95], v[146:147], v[170:171]
	v_fmac_f64_e32 v[88:89], v[148:149], v[170:171]
	v_fmac_f64_e32 v[90:91], v[150:151], v[170:171]
	v_fmac_f64_e32 v[84:85], v[152:153], v[170:171]
	v_fmac_f64_e32 v[86:87], v[154:155], v[170:171]
	v_fmac_f64_e32 v[80:81], v[156:157], v[170:171]
	v_fmac_f64_e32 v[82:83], v[158:159], v[170:171]
	v_fmac_f64_e32 v[74:75], v[160:161], v[170:171]
	v_fmac_f64_e32 v[76:77], v[162:163], v[170:171]
	v_fmac_f64_e32 v[72:73], v[164:165], v[170:171]
	v_fmac_f64_e32 v[70:71], v[166:167], v[170:171]
	s_cbranch_scc1 .LBB267_8
; %bb.7:                                ;   in Loop: Header=BB267_4 Depth=1
	v_mov_b64_e32 v[56:57], v[104:105]
	v_mov_b64_e32 v[52:53], v[106:107]
	;; [unrolled: 1-line block ×16, first 2 shown]
	s_branch .LBB267_4
.LBB267_8:
	v_lshl_or_b32 v1, v175, 9, v2
	ds_write2st64_b64 v1, v[60:61], v[100:101] offset1:1
	ds_write2st64_b64 v1, v[96:97], v[98:99] offset0:2 offset1:3
	ds_write2st64_b64 v1, v[92:93], v[94:95] offset0:4 offset1:5
	;; [unrolled: 1-line block ×6, first 2 shown]
	ds_write_b64 v1, v[72:73] offset:7168
	v_lshlrev_b32_e32 v1, 3, v172
	v_lshlrev_b32_e32 v2, 9, v174
	s_movk_i32 s2, 0x1e00
	v_or3_b32 v1, v2, v1, s2
	v_cmp_eq_u32_e32 vcc, 0, v173
	ds_write_b64 v1, v[70:71]
	s_waitcnt lgkmcnt(0)
	s_barrier
	s_and_saveexec_b64 s[2:3], vcc
	s_cbranch_execz .LBB267_10
; %bb.9:
	v_lshlrev_b32_e32 v12, 6, v172
	v_add_u32_e32 v1, 1, v172
	v_and_or_b32 v1, v1, 63, v12
	v_lshlrev_b32_e32 v2, 3, v1
	v_add_u32_e32 v1, 2, v172
	v_or_b32_e32 v13, v0, v12
	v_and_or_b32 v1, v1, 63, v12
	v_lshlrev_b32_e32 v0, 3, v13
	v_lshlrev_b32_e32 v4, 3, v1
	v_add_u32_e32 v1, 3, v172
	v_and_or_b32 v6, v1, 63, v12
	ds_read_b64 v[0:1], v0
	ds_read_b64 v[2:3], v2
	;; [unrolled: 1-line block ×3, first 2 shown]
	v_lshlrev_b32_e32 v6, 3, v6
	ds_read_b64 v[6:7], v6
	s_waitcnt lgkmcnt(3)
	v_add_f64 v[0:1], v[0:1], 0
	s_waitcnt lgkmcnt(2)
	v_add_f64 v[0:1], v[0:1], v[2:3]
	v_add_u32_e32 v3, 5, v172
	v_and_or_b32 v3, v3, 63, v12
	s_waitcnt lgkmcnt(1)
	v_add_f64 v[0:1], v[0:1], v[4:5]
	v_lshlrev_b32_e32 v4, 3, v3
	v_add_u32_e32 v3, 6, v172
	v_and_or_b32 v3, v3, 63, v12
	v_add_u32_e32 v2, 4, v172
	v_lshlrev_b32_e32 v8, 3, v3
	v_add_u32_e32 v3, 7, v172
	v_and_or_b32 v2, v2, 63, v12
	v_and_or_b32 v3, v3, 63, v12
	v_lshlrev_b32_e32 v2, 3, v2
	v_lshlrev_b32_e32 v10, 3, v3
	ds_read_b64 v[2:3], v2
	ds_read_b64 v[4:5], v4
	;; [unrolled: 1-line block ×4, first 2 shown]
	s_waitcnt lgkmcnt(4)
	v_add_f64 v[0:1], v[0:1], v[6:7]
	s_waitcnt lgkmcnt(3)
	v_add_f64 v[0:1], v[0:1], v[2:3]
	v_add_u32_e32 v3, 9, v172
	v_and_or_b32 v3, v3, 63, v12
	s_waitcnt lgkmcnt(2)
	v_add_f64 v[0:1], v[0:1], v[4:5]
	v_add_u32_e32 v2, 8, v172
	v_lshlrev_b32_e32 v4, 3, v3
	v_add_u32_e32 v3, 10, v172
	v_and_or_b32 v2, v2, 63, v12
	v_and_or_b32 v3, v3, 63, v12
	v_lshlrev_b32_e32 v2, 3, v2
	v_lshlrev_b32_e32 v6, 3, v3
	v_add_u32_e32 v3, 11, v172
	s_waitcnt lgkmcnt(1)
	v_add_f64 v[0:1], v[0:1], v[8:9]
	v_and_or_b32 v8, v3, 63, v12
	ds_read_b64 v[2:3], v2
	ds_read_b64 v[4:5], v4
	ds_read_b64 v[6:7], v6
	s_waitcnt lgkmcnt(3)
	v_add_f64 v[0:1], v[0:1], v[10:11]
	v_lshlrev_b32_e32 v8, 3, v8
	s_waitcnt lgkmcnt(2)
	v_add_f64 v[0:1], v[0:1], v[2:3]
	v_add_u32_e32 v3, 13, v172
	v_and_or_b32 v3, v3, 63, v12
	s_waitcnt lgkmcnt(1)
	v_add_f64 v[0:1], v[0:1], v[4:5]
	v_lshlrev_b32_e32 v4, 3, v3
	v_add_u32_e32 v3, 14, v172
	ds_read_b64 v[8:9], v8
	v_and_or_b32 v3, v3, 63, v12
	s_waitcnt lgkmcnt(1)
	v_add_f64 v[0:1], v[0:1], v[6:7]
	v_add_u32_e32 v2, 12, v172
	v_lshlrev_b32_e32 v6, 3, v3
	v_add_u32_e32 v3, 15, v172
	v_and_or_b32 v2, v2, 63, v12
	v_and_or_b32 v3, v3, 63, v12
	v_lshlrev_b32_e32 v2, 3, v2
	v_lshlrev_b32_e32 v10, 3, v3
	ds_read_b64 v[2:3], v2
	ds_read_b64 v[4:5], v4
	;; [unrolled: 1-line block ×4, first 2 shown]
	s_waitcnt lgkmcnt(4)
	v_add_f64 v[0:1], v[0:1], v[8:9]
	s_waitcnt lgkmcnt(3)
	v_add_f64 v[0:1], v[0:1], v[2:3]
	v_add_u32_e32 v3, 17, v172
	v_and_or_b32 v3, v3, 63, v12
	s_waitcnt lgkmcnt(2)
	v_add_f64 v[0:1], v[0:1], v[4:5]
	v_add_u32_e32 v2, 16, v172
	v_lshlrev_b32_e32 v4, 3, v3
	v_add_u32_e32 v3, 18, v172
	v_and_or_b32 v2, v2, 63, v12
	v_and_or_b32 v3, v3, 63, v12
	s_waitcnt lgkmcnt(1)
	v_add_f64 v[0:1], v[0:1], v[6:7]
	v_lshlrev_b32_e32 v2, 3, v2
	v_lshlrev_b32_e32 v6, 3, v3
	v_add_u32_e32 v3, 19, v172
	v_and_or_b32 v8, v3, 63, v12
	ds_read_b64 v[2:3], v2
	ds_read_b64 v[4:5], v4
	;; [unrolled: 1-line block ×3, first 2 shown]
	s_waitcnt lgkmcnt(3)
	v_add_f64 v[0:1], v[0:1], v[10:11]
	v_lshlrev_b32_e32 v8, 3, v8
	s_waitcnt lgkmcnt(2)
	v_add_f64 v[0:1], v[0:1], v[2:3]
	v_add_u32_e32 v3, 21, v172
	v_and_or_b32 v3, v3, 63, v12
	s_waitcnt lgkmcnt(1)
	v_add_f64 v[0:1], v[0:1], v[4:5]
	v_lshlrev_b32_e32 v4, 3, v3
	v_add_u32_e32 v3, 22, v172
	ds_read_b64 v[8:9], v8
	v_and_or_b32 v3, v3, 63, v12
	s_waitcnt lgkmcnt(1)
	v_add_f64 v[0:1], v[0:1], v[6:7]
	v_add_u32_e32 v2, 20, v172
	v_lshlrev_b32_e32 v6, 3, v3
	v_add_u32_e32 v3, 23, v172
	v_and_or_b32 v2, v2, 63, v12
	v_and_or_b32 v3, v3, 63, v12
	v_lshlrev_b32_e32 v2, 3, v2
	v_lshlrev_b32_e32 v10, 3, v3
	ds_read_b64 v[2:3], v2
	ds_read_b64 v[4:5], v4
	;; [unrolled: 1-line block ×4, first 2 shown]
	s_waitcnt lgkmcnt(4)
	v_add_f64 v[0:1], v[0:1], v[8:9]
	s_waitcnt lgkmcnt(3)
	v_add_f64 v[0:1], v[0:1], v[2:3]
	v_add_u32_e32 v3, 25, v172
	v_and_or_b32 v3, v3, 63, v12
	s_waitcnt lgkmcnt(2)
	v_add_f64 v[0:1], v[0:1], v[4:5]
	v_add_u32_e32 v2, 24, v172
	v_lshlrev_b32_e32 v4, 3, v3
	v_add_u32_e32 v3, 26, v172
	v_and_or_b32 v2, v2, 63, v12
	v_and_or_b32 v3, v3, 63, v12
	s_waitcnt lgkmcnt(1)
	v_add_f64 v[0:1], v[0:1], v[6:7]
	v_lshlrev_b32_e32 v2, 3, v2
	v_lshlrev_b32_e32 v6, 3, v3
	v_add_u32_e32 v3, 27, v172
	v_and_or_b32 v8, v3, 63, v12
	ds_read_b64 v[2:3], v2
	ds_read_b64 v[4:5], v4
	;; [unrolled: 1-line block ×3, first 2 shown]
	s_waitcnt lgkmcnt(3)
	v_add_f64 v[0:1], v[0:1], v[10:11]
	v_lshlrev_b32_e32 v8, 3, v8
	s_waitcnt lgkmcnt(2)
	v_add_f64 v[0:1], v[0:1], v[2:3]
	v_add_u32_e32 v3, 29, v172
	v_and_or_b32 v3, v3, 63, v12
	s_waitcnt lgkmcnt(1)
	v_add_f64 v[0:1], v[0:1], v[4:5]
	v_lshlrev_b32_e32 v4, 3, v3
	v_add_u32_e32 v3, 30, v172
	ds_read_b64 v[8:9], v8
	v_and_or_b32 v3, v3, 63, v12
	s_waitcnt lgkmcnt(1)
	v_add_f64 v[0:1], v[0:1], v[6:7]
	v_add_u32_e32 v2, 28, v172
	v_lshlrev_b32_e32 v6, 3, v3
	v_add_u32_e32 v3, 31, v172
	v_and_or_b32 v2, v2, 63, v12
	v_and_or_b32 v3, v3, 63, v12
	v_lshlrev_b32_e32 v2, 3, v2
	v_lshlrev_b32_e32 v10, 3, v3
	ds_read_b64 v[2:3], v2
	ds_read_b64 v[4:5], v4
	;; [unrolled: 1-line block ×4, first 2 shown]
	s_waitcnt lgkmcnt(4)
	v_add_f64 v[0:1], v[0:1], v[8:9]
	s_waitcnt lgkmcnt(3)
	v_add_f64 v[0:1], v[0:1], v[2:3]
	v_add_u32_e32 v3, 33, v172
	v_and_or_b32 v3, v3, 63, v12
	s_waitcnt lgkmcnt(2)
	v_add_f64 v[0:1], v[0:1], v[4:5]
	v_lshlrev_b32_e32 v4, 3, v3
	v_add_u32_e32 v3, 34, v172
	v_xor_b32_e32 v2, 32, v13
	v_and_or_b32 v3, v3, 63, v12
	s_waitcnt lgkmcnt(1)
	v_add_f64 v[0:1], v[0:1], v[6:7]
	v_lshlrev_b32_e32 v2, 3, v2
	v_lshlrev_b32_e32 v6, 3, v3
	v_add_u32_e32 v3, 35, v172
	v_and_or_b32 v8, v3, 63, v12
	ds_read_b64 v[2:3], v2
	ds_read_b64 v[4:5], v4
	ds_read_b64 v[6:7], v6
	s_waitcnt lgkmcnt(3)
	v_add_f64 v[0:1], v[0:1], v[10:11]
	v_lshlrev_b32_e32 v8, 3, v8
	s_waitcnt lgkmcnt(2)
	v_add_f64 v[0:1], v[0:1], v[2:3]
	v_add_u32_e32 v3, 37, v172
	v_and_or_b32 v3, v3, 63, v12
	s_waitcnt lgkmcnt(1)
	v_add_f64 v[0:1], v[0:1], v[4:5]
	v_lshlrev_b32_e32 v4, 3, v3
	v_add_u32_e32 v3, 38, v172
	ds_read_b64 v[8:9], v8
	v_and_or_b32 v3, v3, 63, v12
	s_waitcnt lgkmcnt(1)
	v_add_f64 v[0:1], v[0:1], v[6:7]
	v_add_u32_e32 v2, 36, v172
	v_lshlrev_b32_e32 v6, 3, v3
	v_add_u32_e32 v3, 39, v172
	v_and_or_b32 v2, v2, 63, v12
	v_and_or_b32 v3, v3, 63, v12
	v_lshlrev_b32_e32 v2, 3, v2
	v_lshlrev_b32_e32 v10, 3, v3
	ds_read_b64 v[2:3], v2
	ds_read_b64 v[4:5], v4
	ds_read_b64 v[6:7], v6
	ds_read_b64 v[10:11], v10
	s_waitcnt lgkmcnt(4)
	v_add_f64 v[0:1], v[0:1], v[8:9]
	s_waitcnt lgkmcnt(3)
	v_add_f64 v[0:1], v[0:1], v[2:3]
	v_add_u32_e32 v3, 41, v172
	v_and_or_b32 v3, v3, 63, v12
	s_waitcnt lgkmcnt(2)
	v_add_f64 v[0:1], v[0:1], v[4:5]
	v_add_u32_e32 v2, 40, v172
	v_lshlrev_b32_e32 v4, 3, v3
	v_add_u32_e32 v3, 42, v172
	v_and_or_b32 v2, v2, 63, v12
	v_and_or_b32 v3, v3, 63, v12
	s_waitcnt lgkmcnt(1)
	v_add_f64 v[0:1], v[0:1], v[6:7]
	v_lshlrev_b32_e32 v2, 3, v2
	v_lshlrev_b32_e32 v6, 3, v3
	v_add_u32_e32 v3, 43, v172
	v_and_or_b32 v8, v3, 63, v12
	ds_read_b64 v[2:3], v2
	ds_read_b64 v[4:5], v4
	ds_read_b64 v[6:7], v6
	s_waitcnt lgkmcnt(3)
	v_add_f64 v[0:1], v[0:1], v[10:11]
	v_lshlrev_b32_e32 v8, 3, v8
	s_waitcnt lgkmcnt(2)
	v_add_f64 v[0:1], v[0:1], v[2:3]
	v_add_u32_e32 v3, 45, v172
	v_and_or_b32 v3, v3, 63, v12
	s_waitcnt lgkmcnt(1)
	v_add_f64 v[0:1], v[0:1], v[4:5]
	v_lshlrev_b32_e32 v4, 3, v3
	v_add_u32_e32 v3, 46, v172
	ds_read_b64 v[8:9], v8
	v_and_or_b32 v3, v3, 63, v12
	s_waitcnt lgkmcnt(1)
	v_add_f64 v[0:1], v[0:1], v[6:7]
	v_add_u32_e32 v2, 44, v172
	v_lshlrev_b32_e32 v6, 3, v3
	v_add_u32_e32 v3, 47, v172
	v_and_or_b32 v2, v2, 63, v12
	v_and_or_b32 v3, v3, 63, v12
	v_lshlrev_b32_e32 v2, 3, v2
	v_lshlrev_b32_e32 v10, 3, v3
	ds_read_b64 v[2:3], v2
	ds_read_b64 v[4:5], v4
	ds_read_b64 v[6:7], v6
	ds_read_b64 v[10:11], v10
	s_waitcnt lgkmcnt(4)
	v_add_f64 v[0:1], v[0:1], v[8:9]
	s_waitcnt lgkmcnt(3)
	v_add_f64 v[0:1], v[0:1], v[2:3]
	v_add_u32_e32 v3, 49, v172
	v_and_or_b32 v3, v3, 63, v12
	s_waitcnt lgkmcnt(2)
	v_add_f64 v[0:1], v[0:1], v[4:5]
	v_add_u32_e32 v2, 48, v172
	v_lshlrev_b32_e32 v4, 3, v3
	v_add_u32_e32 v3, 50, v172
	v_and_or_b32 v2, v2, 63, v12
	;; [unrolled: 48-line block ×3, first 2 shown]
	v_and_or_b32 v3, v3, 63, v12
	s_waitcnt lgkmcnt(1)
	v_add_f64 v[0:1], v[0:1], v[6:7]
	v_lshlrev_b32_e32 v2, 3, v2
	v_lshlrev_b32_e32 v6, 3, v3
	v_add_u32_e32 v3, 59, v172
	v_and_or_b32 v8, v3, 63, v12
	ds_read_b64 v[2:3], v2
	ds_read_b64 v[4:5], v4
	;; [unrolled: 1-line block ×3, first 2 shown]
	s_waitcnt lgkmcnt(3)
	v_add_f64 v[0:1], v[0:1], v[10:11]
	v_lshlrev_b32_e32 v8, 3, v8
	s_waitcnt lgkmcnt(2)
	v_add_f64 v[0:1], v[0:1], v[2:3]
	v_add_u32_e32 v3, 61, v172
	v_and_or_b32 v3, v3, 63, v12
	s_waitcnt lgkmcnt(1)
	v_add_f64 v[0:1], v[0:1], v[4:5]
	v_lshlrev_b32_e32 v4, 3, v3
	v_add_u32_e32 v3, 62, v172
	ds_read_b64 v[8:9], v8
	v_and_or_b32 v3, v3, 63, v12
	s_load_dword s2, s[0:1], 0x68
	s_waitcnt lgkmcnt(0)
	v_add_f64 v[0:1], v[0:1], v[6:7]
	v_add_u32_e32 v2, 60, v172
	v_lshlrev_b32_e32 v6, 3, v3
	v_add_u32_e32 v3, -1, v172
	v_and_or_b32 v2, v2, 63, v12
	v_and_or_b32 v3, v3, 63, v12
	v_lshlrev_b32_e32 v2, 3, v2
	v_lshlrev_b32_e32 v10, 3, v3
	s_lshl_b64 s[0:1], s[10:11], 3
	ds_read_b64 v[2:3], v2
	ds_read_b64 v[4:5], v4
	;; [unrolled: 1-line block ×4, first 2 shown]
	s_add_u32 s3, s8, s0
	v_add_f64 v[0:1], v[0:1], v[8:9]
	s_addc_u32 s5, s9, s1
	s_mul_hi_i32 s1, s2, s4
	s_mul_i32 s0, s2, s4
	s_waitcnt lgkmcnt(3)
	v_add_f64 v[0:1], v[0:1], v[2:3]
	s_lshl_b64 s[0:1], s[0:1], 3
	s_waitcnt lgkmcnt(2)
	v_add_f64 v[0:1], v[0:1], v[4:5]
	s_add_u32 s0, s3, s0
	s_waitcnt lgkmcnt(1)
	v_add_f64 v[0:1], v[0:1], v[6:7]
	s_addc_u32 s1, s5, s1
	s_waitcnt lgkmcnt(0)
	v_add_f64 v[0:1], v[0:1], v[10:11]
	v_mad_i64_i32 v[2:3], s[2:3], s2, v172, 0
	v_lshl_add_u64 v[2:3], v[2:3], 3, s[0:1]
	v_mul_f64 v[0:1], v[0:1], s[6:7]
	global_atomic_add_f64 v[2:3], v[0:1], off
.LBB267_10:
	s_endpgm
	.section	.rodata,"a",@progbits
	.p2align	6, 0x0
	.amdhsa_kernel _ZL36rocblas_gemvt_double_buffered_kernelILb0ELi128ELi4ELi16EPKddKPdEviiT4_lPKT3_lilS7_lilPT5_lili
		.amdhsa_group_segment_fixed_size 65536
		.amdhsa_private_segment_fixed_size 0
		.amdhsa_kernarg_size 384
		.amdhsa_user_sgpr_count 2
		.amdhsa_user_sgpr_dispatch_ptr 0
		.amdhsa_user_sgpr_queue_ptr 0
		.amdhsa_user_sgpr_kernarg_segment_ptr 1
		.amdhsa_user_sgpr_dispatch_id 0
		.amdhsa_user_sgpr_kernarg_preload_length 0
		.amdhsa_user_sgpr_kernarg_preload_offset 0
		.amdhsa_user_sgpr_private_segment_size 0
		.amdhsa_uses_dynamic_stack 0
		.amdhsa_enable_private_segment 0
		.amdhsa_system_sgpr_workgroup_id_x 1
		.amdhsa_system_sgpr_workgroup_id_y 1
		.amdhsa_system_sgpr_workgroup_id_z 1
		.amdhsa_system_sgpr_workgroup_info 0
		.amdhsa_system_vgpr_workitem_id 1
		.amdhsa_next_free_vgpr 176
		.amdhsa_next_free_sgpr 32
		.amdhsa_accum_offset 176
		.amdhsa_reserve_vcc 1
		.amdhsa_float_round_mode_32 0
		.amdhsa_float_round_mode_16_64 0
		.amdhsa_float_denorm_mode_32 3
		.amdhsa_float_denorm_mode_16_64 3
		.amdhsa_dx10_clamp 1
		.amdhsa_ieee_mode 1
		.amdhsa_fp16_overflow 0
		.amdhsa_tg_split 0
		.amdhsa_exception_fp_ieee_invalid_op 0
		.amdhsa_exception_fp_denorm_src 0
		.amdhsa_exception_fp_ieee_div_zero 0
		.amdhsa_exception_fp_ieee_overflow 0
		.amdhsa_exception_fp_ieee_underflow 0
		.amdhsa_exception_fp_ieee_inexact 0
		.amdhsa_exception_int_div_zero 0
	.end_amdhsa_kernel
	.section	.text._ZL36rocblas_gemvt_double_buffered_kernelILb0ELi128ELi4ELi16EPKddKPdEviiT4_lPKT3_lilS7_lilPT5_lili,"axG",@progbits,_ZL36rocblas_gemvt_double_buffered_kernelILb0ELi128ELi4ELi16EPKddKPdEviiT4_lPKT3_lilS7_lilPT5_lili,comdat
.Lfunc_end267:
	.size	_ZL36rocblas_gemvt_double_buffered_kernelILb0ELi128ELi4ELi16EPKddKPdEviiT4_lPKT3_lilS7_lilPT5_lili, .Lfunc_end267-_ZL36rocblas_gemvt_double_buffered_kernelILb0ELi128ELi4ELi16EPKddKPdEviiT4_lPKT3_lilS7_lilPT5_lili
                                        ; -- End function
	.section	.AMDGPU.csdata,"",@progbits
; Kernel info:
; codeLenInByte = 5432
; NumSgprs: 38
; NumVgprs: 176
; NumAgprs: 0
; TotalNumVgprs: 176
; ScratchSize: 0
; MemoryBound: 0
; FloatMode: 240
; IeeeMode: 1
; LDSByteSize: 65536 bytes/workgroup (compile time only)
; SGPRBlocks: 4
; VGPRBlocks: 21
; NumSGPRsForWavesPerEU: 38
; NumVGPRsForWavesPerEU: 176
; AccumOffset: 176
; Occupancy: 2
; WaveLimiterHint : 1
; COMPUTE_PGM_RSRC2:SCRATCH_EN: 0
; COMPUTE_PGM_RSRC2:USER_SGPR: 2
; COMPUTE_PGM_RSRC2:TRAP_HANDLER: 0
; COMPUTE_PGM_RSRC2:TGID_X_EN: 1
; COMPUTE_PGM_RSRC2:TGID_Y_EN: 1
; COMPUTE_PGM_RSRC2:TGID_Z_EN: 1
; COMPUTE_PGM_RSRC2:TIDIG_COMP_CNT: 1
; COMPUTE_PGM_RSRC3_GFX90A:ACCUM_OFFSET: 43
; COMPUTE_PGM_RSRC3_GFX90A:TG_SPLIT: 0
	.section	.text._ZL32rocblas_gemvt_warp_reduce_kernelILb0ELi256EiPKdS1_KPdEviiT3_lPKT2_lT1_lS7_lS8_lS4_lPT4_lS8_li,"axG",@progbits,_ZL32rocblas_gemvt_warp_reduce_kernelILb0ELi256EiPKdS1_KPdEviiT3_lPKT2_lT1_lS7_lS8_lS4_lPT4_lS8_li,comdat
	.globl	_ZL32rocblas_gemvt_warp_reduce_kernelILb0ELi256EiPKdS1_KPdEviiT3_lPKT2_lT1_lS7_lS8_lS4_lPT4_lS8_li ; -- Begin function _ZL32rocblas_gemvt_warp_reduce_kernelILb0ELi256EiPKdS1_KPdEviiT3_lPKT2_lT1_lS7_lS8_lS4_lPT4_lS8_li
	.p2align	8
	.type	_ZL32rocblas_gemvt_warp_reduce_kernelILb0ELi256EiPKdS1_KPdEviiT3_lPKT2_lT1_lS7_lS8_lS4_lPT4_lS8_li,@function
_ZL32rocblas_gemvt_warp_reduce_kernelILb0ELi256EiPKdS1_KPdEviiT3_lPKT2_lT1_lS7_lS8_lS4_lPT4_lS8_li: ; @_ZL32rocblas_gemvt_warp_reduce_kernelILb0ELi256EiPKdS1_KPdEviiT3_lPKT2_lT1_lS7_lS8_lS4_lPT4_lS8_li
; %bb.0:
	s_load_dwordx8 s[12:19], s[0:1], 0x8
	s_load_dwordx8 s[4:11], s[0:1], 0x58
	s_mov_b32 s22, s3
	s_waitcnt lgkmcnt(0)
	s_mul_i32 s3, s3, s15
	s_mul_hi_u32 s15, s22, s14
	s_add_i32 s15, s15, s3
	s_mul_i32 s14, s22, s14
	s_lshl_b64 s[14:15], s[14:15], 3
	s_add_u32 s12, s12, s14
	s_mul_i32 s3, s22, s7
	s_mul_hi_u32 s7, s22, s6
	s_addc_u32 s13, s13, s15
	s_add_i32 s7, s7, s3
	s_mul_i32 s6, s22, s6
	s_lshl_b64 s[6:7], s[6:7], 3
	s_add_u32 s4, s4, s6
	s_addc_u32 s5, s5, s7
	s_load_dwordx2 s[12:13], s[12:13], 0x0
	s_nop 0
	s_load_dwordx2 s[6:7], s[4:5], 0x0
	s_waitcnt lgkmcnt(0)
	v_cmp_eq_f64_e64 s[4:5], s[12:13], 0
	v_cmp_eq_f64_e64 s[14:15], s[6:7], 1.0
	s_and_b64 s[14:15], s[4:5], s[14:15]
	s_and_b64 vcc, exec, s[14:15]
	s_cbranch_vccnz .LBB268_33
; %bb.1:
	s_mov_b32 s23, 0
	s_mov_b64 s[14:15], 0
	v_cmp_neq_f64_e64 s[24:25], s[12:13], 0
	s_and_b64 vcc, exec, s[4:5]
	s_mov_b64 s[20:21], 0
	s_cbranch_vccnz .LBB268_3
; %bb.2:
	s_lshl_b64 s[20:21], s[22:23], 3
	s_add_u32 s16, s16, s20
	s_addc_u32 s17, s17, s21
	s_load_dwordx2 s[16:17], s[16:17], 0x0
	s_lshl_b64 s[18:19], s[18:19], 3
	s_waitcnt lgkmcnt(0)
	s_add_u32 s20, s16, s18
	s_addc_u32 s21, s17, s19
.LBB268_3:
	s_andn2_b64 vcc, exec, s[24:25]
	s_cbranch_vccnz .LBB268_5
; %bb.4:
	s_load_dwordx4 s[16:19], s[0:1], 0x38
	s_lshl_b64 s[14:15], s[22:23], 3
	s_waitcnt lgkmcnt(0)
	s_add_u32 s14, s16, s14
	s_addc_u32 s15, s17, s15
	s_load_dwordx2 s[14:15], s[14:15], 0x0
	s_lshl_b64 s[16:17], s[18:19], 3
	s_waitcnt lgkmcnt(0)
	s_add_u32 s14, s14, s16
	s_addc_u32 s15, s15, s17
.LBB268_5:
	s_lshl_b64 s[16:17], s[22:23], 3
	s_add_u32 s8, s8, s16
	s_addc_u32 s9, s9, s17
	s_load_dwordx2 s[16:17], s[8:9], 0x0
	s_load_dword s23, s[0:1], 0x78
	s_lshl_b64 s[8:9], s[10:11], 3
	s_waitcnt lgkmcnt(0)
	s_add_u32 s3, s16, s8
	s_addc_u32 s22, s17, s9
	s_andn2_b64 vcc, exec, s[4:5]
	v_cmp_eq_u32_e64 s[4:5], 0, v0
	s_cbranch_vccnz .LBB268_10
; %bb.6:
	s_mov_b64 s[16:17], 0
	s_mov_b64 s[8:9], 0
                                        ; implicit-def: $vgpr2_vgpr3
                                        ; implicit-def: $sgpr10_sgpr11
	s_and_saveexec_b64 s[18:19], s[4:5]
	s_cbranch_execz .LBB268_11
; %bb.7:
	v_cmp_eq_f64_e64 s[4:5], s[6:7], 0
	s_mul_i32 s10, s2, s23
	v_mov_b64_e32 v[2:3], 0
	s_ashr_i32 s11, s10, 31
	s_and_b64 vcc, exec, s[4:5]
	s_cbranch_vccnz .LBB268_9
; %bb.8:
	s_lshl_b64 s[4:5], s[10:11], 3
	s_add_u32 s4, s3, s4
	s_addc_u32 s5, s22, s5
	s_load_dwordx2 s[4:5], s[4:5], 0x0
	s_waitcnt lgkmcnt(0)
	v_mov_b64_e32 v[2:3], s[4:5]
	v_mul_f64 v[2:3], s[6:7], v[2:3]
.LBB268_9:
	s_mov_b64 s[8:9], exec
	s_or_b64 exec, exec, s[18:19]
	s_and_b64 vcc, exec, s[16:17]
	s_cbranch_vccnz .LBB268_12
	s_branch .LBB268_31
.LBB268_10:
	s_mov_b64 s[8:9], 0
                                        ; implicit-def: $vgpr2_vgpr3
                                        ; implicit-def: $sgpr10_sgpr11
	s_cbranch_execnz .LBB268_12
	s_branch .LBB268_31
.LBB268_11:
	s_or_b64 exec, exec, s[18:19]
	s_and_b64 vcc, exec, s[16:17]
	s_cbranch_vccz .LBB268_31
.LBB268_12:
	s_load_dword s19, s[0:1], 0x0
	s_load_dword s4, s[0:1], 0x28
	;; [unrolled: 1-line block ×3, first 2 shown]
	v_mov_b32_e32 v3, 0
	s_waitcnt lgkmcnt(0)
	v_cmp_gt_i32_e32 vcc, s19, v0
	s_mul_i32 s0, s2, s4
	s_ashr_i32 s1, s0, 31
	s_lshl_b64 s[0:1], s[0:1], 3
	v_cndmask_b32_e32 v1, 0, v0, vcc
	s_add_u32 s0, s0, s20
	v_lshlrev_b32_e32 v2, 3, v1
	s_addc_u32 s1, s1, s21
	v_lshl_add_u64 v[4:5], s[0:1], 0, v[2:3]
	s_ashr_i32 s0, s19, 31
	s_lshr_b32 s0, s0, 24
	s_add_i32 s0, s19, s0
	s_and_b32 s0, s0, 0xffffff00
	v_cmp_gt_i32_e32 vcc, s0, v0
	v_mov_b64_e32 v[2:3], 0
	s_and_saveexec_b64 s[4:5], vcc
	s_cbranch_execz .LBB268_16
; %bb.13:
	v_mul_lo_u32 v6, v0, s18
	s_lshl_b32 s1, s18, 8
	s_mov_b64 s[10:11], 0
	v_mov_b64_e32 v[2:3], 0
	s_mov_b64 s[16:17], 0x800
	v_mov_b64_e32 v[8:9], v[4:5]
	v_mov_b32_e32 v1, v0
.LBB268_14:                             ; =>This Inner Loop Header: Depth=1
	v_ashrrev_i32_e32 v7, 31, v6
	v_lshl_add_u64 v[12:13], v[6:7], 3, s[14:15]
	flat_load_dwordx2 v[10:11], v[8:9]
	v_add_u32_e32 v1, 0x100, v1
	flat_load_dwordx2 v[12:13], v[12:13]
	v_cmp_le_i32_e32 vcc, s0, v1
	v_lshl_add_u64 v[8:9], v[8:9], 0, s[16:17]
	v_add_u32_e32 v6, s1, v6
	s_or_b64 s[10:11], vcc, s[10:11]
	s_waitcnt vmcnt(0) lgkmcnt(0)
	v_fmac_f64_e32 v[2:3], v[10:11], v[12:13]
	s_andn2_b64 exec, exec, s[10:11]
	s_cbranch_execnz .LBB268_14
; %bb.15:
	s_or_b64 exec, exec, s[10:11]
.LBB268_16:
	s_or_b64 exec, exec, s[4:5]
	v_add_u32_e32 v1, s0, v0
	v_cmp_gt_i32_e32 vcc, s19, v1
	s_and_saveexec_b64 s[4:5], vcc
	s_cbranch_execz .LBB268_18
; %bb.17:
	v_mul_lo_u32 v6, v1, s18
	s_ashr_i32 s1, s0, 31
	v_ashrrev_i32_e32 v7, 31, v6
	v_lshl_add_u64 v[4:5], s[0:1], 3, v[4:5]
	v_lshl_add_u64 v[6:7], v[6:7], 3, s[14:15]
	flat_load_dwordx2 v[4:5], v[4:5]
	s_nop 0
	flat_load_dwordx2 v[6:7], v[6:7]
	s_waitcnt vmcnt(0) lgkmcnt(0)
	v_fmac_f64_e32 v[2:3], v[4:5], v[6:7]
.LBB268_18:
	s_or_b64 exec, exec, s[4:5]
	v_and_b32_e32 v6, 63, v0
	v_cmp_gt_u32_e32 vcc, 64, v0
	v_lshlrev_b32_e32 v1, 3, v6
	s_and_saveexec_b64 s[0:1], vcc
	s_cbranch_execz .LBB268_20
; %bb.19:
	v_mov_b32_e32 v4, 0
	v_mov_b32_e32 v5, v4
	ds_write_b64 v1, v[4:5]
.LBB268_20:
	s_or_b64 exec, exec, s[0:1]
	v_mbcnt_lo_u32_b32 v4, -1, 0
	v_mbcnt_hi_u32_b32 v8, -1, v4
	v_and_b32_e32 v9, 63, v8
	v_cmp_gt_u32_e64 s[0:1], 32, v9
	s_waitcnt lgkmcnt(0)
	s_barrier
	v_cndmask_b32_e64 v4, 0, 1, s[0:1]
	v_lshlrev_b32_e32 v4, 5, v4
	v_add_lshl_u32 v5, v4, v8, 2
	ds_bpermute_b32 v4, v5, v2
	ds_bpermute_b32 v5, v5, v3
	v_cmp_gt_u32_e64 s[0:1], 48, v9
	s_waitcnt lgkmcnt(0)
	v_add_f64 v[2:3], v[2:3], v[4:5]
	v_cndmask_b32_e64 v7, 0, 1, s[0:1]
	v_lshlrev_b32_e32 v4, 4, v7
	v_add_lshl_u32 v5, v4, v8, 2
	ds_bpermute_b32 v4, v5, v2
	ds_bpermute_b32 v5, v5, v3
	v_cmp_gt_u32_e64 s[0:1], 56, v9
	s_waitcnt lgkmcnt(0)
	v_add_f64 v[2:3], v[2:3], v[4:5]
	;; [unrolled: 8-line block ×4, first 2 shown]
	v_cndmask_b32_e64 v4, 0, 1, s[0:1]
	v_lshlrev_b32_e32 v4, 1, v4
	v_add_lshl_u32 v7, v4, v8, 2
	ds_bpermute_b32 v4, v7, v2
	ds_bpermute_b32 v5, v7, v3
	v_cmp_ne_u32_e64 s[0:1], 63, v9
	s_waitcnt lgkmcnt(0)
	v_add_f64 v[2:3], v[2:3], v[4:5]
	v_addc_co_u32_e64 v4, s[0:1], 0, v8, s[0:1]
	v_lshlrev_b32_e32 v8, 2, v4
	ds_bpermute_b32 v4, v8, v2
	ds_bpermute_b32 v5, v8, v3
	v_cmp_eq_u32_e64 s[0:1], 0, v6
	s_and_saveexec_b64 s[4:5], s[0:1]
	s_cbranch_execz .LBB268_22
; %bb.21:
	v_lshrrev_b32_e32 v6, 3, v0
	v_and_b32_e32 v6, 24, v6
	s_waitcnt lgkmcnt(0)
	v_add_f64 v[2:3], v[2:3], v[4:5]
	ds_write_b64 v6, v[2:3]
.LBB268_22:
	s_or_b64 exec, exec, s[4:5]
	v_cmp_gt_u32_e64 s[0:1], 4, v0
	s_waitcnt lgkmcnt(0)
	v_mov_b64_e32 v[4:5], 0
	s_barrier
	s_and_saveexec_b64 s[4:5], s[0:1]
	s_cbranch_execz .LBB268_24
; %bb.23:
	ds_read_b64 v[4:5], v1
	s_or_b64 exec, exec, s[4:5]
	s_and_saveexec_b64 s[0:1], vcc
	s_cbranch_execz .LBB268_26
	s_branch .LBB268_25
.LBB268_24:
	s_or_b64 exec, exec, s[4:5]
	s_and_saveexec_b64 s[0:1], vcc
	s_cbranch_execz .LBB268_26
.LBB268_25:
	s_waitcnt lgkmcnt(0)
	ds_bpermute_b32 v2, v7, v4
	ds_bpermute_b32 v3, v7, v5
	s_waitcnt lgkmcnt(0)
	v_add_f64 v[2:3], v[4:5], v[2:3]
	ds_bpermute_b32 v4, v8, v2
	ds_bpermute_b32 v5, v8, v3
	s_waitcnt lgkmcnt(0)
	v_add_f64 v[4:5], v[2:3], v[4:5]
.LBB268_26:
	s_or_b64 exec, exec, s[0:1]
	v_cmp_eq_u32_e32 vcc, 0, v0
                                        ; implicit-def: $vgpr2_vgpr3
                                        ; implicit-def: $sgpr10_sgpr11
	s_and_saveexec_b64 s[0:1], vcc
	s_cbranch_execz .LBB268_30
; %bb.27:
	v_cmp_eq_f64_e64 s[4:5], s[6:7], 0
	s_mul_i32 s10, s2, s23
	s_waitcnt lgkmcnt(0)
	v_mul_f64 v[2:3], s[12:13], v[4:5]
	s_ashr_i32 s11, s10, 31
	s_and_b64 vcc, exec, s[4:5]
	s_cbranch_vccnz .LBB268_29
; %bb.28:
	s_lshl_b64 s[4:5], s[10:11], 3
	s_add_u32 s4, s3, s4
	s_addc_u32 s5, s22, s5
	s_load_dwordx2 s[4:5], s[4:5], 0x0
	s_waitcnt lgkmcnt(0)
	v_mov_b64_e32 v[0:1], s[4:5]
	v_fmac_f64_e32 v[2:3], s[6:7], v[0:1]
.LBB268_29:
	s_or_b64 s[8:9], s[8:9], exec
.LBB268_30:
	s_or_b64 exec, exec, s[0:1]
.LBB268_31:
	s_and_saveexec_b64 s[0:1], s[8:9]
	s_cbranch_execz .LBB268_33
; %bb.32:
	s_lshl_b64 s[0:1], s[10:11], 3
	s_add_u32 s0, s3, s0
	s_addc_u32 s1, s22, s1
	v_mov_b32_e32 v0, 0
	global_store_dwordx2 v0, v[2:3], s[0:1]
.LBB268_33:
	s_endpgm
	.section	.rodata,"a",@progbits
	.p2align	6, 0x0
	.amdhsa_kernel _ZL32rocblas_gemvt_warp_reduce_kernelILb0ELi256EiPKdS1_KPdEviiT3_lPKT2_lT1_lS7_lS8_lS4_lPT4_lS8_li
		.amdhsa_group_segment_fixed_size 512
		.amdhsa_private_segment_fixed_size 0
		.amdhsa_kernarg_size 140
		.amdhsa_user_sgpr_count 2
		.amdhsa_user_sgpr_dispatch_ptr 0
		.amdhsa_user_sgpr_queue_ptr 0
		.amdhsa_user_sgpr_kernarg_segment_ptr 1
		.amdhsa_user_sgpr_dispatch_id 0
		.amdhsa_user_sgpr_kernarg_preload_length 0
		.amdhsa_user_sgpr_kernarg_preload_offset 0
		.amdhsa_user_sgpr_private_segment_size 0
		.amdhsa_uses_dynamic_stack 0
		.amdhsa_enable_private_segment 0
		.amdhsa_system_sgpr_workgroup_id_x 1
		.amdhsa_system_sgpr_workgroup_id_y 0
		.amdhsa_system_sgpr_workgroup_id_z 1
		.amdhsa_system_sgpr_workgroup_info 0
		.amdhsa_system_vgpr_workitem_id 0
		.amdhsa_next_free_vgpr 14
		.amdhsa_next_free_sgpr 26
		.amdhsa_accum_offset 16
		.amdhsa_reserve_vcc 1
		.amdhsa_float_round_mode_32 0
		.amdhsa_float_round_mode_16_64 0
		.amdhsa_float_denorm_mode_32 3
		.amdhsa_float_denorm_mode_16_64 3
		.amdhsa_dx10_clamp 1
		.amdhsa_ieee_mode 1
		.amdhsa_fp16_overflow 0
		.amdhsa_tg_split 0
		.amdhsa_exception_fp_ieee_invalid_op 0
		.amdhsa_exception_fp_denorm_src 0
		.amdhsa_exception_fp_ieee_div_zero 0
		.amdhsa_exception_fp_ieee_overflow 0
		.amdhsa_exception_fp_ieee_underflow 0
		.amdhsa_exception_fp_ieee_inexact 0
		.amdhsa_exception_int_div_zero 0
	.end_amdhsa_kernel
	.section	.text._ZL32rocblas_gemvt_warp_reduce_kernelILb0ELi256EiPKdS1_KPdEviiT3_lPKT2_lT1_lS7_lS8_lS4_lPT4_lS8_li,"axG",@progbits,_ZL32rocblas_gemvt_warp_reduce_kernelILb0ELi256EiPKdS1_KPdEviiT3_lPKT2_lT1_lS7_lS8_lS4_lPT4_lS8_li,comdat
.Lfunc_end268:
	.size	_ZL32rocblas_gemvt_warp_reduce_kernelILb0ELi256EiPKdS1_KPdEviiT3_lPKT2_lT1_lS7_lS8_lS4_lPT4_lS8_li, .Lfunc_end268-_ZL32rocblas_gemvt_warp_reduce_kernelILb0ELi256EiPKdS1_KPdEviiT3_lPKT2_lT1_lS7_lS8_lS4_lPT4_lS8_li
                                        ; -- End function
	.section	.AMDGPU.csdata,"",@progbits
; Kernel info:
; codeLenInByte = 1424
; NumSgprs: 32
; NumVgprs: 14
; NumAgprs: 0
; TotalNumVgprs: 14
; ScratchSize: 0
; MemoryBound: 0
; FloatMode: 240
; IeeeMode: 1
; LDSByteSize: 512 bytes/workgroup (compile time only)
; SGPRBlocks: 3
; VGPRBlocks: 1
; NumSGPRsForWavesPerEU: 32
; NumVGPRsForWavesPerEU: 14
; AccumOffset: 16
; Occupancy: 8
; WaveLimiterHint : 1
; COMPUTE_PGM_RSRC2:SCRATCH_EN: 0
; COMPUTE_PGM_RSRC2:USER_SGPR: 2
; COMPUTE_PGM_RSRC2:TRAP_HANDLER: 0
; COMPUTE_PGM_RSRC2:TGID_X_EN: 1
; COMPUTE_PGM_RSRC2:TGID_Y_EN: 0
; COMPUTE_PGM_RSRC2:TGID_Z_EN: 1
; COMPUTE_PGM_RSRC2:TIDIG_COMP_CNT: 0
; COMPUTE_PGM_RSRC3_GFX90A:ACCUM_OFFSET: 3
; COMPUTE_PGM_RSRC3_GFX90A:TG_SPLIT: 0
	.section	.text._ZL32rocblas_gemvt_warp_reduce_kernelILb0ELi256ElPKdS1_KPdEviiT3_lPKT2_lT1_lS7_lS8_lS4_lPT4_lS8_li,"axG",@progbits,_ZL32rocblas_gemvt_warp_reduce_kernelILb0ELi256ElPKdS1_KPdEviiT3_lPKT2_lT1_lS7_lS8_lS4_lPT4_lS8_li,comdat
	.globl	_ZL32rocblas_gemvt_warp_reduce_kernelILb0ELi256ElPKdS1_KPdEviiT3_lPKT2_lT1_lS7_lS8_lS4_lPT4_lS8_li ; -- Begin function _ZL32rocblas_gemvt_warp_reduce_kernelILb0ELi256ElPKdS1_KPdEviiT3_lPKT2_lT1_lS7_lS8_lS4_lPT4_lS8_li
	.p2align	8
	.type	_ZL32rocblas_gemvt_warp_reduce_kernelILb0ELi256ElPKdS1_KPdEviiT3_lPKT2_lT1_lS7_lS8_lS4_lPT4_lS8_li,@function
_ZL32rocblas_gemvt_warp_reduce_kernelILb0ELi256ElPKdS1_KPdEviiT3_lPKT2_lT1_lS7_lS8_lS4_lPT4_lS8_li: ; @_ZL32rocblas_gemvt_warp_reduce_kernelILb0ELi256ElPKdS1_KPdEviiT3_lPKT2_lT1_lS7_lS8_lS4_lPT4_lS8_li
; %bb.0:
	s_load_dwordx8 s[12:19], s[0:1], 0x8
	s_load_dwordx8 s[4:11], s[0:1], 0x58
	s_mov_b32 s28, s3
	s_waitcnt lgkmcnt(0)
	s_mul_i32 s3, s3, s15
	s_mul_hi_u32 s15, s28, s14
	s_add_i32 s15, s15, s3
	s_mul_i32 s14, s28, s14
	s_lshl_b64 s[14:15], s[14:15], 3
	s_add_u32 s12, s12, s14
	s_mul_i32 s3, s28, s7
	s_mul_hi_u32 s7, s28, s6
	s_addc_u32 s13, s13, s15
	s_add_i32 s7, s7, s3
	s_mul_i32 s6, s28, s6
	s_lshl_b64 s[6:7], s[6:7], 3
	s_add_u32 s4, s4, s6
	s_addc_u32 s5, s5, s7
	s_load_dwordx2 s[14:15], s[12:13], 0x0
	s_waitcnt lgkmcnt(0)
	v_cmp_eq_f64_e64 s[30:31], s[14:15], 0
	s_load_dwordx2 s[12:13], s[4:5], 0x0
	s_waitcnt lgkmcnt(0)
	v_cmp_eq_f64_e64 s[4:5], s[12:13], 1.0
	s_and_b64 s[4:5], s[30:31], s[4:5]
	s_and_b64 vcc, exec, s[4:5]
	s_cbranch_vccnz .LBB269_33
; %bb.1:
	s_load_dwordx2 s[24:25], s[0:1], 0x28
	s_load_dwordx2 s[20:21], s[0:1], 0x78
	s_mov_b32 s29, 0
	s_mov_b64 s[22:23], 0
	v_cmp_neq_f64_e64 s[34:35], s[14:15], 0
	s_and_b64 vcc, exec, s[30:31]
	s_mov_b64 s[26:27], 0
	s_cbranch_vccnz .LBB269_3
; %bb.2:
	s_lshl_b64 s[4:5], s[28:29], 3
	s_add_u32 s4, s16, s4
	s_addc_u32 s5, s17, s5
	s_load_dwordx2 s[4:5], s[4:5], 0x0
	s_lshl_b64 s[6:7], s[18:19], 3
	s_waitcnt lgkmcnt(0)
	s_add_u32 s26, s4, s6
	s_addc_u32 s27, s5, s7
.LBB269_3:
	s_load_dwordx4 s[4:7], s[0:1], 0x38
	s_load_dwordx2 s[16:17], s[0:1], 0x48
	s_andn2_b64 vcc, exec, s[34:35]
	s_cbranch_vccnz .LBB269_5
; %bb.4:
	s_lshl_b64 s[18:19], s[28:29], 3
	s_waitcnt lgkmcnt(0)
	s_add_u32 s4, s4, s18
	s_addc_u32 s5, s5, s19
	s_load_dwordx2 s[4:5], s[4:5], 0x0
	s_lshl_b64 s[6:7], s[6:7], 3
	s_waitcnt lgkmcnt(0)
	s_add_u32 s22, s4, s6
	s_addc_u32 s23, s5, s7
.LBB269_5:
	s_waitcnt lgkmcnt(0)
	s_lshl_b64 s[4:5], s[28:29], 3
	s_add_u32 s4, s8, s4
	s_addc_u32 s5, s9, s5
	s_load_dwordx2 s[4:5], s[4:5], 0x0
	s_lshl_b64 s[6:7], s[10:11], 3
	s_waitcnt lgkmcnt(0)
	s_add_u32 s3, s4, s6
	s_addc_u32 s28, s5, s7
	s_andn2_b64 vcc, exec, s[30:31]
	v_cmp_eq_u32_e64 s[4:5], 0, v0
	s_cbranch_vccnz .LBB269_10
; %bb.6:
	s_mov_b64 s[10:11], 0
	s_mov_b64 s[6:7], 0
                                        ; implicit-def: $vgpr2_vgpr3
                                        ; implicit-def: $sgpr8_sgpr9
	s_and_saveexec_b64 s[18:19], s[4:5]
	s_cbranch_execz .LBB269_11
; %bb.7:
	s_ashr_i32 s6, s2, 31
	s_mul_i32 s7, s2, s21
	s_mul_hi_u32 s8, s2, s20
	v_cmp_eq_f64_e64 s[4:5], s[12:13], 0
	s_add_i32 s7, s8, s7
	s_mul_i32 s6, s6, s20
	v_mov_b64_e32 v[2:3], 0
	s_add_i32 s9, s7, s6
	s_mul_i32 s8, s2, s20
	s_and_b64 vcc, exec, s[4:5]
	s_cbranch_vccnz .LBB269_9
; %bb.8:
	s_lshl_b64 s[4:5], s[8:9], 3
	s_add_u32 s4, s3, s4
	s_addc_u32 s5, s28, s5
	s_load_dwordx2 s[4:5], s[4:5], 0x0
	s_waitcnt lgkmcnt(0)
	v_mov_b64_e32 v[2:3], s[4:5]
	v_mul_f64 v[2:3], s[12:13], v[2:3]
.LBB269_9:
	s_mov_b64 s[6:7], exec
	s_or_b64 exec, exec, s[18:19]
	s_and_b64 vcc, exec, s[10:11]
	s_cbranch_vccnz .LBB269_12
	s_branch .LBB269_31
.LBB269_10:
	s_mov_b64 s[6:7], 0
                                        ; implicit-def: $vgpr2_vgpr3
                                        ; implicit-def: $sgpr8_sgpr9
	s_cbranch_execnz .LBB269_12
	s_branch .LBB269_31
.LBB269_11:
	s_or_b64 exec, exec, s[18:19]
	s_and_b64 vcc, exec, s[10:11]
	s_cbranch_vccz .LBB269_31
.LBB269_12:
	s_load_dword s1, s[0:1], 0x0
	s_ashr_i32 s29, s2, 31
	s_mul_i32 s0, s2, s25
	s_mul_hi_u32 s4, s2, s24
	s_add_i32 s0, s4, s0
	s_mul_i32 s4, s29, s24
	s_add_i32 s5, s0, s4
	s_mul_i32 s4, s2, s24
	s_lshl_b64 s[4:5], s[4:5], 3
	s_add_u32 s4, s4, s26
	s_addc_u32 s5, s5, s27
	s_waitcnt lgkmcnt(0)
	s_ashr_i32 s0, s1, 31
	v_cmp_gt_i32_e32 vcc, s1, v0
	s_lshr_b32 s0, s0, 24
	s_add_i32 s0, s1, s0
	v_cndmask_b32_e32 v1, 0, v0, vcc
	v_mov_b32_e32 v3, 0
	v_lshlrev_b32_e32 v2, 3, v1
	s_and_b32 s0, s0, 0xffffff00
	v_lshl_add_u64 v[4:5], s[4:5], 0, v[2:3]
	v_cmp_gt_i32_e32 vcc, s0, v0
	v_mov_b64_e32 v[2:3], 0
	s_and_saveexec_b64 s[4:5], vcc
	s_cbranch_execz .LBB269_16
; %bb.13:
	v_mad_u64_u32 v[2:3], s[8:9], s16, v0, 0
	v_mov_b32_e32 v6, v3
	v_mad_u64_u32 v[6:7], s[8:9], s17, v0, v[6:7]
	v_mov_b32_e32 v3, v6
	v_lshl_add_u64 v[6:7], v[2:3], 3, s[22:23]
	s_lshl_b64 s[10:11], s[16:17], 11
	s_mov_b64 s[8:9], 0
	v_mov_b64_e32 v[2:3], 0
	s_mov_b64 s[18:19], 0x800
	v_mov_b64_e32 v[8:9], v[4:5]
	v_mov_b32_e32 v1, v0
.LBB269_14:                             ; =>This Inner Loop Header: Depth=1
	flat_load_dwordx2 v[10:11], v[8:9]
	flat_load_dwordx2 v[12:13], v[6:7]
	v_add_u32_e32 v1, 0x100, v1
	v_cmp_le_i32_e32 vcc, s0, v1
	v_lshl_add_u64 v[8:9], v[8:9], 0, s[18:19]
	v_lshl_add_u64 v[6:7], v[6:7], 0, s[10:11]
	s_or_b64 s[8:9], vcc, s[8:9]
	s_waitcnt vmcnt(0) lgkmcnt(0)
	v_fmac_f64_e32 v[2:3], v[10:11], v[12:13]
	s_andn2_b64 exec, exec, s[8:9]
	s_cbranch_execnz .LBB269_14
; %bb.15:
	s_or_b64 exec, exec, s[8:9]
.LBB269_16:
	s_or_b64 exec, exec, s[4:5]
	v_add_u32_e32 v1, s0, v0
	v_cmp_gt_i32_e32 vcc, s1, v1
	s_and_saveexec_b64 s[4:5], vcc
	s_cbranch_execz .LBB269_18
; %bb.17:
	s_ashr_i32 s1, s0, 31
	v_ashrrev_i32_e32 v6, 31, v1
	v_lshl_add_u64 v[4:5], s[0:1], 3, v[4:5]
	v_mul_lo_u32 v8, v1, s17
	v_mul_lo_u32 v9, v6, s16
	v_mad_u64_u32 v[6:7], s[0:1], v1, s16, 0
	v_add3_u32 v7, v7, v8, v9
	v_lshl_add_u64 v[6:7], v[6:7], 3, s[22:23]
	flat_load_dwordx2 v[4:5], v[4:5]
	s_nop 0
	flat_load_dwordx2 v[6:7], v[6:7]
	s_waitcnt vmcnt(0) lgkmcnt(0)
	v_fmac_f64_e32 v[2:3], v[4:5], v[6:7]
.LBB269_18:
	s_or_b64 exec, exec, s[4:5]
	v_and_b32_e32 v6, 63, v0
	v_cmp_gt_u32_e32 vcc, 64, v0
	v_lshlrev_b32_e32 v1, 3, v6
	s_and_saveexec_b64 s[0:1], vcc
	s_cbranch_execz .LBB269_20
; %bb.19:
	v_mov_b32_e32 v4, 0
	v_mov_b32_e32 v5, v4
	ds_write_b64 v1, v[4:5]
.LBB269_20:
	s_or_b64 exec, exec, s[0:1]
	v_mbcnt_lo_u32_b32 v4, -1, 0
	v_mbcnt_hi_u32_b32 v8, -1, v4
	v_and_b32_e32 v9, 63, v8
	v_cmp_gt_u32_e64 s[0:1], 32, v9
	s_waitcnt lgkmcnt(0)
	s_barrier
	v_cndmask_b32_e64 v4, 0, 1, s[0:1]
	v_lshlrev_b32_e32 v4, 5, v4
	v_add_lshl_u32 v5, v4, v8, 2
	ds_bpermute_b32 v4, v5, v2
	ds_bpermute_b32 v5, v5, v3
	v_cmp_gt_u32_e64 s[0:1], 48, v9
	s_waitcnt lgkmcnt(0)
	v_add_f64 v[2:3], v[2:3], v[4:5]
	v_cndmask_b32_e64 v7, 0, 1, s[0:1]
	v_lshlrev_b32_e32 v4, 4, v7
	v_add_lshl_u32 v5, v4, v8, 2
	ds_bpermute_b32 v4, v5, v2
	ds_bpermute_b32 v5, v5, v3
	v_cmp_gt_u32_e64 s[0:1], 56, v9
	s_waitcnt lgkmcnt(0)
	v_add_f64 v[2:3], v[2:3], v[4:5]
	;; [unrolled: 8-line block ×4, first 2 shown]
	v_cndmask_b32_e64 v4, 0, 1, s[0:1]
	v_lshlrev_b32_e32 v4, 1, v4
	v_add_lshl_u32 v7, v4, v8, 2
	ds_bpermute_b32 v4, v7, v2
	ds_bpermute_b32 v5, v7, v3
	v_cmp_ne_u32_e64 s[0:1], 63, v9
	s_waitcnt lgkmcnt(0)
	v_add_f64 v[2:3], v[2:3], v[4:5]
	v_addc_co_u32_e64 v4, s[0:1], 0, v8, s[0:1]
	v_lshlrev_b32_e32 v8, 2, v4
	ds_bpermute_b32 v4, v8, v2
	ds_bpermute_b32 v5, v8, v3
	v_cmp_eq_u32_e64 s[0:1], 0, v6
	s_and_saveexec_b64 s[4:5], s[0:1]
	s_cbranch_execz .LBB269_22
; %bb.21:
	v_lshrrev_b32_e32 v6, 3, v0
	v_and_b32_e32 v6, 24, v6
	s_waitcnt lgkmcnt(0)
	v_add_f64 v[2:3], v[2:3], v[4:5]
	ds_write_b64 v6, v[2:3]
.LBB269_22:
	s_or_b64 exec, exec, s[4:5]
	v_cmp_gt_u32_e64 s[0:1], 4, v0
	s_waitcnt lgkmcnt(0)
	v_mov_b64_e32 v[4:5], 0
	s_barrier
	s_and_saveexec_b64 s[4:5], s[0:1]
	s_cbranch_execz .LBB269_24
; %bb.23:
	ds_read_b64 v[4:5], v1
	s_or_b64 exec, exec, s[4:5]
	s_and_saveexec_b64 s[0:1], vcc
	s_cbranch_execz .LBB269_26
	s_branch .LBB269_25
.LBB269_24:
	s_or_b64 exec, exec, s[4:5]
	s_and_saveexec_b64 s[0:1], vcc
	s_cbranch_execz .LBB269_26
.LBB269_25:
	s_waitcnt lgkmcnt(0)
	ds_bpermute_b32 v2, v7, v4
	ds_bpermute_b32 v3, v7, v5
	s_waitcnt lgkmcnt(0)
	v_add_f64 v[2:3], v[4:5], v[2:3]
	ds_bpermute_b32 v4, v8, v2
	ds_bpermute_b32 v5, v8, v3
	s_waitcnt lgkmcnt(0)
	v_add_f64 v[4:5], v[2:3], v[4:5]
.LBB269_26:
	s_or_b64 exec, exec, s[0:1]
	v_cmp_eq_u32_e32 vcc, 0, v0
                                        ; implicit-def: $vgpr2_vgpr3
                                        ; implicit-def: $sgpr8_sgpr9
	s_and_saveexec_b64 s[0:1], vcc
	s_cbranch_execz .LBB269_30
; %bb.27:
	s_mul_i32 s8, s2, s21
	s_mul_hi_u32 s9, s2, s20
	v_cmp_eq_f64_e64 s[4:5], s[12:13], 0
	s_add_i32 s8, s9, s8
	s_mul_i32 s9, s29, s20
	s_waitcnt lgkmcnt(0)
	v_mul_f64 v[2:3], s[14:15], v[4:5]
	s_add_i32 s9, s8, s9
	s_mul_i32 s8, s2, s20
	s_and_b64 vcc, exec, s[4:5]
	s_cbranch_vccnz .LBB269_29
; %bb.28:
	s_lshl_b64 s[4:5], s[8:9], 3
	s_add_u32 s4, s3, s4
	s_addc_u32 s5, s28, s5
	s_load_dwordx2 s[4:5], s[4:5], 0x0
	s_waitcnt lgkmcnt(0)
	v_mov_b64_e32 v[0:1], s[4:5]
	v_fmac_f64_e32 v[2:3], s[12:13], v[0:1]
.LBB269_29:
	s_or_b64 s[6:7], s[6:7], exec
.LBB269_30:
	s_or_b64 exec, exec, s[0:1]
.LBB269_31:
	s_and_saveexec_b64 s[0:1], s[6:7]
	s_cbranch_execz .LBB269_33
; %bb.32:
	s_lshl_b64 s[0:1], s[8:9], 3
	s_add_u32 s0, s3, s0
	s_addc_u32 s1, s28, s1
	v_mov_b32_e32 v0, 0
	global_store_dwordx2 v0, v[2:3], s[0:1]
.LBB269_33:
	s_endpgm
	.section	.rodata,"a",@progbits
	.p2align	6, 0x0
	.amdhsa_kernel _ZL32rocblas_gemvt_warp_reduce_kernelILb0ELi256ElPKdS1_KPdEviiT3_lPKT2_lT1_lS7_lS8_lS4_lPT4_lS8_li
		.amdhsa_group_segment_fixed_size 512
		.amdhsa_private_segment_fixed_size 0
		.amdhsa_kernarg_size 140
		.amdhsa_user_sgpr_count 2
		.amdhsa_user_sgpr_dispatch_ptr 0
		.amdhsa_user_sgpr_queue_ptr 0
		.amdhsa_user_sgpr_kernarg_segment_ptr 1
		.amdhsa_user_sgpr_dispatch_id 0
		.amdhsa_user_sgpr_kernarg_preload_length 0
		.amdhsa_user_sgpr_kernarg_preload_offset 0
		.amdhsa_user_sgpr_private_segment_size 0
		.amdhsa_uses_dynamic_stack 0
		.amdhsa_enable_private_segment 0
		.amdhsa_system_sgpr_workgroup_id_x 1
		.amdhsa_system_sgpr_workgroup_id_y 0
		.amdhsa_system_sgpr_workgroup_id_z 1
		.amdhsa_system_sgpr_workgroup_info 0
		.amdhsa_system_vgpr_workitem_id 0
		.amdhsa_next_free_vgpr 14
		.amdhsa_next_free_sgpr 36
		.amdhsa_accum_offset 16
		.amdhsa_reserve_vcc 1
		.amdhsa_float_round_mode_32 0
		.amdhsa_float_round_mode_16_64 0
		.amdhsa_float_denorm_mode_32 3
		.amdhsa_float_denorm_mode_16_64 3
		.amdhsa_dx10_clamp 1
		.amdhsa_ieee_mode 1
		.amdhsa_fp16_overflow 0
		.amdhsa_tg_split 0
		.amdhsa_exception_fp_ieee_invalid_op 0
		.amdhsa_exception_fp_denorm_src 0
		.amdhsa_exception_fp_ieee_div_zero 0
		.amdhsa_exception_fp_ieee_overflow 0
		.amdhsa_exception_fp_ieee_underflow 0
		.amdhsa_exception_fp_ieee_inexact 0
		.amdhsa_exception_int_div_zero 0
	.end_amdhsa_kernel
	.section	.text._ZL32rocblas_gemvt_warp_reduce_kernelILb0ELi256ElPKdS1_KPdEviiT3_lPKT2_lT1_lS7_lS8_lS4_lPT4_lS8_li,"axG",@progbits,_ZL32rocblas_gemvt_warp_reduce_kernelILb0ELi256ElPKdS1_KPdEviiT3_lPKT2_lT1_lS7_lS8_lS4_lPT4_lS8_li,comdat
.Lfunc_end269:
	.size	_ZL32rocblas_gemvt_warp_reduce_kernelILb0ELi256ElPKdS1_KPdEviiT3_lPKT2_lT1_lS7_lS8_lS4_lPT4_lS8_li, .Lfunc_end269-_ZL32rocblas_gemvt_warp_reduce_kernelILb0ELi256ElPKdS1_KPdEviiT3_lPKT2_lT1_lS7_lS8_lS4_lPT4_lS8_li
                                        ; -- End function
	.section	.AMDGPU.csdata,"",@progbits
; Kernel info:
; codeLenInByte = 1524
; NumSgprs: 42
; NumVgprs: 14
; NumAgprs: 0
; TotalNumVgprs: 14
; ScratchSize: 0
; MemoryBound: 0
; FloatMode: 240
; IeeeMode: 1
; LDSByteSize: 512 bytes/workgroup (compile time only)
; SGPRBlocks: 5
; VGPRBlocks: 1
; NumSGPRsForWavesPerEU: 42
; NumVGPRsForWavesPerEU: 14
; AccumOffset: 16
; Occupancy: 8
; WaveLimiterHint : 1
; COMPUTE_PGM_RSRC2:SCRATCH_EN: 0
; COMPUTE_PGM_RSRC2:USER_SGPR: 2
; COMPUTE_PGM_RSRC2:TRAP_HANDLER: 0
; COMPUTE_PGM_RSRC2:TGID_X_EN: 1
; COMPUTE_PGM_RSRC2:TGID_Y_EN: 0
; COMPUTE_PGM_RSRC2:TGID_Z_EN: 1
; COMPUTE_PGM_RSRC2:TIDIG_COMP_CNT: 0
; COMPUTE_PGM_RSRC3_GFX90A:ACCUM_OFFSET: 3
; COMPUTE_PGM_RSRC3_GFX90A:TG_SPLIT: 0
	.section	.text._ZL32rocblas_gemvt_warp_reduce_kernelILb0ELi256EiPKddKPdEviiT3_lPKT2_lT1_lS7_lS8_lS4_lPT4_lS8_li,"axG",@progbits,_ZL32rocblas_gemvt_warp_reduce_kernelILb0ELi256EiPKddKPdEviiT3_lPKT2_lT1_lS7_lS8_lS4_lPT4_lS8_li,comdat
	.globl	_ZL32rocblas_gemvt_warp_reduce_kernelILb0ELi256EiPKddKPdEviiT3_lPKT2_lT1_lS7_lS8_lS4_lPT4_lS8_li ; -- Begin function _ZL32rocblas_gemvt_warp_reduce_kernelILb0ELi256EiPKddKPdEviiT3_lPKT2_lT1_lS7_lS8_lS4_lPT4_lS8_li
	.p2align	8
	.type	_ZL32rocblas_gemvt_warp_reduce_kernelILb0ELi256EiPKddKPdEviiT3_lPKT2_lT1_lS7_lS8_lS4_lPT4_lS8_li,@function
_ZL32rocblas_gemvt_warp_reduce_kernelILb0ELi256EiPKddKPdEviiT3_lPKT2_lT1_lS7_lS8_lS4_lPT4_lS8_li: ; @_ZL32rocblas_gemvt_warp_reduce_kernelILb0ELi256EiPKddKPdEviiT3_lPKT2_lT1_lS7_lS8_lS4_lPT4_lS8_li
; %bb.0:
	s_load_dwordx2 s[8:9], s[0:1], 0x8
	s_load_dwordx2 s[6:7], s[0:1], 0x58
	s_waitcnt lgkmcnt(0)
	v_cmp_eq_f64_e64 s[4:5], s[8:9], 0
	v_cmp_eq_f64_e64 s[10:11], s[6:7], 1.0
	s_and_b64 s[10:11], s[4:5], s[10:11]
	s_and_b64 vcc, exec, s[10:11]
	s_cbranch_vccnz .LBB270_35
; %bb.1:
	v_cmp_neq_f64_e64 s[12:13], s[8:9], 0
	s_mov_b32 s16, s3
	s_mov_b64 s[10:11], 0
	s_and_b64 vcc, exec, s[12:13]
	s_cbranch_vccnz .LBB270_3
; %bb.2:
	s_mov_b32 s17, 0
	s_mov_b64 s[14:15], 0
	s_andn2_b64 vcc, exec, s[10:11]
	s_cbranch_vccz .LBB270_4
	s_branch .LBB270_5
.LBB270_3:
                                        ; implicit-def: $sgpr14_sgpr15
.LBB270_4:
	s_load_dwordx4 s[20:23], s[0:1], 0x18
	s_mov_b32 s17, 0
	s_lshl_b64 s[10:11], s[16:17], 3
	s_waitcnt lgkmcnt(0)
	s_add_u32 s10, s20, s10
	s_addc_u32 s11, s21, s11
	s_load_dwordx2 s[10:11], s[10:11], 0x0
	s_lshl_b64 s[14:15], s[22:23], 3
	s_waitcnt lgkmcnt(0)
	s_add_u32 s14, s10, s14
	s_addc_u32 s15, s11, s15
.LBB270_5:
	s_mov_b64 s[10:11], 0
	s_andn2_b64 vcc, exec, s[12:13]
	s_mov_b64 s[12:13], 0
	s_cbranch_vccnz .LBB270_7
; %bb.6:
	s_load_dwordx4 s[20:23], s[0:1], 0x38
	s_lshl_b64 s[12:13], s[16:17], 3
	s_waitcnt lgkmcnt(0)
	s_add_u32 s12, s20, s12
	s_addc_u32 s13, s21, s13
	s_load_dwordx2 s[12:13], s[12:13], 0x0
	s_lshl_b64 s[18:19], s[22:23], 3
	s_waitcnt lgkmcnt(0)
	s_add_u32 s12, s12, s18
	s_addc_u32 s13, s13, s19
.LBB270_7:
	s_load_dwordx4 s[24:27], s[0:1], 0x68
	s_load_dword s23, s[0:1], 0x78
	s_lshl_b64 s[16:17], s[16:17], 3
	s_waitcnt lgkmcnt(0)
	s_add_u32 s16, s24, s16
	s_addc_u32 s17, s25, s17
	s_load_dwordx2 s[16:17], s[16:17], 0x0
	s_lshl_b64 s[18:19], s[26:27], 3
	s_waitcnt lgkmcnt(0)
	s_add_u32 s3, s16, s18
	s_addc_u32 s22, s17, s19
	s_andn2_b64 vcc, exec, s[4:5]
	v_cmp_eq_u32_e64 s[4:5], 0, v0
	s_cbranch_vccnz .LBB270_12
; %bb.8:
	s_mov_b64 s[18:19], 0
                                        ; implicit-def: $vgpr2_vgpr3
                                        ; implicit-def: $sgpr16_sgpr17
	s_and_saveexec_b64 s[20:21], s[4:5]
	s_cbranch_execz .LBB270_13
; %bb.9:
	v_cmp_eq_f64_e64 s[4:5], s[6:7], 0
	s_mul_i32 s16, s2, s23
	v_mov_b64_e32 v[2:3], 0
	s_ashr_i32 s17, s16, 31
	s_and_b64 vcc, exec, s[4:5]
	s_cbranch_vccnz .LBB270_11
; %bb.10:
	s_lshl_b64 s[4:5], s[16:17], 3
	s_add_u32 s4, s3, s4
	s_addc_u32 s5, s22, s5
	s_load_dwordx2 s[4:5], s[4:5], 0x0
	v_mov_b64_e32 v[2:3], s[6:7]
	s_waitcnt lgkmcnt(0)
	v_mul_f64 v[2:3], s[4:5], v[2:3]
.LBB270_11:
	s_mov_b64 s[10:11], exec
	s_or_b64 exec, exec, s[20:21]
	s_and_b64 vcc, exec, s[18:19]
	s_cbranch_vccnz .LBB270_14
	s_branch .LBB270_33
.LBB270_12:
                                        ; implicit-def: $vgpr2_vgpr3
                                        ; implicit-def: $sgpr16_sgpr17
	s_cbranch_execnz .LBB270_14
	s_branch .LBB270_33
.LBB270_13:
	s_or_b64 exec, exec, s[20:21]
	s_and_b64 vcc, exec, s[18:19]
	s_cbranch_vccz .LBB270_33
.LBB270_14:
	s_load_dword s19, s[0:1], 0x0
	s_load_dword s4, s[0:1], 0x28
	;; [unrolled: 1-line block ×3, first 2 shown]
	v_mov_b32_e32 v3, 0
	s_waitcnt lgkmcnt(0)
	v_cmp_gt_i32_e32 vcc, s19, v0
	s_mul_i32 s0, s2, s4
	s_ashr_i32 s1, s0, 31
	s_lshl_b64 s[0:1], s[0:1], 3
	v_cndmask_b32_e32 v1, 0, v0, vcc
	s_add_u32 s0, s0, s14
	v_lshlrev_b32_e32 v2, 3, v1
	s_addc_u32 s1, s1, s15
	v_lshl_add_u64 v[4:5], s[0:1], 0, v[2:3]
	s_ashr_i32 s0, s19, 31
	s_lshr_b32 s0, s0, 24
	s_add_i32 s0, s19, s0
	s_and_b32 s0, s0, 0xffffff00
	v_cmp_gt_i32_e32 vcc, s0, v0
	v_mov_b64_e32 v[2:3], 0
	s_and_saveexec_b64 s[4:5], vcc
	s_cbranch_execz .LBB270_18
; %bb.15:
	v_mul_lo_u32 v6, v0, s18
	s_lshl_b32 s1, s18, 8
	s_mov_b64 s[14:15], 0
	v_mov_b64_e32 v[2:3], 0
	s_mov_b64 s[16:17], 0x800
	v_mov_b64_e32 v[8:9], v[4:5]
	v_mov_b32_e32 v1, v0
.LBB270_16:                             ; =>This Inner Loop Header: Depth=1
	v_ashrrev_i32_e32 v7, 31, v6
	v_lshl_add_u64 v[12:13], v[6:7], 3, s[12:13]
	flat_load_dwordx2 v[10:11], v[8:9]
	v_add_u32_e32 v1, 0x100, v1
	flat_load_dwordx2 v[12:13], v[12:13]
	v_cmp_le_i32_e32 vcc, s0, v1
	v_lshl_add_u64 v[8:9], v[8:9], 0, s[16:17]
	v_add_u32_e32 v6, s1, v6
	s_or_b64 s[14:15], vcc, s[14:15]
	s_waitcnt vmcnt(0) lgkmcnt(0)
	v_fmac_f64_e32 v[2:3], v[10:11], v[12:13]
	s_andn2_b64 exec, exec, s[14:15]
	s_cbranch_execnz .LBB270_16
; %bb.17:
	s_or_b64 exec, exec, s[14:15]
.LBB270_18:
	s_or_b64 exec, exec, s[4:5]
	v_add_u32_e32 v1, s0, v0
	v_cmp_gt_i32_e32 vcc, s19, v1
	s_and_saveexec_b64 s[4:5], vcc
	s_cbranch_execz .LBB270_20
; %bb.19:
	v_mul_lo_u32 v6, v1, s18
	s_ashr_i32 s1, s0, 31
	v_ashrrev_i32_e32 v7, 31, v6
	v_lshl_add_u64 v[4:5], s[0:1], 3, v[4:5]
	v_lshl_add_u64 v[6:7], v[6:7], 3, s[12:13]
	flat_load_dwordx2 v[4:5], v[4:5]
	s_nop 0
	flat_load_dwordx2 v[6:7], v[6:7]
	s_waitcnt vmcnt(0) lgkmcnt(0)
	v_fmac_f64_e32 v[2:3], v[4:5], v[6:7]
.LBB270_20:
	s_or_b64 exec, exec, s[4:5]
	v_and_b32_e32 v6, 63, v0
	v_cmp_gt_u32_e32 vcc, 64, v0
	v_lshlrev_b32_e32 v1, 3, v6
	s_and_saveexec_b64 s[0:1], vcc
	s_cbranch_execz .LBB270_22
; %bb.21:
	v_mov_b32_e32 v4, 0
	v_mov_b32_e32 v5, v4
	ds_write_b64 v1, v[4:5]
.LBB270_22:
	s_or_b64 exec, exec, s[0:1]
	v_mbcnt_lo_u32_b32 v4, -1, 0
	v_mbcnt_hi_u32_b32 v8, -1, v4
	v_and_b32_e32 v9, 63, v8
	v_cmp_gt_u32_e64 s[0:1], 32, v9
	s_waitcnt lgkmcnt(0)
	s_barrier
	v_cndmask_b32_e64 v4, 0, 1, s[0:1]
	v_lshlrev_b32_e32 v4, 5, v4
	v_add_lshl_u32 v5, v4, v8, 2
	ds_bpermute_b32 v4, v5, v2
	ds_bpermute_b32 v5, v5, v3
	v_cmp_gt_u32_e64 s[0:1], 48, v9
	s_waitcnt lgkmcnt(0)
	v_add_f64 v[2:3], v[2:3], v[4:5]
	v_cndmask_b32_e64 v7, 0, 1, s[0:1]
	v_lshlrev_b32_e32 v4, 4, v7
	v_add_lshl_u32 v5, v4, v8, 2
	ds_bpermute_b32 v4, v5, v2
	ds_bpermute_b32 v5, v5, v3
	v_cmp_gt_u32_e64 s[0:1], 56, v9
	s_waitcnt lgkmcnt(0)
	v_add_f64 v[2:3], v[2:3], v[4:5]
	;; [unrolled: 8-line block ×4, first 2 shown]
	v_cndmask_b32_e64 v4, 0, 1, s[0:1]
	v_lshlrev_b32_e32 v4, 1, v4
	v_add_lshl_u32 v7, v4, v8, 2
	ds_bpermute_b32 v4, v7, v2
	ds_bpermute_b32 v5, v7, v3
	v_cmp_ne_u32_e64 s[0:1], 63, v9
	s_waitcnt lgkmcnt(0)
	v_add_f64 v[2:3], v[2:3], v[4:5]
	v_addc_co_u32_e64 v4, s[0:1], 0, v8, s[0:1]
	v_lshlrev_b32_e32 v8, 2, v4
	ds_bpermute_b32 v4, v8, v2
	ds_bpermute_b32 v5, v8, v3
	v_cmp_eq_u32_e64 s[0:1], 0, v6
	s_and_saveexec_b64 s[4:5], s[0:1]
	s_cbranch_execz .LBB270_24
; %bb.23:
	v_lshrrev_b32_e32 v6, 3, v0
	v_and_b32_e32 v6, 24, v6
	s_waitcnt lgkmcnt(0)
	v_add_f64 v[2:3], v[2:3], v[4:5]
	ds_write_b64 v6, v[2:3]
.LBB270_24:
	s_or_b64 exec, exec, s[4:5]
	v_cmp_gt_u32_e64 s[0:1], 4, v0
	s_waitcnt lgkmcnt(0)
	v_mov_b64_e32 v[4:5], 0
	s_barrier
	s_and_saveexec_b64 s[4:5], s[0:1]
	s_cbranch_execz .LBB270_26
; %bb.25:
	ds_read_b64 v[4:5], v1
	s_or_b64 exec, exec, s[4:5]
	s_and_saveexec_b64 s[0:1], vcc
	s_cbranch_execz .LBB270_28
	s_branch .LBB270_27
.LBB270_26:
	s_or_b64 exec, exec, s[4:5]
	s_and_saveexec_b64 s[0:1], vcc
	s_cbranch_execz .LBB270_28
.LBB270_27:
	s_waitcnt lgkmcnt(0)
	ds_bpermute_b32 v2, v7, v4
	ds_bpermute_b32 v3, v7, v5
	s_waitcnt lgkmcnt(0)
	v_add_f64 v[2:3], v[4:5], v[2:3]
	ds_bpermute_b32 v4, v8, v2
	ds_bpermute_b32 v5, v8, v3
	s_waitcnt lgkmcnt(0)
	v_add_f64 v[4:5], v[2:3], v[4:5]
.LBB270_28:
	s_or_b64 exec, exec, s[0:1]
	v_cmp_eq_u32_e32 vcc, 0, v0
                                        ; implicit-def: $vgpr2_vgpr3
                                        ; implicit-def: $sgpr16_sgpr17
	s_and_saveexec_b64 s[0:1], vcc
	s_cbranch_execz .LBB270_32
; %bb.29:
	v_cmp_eq_f64_e64 s[4:5], s[6:7], 0
	s_mul_i32 s16, s2, s23
	s_waitcnt lgkmcnt(0)
	v_mul_f64 v[2:3], v[4:5], s[8:9]
	s_ashr_i32 s17, s16, 31
	s_and_b64 vcc, exec, s[4:5]
	s_cbranch_vccnz .LBB270_31
; %bb.30:
	s_lshl_b64 s[4:5], s[16:17], 3
	s_add_u32 s4, s3, s4
	s_addc_u32 s5, s22, s5
	s_load_dwordx2 s[4:5], s[4:5], 0x0
	v_mov_b64_e32 v[0:1], s[6:7]
	s_waitcnt lgkmcnt(0)
	v_fmac_f64_e32 v[2:3], s[4:5], v[0:1]
.LBB270_31:
	s_or_b64 s[10:11], s[10:11], exec
.LBB270_32:
	s_or_b64 exec, exec, s[0:1]
.LBB270_33:
	s_and_saveexec_b64 s[0:1], s[10:11]
	s_cbranch_execz .LBB270_35
; %bb.34:
	s_lshl_b64 s[0:1], s[16:17], 3
	s_add_u32 s0, s3, s0
	s_addc_u32 s1, s22, s1
	v_mov_b32_e32 v0, 0
	global_store_dwordx2 v0, v[2:3], s[0:1]
.LBB270_35:
	s_endpgm
	.section	.rodata,"a",@progbits
	.p2align	6, 0x0
	.amdhsa_kernel _ZL32rocblas_gemvt_warp_reduce_kernelILb0ELi256EiPKddKPdEviiT3_lPKT2_lT1_lS7_lS8_lS4_lPT4_lS8_li
		.amdhsa_group_segment_fixed_size 512
		.amdhsa_private_segment_fixed_size 0
		.amdhsa_kernarg_size 140
		.amdhsa_user_sgpr_count 2
		.amdhsa_user_sgpr_dispatch_ptr 0
		.amdhsa_user_sgpr_queue_ptr 0
		.amdhsa_user_sgpr_kernarg_segment_ptr 1
		.amdhsa_user_sgpr_dispatch_id 0
		.amdhsa_user_sgpr_kernarg_preload_length 0
		.amdhsa_user_sgpr_kernarg_preload_offset 0
		.amdhsa_user_sgpr_private_segment_size 0
		.amdhsa_uses_dynamic_stack 0
		.amdhsa_enable_private_segment 0
		.amdhsa_system_sgpr_workgroup_id_x 1
		.amdhsa_system_sgpr_workgroup_id_y 0
		.amdhsa_system_sgpr_workgroup_id_z 1
		.amdhsa_system_sgpr_workgroup_info 0
		.amdhsa_system_vgpr_workitem_id 0
		.amdhsa_next_free_vgpr 14
		.amdhsa_next_free_sgpr 28
		.amdhsa_accum_offset 16
		.amdhsa_reserve_vcc 1
		.amdhsa_float_round_mode_32 0
		.amdhsa_float_round_mode_16_64 0
		.amdhsa_float_denorm_mode_32 3
		.amdhsa_float_denorm_mode_16_64 3
		.amdhsa_dx10_clamp 1
		.amdhsa_ieee_mode 1
		.amdhsa_fp16_overflow 0
		.amdhsa_tg_split 0
		.amdhsa_exception_fp_ieee_invalid_op 0
		.amdhsa_exception_fp_denorm_src 0
		.amdhsa_exception_fp_ieee_div_zero 0
		.amdhsa_exception_fp_ieee_overflow 0
		.amdhsa_exception_fp_ieee_underflow 0
		.amdhsa_exception_fp_ieee_inexact 0
		.amdhsa_exception_int_div_zero 0
	.end_amdhsa_kernel
	.section	.text._ZL32rocblas_gemvt_warp_reduce_kernelILb0ELi256EiPKddKPdEviiT3_lPKT2_lT1_lS7_lS8_lS4_lPT4_lS8_li,"axG",@progbits,_ZL32rocblas_gemvt_warp_reduce_kernelILb0ELi256EiPKddKPdEviiT3_lPKT2_lT1_lS7_lS8_lS4_lPT4_lS8_li,comdat
.Lfunc_end270:
	.size	_ZL32rocblas_gemvt_warp_reduce_kernelILb0ELi256EiPKddKPdEviiT3_lPKT2_lT1_lS7_lS8_lS4_lPT4_lS8_li, .Lfunc_end270-_ZL32rocblas_gemvt_warp_reduce_kernelILb0ELi256EiPKddKPdEviiT3_lPKT2_lT1_lS7_lS8_lS4_lPT4_lS8_li
                                        ; -- End function
	.section	.AMDGPU.csdata,"",@progbits
; Kernel info:
; codeLenInByte = 1384
; NumSgprs: 34
; NumVgprs: 14
; NumAgprs: 0
; TotalNumVgprs: 14
; ScratchSize: 0
; MemoryBound: 0
; FloatMode: 240
; IeeeMode: 1
; LDSByteSize: 512 bytes/workgroup (compile time only)
; SGPRBlocks: 4
; VGPRBlocks: 1
; NumSGPRsForWavesPerEU: 34
; NumVGPRsForWavesPerEU: 14
; AccumOffset: 16
; Occupancy: 8
; WaveLimiterHint : 1
; COMPUTE_PGM_RSRC2:SCRATCH_EN: 0
; COMPUTE_PGM_RSRC2:USER_SGPR: 2
; COMPUTE_PGM_RSRC2:TRAP_HANDLER: 0
; COMPUTE_PGM_RSRC2:TGID_X_EN: 1
; COMPUTE_PGM_RSRC2:TGID_Y_EN: 0
; COMPUTE_PGM_RSRC2:TGID_Z_EN: 1
; COMPUTE_PGM_RSRC2:TIDIG_COMP_CNT: 0
; COMPUTE_PGM_RSRC3_GFX90A:ACCUM_OFFSET: 3
; COMPUTE_PGM_RSRC3_GFX90A:TG_SPLIT: 0
	.section	.text._ZL32rocblas_gemvt_warp_reduce_kernelILb0ELi256ElPKddKPdEviiT3_lPKT2_lT1_lS7_lS8_lS4_lPT4_lS8_li,"axG",@progbits,_ZL32rocblas_gemvt_warp_reduce_kernelILb0ELi256ElPKddKPdEviiT3_lPKT2_lT1_lS7_lS8_lS4_lPT4_lS8_li,comdat
	.globl	_ZL32rocblas_gemvt_warp_reduce_kernelILb0ELi256ElPKddKPdEviiT3_lPKT2_lT1_lS7_lS8_lS4_lPT4_lS8_li ; -- Begin function _ZL32rocblas_gemvt_warp_reduce_kernelILb0ELi256ElPKddKPdEviiT3_lPKT2_lT1_lS7_lS8_lS4_lPT4_lS8_li
	.p2align	8
	.type	_ZL32rocblas_gemvt_warp_reduce_kernelILb0ELi256ElPKddKPdEviiT3_lPKT2_lT1_lS7_lS8_lS4_lPT4_lS8_li,@function
_ZL32rocblas_gemvt_warp_reduce_kernelILb0ELi256ElPKddKPdEviiT3_lPKT2_lT1_lS7_lS8_lS4_lPT4_lS8_li: ; @_ZL32rocblas_gemvt_warp_reduce_kernelILb0ELi256ElPKddKPdEviiT3_lPKT2_lT1_lS7_lS8_lS4_lPT4_lS8_li
; %bb.0:
	s_load_dwordx2 s[10:11], s[0:1], 0x8
	s_load_dwordx2 s[8:9], s[0:1], 0x58
	s_waitcnt lgkmcnt(0)
	v_cmp_eq_f64_e64 s[22:23], s[10:11], 0
	v_cmp_eq_f64_e64 s[4:5], s[8:9], 1.0
	s_and_b64 s[4:5], s[22:23], s[4:5]
	s_and_b64 vcc, exec, s[4:5]
	s_cbranch_vccnz .LBB271_35
; %bb.1:
	s_load_dwordx4 s[4:7], s[0:1], 0x18
	s_load_dwordx2 s[18:19], s[0:1], 0x28
	v_cmp_neq_f64_e64 s[16:17], s[10:11], 0
	s_mov_b32 s24, s3
	s_mov_b64 s[12:13], 0
	s_and_b64 vcc, exec, s[16:17]
	s_cbranch_vccnz .LBB271_3
; %bb.2:
	s_mov_b32 s25, 0
	s_mov_b64 s[20:21], 0
	s_andn2_b64 vcc, exec, s[12:13]
	s_cbranch_vccz .LBB271_4
	s_branch .LBB271_5
.LBB271_3:
                                        ; implicit-def: $sgpr20_sgpr21
.LBB271_4:
	s_mov_b32 s25, 0
	s_lshl_b64 s[12:13], s[24:25], 3
	s_waitcnt lgkmcnt(0)
	s_add_u32 s4, s4, s12
	s_addc_u32 s5, s5, s13
	s_load_dwordx2 s[4:5], s[4:5], 0x0
	s_lshl_b64 s[6:7], s[6:7], 3
	s_waitcnt lgkmcnt(0)
	s_add_u32 s20, s4, s6
	s_addc_u32 s21, s5, s7
.LBB271_5:
	s_waitcnt lgkmcnt(0)
	s_load_dwordx4 s[4:7], s[0:1], 0x38
	s_load_dwordx2 s[14:15], s[0:1], 0x48
	s_mov_b64 s[12:13], 0
	s_andn2_b64 vcc, exec, s[16:17]
	s_mov_b64 s[16:17], 0
	s_cbranch_vccnz .LBB271_7
; %bb.6:
	s_lshl_b64 s[16:17], s[24:25], 3
	s_waitcnt lgkmcnt(0)
	s_add_u32 s4, s4, s16
	s_addc_u32 s5, s5, s17
	s_load_dwordx2 s[4:5], s[4:5], 0x0
	s_lshl_b64 s[6:7], s[6:7], 3
	s_waitcnt lgkmcnt(0)
	s_add_u32 s16, s4, s6
	s_addc_u32 s17, s5, s7
.LBB271_7:
	s_load_dwordx4 s[28:31], s[0:1], 0x68
	s_waitcnt lgkmcnt(0)
	s_load_dwordx2 s[6:7], s[0:1], 0x78
	s_lshl_b64 s[4:5], s[24:25], 3
	s_add_u32 s4, s28, s4
	s_addc_u32 s5, s29, s5
	s_load_dwordx2 s[4:5], s[4:5], 0x0
	s_lshl_b64 s[24:25], s[30:31], 3
	s_waitcnt lgkmcnt(0)
	s_add_u32 s3, s4, s24
	s_addc_u32 s28, s5, s25
	s_andn2_b64 vcc, exec, s[22:23]
	v_cmp_eq_u32_e64 s[4:5], 0, v0
	s_cbranch_vccnz .LBB271_12
; %bb.8:
	s_mov_b64 s[24:25], 0
                                        ; implicit-def: $vgpr2_vgpr3
                                        ; implicit-def: $sgpr22_sgpr23
	s_and_saveexec_b64 s[26:27], s[4:5]
	s_cbranch_execz .LBB271_13
; %bb.9:
	s_ashr_i32 s12, s2, 31
	s_mul_i32 s13, s2, s7
	s_mul_hi_u32 s22, s2, s6
	v_cmp_eq_f64_e64 s[4:5], s[8:9], 0
	s_add_i32 s13, s22, s13
	s_mul_i32 s12, s12, s6
	v_mov_b64_e32 v[2:3], 0
	s_add_i32 s23, s13, s12
	s_mul_i32 s22, s2, s6
	s_and_b64 vcc, exec, s[4:5]
	s_cbranch_vccnz .LBB271_11
; %bb.10:
	s_lshl_b64 s[4:5], s[22:23], 3
	s_add_u32 s4, s3, s4
	s_addc_u32 s5, s28, s5
	s_load_dwordx2 s[4:5], s[4:5], 0x0
	v_mov_b64_e32 v[2:3], s[8:9]
	s_waitcnt lgkmcnt(0)
	v_mul_f64 v[2:3], s[4:5], v[2:3]
.LBB271_11:
	s_mov_b64 s[12:13], exec
	s_or_b64 exec, exec, s[26:27]
	s_and_b64 vcc, exec, s[24:25]
	s_cbranch_vccnz .LBB271_14
	s_branch .LBB271_33
.LBB271_12:
                                        ; implicit-def: $vgpr2_vgpr3
                                        ; implicit-def: $sgpr22_sgpr23
	s_cbranch_execnz .LBB271_14
	s_branch .LBB271_33
.LBB271_13:
	s_or_b64 exec, exec, s[26:27]
	s_and_b64 vcc, exec, s[24:25]
	s_cbranch_vccz .LBB271_33
.LBB271_14:
	s_load_dword s1, s[0:1], 0x0
	s_ashr_i32 s24, s2, 31
	s_mul_i32 s0, s2, s19
	s_mul_hi_u32 s4, s2, s18
	s_add_i32 s0, s4, s0
	s_mul_i32 s4, s24, s18
	s_add_i32 s5, s0, s4
	s_mul_i32 s4, s2, s18
	s_lshl_b64 s[4:5], s[4:5], 3
	s_add_u32 s4, s4, s20
	s_addc_u32 s5, s5, s21
	s_waitcnt lgkmcnt(0)
	s_ashr_i32 s0, s1, 31
	v_cmp_gt_i32_e32 vcc, s1, v0
	s_lshr_b32 s0, s0, 24
	s_add_i32 s0, s1, s0
	v_cndmask_b32_e32 v1, 0, v0, vcc
	v_mov_b32_e32 v3, 0
	v_lshlrev_b32_e32 v2, 3, v1
	s_and_b32 s0, s0, 0xffffff00
	v_lshl_add_u64 v[4:5], s[4:5], 0, v[2:3]
	v_cmp_gt_i32_e32 vcc, s0, v0
	v_mov_b64_e32 v[2:3], 0
	s_and_saveexec_b64 s[4:5], vcc
	s_cbranch_execz .LBB271_18
; %bb.15:
	v_mad_u64_u32 v[2:3], s[18:19], s14, v0, 0
	v_mov_b32_e32 v6, v3
	v_mad_u64_u32 v[6:7], s[18:19], s15, v0, v[6:7]
	v_mov_b32_e32 v3, v6
	v_lshl_add_u64 v[6:7], v[2:3], 3, s[16:17]
	s_lshl_b64 s[20:21], s[14:15], 11
	s_mov_b64 s[18:19], 0
	v_mov_b64_e32 v[2:3], 0
	s_mov_b64 s[22:23], 0x800
	v_mov_b64_e32 v[8:9], v[4:5]
	v_mov_b32_e32 v1, v0
.LBB271_16:                             ; =>This Inner Loop Header: Depth=1
	flat_load_dwordx2 v[10:11], v[8:9]
	flat_load_dwordx2 v[12:13], v[6:7]
	v_add_u32_e32 v1, 0x100, v1
	v_cmp_le_i32_e32 vcc, s0, v1
	v_lshl_add_u64 v[8:9], v[8:9], 0, s[22:23]
	v_lshl_add_u64 v[6:7], v[6:7], 0, s[20:21]
	s_or_b64 s[18:19], vcc, s[18:19]
	s_waitcnt vmcnt(0) lgkmcnt(0)
	v_fmac_f64_e32 v[2:3], v[10:11], v[12:13]
	s_andn2_b64 exec, exec, s[18:19]
	s_cbranch_execnz .LBB271_16
; %bb.17:
	s_or_b64 exec, exec, s[18:19]
.LBB271_18:
	s_or_b64 exec, exec, s[4:5]
	v_add_u32_e32 v1, s0, v0
	v_cmp_gt_i32_e32 vcc, s1, v1
	s_and_saveexec_b64 s[4:5], vcc
	s_cbranch_execz .LBB271_20
; %bb.19:
	s_ashr_i32 s1, s0, 31
	v_ashrrev_i32_e32 v6, 31, v1
	v_lshl_add_u64 v[4:5], s[0:1], 3, v[4:5]
	v_mul_lo_u32 v8, v1, s15
	v_mul_lo_u32 v9, v6, s14
	v_mad_u64_u32 v[6:7], s[0:1], v1, s14, 0
	v_add3_u32 v7, v7, v8, v9
	v_lshl_add_u64 v[6:7], v[6:7], 3, s[16:17]
	flat_load_dwordx2 v[4:5], v[4:5]
	s_nop 0
	flat_load_dwordx2 v[6:7], v[6:7]
	s_waitcnt vmcnt(0) lgkmcnt(0)
	v_fmac_f64_e32 v[2:3], v[4:5], v[6:7]
.LBB271_20:
	s_or_b64 exec, exec, s[4:5]
	v_and_b32_e32 v6, 63, v0
	v_cmp_gt_u32_e32 vcc, 64, v0
	v_lshlrev_b32_e32 v1, 3, v6
	s_and_saveexec_b64 s[0:1], vcc
	s_cbranch_execz .LBB271_22
; %bb.21:
	v_mov_b32_e32 v4, 0
	v_mov_b32_e32 v5, v4
	ds_write_b64 v1, v[4:5]
.LBB271_22:
	s_or_b64 exec, exec, s[0:1]
	v_mbcnt_lo_u32_b32 v4, -1, 0
	v_mbcnt_hi_u32_b32 v8, -1, v4
	v_and_b32_e32 v9, 63, v8
	v_cmp_gt_u32_e64 s[0:1], 32, v9
	s_waitcnt lgkmcnt(0)
	s_barrier
	v_cndmask_b32_e64 v4, 0, 1, s[0:1]
	v_lshlrev_b32_e32 v4, 5, v4
	v_add_lshl_u32 v5, v4, v8, 2
	ds_bpermute_b32 v4, v5, v2
	ds_bpermute_b32 v5, v5, v3
	v_cmp_gt_u32_e64 s[0:1], 48, v9
	s_waitcnt lgkmcnt(0)
	v_add_f64 v[2:3], v[2:3], v[4:5]
	v_cndmask_b32_e64 v7, 0, 1, s[0:1]
	v_lshlrev_b32_e32 v4, 4, v7
	v_add_lshl_u32 v5, v4, v8, 2
	ds_bpermute_b32 v4, v5, v2
	ds_bpermute_b32 v5, v5, v3
	v_cmp_gt_u32_e64 s[0:1], 56, v9
	s_waitcnt lgkmcnt(0)
	v_add_f64 v[2:3], v[2:3], v[4:5]
	;; [unrolled: 8-line block ×4, first 2 shown]
	v_cndmask_b32_e64 v4, 0, 1, s[0:1]
	v_lshlrev_b32_e32 v4, 1, v4
	v_add_lshl_u32 v7, v4, v8, 2
	ds_bpermute_b32 v4, v7, v2
	ds_bpermute_b32 v5, v7, v3
	v_cmp_ne_u32_e64 s[0:1], 63, v9
	s_waitcnt lgkmcnt(0)
	v_add_f64 v[2:3], v[2:3], v[4:5]
	v_addc_co_u32_e64 v4, s[0:1], 0, v8, s[0:1]
	v_lshlrev_b32_e32 v8, 2, v4
	ds_bpermute_b32 v4, v8, v2
	ds_bpermute_b32 v5, v8, v3
	v_cmp_eq_u32_e64 s[0:1], 0, v6
	s_and_saveexec_b64 s[4:5], s[0:1]
	s_cbranch_execz .LBB271_24
; %bb.23:
	v_lshrrev_b32_e32 v6, 3, v0
	v_and_b32_e32 v6, 24, v6
	s_waitcnt lgkmcnt(0)
	v_add_f64 v[2:3], v[2:3], v[4:5]
	ds_write_b64 v6, v[2:3]
.LBB271_24:
	s_or_b64 exec, exec, s[4:5]
	v_cmp_gt_u32_e64 s[0:1], 4, v0
	s_waitcnt lgkmcnt(0)
	v_mov_b64_e32 v[4:5], 0
	s_barrier
	s_and_saveexec_b64 s[4:5], s[0:1]
	s_cbranch_execz .LBB271_26
; %bb.25:
	ds_read_b64 v[4:5], v1
	s_or_b64 exec, exec, s[4:5]
	s_and_saveexec_b64 s[0:1], vcc
	s_cbranch_execz .LBB271_28
	s_branch .LBB271_27
.LBB271_26:
	s_or_b64 exec, exec, s[4:5]
	s_and_saveexec_b64 s[0:1], vcc
	s_cbranch_execz .LBB271_28
.LBB271_27:
	s_waitcnt lgkmcnt(0)
	ds_bpermute_b32 v2, v7, v4
	ds_bpermute_b32 v3, v7, v5
	s_waitcnt lgkmcnt(0)
	v_add_f64 v[2:3], v[4:5], v[2:3]
	ds_bpermute_b32 v4, v8, v2
	ds_bpermute_b32 v5, v8, v3
	s_waitcnt lgkmcnt(0)
	v_add_f64 v[4:5], v[2:3], v[4:5]
.LBB271_28:
	s_or_b64 exec, exec, s[0:1]
	v_cmp_eq_u32_e32 vcc, 0, v0
                                        ; implicit-def: $vgpr2_vgpr3
                                        ; implicit-def: $sgpr22_sgpr23
	s_and_saveexec_b64 s[0:1], vcc
	s_cbranch_execz .LBB271_32
; %bb.29:
	s_waitcnt lgkmcnt(0)
	v_mul_f64 v[2:3], v[4:5], s[10:11]
	s_mul_i32 s7, s2, s7
	s_mul_hi_u32 s10, s2, s6
	v_cmp_eq_f64_e64 s[4:5], s[8:9], 0
	s_add_i32 s7, s10, s7
	s_mul_i32 s10, s24, s6
	s_add_i32 s23, s7, s10
	s_mul_i32 s22, s2, s6
	s_and_b64 vcc, exec, s[4:5]
	s_cbranch_vccnz .LBB271_31
; %bb.30:
	s_lshl_b64 s[4:5], s[22:23], 3
	s_add_u32 s4, s3, s4
	s_addc_u32 s5, s28, s5
	s_load_dwordx2 s[4:5], s[4:5], 0x0
	v_mov_b64_e32 v[0:1], s[8:9]
	s_waitcnt lgkmcnt(0)
	v_fmac_f64_e32 v[2:3], s[4:5], v[0:1]
.LBB271_31:
	s_or_b64 s[12:13], s[12:13], exec
.LBB271_32:
	s_or_b64 exec, exec, s[0:1]
.LBB271_33:
	s_and_saveexec_b64 s[0:1], s[12:13]
	s_cbranch_execz .LBB271_35
; %bb.34:
	s_lshl_b64 s[0:1], s[22:23], 3
	s_add_u32 s0, s3, s0
	s_addc_u32 s1, s28, s1
	v_mov_b32_e32 v0, 0
	global_store_dwordx2 v0, v[2:3], s[0:1]
.LBB271_35:
	s_endpgm
	.section	.rodata,"a",@progbits
	.p2align	6, 0x0
	.amdhsa_kernel _ZL32rocblas_gemvt_warp_reduce_kernelILb0ELi256ElPKddKPdEviiT3_lPKT2_lT1_lS7_lS8_lS4_lPT4_lS8_li
		.amdhsa_group_segment_fixed_size 512
		.amdhsa_private_segment_fixed_size 0
		.amdhsa_kernarg_size 140
		.amdhsa_user_sgpr_count 2
		.amdhsa_user_sgpr_dispatch_ptr 0
		.amdhsa_user_sgpr_queue_ptr 0
		.amdhsa_user_sgpr_kernarg_segment_ptr 1
		.amdhsa_user_sgpr_dispatch_id 0
		.amdhsa_user_sgpr_kernarg_preload_length 0
		.amdhsa_user_sgpr_kernarg_preload_offset 0
		.amdhsa_user_sgpr_private_segment_size 0
		.amdhsa_uses_dynamic_stack 0
		.amdhsa_enable_private_segment 0
		.amdhsa_system_sgpr_workgroup_id_x 1
		.amdhsa_system_sgpr_workgroup_id_y 0
		.amdhsa_system_sgpr_workgroup_id_z 1
		.amdhsa_system_sgpr_workgroup_info 0
		.amdhsa_system_vgpr_workitem_id 0
		.amdhsa_next_free_vgpr 14
		.amdhsa_next_free_sgpr 32
		.amdhsa_accum_offset 16
		.amdhsa_reserve_vcc 1
		.amdhsa_float_round_mode_32 0
		.amdhsa_float_round_mode_16_64 0
		.amdhsa_float_denorm_mode_32 3
		.amdhsa_float_denorm_mode_16_64 3
		.amdhsa_dx10_clamp 1
		.amdhsa_ieee_mode 1
		.amdhsa_fp16_overflow 0
		.amdhsa_tg_split 0
		.amdhsa_exception_fp_ieee_invalid_op 0
		.amdhsa_exception_fp_denorm_src 0
		.amdhsa_exception_fp_ieee_div_zero 0
		.amdhsa_exception_fp_ieee_overflow 0
		.amdhsa_exception_fp_ieee_underflow 0
		.amdhsa_exception_fp_ieee_inexact 0
		.amdhsa_exception_int_div_zero 0
	.end_amdhsa_kernel
	.section	.text._ZL32rocblas_gemvt_warp_reduce_kernelILb0ELi256ElPKddKPdEviiT3_lPKT2_lT1_lS7_lS8_lS4_lPT4_lS8_li,"axG",@progbits,_ZL32rocblas_gemvt_warp_reduce_kernelILb0ELi256ElPKddKPdEviiT3_lPKT2_lT1_lS7_lS8_lS4_lPT4_lS8_li,comdat
.Lfunc_end271:
	.size	_ZL32rocblas_gemvt_warp_reduce_kernelILb0ELi256ElPKddKPdEviiT3_lPKT2_lT1_lS7_lS8_lS4_lPT4_lS8_li, .Lfunc_end271-_ZL32rocblas_gemvt_warp_reduce_kernelILb0ELi256ElPKddKPdEviiT3_lPKT2_lT1_lS7_lS8_lS4_lPT4_lS8_li
                                        ; -- End function
	.section	.AMDGPU.csdata,"",@progbits
; Kernel info:
; codeLenInByte = 1484
; NumSgprs: 38
; NumVgprs: 14
; NumAgprs: 0
; TotalNumVgprs: 14
; ScratchSize: 0
; MemoryBound: 0
; FloatMode: 240
; IeeeMode: 1
; LDSByteSize: 512 bytes/workgroup (compile time only)
; SGPRBlocks: 4
; VGPRBlocks: 1
; NumSGPRsForWavesPerEU: 38
; NumVGPRsForWavesPerEU: 14
; AccumOffset: 16
; Occupancy: 8
; WaveLimiterHint : 1
; COMPUTE_PGM_RSRC2:SCRATCH_EN: 0
; COMPUTE_PGM_RSRC2:USER_SGPR: 2
; COMPUTE_PGM_RSRC2:TRAP_HANDLER: 0
; COMPUTE_PGM_RSRC2:TGID_X_EN: 1
; COMPUTE_PGM_RSRC2:TGID_Y_EN: 0
; COMPUTE_PGM_RSRC2:TGID_Z_EN: 1
; COMPUTE_PGM_RSRC2:TIDIG_COMP_CNT: 0
; COMPUTE_PGM_RSRC3_GFX90A:ACCUM_OFFSET: 3
; COMPUTE_PGM_RSRC3_GFX90A:TG_SPLIT: 0
	.section	.text._ZL20rocblas_gemvt_kernelILb0ELi256EPKdS1_KPdEviiT2_lPKT1_lilS7_lilS4_lPT3_lili,"axG",@progbits,_ZL20rocblas_gemvt_kernelILb0ELi256EPKdS1_KPdEviiT2_lPKT1_lilS7_lilS4_lPT3_lili,comdat
	.globl	_ZL20rocblas_gemvt_kernelILb0ELi256EPKdS1_KPdEviiT2_lPKT1_lilS7_lilS4_lPT3_lili ; -- Begin function _ZL20rocblas_gemvt_kernelILb0ELi256EPKdS1_KPdEviiT2_lPKT1_lilS7_lilS4_lPT3_lili
	.p2align	8
	.type	_ZL20rocblas_gemvt_kernelILb0ELi256EPKdS1_KPdEviiT2_lPKT1_lilS7_lilS4_lPT3_lili,@function
_ZL20rocblas_gemvt_kernelILb0ELi256EPKdS1_KPdEviiT2_lPKT1_lilS7_lilS4_lPT3_lili: ; @_ZL20rocblas_gemvt_kernelILb0ELi256EPKdS1_KPdEviiT2_lPKT1_lilS7_lilS4_lPT3_lili
; %bb.0:
	s_load_dwordx8 s[12:19], s[0:1], 0x8
	s_load_dwordx8 s[4:11], s[0:1], 0x58
	s_mov_b32 s22, s3
	s_waitcnt lgkmcnt(0)
	s_mul_i32 s3, s3, s15
	s_mul_hi_u32 s15, s22, s14
	s_add_i32 s15, s15, s3
	s_mul_i32 s14, s22, s14
	s_lshl_b64 s[14:15], s[14:15], 3
	s_add_u32 s12, s12, s14
	s_mul_i32 s3, s22, s7
	s_mul_hi_u32 s7, s22, s6
	s_addc_u32 s13, s13, s15
	s_add_i32 s7, s7, s3
	s_mul_i32 s6, s22, s6
	s_lshl_b64 s[6:7], s[6:7], 3
	s_add_u32 s4, s4, s6
	s_addc_u32 s5, s5, s7
	s_load_dwordx2 s[12:13], s[12:13], 0x0
	s_nop 0
	s_load_dwordx2 s[6:7], s[4:5], 0x0
	s_waitcnt lgkmcnt(0)
	v_cmp_eq_f64_e64 s[4:5], s[12:13], 0
	v_cmp_eq_f64_e64 s[14:15], s[6:7], 1.0
	s_and_b64 s[14:15], s[4:5], s[14:15]
	s_and_b64 vcc, exec, s[14:15]
	s_cbranch_vccnz .LBB272_40
; %bb.1:
	s_mov_b32 s23, 0
	s_mov_b64 s[14:15], 0
	v_cmp_neq_f64_e64 s[24:25], s[12:13], 0
	s_and_b64 vcc, exec, s[4:5]
	s_mov_b64 s[20:21], 0
	s_cbranch_vccnz .LBB272_3
; %bb.2:
	s_lshl_b64 s[20:21], s[22:23], 3
	s_add_u32 s16, s16, s20
	s_addc_u32 s17, s17, s21
	s_load_dwordx2 s[16:17], s[16:17], 0x0
	s_lshl_b64 s[18:19], s[18:19], 3
	s_waitcnt lgkmcnt(0)
	s_add_u32 s20, s16, s18
	s_addc_u32 s21, s17, s19
.LBB272_3:
	s_andn2_b64 vcc, exec, s[24:25]
	s_cbranch_vccnz .LBB272_5
; %bb.4:
	s_load_dwordx4 s[16:19], s[0:1], 0x38
	s_lshl_b64 s[14:15], s[22:23], 3
	s_waitcnt lgkmcnt(0)
	s_add_u32 s14, s16, s14
	s_addc_u32 s15, s17, s15
	s_load_dwordx2 s[14:15], s[14:15], 0x0
	s_lshl_b64 s[16:17], s[18:19], 3
	s_waitcnt lgkmcnt(0)
	s_add_u32 s14, s14, s16
	s_addc_u32 s15, s15, s17
.LBB272_5:
	s_lshl_b64 s[16:17], s[22:23], 3
	s_add_u32 s8, s8, s16
	s_addc_u32 s9, s9, s17
	s_load_dwordx2 s[16:17], s[8:9], 0x0
	s_load_dword s23, s[0:1], 0x78
	s_lshl_b64 s[8:9], s[10:11], 3
	s_waitcnt lgkmcnt(0)
	s_add_u32 s3, s16, s8
	s_addc_u32 s22, s17, s9
	s_andn2_b64 vcc, exec, s[4:5]
	v_cmp_eq_u32_e64 s[4:5], 0, v0
	s_cbranch_vccnz .LBB272_10
; %bb.6:
	s_mov_b64 s[16:17], 0
	s_mov_b64 s[8:9], 0
                                        ; implicit-def: $vgpr2_vgpr3
                                        ; implicit-def: $sgpr10_sgpr11
	s_and_saveexec_b64 s[18:19], s[4:5]
	s_cbranch_execz .LBB272_11
; %bb.7:
	v_cmp_eq_f64_e64 s[4:5], s[6:7], 0
	v_mov_b64_e32 v[2:3], 0
	s_mul_hi_i32 s11, s23, s2
	s_mul_i32 s10, s23, s2
	s_and_b64 vcc, exec, s[4:5]
	s_cbranch_vccnz .LBB272_9
; %bb.8:
	s_lshl_b64 s[4:5], s[10:11], 3
	s_add_u32 s4, s3, s4
	s_addc_u32 s5, s22, s5
	s_load_dwordx2 s[4:5], s[4:5], 0x0
	s_waitcnt lgkmcnt(0)
	v_mov_b64_e32 v[2:3], s[4:5]
	v_mul_f64 v[2:3], s[6:7], v[2:3]
.LBB272_9:
	s_mov_b64 s[8:9], exec
	s_or_b64 exec, exec, s[18:19]
	s_and_b64 vcc, exec, s[16:17]
	s_cbranch_vccnz .LBB272_12
	s_branch .LBB272_38
.LBB272_10:
	s_mov_b64 s[8:9], 0
                                        ; implicit-def: $vgpr2_vgpr3
                                        ; implicit-def: $sgpr10_sgpr11
	s_cbranch_execnz .LBB272_12
	s_branch .LBB272_38
.LBB272_11:
	s_or_b64 exec, exec, s[18:19]
	s_and_b64 vcc, exec, s[16:17]
	s_cbranch_vccz .LBB272_38
.LBB272_12:
	s_load_dword s18, s[0:1], 0x0
	s_load_dword s5, s[0:1], 0x28
	s_load_dword s4, s[0:1], 0x48
	v_mov_b32_e32 v3, 0
	s_mov_b32 s1, 0
	s_waitcnt lgkmcnt(0)
	v_cmp_gt_i32_e32 vcc, s18, v0
	s_mul_hi_i32 s11, s5, s2
	s_mul_i32 s10, s5, s2
	s_lshl_b64 s[10:11], s[10:11], 3
	s_add_u32 s10, s10, s20
	s_addc_u32 s11, s11, s21
	s_ashr_i32 s0, s18, 31
	s_lshr_b32 s0, s0, 24
	v_cndmask_b32_e32 v1, 0, v0, vcc
	s_add_i32 s0, s18, s0
	v_lshlrev_b32_e32 v2, 3, v1
	s_and_b32 s0, s0, 0xffffff00
	v_lshl_add_u64 v[2:3], s[10:11], 0, v[2:3]
	s_cmpk_lt_i32 s18, 0x100
	v_mov_b64_e32 v[4:5], 0
	s_cbranch_scc1 .LBB272_15
; %bb.13:
	s_ashr_i32 s5, s4, 31
	v_mad_i64_i32 v[4:5], s[10:11], s4, v0, 0
	v_lshl_add_u64 v[6:7], v[4:5], 3, s[14:15]
	s_lshl_b64 s[10:11], s[4:5], 11
	v_mov_b64_e32 v[4:5], 0
	s_mov_b64 s[16:17], 0x800
	v_mov_b64_e32 v[8:9], v[2:3]
.LBB272_14:                             ; =>This Inner Loop Header: Depth=1
	flat_load_dwordx2 v[10:11], v[8:9]
	flat_load_dwordx2 v[12:13], v[6:7]
	s_addk_i32 s1, 0x100
	v_lshl_add_u64 v[6:7], v[6:7], 0, s[10:11]
	v_lshl_add_u64 v[8:9], v[8:9], 0, s[16:17]
	s_cmp_ge_i32 s1, s0
	s_waitcnt vmcnt(0) lgkmcnt(0)
	v_fmac_f64_e32 v[4:5], v[10:11], v[12:13]
	s_cbranch_scc0 .LBB272_14
.LBB272_15:
	v_add_u32_e32 v1, s0, v0
	v_cmp_gt_i32_e32 vcc, s18, v1
	s_and_saveexec_b64 s[10:11], vcc
	s_cbranch_execz .LBB272_17
; %bb.16:
	s_ashr_i32 s1, s0, 31
	v_lshl_add_u64 v[2:3], s[0:1], 3, v[2:3]
	v_mad_i64_i32 v[6:7], s[0:1], s4, v1, 0
	v_lshl_add_u64 v[6:7], v[6:7], 3, s[14:15]
	flat_load_dwordx2 v[2:3], v[2:3]
	s_nop 0
	flat_load_dwordx2 v[6:7], v[6:7]
	s_waitcnt vmcnt(0) lgkmcnt(0)
	v_fmac_f64_e32 v[4:5], v[2:3], v[6:7]
.LBB272_17:
	s_or_b64 exec, exec, s[10:11]
	s_movk_i32 s0, 0x80
	v_lshlrev_b32_e32 v1, 3, v0
	v_cmp_gt_u32_e32 vcc, s0, v0
	ds_write_b64 v1, v[4:5]
	s_waitcnt lgkmcnt(0)
	s_barrier
	s_and_saveexec_b64 s[0:1], vcc
	s_cbranch_execz .LBB272_19
; %bb.18:
	ds_read2st64_b64 v[2:5], v1 offset1:2
	s_waitcnt lgkmcnt(0)
	v_add_f64 v[2:3], v[4:5], v[2:3]
	ds_write_b64 v1, v[2:3]
.LBB272_19:
	s_or_b64 exec, exec, s[0:1]
	v_cmp_gt_u32_e32 vcc, 64, v0
	s_waitcnt lgkmcnt(0)
	s_barrier
	s_and_saveexec_b64 s[0:1], vcc
	s_cbranch_execz .LBB272_21
; %bb.20:
	ds_read2st64_b64 v[2:5], v1 offset1:1
	s_waitcnt lgkmcnt(0)
	v_add_f64 v[2:3], v[4:5], v[2:3]
	ds_write_b64 v1, v[2:3]
.LBB272_21:
	s_or_b64 exec, exec, s[0:1]
	v_cmp_gt_u32_e32 vcc, 32, v0
	s_waitcnt lgkmcnt(0)
	s_barrier
	s_and_saveexec_b64 s[0:1], vcc
	s_cbranch_execz .LBB272_23
; %bb.22:
	ds_read2_b64 v[2:5], v1 offset1:32
	s_waitcnt lgkmcnt(0)
	v_add_f64 v[2:3], v[4:5], v[2:3]
	ds_write_b64 v1, v[2:3]
.LBB272_23:
	s_or_b64 exec, exec, s[0:1]
	v_cmp_gt_u32_e32 vcc, 16, v0
	s_waitcnt lgkmcnt(0)
	s_barrier
	s_and_saveexec_b64 s[0:1], vcc
	s_cbranch_execz .LBB272_25
; %bb.24:
	ds_read2_b64 v[2:5], v1 offset1:16
	s_waitcnt lgkmcnt(0)
	v_add_f64 v[2:3], v[4:5], v[2:3]
	ds_write_b64 v1, v[2:3]
.LBB272_25:
	;; [unrolled: 12-line block ×5, first 2 shown]
	s_or_b64 exec, exec, s[0:1]
	v_cmp_eq_u32_e32 vcc, 0, v0
	s_waitcnt lgkmcnt(0)
	s_barrier
	s_and_saveexec_b64 s[0:1], vcc
	s_cbranch_execz .LBB272_33
; %bb.32:
	v_mov_b32_e32 v4, 0
	ds_read_b128 v[0:3], v4
	s_waitcnt lgkmcnt(0)
	v_add_f64 v[0:1], v[2:3], v[0:1]
	ds_write_b64 v4, v[0:1]
.LBB272_33:
	s_or_b64 exec, exec, s[0:1]
	s_waitcnt lgkmcnt(0)
	s_barrier
	s_waitcnt lgkmcnt(0)
                                        ; implicit-def: $vgpr2_vgpr3
                                        ; implicit-def: $sgpr10_sgpr11
	s_and_saveexec_b64 s[0:1], vcc
	s_cbranch_execz .LBB272_37
; %bb.34:
	v_mov_b32_e32 v0, 0
	ds_read_b64 v[0:1], v0
	v_cmp_eq_f64_e64 s[4:5], s[6:7], 0
	s_mul_hi_i32 s11, s23, s2
	s_mul_i32 s10, s23, s2
	s_and_b64 vcc, exec, s[4:5]
	s_waitcnt lgkmcnt(0)
	v_mul_f64 v[2:3], s[12:13], v[0:1]
	s_cbranch_vccnz .LBB272_36
; %bb.35:
	s_lshl_b64 s[4:5], s[10:11], 3
	s_add_u32 s4, s3, s4
	s_addc_u32 s5, s22, s5
	s_load_dwordx2 s[4:5], s[4:5], 0x0
	s_waitcnt lgkmcnt(0)
	v_mov_b64_e32 v[0:1], s[4:5]
	v_fmac_f64_e32 v[2:3], s[6:7], v[0:1]
.LBB272_36:
	s_or_b64 s[8:9], s[8:9], exec
.LBB272_37:
	s_or_b64 exec, exec, s[0:1]
.LBB272_38:
	s_and_saveexec_b64 s[0:1], s[8:9]
	s_cbranch_execz .LBB272_40
; %bb.39:
	s_lshl_b64 s[0:1], s[10:11], 3
	s_add_u32 s0, s3, s0
	s_addc_u32 s1, s22, s1
	v_mov_b32_e32 v0, 0
	global_store_dwordx2 v0, v[2:3], s[0:1]
.LBB272_40:
	s_endpgm
	.section	.rodata,"a",@progbits
	.p2align	6, 0x0
	.amdhsa_kernel _ZL20rocblas_gemvt_kernelILb0ELi256EPKdS1_KPdEviiT2_lPKT1_lilS7_lilS4_lPT3_lili
		.amdhsa_group_segment_fixed_size 2048
		.amdhsa_private_segment_fixed_size 0
		.amdhsa_kernarg_size 140
		.amdhsa_user_sgpr_count 2
		.amdhsa_user_sgpr_dispatch_ptr 0
		.amdhsa_user_sgpr_queue_ptr 0
		.amdhsa_user_sgpr_kernarg_segment_ptr 1
		.amdhsa_user_sgpr_dispatch_id 0
		.amdhsa_user_sgpr_kernarg_preload_length 0
		.amdhsa_user_sgpr_kernarg_preload_offset 0
		.amdhsa_user_sgpr_private_segment_size 0
		.amdhsa_uses_dynamic_stack 0
		.amdhsa_enable_private_segment 0
		.amdhsa_system_sgpr_workgroup_id_x 1
		.amdhsa_system_sgpr_workgroup_id_y 0
		.amdhsa_system_sgpr_workgroup_id_z 1
		.amdhsa_system_sgpr_workgroup_info 0
		.amdhsa_system_vgpr_workitem_id 0
		.amdhsa_next_free_vgpr 14
		.amdhsa_next_free_sgpr 26
		.amdhsa_accum_offset 16
		.amdhsa_reserve_vcc 1
		.amdhsa_float_round_mode_32 0
		.amdhsa_float_round_mode_16_64 0
		.amdhsa_float_denorm_mode_32 3
		.amdhsa_float_denorm_mode_16_64 3
		.amdhsa_dx10_clamp 1
		.amdhsa_ieee_mode 1
		.amdhsa_fp16_overflow 0
		.amdhsa_tg_split 0
		.amdhsa_exception_fp_ieee_invalid_op 0
		.amdhsa_exception_fp_denorm_src 0
		.amdhsa_exception_fp_ieee_div_zero 0
		.amdhsa_exception_fp_ieee_overflow 0
		.amdhsa_exception_fp_ieee_underflow 0
		.amdhsa_exception_fp_ieee_inexact 0
		.amdhsa_exception_int_div_zero 0
	.end_amdhsa_kernel
	.section	.text._ZL20rocblas_gemvt_kernelILb0ELi256EPKdS1_KPdEviiT2_lPKT1_lilS7_lilS4_lPT3_lili,"axG",@progbits,_ZL20rocblas_gemvt_kernelILb0ELi256EPKdS1_KPdEviiT2_lPKT1_lilS7_lilS4_lPT3_lili,comdat
.Lfunc_end272:
	.size	_ZL20rocblas_gemvt_kernelILb0ELi256EPKdS1_KPdEviiT2_lPKT1_lilS7_lilS4_lPT3_lili, .Lfunc_end272-_ZL20rocblas_gemvt_kernelILb0ELi256EPKdS1_KPdEviiT2_lPKT1_lilS7_lilS4_lPT3_lili
                                        ; -- End function
	.section	.AMDGPU.csdata,"",@progbits
; Kernel info:
; codeLenInByte = 1292
; NumSgprs: 32
; NumVgprs: 14
; NumAgprs: 0
; TotalNumVgprs: 14
; ScratchSize: 0
; MemoryBound: 0
; FloatMode: 240
; IeeeMode: 1
; LDSByteSize: 2048 bytes/workgroup (compile time only)
; SGPRBlocks: 3
; VGPRBlocks: 1
; NumSGPRsForWavesPerEU: 32
; NumVGPRsForWavesPerEU: 14
; AccumOffset: 16
; Occupancy: 8
; WaveLimiterHint : 1
; COMPUTE_PGM_RSRC2:SCRATCH_EN: 0
; COMPUTE_PGM_RSRC2:USER_SGPR: 2
; COMPUTE_PGM_RSRC2:TRAP_HANDLER: 0
; COMPUTE_PGM_RSRC2:TGID_X_EN: 1
; COMPUTE_PGM_RSRC2:TGID_Y_EN: 0
; COMPUTE_PGM_RSRC2:TGID_Z_EN: 1
; COMPUTE_PGM_RSRC2:TIDIG_COMP_CNT: 0
; COMPUTE_PGM_RSRC3_GFX90A:ACCUM_OFFSET: 3
; COMPUTE_PGM_RSRC3_GFX90A:TG_SPLIT: 0
	.section	.text._ZL20rocblas_gemvt_kernelILb0ELi256EPKddKPdEviiT2_lPKT1_lilS7_lilS4_lPT3_lili,"axG",@progbits,_ZL20rocblas_gemvt_kernelILb0ELi256EPKddKPdEviiT2_lPKT1_lilS7_lilS4_lPT3_lili,comdat
	.globl	_ZL20rocblas_gemvt_kernelILb0ELi256EPKddKPdEviiT2_lPKT1_lilS7_lilS4_lPT3_lili ; -- Begin function _ZL20rocblas_gemvt_kernelILb0ELi256EPKddKPdEviiT2_lPKT1_lilS7_lilS4_lPT3_lili
	.p2align	8
	.type	_ZL20rocblas_gemvt_kernelILb0ELi256EPKddKPdEviiT2_lPKT1_lilS7_lilS4_lPT3_lili,@function
_ZL20rocblas_gemvt_kernelILb0ELi256EPKddKPdEviiT2_lPKT1_lilS7_lilS4_lPT3_lili: ; @_ZL20rocblas_gemvt_kernelILb0ELi256EPKddKPdEviiT2_lPKT1_lilS7_lilS4_lPT3_lili
; %bb.0:
	s_load_dwordx2 s[8:9], s[0:1], 0x8
	s_load_dwordx2 s[6:7], s[0:1], 0x58
	s_waitcnt lgkmcnt(0)
	v_cmp_eq_f64_e64 s[4:5], s[8:9], 0
	v_cmp_eq_f64_e64 s[10:11], s[6:7], 1.0
	s_and_b64 s[10:11], s[4:5], s[10:11]
	s_and_b64 vcc, exec, s[10:11]
	s_cbranch_vccnz .LBB273_42
; %bb.1:
	v_cmp_neq_f64_e64 s[12:13], s[8:9], 0
	s_mov_b32 s16, s3
	s_mov_b64 s[10:11], 0
	s_and_b64 vcc, exec, s[12:13]
	s_cbranch_vccnz .LBB273_3
; %bb.2:
	s_mov_b32 s17, 0
	s_mov_b64 s[14:15], 0
	s_andn2_b64 vcc, exec, s[10:11]
	s_cbranch_vccz .LBB273_4
	s_branch .LBB273_5
.LBB273_3:
                                        ; implicit-def: $sgpr14_sgpr15
.LBB273_4:
	s_load_dwordx4 s[20:23], s[0:1], 0x18
	s_mov_b32 s17, 0
	s_lshl_b64 s[10:11], s[16:17], 3
	s_waitcnt lgkmcnt(0)
	s_add_u32 s10, s20, s10
	s_addc_u32 s11, s21, s11
	s_load_dwordx2 s[10:11], s[10:11], 0x0
	s_lshl_b64 s[14:15], s[22:23], 3
	s_waitcnt lgkmcnt(0)
	s_add_u32 s14, s10, s14
	s_addc_u32 s15, s11, s15
.LBB273_5:
	s_mov_b64 s[10:11], 0
	s_andn2_b64 vcc, exec, s[12:13]
	s_mov_b64 s[12:13], 0
	s_cbranch_vccnz .LBB273_7
; %bb.6:
	s_load_dwordx4 s[20:23], s[0:1], 0x38
	s_lshl_b64 s[12:13], s[16:17], 3
	s_waitcnt lgkmcnt(0)
	s_add_u32 s12, s20, s12
	s_addc_u32 s13, s21, s13
	s_load_dwordx2 s[12:13], s[12:13], 0x0
	s_lshl_b64 s[18:19], s[22:23], 3
	s_waitcnt lgkmcnt(0)
	s_add_u32 s12, s12, s18
	s_addc_u32 s13, s13, s19
.LBB273_7:
	s_load_dwordx4 s[24:27], s[0:1], 0x68
	s_load_dword s23, s[0:1], 0x78
	s_lshl_b64 s[16:17], s[16:17], 3
	s_waitcnt lgkmcnt(0)
	s_add_u32 s16, s24, s16
	s_addc_u32 s17, s25, s17
	s_load_dwordx2 s[16:17], s[16:17], 0x0
	s_lshl_b64 s[18:19], s[26:27], 3
	s_waitcnt lgkmcnt(0)
	s_add_u32 s3, s16, s18
	s_addc_u32 s22, s17, s19
	s_andn2_b64 vcc, exec, s[4:5]
	v_cmp_eq_u32_e64 s[4:5], 0, v0
	s_cbranch_vccnz .LBB273_12
; %bb.8:
	s_mov_b64 s[18:19], 0
                                        ; implicit-def: $vgpr2_vgpr3
                                        ; implicit-def: $sgpr16_sgpr17
	s_and_saveexec_b64 s[20:21], s[4:5]
	s_cbranch_execz .LBB273_13
; %bb.9:
	v_cmp_eq_f64_e64 s[4:5], s[6:7], 0
	v_mov_b64_e32 v[2:3], 0
	s_mul_hi_i32 s17, s23, s2
	s_mul_i32 s16, s23, s2
	s_and_b64 vcc, exec, s[4:5]
	s_cbranch_vccnz .LBB273_11
; %bb.10:
	s_lshl_b64 s[4:5], s[16:17], 3
	s_add_u32 s4, s3, s4
	s_addc_u32 s5, s22, s5
	s_load_dwordx2 s[4:5], s[4:5], 0x0
	v_mov_b64_e32 v[2:3], s[6:7]
	s_waitcnt lgkmcnt(0)
	v_mul_f64 v[2:3], s[4:5], v[2:3]
.LBB273_11:
	s_mov_b64 s[10:11], exec
	s_or_b64 exec, exec, s[20:21]
	s_and_b64 vcc, exec, s[18:19]
	s_cbranch_vccnz .LBB273_14
	s_branch .LBB273_40
.LBB273_12:
                                        ; implicit-def: $vgpr2_vgpr3
                                        ; implicit-def: $sgpr16_sgpr17
	s_cbranch_execnz .LBB273_14
	s_branch .LBB273_40
.LBB273_13:
	s_or_b64 exec, exec, s[20:21]
	s_and_b64 vcc, exec, s[18:19]
	s_cbranch_vccz .LBB273_40
.LBB273_14:
	s_load_dword s18, s[0:1], 0x0
	s_load_dword s5, s[0:1], 0x28
	;; [unrolled: 1-line block ×3, first 2 shown]
	v_mov_b32_e32 v3, 0
	s_mov_b32 s1, 0
	s_waitcnt lgkmcnt(0)
	v_cmp_gt_i32_e32 vcc, s18, v0
	s_mul_hi_i32 s17, s5, s2
	s_mul_i32 s16, s5, s2
	s_lshl_b64 s[16:17], s[16:17], 3
	s_add_u32 s14, s16, s14
	s_addc_u32 s15, s17, s15
	s_ashr_i32 s0, s18, 31
	s_lshr_b32 s0, s0, 24
	v_cndmask_b32_e32 v1, 0, v0, vcc
	s_add_i32 s0, s18, s0
	v_lshlrev_b32_e32 v2, 3, v1
	s_and_b32 s0, s0, 0xffffff00
	v_lshl_add_u64 v[2:3], s[14:15], 0, v[2:3]
	s_cmpk_lt_i32 s18, 0x100
	v_mov_b64_e32 v[4:5], 0
	s_cbranch_scc1 .LBB273_17
; %bb.15:
	s_ashr_i32 s5, s4, 31
	v_mad_i64_i32 v[4:5], s[14:15], s4, v0, 0
	v_lshl_add_u64 v[6:7], v[4:5], 3, s[12:13]
	s_lshl_b64 s[14:15], s[4:5], 11
	v_mov_b64_e32 v[4:5], 0
	s_mov_b64 s[16:17], 0x800
	v_mov_b64_e32 v[8:9], v[2:3]
.LBB273_16:                             ; =>This Inner Loop Header: Depth=1
	flat_load_dwordx2 v[10:11], v[8:9]
	flat_load_dwordx2 v[12:13], v[6:7]
	s_addk_i32 s1, 0x100
	v_lshl_add_u64 v[6:7], v[6:7], 0, s[14:15]
	v_lshl_add_u64 v[8:9], v[8:9], 0, s[16:17]
	s_cmp_ge_i32 s1, s0
	s_waitcnt vmcnt(0) lgkmcnt(0)
	v_fmac_f64_e32 v[4:5], v[10:11], v[12:13]
	s_cbranch_scc0 .LBB273_16
.LBB273_17:
	v_add_u32_e32 v1, s0, v0
	v_cmp_gt_i32_e32 vcc, s18, v1
	s_and_saveexec_b64 s[14:15], vcc
	s_cbranch_execz .LBB273_19
; %bb.18:
	s_ashr_i32 s1, s0, 31
	v_lshl_add_u64 v[2:3], s[0:1], 3, v[2:3]
	v_mad_i64_i32 v[6:7], s[0:1], s4, v1, 0
	v_lshl_add_u64 v[6:7], v[6:7], 3, s[12:13]
	flat_load_dwordx2 v[2:3], v[2:3]
	s_nop 0
	flat_load_dwordx2 v[6:7], v[6:7]
	s_waitcnt vmcnt(0) lgkmcnt(0)
	v_fmac_f64_e32 v[4:5], v[2:3], v[6:7]
.LBB273_19:
	s_or_b64 exec, exec, s[14:15]
	s_movk_i32 s0, 0x80
	v_lshlrev_b32_e32 v1, 3, v0
	v_cmp_gt_u32_e32 vcc, s0, v0
	ds_write_b64 v1, v[4:5]
	s_waitcnt lgkmcnt(0)
	s_barrier
	s_and_saveexec_b64 s[0:1], vcc
	s_cbranch_execz .LBB273_21
; %bb.20:
	ds_read2st64_b64 v[2:5], v1 offset1:2
	s_waitcnt lgkmcnt(0)
	v_add_f64 v[2:3], v[4:5], v[2:3]
	ds_write_b64 v1, v[2:3]
.LBB273_21:
	s_or_b64 exec, exec, s[0:1]
	v_cmp_gt_u32_e32 vcc, 64, v0
	s_waitcnt lgkmcnt(0)
	s_barrier
	s_and_saveexec_b64 s[0:1], vcc
	s_cbranch_execz .LBB273_23
; %bb.22:
	ds_read2st64_b64 v[2:5], v1 offset1:1
	s_waitcnt lgkmcnt(0)
	v_add_f64 v[2:3], v[4:5], v[2:3]
	ds_write_b64 v1, v[2:3]
.LBB273_23:
	s_or_b64 exec, exec, s[0:1]
	v_cmp_gt_u32_e32 vcc, 32, v0
	s_waitcnt lgkmcnt(0)
	s_barrier
	s_and_saveexec_b64 s[0:1], vcc
	s_cbranch_execz .LBB273_25
; %bb.24:
	ds_read2_b64 v[2:5], v1 offset1:32
	s_waitcnt lgkmcnt(0)
	v_add_f64 v[2:3], v[4:5], v[2:3]
	ds_write_b64 v1, v[2:3]
.LBB273_25:
	s_or_b64 exec, exec, s[0:1]
	v_cmp_gt_u32_e32 vcc, 16, v0
	s_waitcnt lgkmcnt(0)
	s_barrier
	s_and_saveexec_b64 s[0:1], vcc
	s_cbranch_execz .LBB273_27
; %bb.26:
	ds_read2_b64 v[2:5], v1 offset1:16
	s_waitcnt lgkmcnt(0)
	v_add_f64 v[2:3], v[4:5], v[2:3]
	ds_write_b64 v1, v[2:3]
.LBB273_27:
	;; [unrolled: 12-line block ×5, first 2 shown]
	s_or_b64 exec, exec, s[0:1]
	v_cmp_eq_u32_e32 vcc, 0, v0
	s_waitcnt lgkmcnt(0)
	s_barrier
	s_and_saveexec_b64 s[0:1], vcc
	s_cbranch_execz .LBB273_35
; %bb.34:
	v_mov_b32_e32 v4, 0
	ds_read_b128 v[0:3], v4
	s_waitcnt lgkmcnt(0)
	v_add_f64 v[0:1], v[2:3], v[0:1]
	ds_write_b64 v4, v[0:1]
.LBB273_35:
	s_or_b64 exec, exec, s[0:1]
	s_waitcnt lgkmcnt(0)
	s_barrier
	s_waitcnt lgkmcnt(0)
                                        ; implicit-def: $vgpr2_vgpr3
                                        ; implicit-def: $sgpr16_sgpr17
	s_and_saveexec_b64 s[0:1], vcc
	s_cbranch_execz .LBB273_39
; %bb.36:
	v_mov_b32_e32 v0, 0
	ds_read_b64 v[0:1], v0
	v_cmp_eq_f64_e64 s[4:5], s[6:7], 0
	s_mul_hi_i32 s17, s23, s2
	s_mul_i32 s16, s23, s2
	s_and_b64 vcc, exec, s[4:5]
	s_waitcnt lgkmcnt(0)
	v_mul_f64 v[2:3], v[0:1], s[8:9]
	s_cbranch_vccnz .LBB273_38
; %bb.37:
	s_lshl_b64 s[4:5], s[16:17], 3
	s_add_u32 s4, s3, s4
	s_addc_u32 s5, s22, s5
	s_load_dwordx2 s[4:5], s[4:5], 0x0
	v_mov_b64_e32 v[0:1], s[6:7]
	s_waitcnt lgkmcnt(0)
	v_fmac_f64_e32 v[2:3], s[4:5], v[0:1]
.LBB273_38:
	s_or_b64 s[10:11], s[10:11], exec
.LBB273_39:
	s_or_b64 exec, exec, s[0:1]
.LBB273_40:
	s_and_saveexec_b64 s[0:1], s[10:11]
	s_cbranch_execz .LBB273_42
; %bb.41:
	s_lshl_b64 s[0:1], s[16:17], 3
	s_add_u32 s0, s3, s0
	s_addc_u32 s1, s22, s1
	v_mov_b32_e32 v0, 0
	global_store_dwordx2 v0, v[2:3], s[0:1]
.LBB273_42:
	s_endpgm
	.section	.rodata,"a",@progbits
	.p2align	6, 0x0
	.amdhsa_kernel _ZL20rocblas_gemvt_kernelILb0ELi256EPKddKPdEviiT2_lPKT1_lilS7_lilS4_lPT3_lili
		.amdhsa_group_segment_fixed_size 2048
		.amdhsa_private_segment_fixed_size 0
		.amdhsa_kernarg_size 140
		.amdhsa_user_sgpr_count 2
		.amdhsa_user_sgpr_dispatch_ptr 0
		.amdhsa_user_sgpr_queue_ptr 0
		.amdhsa_user_sgpr_kernarg_segment_ptr 1
		.amdhsa_user_sgpr_dispatch_id 0
		.amdhsa_user_sgpr_kernarg_preload_length 0
		.amdhsa_user_sgpr_kernarg_preload_offset 0
		.amdhsa_user_sgpr_private_segment_size 0
		.amdhsa_uses_dynamic_stack 0
		.amdhsa_enable_private_segment 0
		.amdhsa_system_sgpr_workgroup_id_x 1
		.amdhsa_system_sgpr_workgroup_id_y 0
		.amdhsa_system_sgpr_workgroup_id_z 1
		.amdhsa_system_sgpr_workgroup_info 0
		.amdhsa_system_vgpr_workitem_id 0
		.amdhsa_next_free_vgpr 14
		.amdhsa_next_free_sgpr 28
		.amdhsa_accum_offset 16
		.amdhsa_reserve_vcc 1
		.amdhsa_float_round_mode_32 0
		.amdhsa_float_round_mode_16_64 0
		.amdhsa_float_denorm_mode_32 3
		.amdhsa_float_denorm_mode_16_64 3
		.amdhsa_dx10_clamp 1
		.amdhsa_ieee_mode 1
		.amdhsa_fp16_overflow 0
		.amdhsa_tg_split 0
		.amdhsa_exception_fp_ieee_invalid_op 0
		.amdhsa_exception_fp_denorm_src 0
		.amdhsa_exception_fp_ieee_div_zero 0
		.amdhsa_exception_fp_ieee_overflow 0
		.amdhsa_exception_fp_ieee_underflow 0
		.amdhsa_exception_fp_ieee_inexact 0
		.amdhsa_exception_int_div_zero 0
	.end_amdhsa_kernel
	.section	.text._ZL20rocblas_gemvt_kernelILb0ELi256EPKddKPdEviiT2_lPKT1_lilS7_lilS4_lPT3_lili,"axG",@progbits,_ZL20rocblas_gemvt_kernelILb0ELi256EPKddKPdEviiT2_lPKT1_lilS7_lilS4_lPT3_lili,comdat
.Lfunc_end273:
	.size	_ZL20rocblas_gemvt_kernelILb0ELi256EPKddKPdEviiT2_lPKT1_lilS7_lilS4_lPT3_lili, .Lfunc_end273-_ZL20rocblas_gemvt_kernelILb0ELi256EPKddKPdEviiT2_lPKT1_lilS7_lilS4_lPT3_lili
                                        ; -- End function
	.section	.AMDGPU.csdata,"",@progbits
; Kernel info:
; codeLenInByte = 1252
; NumSgprs: 34
; NumVgprs: 14
; NumAgprs: 0
; TotalNumVgprs: 14
; ScratchSize: 0
; MemoryBound: 0
; FloatMode: 240
; IeeeMode: 1
; LDSByteSize: 2048 bytes/workgroup (compile time only)
; SGPRBlocks: 4
; VGPRBlocks: 1
; NumSGPRsForWavesPerEU: 34
; NumVGPRsForWavesPerEU: 14
; AccumOffset: 16
; Occupancy: 8
; WaveLimiterHint : 1
; COMPUTE_PGM_RSRC2:SCRATCH_EN: 0
; COMPUTE_PGM_RSRC2:USER_SGPR: 2
; COMPUTE_PGM_RSRC2:TRAP_HANDLER: 0
; COMPUTE_PGM_RSRC2:TGID_X_EN: 1
; COMPUTE_PGM_RSRC2:TGID_Y_EN: 0
; COMPUTE_PGM_RSRC2:TGID_Z_EN: 1
; COMPUTE_PGM_RSRC2:TIDIG_COMP_CNT: 0
; COMPUTE_PGM_RSRC3_GFX90A:ACCUM_OFFSET: 3
; COMPUTE_PGM_RSRC3_GFX90A:TG_SPLIT: 0
	.section	.text._ZL32rocblas_gemvt_warp_reduce_kernelILb0ELi1024EiPKdS1_KPdEviiT3_lPKT2_lT1_lS7_lS8_lS4_lPT4_lS8_li,"axG",@progbits,_ZL32rocblas_gemvt_warp_reduce_kernelILb0ELi1024EiPKdS1_KPdEviiT3_lPKT2_lT1_lS7_lS8_lS4_lPT4_lS8_li,comdat
	.globl	_ZL32rocblas_gemvt_warp_reduce_kernelILb0ELi1024EiPKdS1_KPdEviiT3_lPKT2_lT1_lS7_lS8_lS4_lPT4_lS8_li ; -- Begin function _ZL32rocblas_gemvt_warp_reduce_kernelILb0ELi1024EiPKdS1_KPdEviiT3_lPKT2_lT1_lS7_lS8_lS4_lPT4_lS8_li
	.p2align	8
	.type	_ZL32rocblas_gemvt_warp_reduce_kernelILb0ELi1024EiPKdS1_KPdEviiT3_lPKT2_lT1_lS7_lS8_lS4_lPT4_lS8_li,@function
_ZL32rocblas_gemvt_warp_reduce_kernelILb0ELi1024EiPKdS1_KPdEviiT3_lPKT2_lT1_lS7_lS8_lS4_lPT4_lS8_li: ; @_ZL32rocblas_gemvt_warp_reduce_kernelILb0ELi1024EiPKdS1_KPdEviiT3_lPKT2_lT1_lS7_lS8_lS4_lPT4_lS8_li
; %bb.0:
	s_load_dwordx8 s[12:19], s[0:1], 0x8
	s_load_dwordx8 s[4:11], s[0:1], 0x58
	s_mov_b32 s22, s3
	s_waitcnt lgkmcnt(0)
	s_mul_i32 s3, s3, s15
	s_mul_hi_u32 s15, s22, s14
	s_add_i32 s15, s15, s3
	s_mul_i32 s14, s22, s14
	s_lshl_b64 s[14:15], s[14:15], 3
	s_add_u32 s12, s12, s14
	s_mul_i32 s3, s22, s7
	s_mul_hi_u32 s7, s22, s6
	s_addc_u32 s13, s13, s15
	s_add_i32 s7, s7, s3
	s_mul_i32 s6, s22, s6
	s_lshl_b64 s[6:7], s[6:7], 3
	s_add_u32 s4, s4, s6
	s_addc_u32 s5, s5, s7
	s_load_dwordx2 s[12:13], s[12:13], 0x0
	s_nop 0
	s_load_dwordx2 s[6:7], s[4:5], 0x0
	s_waitcnt lgkmcnt(0)
	v_cmp_eq_f64_e64 s[4:5], s[12:13], 0
	v_cmp_eq_f64_e64 s[14:15], s[6:7], 1.0
	s_and_b64 s[14:15], s[4:5], s[14:15]
	s_and_b64 vcc, exec, s[14:15]
	s_cbranch_vccnz .LBB274_33
; %bb.1:
	s_mov_b32 s23, 0
	s_mov_b64 s[14:15], 0
	v_cmp_neq_f64_e64 s[24:25], s[12:13], 0
	s_and_b64 vcc, exec, s[4:5]
	s_mov_b64 s[20:21], 0
	s_cbranch_vccnz .LBB274_3
; %bb.2:
	s_lshl_b64 s[20:21], s[22:23], 3
	s_add_u32 s16, s16, s20
	s_addc_u32 s17, s17, s21
	s_load_dwordx2 s[16:17], s[16:17], 0x0
	s_lshl_b64 s[18:19], s[18:19], 3
	s_waitcnt lgkmcnt(0)
	s_add_u32 s20, s16, s18
	s_addc_u32 s21, s17, s19
.LBB274_3:
	s_andn2_b64 vcc, exec, s[24:25]
	s_cbranch_vccnz .LBB274_5
; %bb.4:
	s_load_dwordx4 s[16:19], s[0:1], 0x38
	s_lshl_b64 s[14:15], s[22:23], 3
	s_waitcnt lgkmcnt(0)
	s_add_u32 s14, s16, s14
	s_addc_u32 s15, s17, s15
	s_load_dwordx2 s[14:15], s[14:15], 0x0
	s_lshl_b64 s[16:17], s[18:19], 3
	s_waitcnt lgkmcnt(0)
	s_add_u32 s14, s14, s16
	s_addc_u32 s15, s15, s17
.LBB274_5:
	s_lshl_b64 s[16:17], s[22:23], 3
	s_add_u32 s8, s8, s16
	s_addc_u32 s9, s9, s17
	s_load_dwordx2 s[16:17], s[8:9], 0x0
	s_load_dword s23, s[0:1], 0x78
	s_lshl_b64 s[8:9], s[10:11], 3
	s_waitcnt lgkmcnt(0)
	s_add_u32 s3, s16, s8
	s_addc_u32 s22, s17, s9
	s_andn2_b64 vcc, exec, s[4:5]
	v_cmp_eq_u32_e64 s[4:5], 0, v0
	s_cbranch_vccnz .LBB274_10
; %bb.6:
	s_mov_b64 s[16:17], 0
	s_mov_b64 s[8:9], 0
                                        ; implicit-def: $vgpr2_vgpr3
                                        ; implicit-def: $sgpr10_sgpr11
	s_and_saveexec_b64 s[18:19], s[4:5]
	s_cbranch_execz .LBB274_11
; %bb.7:
	v_cmp_eq_f64_e64 s[4:5], s[6:7], 0
	s_mul_i32 s10, s2, s23
	v_mov_b64_e32 v[2:3], 0
	s_ashr_i32 s11, s10, 31
	s_and_b64 vcc, exec, s[4:5]
	s_cbranch_vccnz .LBB274_9
; %bb.8:
	s_lshl_b64 s[4:5], s[10:11], 3
	s_add_u32 s4, s3, s4
	s_addc_u32 s5, s22, s5
	s_load_dwordx2 s[4:5], s[4:5], 0x0
	s_waitcnt lgkmcnt(0)
	v_mov_b64_e32 v[2:3], s[4:5]
	v_mul_f64 v[2:3], s[6:7], v[2:3]
.LBB274_9:
	s_mov_b64 s[8:9], exec
	s_or_b64 exec, exec, s[18:19]
	s_and_b64 vcc, exec, s[16:17]
	s_cbranch_vccnz .LBB274_12
	s_branch .LBB274_31
.LBB274_10:
	s_mov_b64 s[8:9], 0
                                        ; implicit-def: $vgpr2_vgpr3
                                        ; implicit-def: $sgpr10_sgpr11
	s_cbranch_execnz .LBB274_12
	s_branch .LBB274_31
.LBB274_11:
	s_or_b64 exec, exec, s[18:19]
	s_and_b64 vcc, exec, s[16:17]
	s_cbranch_vccz .LBB274_31
.LBB274_12:
	s_load_dword s19, s[0:1], 0x0
	s_load_dword s4, s[0:1], 0x28
	;; [unrolled: 1-line block ×3, first 2 shown]
	v_mov_b32_e32 v3, 0
	s_waitcnt lgkmcnt(0)
	v_cmp_gt_i32_e32 vcc, s19, v0
	s_mul_i32 s0, s2, s4
	s_ashr_i32 s1, s0, 31
	s_lshl_b64 s[0:1], s[0:1], 3
	v_cndmask_b32_e32 v1, 0, v0, vcc
	s_add_u32 s0, s0, s20
	v_lshlrev_b32_e32 v2, 3, v1
	s_addc_u32 s1, s1, s21
	v_lshl_add_u64 v[4:5], s[0:1], 0, v[2:3]
	s_ashr_i32 s0, s19, 31
	s_lshr_b32 s0, s0, 22
	s_add_i32 s0, s19, s0
	s_and_b32 s0, s0, 0xfffffc00
	v_cmp_gt_i32_e32 vcc, s0, v0
	v_mov_b64_e32 v[2:3], 0
	s_and_saveexec_b64 s[4:5], vcc
	s_cbranch_execz .LBB274_16
; %bb.13:
	v_mul_lo_u32 v6, v0, s18
	s_lshl_b32 s1, s18, 10
	s_mov_b64 s[10:11], 0
	v_mov_b64_e32 v[2:3], 0
	s_mov_b64 s[16:17], 0x2000
	v_mov_b64_e32 v[8:9], v[4:5]
	v_mov_b32_e32 v1, v0
.LBB274_14:                             ; =>This Inner Loop Header: Depth=1
	v_ashrrev_i32_e32 v7, 31, v6
	v_lshl_add_u64 v[12:13], v[6:7], 3, s[14:15]
	flat_load_dwordx2 v[10:11], v[8:9]
	v_add_u32_e32 v1, 0x400, v1
	flat_load_dwordx2 v[12:13], v[12:13]
	v_cmp_le_i32_e32 vcc, s0, v1
	v_lshl_add_u64 v[8:9], v[8:9], 0, s[16:17]
	v_add_u32_e32 v6, s1, v6
	s_or_b64 s[10:11], vcc, s[10:11]
	s_waitcnt vmcnt(0) lgkmcnt(0)
	v_fmac_f64_e32 v[2:3], v[10:11], v[12:13]
	s_andn2_b64 exec, exec, s[10:11]
	s_cbranch_execnz .LBB274_14
; %bb.15:
	s_or_b64 exec, exec, s[10:11]
.LBB274_16:
	s_or_b64 exec, exec, s[4:5]
	v_or_b32_e32 v1, s0, v0
	v_cmp_gt_i32_e32 vcc, s19, v1
	s_and_saveexec_b64 s[4:5], vcc
	s_cbranch_execz .LBB274_18
; %bb.17:
	v_mul_lo_u32 v6, v1, s18
	s_ashr_i32 s1, s0, 31
	v_ashrrev_i32_e32 v7, 31, v6
	v_lshl_add_u64 v[4:5], s[0:1], 3, v[4:5]
	v_lshl_add_u64 v[6:7], v[6:7], 3, s[14:15]
	flat_load_dwordx2 v[4:5], v[4:5]
	s_nop 0
	flat_load_dwordx2 v[6:7], v[6:7]
	s_waitcnt vmcnt(0) lgkmcnt(0)
	v_fmac_f64_e32 v[2:3], v[4:5], v[6:7]
.LBB274_18:
	s_or_b64 exec, exec, s[4:5]
	v_and_b32_e32 v6, 63, v0
	v_cmp_gt_u32_e32 vcc, 64, v0
	v_lshlrev_b32_e32 v1, 3, v6
	s_and_saveexec_b64 s[0:1], vcc
	s_cbranch_execz .LBB274_20
; %bb.19:
	v_mov_b32_e32 v4, 0
	v_mov_b32_e32 v5, v4
	ds_write_b64 v1, v[4:5]
.LBB274_20:
	s_or_b64 exec, exec, s[0:1]
	v_mbcnt_lo_u32_b32 v4, -1, 0
	v_mbcnt_hi_u32_b32 v10, -1, v4
	v_and_b32_e32 v11, 63, v10
	v_cmp_gt_u32_e64 s[0:1], 32, v11
	s_waitcnt lgkmcnt(0)
	s_barrier
	v_cndmask_b32_e64 v4, 0, 1, s[0:1]
	v_lshlrev_b32_e32 v4, 5, v4
	v_add_lshl_u32 v5, v4, v10, 2
	ds_bpermute_b32 v4, v5, v2
	ds_bpermute_b32 v5, v5, v3
	v_cmp_gt_u32_e64 s[0:1], 48, v11
	s_waitcnt lgkmcnt(0)
	v_add_f64 v[2:3], v[2:3], v[4:5]
	v_cndmask_b32_e64 v7, 0, 1, s[0:1]
	v_lshlrev_b32_e32 v4, 4, v7
	v_add_lshl_u32 v5, v4, v10, 2
	ds_bpermute_b32 v4, v5, v2
	ds_bpermute_b32 v5, v5, v3
	v_cmp_gt_u32_e64 s[0:1], 56, v11
	s_waitcnt lgkmcnt(0)
	v_add_f64 v[2:3], v[2:3], v[4:5]
	v_cndmask_b32_e64 v4, 0, 1, s[0:1]
	v_lshlrev_b32_e32 v4, 3, v4
	v_add_lshl_u32 v7, v4, v10, 2
	ds_bpermute_b32 v4, v7, v2
	ds_bpermute_b32 v5, v7, v3
	v_cmp_gt_u32_e64 s[0:1], 60, v11
	s_waitcnt lgkmcnt(0)
	v_add_f64 v[2:3], v[2:3], v[4:5]
	v_cndmask_b32_e64 v4, 0, 1, s[0:1]
	v_lshlrev_b32_e32 v4, 2, v4
	v_add_lshl_u32 v8, v4, v10, 2
	ds_bpermute_b32 v4, v8, v2
	ds_bpermute_b32 v5, v8, v3
	v_cmp_gt_u32_e64 s[0:1], 62, v11
	s_waitcnt lgkmcnt(0)
	v_add_f64 v[2:3], v[2:3], v[4:5]
	v_cndmask_b32_e64 v4, 0, 1, s[0:1]
	v_lshlrev_b32_e32 v4, 1, v4
	v_add_lshl_u32 v9, v4, v10, 2
	ds_bpermute_b32 v4, v9, v2
	ds_bpermute_b32 v5, v9, v3
	v_cmp_ne_u32_e64 s[0:1], 63, v11
	s_waitcnt lgkmcnt(0)
	v_add_f64 v[2:3], v[2:3], v[4:5]
	v_addc_co_u32_e64 v4, s[0:1], 0, v10, s[0:1]
	v_lshlrev_b32_e32 v10, 2, v4
	ds_bpermute_b32 v4, v10, v2
	ds_bpermute_b32 v5, v10, v3
	v_cmp_eq_u32_e64 s[0:1], 0, v6
	s_and_saveexec_b64 s[4:5], s[0:1]
	s_cbranch_execz .LBB274_22
; %bb.21:
	v_lshrrev_b32_e32 v6, 3, v0
	v_and_b32_e32 v6, 0x78, v6
	s_waitcnt lgkmcnt(0)
	v_add_f64 v[2:3], v[2:3], v[4:5]
	ds_write_b64 v6, v[2:3]
.LBB274_22:
	s_or_b64 exec, exec, s[4:5]
	v_cmp_gt_u32_e64 s[0:1], 16, v0
	s_waitcnt lgkmcnt(0)
	v_mov_b64_e32 v[4:5], 0
	s_barrier
	s_and_saveexec_b64 s[4:5], s[0:1]
	s_cbranch_execz .LBB274_24
; %bb.23:
	ds_read_b64 v[4:5], v1
	s_or_b64 exec, exec, s[4:5]
	s_and_saveexec_b64 s[0:1], vcc
	s_cbranch_execz .LBB274_26
	s_branch .LBB274_25
.LBB274_24:
	s_or_b64 exec, exec, s[4:5]
	s_and_saveexec_b64 s[0:1], vcc
	s_cbranch_execz .LBB274_26
.LBB274_25:
	s_waitcnt lgkmcnt(0)
	ds_bpermute_b32 v2, v7, v4
	ds_bpermute_b32 v3, v7, v5
	s_waitcnt lgkmcnt(0)
	v_add_f64 v[2:3], v[4:5], v[2:3]
	ds_bpermute_b32 v4, v8, v2
	ds_bpermute_b32 v5, v8, v3
	s_waitcnt lgkmcnt(0)
	v_add_f64 v[2:3], v[2:3], v[4:5]
	;; [unrolled: 4-line block ×4, first 2 shown]
.LBB274_26:
	s_or_b64 exec, exec, s[0:1]
	v_cmp_eq_u32_e32 vcc, 0, v0
                                        ; implicit-def: $vgpr2_vgpr3
                                        ; implicit-def: $sgpr10_sgpr11
	s_and_saveexec_b64 s[0:1], vcc
	s_cbranch_execz .LBB274_30
; %bb.27:
	v_cmp_eq_f64_e64 s[4:5], s[6:7], 0
	s_mul_i32 s10, s2, s23
	s_waitcnt lgkmcnt(0)
	v_mul_f64 v[2:3], s[12:13], v[4:5]
	s_ashr_i32 s11, s10, 31
	s_and_b64 vcc, exec, s[4:5]
	s_cbranch_vccnz .LBB274_29
; %bb.28:
	s_lshl_b64 s[4:5], s[10:11], 3
	s_add_u32 s4, s3, s4
	s_addc_u32 s5, s22, s5
	s_load_dwordx2 s[4:5], s[4:5], 0x0
	s_waitcnt lgkmcnt(0)
	v_mov_b64_e32 v[0:1], s[4:5]
	v_fmac_f64_e32 v[2:3], s[6:7], v[0:1]
.LBB274_29:
	s_or_b64 s[8:9], s[8:9], exec
.LBB274_30:
	s_or_b64 exec, exec, s[0:1]
.LBB274_31:
	s_and_saveexec_b64 s[0:1], s[8:9]
	s_cbranch_execz .LBB274_33
; %bb.32:
	s_lshl_b64 s[0:1], s[10:11], 3
	s_add_u32 s0, s3, s0
	s_addc_u32 s1, s22, s1
	v_mov_b32_e32 v0, 0
	global_store_dwordx2 v0, v[2:3], s[0:1]
.LBB274_33:
	s_endpgm
	.section	.rodata,"a",@progbits
	.p2align	6, 0x0
	.amdhsa_kernel _ZL32rocblas_gemvt_warp_reduce_kernelILb0ELi1024EiPKdS1_KPdEviiT3_lPKT2_lT1_lS7_lS8_lS4_lPT4_lS8_li
		.amdhsa_group_segment_fixed_size 512
		.amdhsa_private_segment_fixed_size 0
		.amdhsa_kernarg_size 140
		.amdhsa_user_sgpr_count 2
		.amdhsa_user_sgpr_dispatch_ptr 0
		.amdhsa_user_sgpr_queue_ptr 0
		.amdhsa_user_sgpr_kernarg_segment_ptr 1
		.amdhsa_user_sgpr_dispatch_id 0
		.amdhsa_user_sgpr_kernarg_preload_length 0
		.amdhsa_user_sgpr_kernarg_preload_offset 0
		.amdhsa_user_sgpr_private_segment_size 0
		.amdhsa_uses_dynamic_stack 0
		.amdhsa_enable_private_segment 0
		.amdhsa_system_sgpr_workgroup_id_x 1
		.amdhsa_system_sgpr_workgroup_id_y 0
		.amdhsa_system_sgpr_workgroup_id_z 1
		.amdhsa_system_sgpr_workgroup_info 0
		.amdhsa_system_vgpr_workitem_id 0
		.amdhsa_next_free_vgpr 14
		.amdhsa_next_free_sgpr 26
		.amdhsa_accum_offset 16
		.amdhsa_reserve_vcc 1
		.amdhsa_float_round_mode_32 0
		.amdhsa_float_round_mode_16_64 0
		.amdhsa_float_denorm_mode_32 3
		.amdhsa_float_denorm_mode_16_64 3
		.amdhsa_dx10_clamp 1
		.amdhsa_ieee_mode 1
		.amdhsa_fp16_overflow 0
		.amdhsa_tg_split 0
		.amdhsa_exception_fp_ieee_invalid_op 0
		.amdhsa_exception_fp_denorm_src 0
		.amdhsa_exception_fp_ieee_div_zero 0
		.amdhsa_exception_fp_ieee_overflow 0
		.amdhsa_exception_fp_ieee_underflow 0
		.amdhsa_exception_fp_ieee_inexact 0
		.amdhsa_exception_int_div_zero 0
	.end_amdhsa_kernel
	.section	.text._ZL32rocblas_gemvt_warp_reduce_kernelILb0ELi1024EiPKdS1_KPdEviiT3_lPKT2_lT1_lS7_lS8_lS4_lPT4_lS8_li,"axG",@progbits,_ZL32rocblas_gemvt_warp_reduce_kernelILb0ELi1024EiPKdS1_KPdEviiT3_lPKT2_lT1_lS7_lS8_lS4_lPT4_lS8_li,comdat
.Lfunc_end274:
	.size	_ZL32rocblas_gemvt_warp_reduce_kernelILb0ELi1024EiPKdS1_KPdEviiT3_lPKT2_lT1_lS7_lS8_lS4_lPT4_lS8_li, .Lfunc_end274-_ZL32rocblas_gemvt_warp_reduce_kernelILb0ELi1024EiPKdS1_KPdEviiT3_lPKT2_lT1_lS7_lS8_lS4_lPT4_lS8_li
                                        ; -- End function
	.section	.AMDGPU.csdata,"",@progbits
; Kernel info:
; codeLenInByte = 1484
; NumSgprs: 32
; NumVgprs: 14
; NumAgprs: 0
; TotalNumVgprs: 14
; ScratchSize: 0
; MemoryBound: 0
; FloatMode: 240
; IeeeMode: 1
; LDSByteSize: 512 bytes/workgroup (compile time only)
; SGPRBlocks: 3
; VGPRBlocks: 1
; NumSGPRsForWavesPerEU: 32
; NumVGPRsForWavesPerEU: 14
; AccumOffset: 16
; Occupancy: 8
; WaveLimiterHint : 1
; COMPUTE_PGM_RSRC2:SCRATCH_EN: 0
; COMPUTE_PGM_RSRC2:USER_SGPR: 2
; COMPUTE_PGM_RSRC2:TRAP_HANDLER: 0
; COMPUTE_PGM_RSRC2:TGID_X_EN: 1
; COMPUTE_PGM_RSRC2:TGID_Y_EN: 0
; COMPUTE_PGM_RSRC2:TGID_Z_EN: 1
; COMPUTE_PGM_RSRC2:TIDIG_COMP_CNT: 0
; COMPUTE_PGM_RSRC3_GFX90A:ACCUM_OFFSET: 3
; COMPUTE_PGM_RSRC3_GFX90A:TG_SPLIT: 0
	.section	.text._ZL32rocblas_gemvt_warp_reduce_kernelILb0ELi1024ElPKdS1_KPdEviiT3_lPKT2_lT1_lS7_lS8_lS4_lPT4_lS8_li,"axG",@progbits,_ZL32rocblas_gemvt_warp_reduce_kernelILb0ELi1024ElPKdS1_KPdEviiT3_lPKT2_lT1_lS7_lS8_lS4_lPT4_lS8_li,comdat
	.globl	_ZL32rocblas_gemvt_warp_reduce_kernelILb0ELi1024ElPKdS1_KPdEviiT3_lPKT2_lT1_lS7_lS8_lS4_lPT4_lS8_li ; -- Begin function _ZL32rocblas_gemvt_warp_reduce_kernelILb0ELi1024ElPKdS1_KPdEviiT3_lPKT2_lT1_lS7_lS8_lS4_lPT4_lS8_li
	.p2align	8
	.type	_ZL32rocblas_gemvt_warp_reduce_kernelILb0ELi1024ElPKdS1_KPdEviiT3_lPKT2_lT1_lS7_lS8_lS4_lPT4_lS8_li,@function
_ZL32rocblas_gemvt_warp_reduce_kernelILb0ELi1024ElPKdS1_KPdEviiT3_lPKT2_lT1_lS7_lS8_lS4_lPT4_lS8_li: ; @_ZL32rocblas_gemvt_warp_reduce_kernelILb0ELi1024ElPKdS1_KPdEviiT3_lPKT2_lT1_lS7_lS8_lS4_lPT4_lS8_li
; %bb.0:
	s_load_dwordx8 s[12:19], s[0:1], 0x8
	s_load_dwordx8 s[4:11], s[0:1], 0x58
	s_mov_b32 s28, s3
	s_waitcnt lgkmcnt(0)
	s_mul_i32 s3, s3, s15
	s_mul_hi_u32 s15, s28, s14
	s_add_i32 s15, s15, s3
	s_mul_i32 s14, s28, s14
	s_lshl_b64 s[14:15], s[14:15], 3
	s_add_u32 s12, s12, s14
	s_mul_i32 s3, s28, s7
	s_mul_hi_u32 s7, s28, s6
	s_addc_u32 s13, s13, s15
	s_add_i32 s7, s7, s3
	s_mul_i32 s6, s28, s6
	s_lshl_b64 s[6:7], s[6:7], 3
	s_add_u32 s4, s4, s6
	s_addc_u32 s5, s5, s7
	s_load_dwordx2 s[14:15], s[12:13], 0x0
	s_waitcnt lgkmcnt(0)
	v_cmp_eq_f64_e64 s[30:31], s[14:15], 0
	s_load_dwordx2 s[12:13], s[4:5], 0x0
	s_waitcnt lgkmcnt(0)
	v_cmp_eq_f64_e64 s[4:5], s[12:13], 1.0
	s_and_b64 s[4:5], s[30:31], s[4:5]
	s_and_b64 vcc, exec, s[4:5]
	s_cbranch_vccnz .LBB275_33
; %bb.1:
	s_load_dwordx2 s[24:25], s[0:1], 0x28
	s_load_dwordx2 s[20:21], s[0:1], 0x78
	s_mov_b32 s29, 0
	s_mov_b64 s[22:23], 0
	v_cmp_neq_f64_e64 s[34:35], s[14:15], 0
	s_and_b64 vcc, exec, s[30:31]
	s_mov_b64 s[26:27], 0
	s_cbranch_vccnz .LBB275_3
; %bb.2:
	s_lshl_b64 s[4:5], s[28:29], 3
	s_add_u32 s4, s16, s4
	s_addc_u32 s5, s17, s5
	s_load_dwordx2 s[4:5], s[4:5], 0x0
	s_lshl_b64 s[6:7], s[18:19], 3
	s_waitcnt lgkmcnt(0)
	s_add_u32 s26, s4, s6
	s_addc_u32 s27, s5, s7
.LBB275_3:
	s_load_dwordx4 s[4:7], s[0:1], 0x38
	s_load_dwordx2 s[16:17], s[0:1], 0x48
	s_andn2_b64 vcc, exec, s[34:35]
	s_cbranch_vccnz .LBB275_5
; %bb.4:
	s_lshl_b64 s[18:19], s[28:29], 3
	s_waitcnt lgkmcnt(0)
	s_add_u32 s4, s4, s18
	s_addc_u32 s5, s5, s19
	s_load_dwordx2 s[4:5], s[4:5], 0x0
	s_lshl_b64 s[6:7], s[6:7], 3
	s_waitcnt lgkmcnt(0)
	s_add_u32 s22, s4, s6
	s_addc_u32 s23, s5, s7
.LBB275_5:
	s_waitcnt lgkmcnt(0)
	s_lshl_b64 s[4:5], s[28:29], 3
	s_add_u32 s4, s8, s4
	s_addc_u32 s5, s9, s5
	s_load_dwordx2 s[4:5], s[4:5], 0x0
	s_lshl_b64 s[6:7], s[10:11], 3
	s_waitcnt lgkmcnt(0)
	s_add_u32 s3, s4, s6
	s_addc_u32 s28, s5, s7
	s_andn2_b64 vcc, exec, s[30:31]
	v_cmp_eq_u32_e64 s[4:5], 0, v0
	s_cbranch_vccnz .LBB275_10
; %bb.6:
	s_mov_b64 s[10:11], 0
	s_mov_b64 s[6:7], 0
                                        ; implicit-def: $vgpr2_vgpr3
                                        ; implicit-def: $sgpr8_sgpr9
	s_and_saveexec_b64 s[18:19], s[4:5]
	s_cbranch_execz .LBB275_11
; %bb.7:
	s_ashr_i32 s6, s2, 31
	s_mul_i32 s7, s2, s21
	s_mul_hi_u32 s8, s2, s20
	v_cmp_eq_f64_e64 s[4:5], s[12:13], 0
	s_add_i32 s7, s8, s7
	s_mul_i32 s6, s6, s20
	v_mov_b64_e32 v[2:3], 0
	s_add_i32 s9, s7, s6
	s_mul_i32 s8, s2, s20
	s_and_b64 vcc, exec, s[4:5]
	s_cbranch_vccnz .LBB275_9
; %bb.8:
	s_lshl_b64 s[4:5], s[8:9], 3
	s_add_u32 s4, s3, s4
	s_addc_u32 s5, s28, s5
	s_load_dwordx2 s[4:5], s[4:5], 0x0
	s_waitcnt lgkmcnt(0)
	v_mov_b64_e32 v[2:3], s[4:5]
	v_mul_f64 v[2:3], s[12:13], v[2:3]
.LBB275_9:
	s_mov_b64 s[6:7], exec
	s_or_b64 exec, exec, s[18:19]
	s_and_b64 vcc, exec, s[10:11]
	s_cbranch_vccnz .LBB275_12
	s_branch .LBB275_31
.LBB275_10:
	s_mov_b64 s[6:7], 0
                                        ; implicit-def: $vgpr2_vgpr3
                                        ; implicit-def: $sgpr8_sgpr9
	s_cbranch_execnz .LBB275_12
	s_branch .LBB275_31
.LBB275_11:
	s_or_b64 exec, exec, s[18:19]
	s_and_b64 vcc, exec, s[10:11]
	s_cbranch_vccz .LBB275_31
.LBB275_12:
	s_load_dword s1, s[0:1], 0x0
	s_ashr_i32 s29, s2, 31
	s_mul_i32 s0, s2, s25
	s_mul_hi_u32 s4, s2, s24
	s_add_i32 s0, s4, s0
	s_mul_i32 s4, s29, s24
	s_add_i32 s5, s0, s4
	s_mul_i32 s4, s2, s24
	s_lshl_b64 s[4:5], s[4:5], 3
	s_add_u32 s4, s4, s26
	s_addc_u32 s5, s5, s27
	s_waitcnt lgkmcnt(0)
	s_ashr_i32 s0, s1, 31
	v_cmp_gt_i32_e32 vcc, s1, v0
	s_lshr_b32 s0, s0, 22
	s_add_i32 s0, s1, s0
	v_cndmask_b32_e32 v1, 0, v0, vcc
	v_mov_b32_e32 v3, 0
	v_lshlrev_b32_e32 v2, 3, v1
	s_and_b32 s0, s0, 0xfffffc00
	v_lshl_add_u64 v[4:5], s[4:5], 0, v[2:3]
	v_cmp_gt_i32_e32 vcc, s0, v0
	v_mov_b64_e32 v[2:3], 0
	s_and_saveexec_b64 s[4:5], vcc
	s_cbranch_execz .LBB275_16
; %bb.13:
	v_mad_u64_u32 v[2:3], s[8:9], s16, v0, 0
	v_mov_b32_e32 v6, v3
	v_mad_u64_u32 v[6:7], s[8:9], s17, v0, v[6:7]
	v_mov_b32_e32 v3, v6
	v_lshl_add_u64 v[6:7], v[2:3], 3, s[22:23]
	s_lshl_b64 s[10:11], s[16:17], 13
	s_mov_b64 s[8:9], 0
	v_mov_b64_e32 v[2:3], 0
	s_mov_b64 s[18:19], 0x2000
	v_mov_b64_e32 v[8:9], v[4:5]
	v_mov_b32_e32 v1, v0
.LBB275_14:                             ; =>This Inner Loop Header: Depth=1
	flat_load_dwordx2 v[10:11], v[8:9]
	flat_load_dwordx2 v[12:13], v[6:7]
	v_add_u32_e32 v1, 0x400, v1
	v_cmp_le_i32_e32 vcc, s0, v1
	v_lshl_add_u64 v[8:9], v[8:9], 0, s[18:19]
	v_lshl_add_u64 v[6:7], v[6:7], 0, s[10:11]
	s_or_b64 s[8:9], vcc, s[8:9]
	s_waitcnt vmcnt(0) lgkmcnt(0)
	v_fmac_f64_e32 v[2:3], v[10:11], v[12:13]
	s_andn2_b64 exec, exec, s[8:9]
	s_cbranch_execnz .LBB275_14
; %bb.15:
	s_or_b64 exec, exec, s[8:9]
.LBB275_16:
	s_or_b64 exec, exec, s[4:5]
	v_or_b32_e32 v1, s0, v0
	v_cmp_gt_i32_e32 vcc, s1, v1
	s_and_saveexec_b64 s[4:5], vcc
	s_cbranch_execz .LBB275_18
; %bb.17:
	s_ashr_i32 s1, s0, 31
	v_ashrrev_i32_e32 v6, 31, v1
	v_lshl_add_u64 v[4:5], s[0:1], 3, v[4:5]
	v_mul_lo_u32 v8, v1, s17
	v_mul_lo_u32 v9, v6, s16
	v_mad_u64_u32 v[6:7], s[0:1], v1, s16, 0
	v_add3_u32 v7, v7, v8, v9
	v_lshl_add_u64 v[6:7], v[6:7], 3, s[22:23]
	flat_load_dwordx2 v[4:5], v[4:5]
	s_nop 0
	flat_load_dwordx2 v[6:7], v[6:7]
	s_waitcnt vmcnt(0) lgkmcnt(0)
	v_fmac_f64_e32 v[2:3], v[4:5], v[6:7]
.LBB275_18:
	s_or_b64 exec, exec, s[4:5]
	v_and_b32_e32 v6, 63, v0
	v_cmp_gt_u32_e32 vcc, 64, v0
	v_lshlrev_b32_e32 v1, 3, v6
	s_and_saveexec_b64 s[0:1], vcc
	s_cbranch_execz .LBB275_20
; %bb.19:
	v_mov_b32_e32 v4, 0
	v_mov_b32_e32 v5, v4
	ds_write_b64 v1, v[4:5]
.LBB275_20:
	s_or_b64 exec, exec, s[0:1]
	v_mbcnt_lo_u32_b32 v4, -1, 0
	v_mbcnt_hi_u32_b32 v10, -1, v4
	v_and_b32_e32 v11, 63, v10
	v_cmp_gt_u32_e64 s[0:1], 32, v11
	s_waitcnt lgkmcnt(0)
	s_barrier
	v_cndmask_b32_e64 v4, 0, 1, s[0:1]
	v_lshlrev_b32_e32 v4, 5, v4
	v_add_lshl_u32 v5, v4, v10, 2
	ds_bpermute_b32 v4, v5, v2
	ds_bpermute_b32 v5, v5, v3
	v_cmp_gt_u32_e64 s[0:1], 48, v11
	s_waitcnt lgkmcnt(0)
	v_add_f64 v[2:3], v[2:3], v[4:5]
	v_cndmask_b32_e64 v7, 0, 1, s[0:1]
	v_lshlrev_b32_e32 v4, 4, v7
	v_add_lshl_u32 v5, v4, v10, 2
	ds_bpermute_b32 v4, v5, v2
	ds_bpermute_b32 v5, v5, v3
	v_cmp_gt_u32_e64 s[0:1], 56, v11
	s_waitcnt lgkmcnt(0)
	v_add_f64 v[2:3], v[2:3], v[4:5]
	;; [unrolled: 8-line block ×4, first 2 shown]
	v_cndmask_b32_e64 v4, 0, 1, s[0:1]
	v_lshlrev_b32_e32 v4, 1, v4
	v_add_lshl_u32 v9, v4, v10, 2
	ds_bpermute_b32 v4, v9, v2
	ds_bpermute_b32 v5, v9, v3
	v_cmp_ne_u32_e64 s[0:1], 63, v11
	s_waitcnt lgkmcnt(0)
	v_add_f64 v[2:3], v[2:3], v[4:5]
	v_addc_co_u32_e64 v4, s[0:1], 0, v10, s[0:1]
	v_lshlrev_b32_e32 v10, 2, v4
	ds_bpermute_b32 v4, v10, v2
	ds_bpermute_b32 v5, v10, v3
	v_cmp_eq_u32_e64 s[0:1], 0, v6
	s_and_saveexec_b64 s[4:5], s[0:1]
	s_cbranch_execz .LBB275_22
; %bb.21:
	v_lshrrev_b32_e32 v6, 3, v0
	v_and_b32_e32 v6, 0x78, v6
	s_waitcnt lgkmcnt(0)
	v_add_f64 v[2:3], v[2:3], v[4:5]
	ds_write_b64 v6, v[2:3]
.LBB275_22:
	s_or_b64 exec, exec, s[4:5]
	v_cmp_gt_u32_e64 s[0:1], 16, v0
	s_waitcnt lgkmcnt(0)
	v_mov_b64_e32 v[4:5], 0
	s_barrier
	s_and_saveexec_b64 s[4:5], s[0:1]
	s_cbranch_execz .LBB275_24
; %bb.23:
	ds_read_b64 v[4:5], v1
	s_or_b64 exec, exec, s[4:5]
	s_and_saveexec_b64 s[0:1], vcc
	s_cbranch_execz .LBB275_26
	s_branch .LBB275_25
.LBB275_24:
	s_or_b64 exec, exec, s[4:5]
	s_and_saveexec_b64 s[0:1], vcc
	s_cbranch_execz .LBB275_26
.LBB275_25:
	s_waitcnt lgkmcnt(0)
	ds_bpermute_b32 v2, v7, v4
	ds_bpermute_b32 v3, v7, v5
	s_waitcnt lgkmcnt(0)
	v_add_f64 v[2:3], v[4:5], v[2:3]
	ds_bpermute_b32 v4, v8, v2
	ds_bpermute_b32 v5, v8, v3
	s_waitcnt lgkmcnt(0)
	v_add_f64 v[2:3], v[2:3], v[4:5]
	;; [unrolled: 4-line block ×4, first 2 shown]
.LBB275_26:
	s_or_b64 exec, exec, s[0:1]
	v_cmp_eq_u32_e32 vcc, 0, v0
                                        ; implicit-def: $vgpr2_vgpr3
                                        ; implicit-def: $sgpr8_sgpr9
	s_and_saveexec_b64 s[0:1], vcc
	s_cbranch_execz .LBB275_30
; %bb.27:
	s_mul_i32 s8, s2, s21
	s_mul_hi_u32 s9, s2, s20
	v_cmp_eq_f64_e64 s[4:5], s[12:13], 0
	s_add_i32 s8, s9, s8
	s_mul_i32 s9, s29, s20
	s_waitcnt lgkmcnt(0)
	v_mul_f64 v[2:3], s[14:15], v[4:5]
	s_add_i32 s9, s8, s9
	s_mul_i32 s8, s2, s20
	s_and_b64 vcc, exec, s[4:5]
	s_cbranch_vccnz .LBB275_29
; %bb.28:
	s_lshl_b64 s[4:5], s[8:9], 3
	s_add_u32 s4, s3, s4
	s_addc_u32 s5, s28, s5
	s_load_dwordx2 s[4:5], s[4:5], 0x0
	s_waitcnt lgkmcnt(0)
	v_mov_b64_e32 v[0:1], s[4:5]
	v_fmac_f64_e32 v[2:3], s[12:13], v[0:1]
.LBB275_29:
	s_or_b64 s[6:7], s[6:7], exec
.LBB275_30:
	s_or_b64 exec, exec, s[0:1]
.LBB275_31:
	s_and_saveexec_b64 s[0:1], s[6:7]
	s_cbranch_execz .LBB275_33
; %bb.32:
	s_lshl_b64 s[0:1], s[8:9], 3
	s_add_u32 s0, s3, s0
	s_addc_u32 s1, s28, s1
	v_mov_b32_e32 v0, 0
	global_store_dwordx2 v0, v[2:3], s[0:1]
.LBB275_33:
	s_endpgm
	.section	.rodata,"a",@progbits
	.p2align	6, 0x0
	.amdhsa_kernel _ZL32rocblas_gemvt_warp_reduce_kernelILb0ELi1024ElPKdS1_KPdEviiT3_lPKT2_lT1_lS7_lS8_lS4_lPT4_lS8_li
		.amdhsa_group_segment_fixed_size 512
		.amdhsa_private_segment_fixed_size 0
		.amdhsa_kernarg_size 140
		.amdhsa_user_sgpr_count 2
		.amdhsa_user_sgpr_dispatch_ptr 0
		.amdhsa_user_sgpr_queue_ptr 0
		.amdhsa_user_sgpr_kernarg_segment_ptr 1
		.amdhsa_user_sgpr_dispatch_id 0
		.amdhsa_user_sgpr_kernarg_preload_length 0
		.amdhsa_user_sgpr_kernarg_preload_offset 0
		.amdhsa_user_sgpr_private_segment_size 0
		.amdhsa_uses_dynamic_stack 0
		.amdhsa_enable_private_segment 0
		.amdhsa_system_sgpr_workgroup_id_x 1
		.amdhsa_system_sgpr_workgroup_id_y 0
		.amdhsa_system_sgpr_workgroup_id_z 1
		.amdhsa_system_sgpr_workgroup_info 0
		.amdhsa_system_vgpr_workitem_id 0
		.amdhsa_next_free_vgpr 14
		.amdhsa_next_free_sgpr 36
		.amdhsa_accum_offset 16
		.amdhsa_reserve_vcc 1
		.amdhsa_float_round_mode_32 0
		.amdhsa_float_round_mode_16_64 0
		.amdhsa_float_denorm_mode_32 3
		.amdhsa_float_denorm_mode_16_64 3
		.amdhsa_dx10_clamp 1
		.amdhsa_ieee_mode 1
		.amdhsa_fp16_overflow 0
		.amdhsa_tg_split 0
		.amdhsa_exception_fp_ieee_invalid_op 0
		.amdhsa_exception_fp_denorm_src 0
		.amdhsa_exception_fp_ieee_div_zero 0
		.amdhsa_exception_fp_ieee_overflow 0
		.amdhsa_exception_fp_ieee_underflow 0
		.amdhsa_exception_fp_ieee_inexact 0
		.amdhsa_exception_int_div_zero 0
	.end_amdhsa_kernel
	.section	.text._ZL32rocblas_gemvt_warp_reduce_kernelILb0ELi1024ElPKdS1_KPdEviiT3_lPKT2_lT1_lS7_lS8_lS4_lPT4_lS8_li,"axG",@progbits,_ZL32rocblas_gemvt_warp_reduce_kernelILb0ELi1024ElPKdS1_KPdEviiT3_lPKT2_lT1_lS7_lS8_lS4_lPT4_lS8_li,comdat
.Lfunc_end275:
	.size	_ZL32rocblas_gemvt_warp_reduce_kernelILb0ELi1024ElPKdS1_KPdEviiT3_lPKT2_lT1_lS7_lS8_lS4_lPT4_lS8_li, .Lfunc_end275-_ZL32rocblas_gemvt_warp_reduce_kernelILb0ELi1024ElPKdS1_KPdEviiT3_lPKT2_lT1_lS7_lS8_lS4_lPT4_lS8_li
                                        ; -- End function
	.section	.AMDGPU.csdata,"",@progbits
; Kernel info:
; codeLenInByte = 1584
; NumSgprs: 42
; NumVgprs: 14
; NumAgprs: 0
; TotalNumVgprs: 14
; ScratchSize: 0
; MemoryBound: 0
; FloatMode: 240
; IeeeMode: 1
; LDSByteSize: 512 bytes/workgroup (compile time only)
; SGPRBlocks: 5
; VGPRBlocks: 1
; NumSGPRsForWavesPerEU: 42
; NumVGPRsForWavesPerEU: 14
; AccumOffset: 16
; Occupancy: 8
; WaveLimiterHint : 1
; COMPUTE_PGM_RSRC2:SCRATCH_EN: 0
; COMPUTE_PGM_RSRC2:USER_SGPR: 2
; COMPUTE_PGM_RSRC2:TRAP_HANDLER: 0
; COMPUTE_PGM_RSRC2:TGID_X_EN: 1
; COMPUTE_PGM_RSRC2:TGID_Y_EN: 0
; COMPUTE_PGM_RSRC2:TGID_Z_EN: 1
; COMPUTE_PGM_RSRC2:TIDIG_COMP_CNT: 0
; COMPUTE_PGM_RSRC3_GFX90A:ACCUM_OFFSET: 3
; COMPUTE_PGM_RSRC3_GFX90A:TG_SPLIT: 0
	.section	.text._ZL32rocblas_gemvt_warp_reduce_kernelILb0ELi1024EiPKddKPdEviiT3_lPKT2_lT1_lS7_lS8_lS4_lPT4_lS8_li,"axG",@progbits,_ZL32rocblas_gemvt_warp_reduce_kernelILb0ELi1024EiPKddKPdEviiT3_lPKT2_lT1_lS7_lS8_lS4_lPT4_lS8_li,comdat
	.globl	_ZL32rocblas_gemvt_warp_reduce_kernelILb0ELi1024EiPKddKPdEviiT3_lPKT2_lT1_lS7_lS8_lS4_lPT4_lS8_li ; -- Begin function _ZL32rocblas_gemvt_warp_reduce_kernelILb0ELi1024EiPKddKPdEviiT3_lPKT2_lT1_lS7_lS8_lS4_lPT4_lS8_li
	.p2align	8
	.type	_ZL32rocblas_gemvt_warp_reduce_kernelILb0ELi1024EiPKddKPdEviiT3_lPKT2_lT1_lS7_lS8_lS4_lPT4_lS8_li,@function
_ZL32rocblas_gemvt_warp_reduce_kernelILb0ELi1024EiPKddKPdEviiT3_lPKT2_lT1_lS7_lS8_lS4_lPT4_lS8_li: ; @_ZL32rocblas_gemvt_warp_reduce_kernelILb0ELi1024EiPKddKPdEviiT3_lPKT2_lT1_lS7_lS8_lS4_lPT4_lS8_li
; %bb.0:
	s_load_dwordx2 s[8:9], s[0:1], 0x8
	s_load_dwordx2 s[6:7], s[0:1], 0x58
	s_waitcnt lgkmcnt(0)
	v_cmp_eq_f64_e64 s[4:5], s[8:9], 0
	v_cmp_eq_f64_e64 s[10:11], s[6:7], 1.0
	s_and_b64 s[10:11], s[4:5], s[10:11]
	s_and_b64 vcc, exec, s[10:11]
	s_cbranch_vccnz .LBB276_35
; %bb.1:
	v_cmp_neq_f64_e64 s[12:13], s[8:9], 0
	s_mov_b32 s16, s3
	s_mov_b64 s[10:11], 0
	s_and_b64 vcc, exec, s[12:13]
	s_cbranch_vccnz .LBB276_3
; %bb.2:
	s_mov_b32 s17, 0
	s_mov_b64 s[14:15], 0
	s_andn2_b64 vcc, exec, s[10:11]
	s_cbranch_vccz .LBB276_4
	s_branch .LBB276_5
.LBB276_3:
                                        ; implicit-def: $sgpr14_sgpr15
.LBB276_4:
	s_load_dwordx4 s[20:23], s[0:1], 0x18
	s_mov_b32 s17, 0
	s_lshl_b64 s[10:11], s[16:17], 3
	s_waitcnt lgkmcnt(0)
	s_add_u32 s10, s20, s10
	s_addc_u32 s11, s21, s11
	s_load_dwordx2 s[10:11], s[10:11], 0x0
	s_lshl_b64 s[14:15], s[22:23], 3
	s_waitcnt lgkmcnt(0)
	s_add_u32 s14, s10, s14
	s_addc_u32 s15, s11, s15
.LBB276_5:
	s_mov_b64 s[10:11], 0
	s_andn2_b64 vcc, exec, s[12:13]
	s_mov_b64 s[12:13], 0
	s_cbranch_vccnz .LBB276_7
; %bb.6:
	s_load_dwordx4 s[20:23], s[0:1], 0x38
	s_lshl_b64 s[12:13], s[16:17], 3
	s_waitcnt lgkmcnt(0)
	s_add_u32 s12, s20, s12
	s_addc_u32 s13, s21, s13
	s_load_dwordx2 s[12:13], s[12:13], 0x0
	s_lshl_b64 s[18:19], s[22:23], 3
	s_waitcnt lgkmcnt(0)
	s_add_u32 s12, s12, s18
	s_addc_u32 s13, s13, s19
.LBB276_7:
	s_load_dwordx4 s[24:27], s[0:1], 0x68
	s_load_dword s23, s[0:1], 0x78
	s_lshl_b64 s[16:17], s[16:17], 3
	s_waitcnt lgkmcnt(0)
	s_add_u32 s16, s24, s16
	s_addc_u32 s17, s25, s17
	s_load_dwordx2 s[16:17], s[16:17], 0x0
	s_lshl_b64 s[18:19], s[26:27], 3
	s_waitcnt lgkmcnt(0)
	s_add_u32 s3, s16, s18
	s_addc_u32 s22, s17, s19
	s_andn2_b64 vcc, exec, s[4:5]
	v_cmp_eq_u32_e64 s[4:5], 0, v0
	s_cbranch_vccnz .LBB276_12
; %bb.8:
	s_mov_b64 s[18:19], 0
                                        ; implicit-def: $vgpr2_vgpr3
                                        ; implicit-def: $sgpr16_sgpr17
	s_and_saveexec_b64 s[20:21], s[4:5]
	s_cbranch_execz .LBB276_13
; %bb.9:
	v_cmp_eq_f64_e64 s[4:5], s[6:7], 0
	s_mul_i32 s16, s2, s23
	v_mov_b64_e32 v[2:3], 0
	s_ashr_i32 s17, s16, 31
	s_and_b64 vcc, exec, s[4:5]
	s_cbranch_vccnz .LBB276_11
; %bb.10:
	s_lshl_b64 s[4:5], s[16:17], 3
	s_add_u32 s4, s3, s4
	s_addc_u32 s5, s22, s5
	s_load_dwordx2 s[4:5], s[4:5], 0x0
	v_mov_b64_e32 v[2:3], s[6:7]
	s_waitcnt lgkmcnt(0)
	v_mul_f64 v[2:3], s[4:5], v[2:3]
.LBB276_11:
	s_mov_b64 s[10:11], exec
	s_or_b64 exec, exec, s[20:21]
	s_and_b64 vcc, exec, s[18:19]
	s_cbranch_vccnz .LBB276_14
	s_branch .LBB276_33
.LBB276_12:
                                        ; implicit-def: $vgpr2_vgpr3
                                        ; implicit-def: $sgpr16_sgpr17
	s_cbranch_execnz .LBB276_14
	s_branch .LBB276_33
.LBB276_13:
	s_or_b64 exec, exec, s[20:21]
	s_and_b64 vcc, exec, s[18:19]
	s_cbranch_vccz .LBB276_33
.LBB276_14:
	s_load_dword s19, s[0:1], 0x0
	s_load_dword s4, s[0:1], 0x28
	;; [unrolled: 1-line block ×3, first 2 shown]
	v_mov_b32_e32 v3, 0
	s_waitcnt lgkmcnt(0)
	v_cmp_gt_i32_e32 vcc, s19, v0
	s_mul_i32 s0, s2, s4
	s_ashr_i32 s1, s0, 31
	s_lshl_b64 s[0:1], s[0:1], 3
	v_cndmask_b32_e32 v1, 0, v0, vcc
	s_add_u32 s0, s0, s14
	v_lshlrev_b32_e32 v2, 3, v1
	s_addc_u32 s1, s1, s15
	v_lshl_add_u64 v[4:5], s[0:1], 0, v[2:3]
	s_ashr_i32 s0, s19, 31
	s_lshr_b32 s0, s0, 22
	s_add_i32 s0, s19, s0
	s_and_b32 s0, s0, 0xfffffc00
	v_cmp_gt_i32_e32 vcc, s0, v0
	v_mov_b64_e32 v[2:3], 0
	s_and_saveexec_b64 s[4:5], vcc
	s_cbranch_execz .LBB276_18
; %bb.15:
	v_mul_lo_u32 v6, v0, s18
	s_lshl_b32 s1, s18, 10
	s_mov_b64 s[14:15], 0
	v_mov_b64_e32 v[2:3], 0
	s_mov_b64 s[16:17], 0x2000
	v_mov_b64_e32 v[8:9], v[4:5]
	v_mov_b32_e32 v1, v0
.LBB276_16:                             ; =>This Inner Loop Header: Depth=1
	v_ashrrev_i32_e32 v7, 31, v6
	v_lshl_add_u64 v[12:13], v[6:7], 3, s[12:13]
	flat_load_dwordx2 v[10:11], v[8:9]
	v_add_u32_e32 v1, 0x400, v1
	flat_load_dwordx2 v[12:13], v[12:13]
	v_cmp_le_i32_e32 vcc, s0, v1
	v_lshl_add_u64 v[8:9], v[8:9], 0, s[16:17]
	v_add_u32_e32 v6, s1, v6
	s_or_b64 s[14:15], vcc, s[14:15]
	s_waitcnt vmcnt(0) lgkmcnt(0)
	v_fmac_f64_e32 v[2:3], v[10:11], v[12:13]
	s_andn2_b64 exec, exec, s[14:15]
	s_cbranch_execnz .LBB276_16
; %bb.17:
	s_or_b64 exec, exec, s[14:15]
.LBB276_18:
	s_or_b64 exec, exec, s[4:5]
	v_or_b32_e32 v1, s0, v0
	v_cmp_gt_i32_e32 vcc, s19, v1
	s_and_saveexec_b64 s[4:5], vcc
	s_cbranch_execz .LBB276_20
; %bb.19:
	v_mul_lo_u32 v6, v1, s18
	s_ashr_i32 s1, s0, 31
	v_ashrrev_i32_e32 v7, 31, v6
	v_lshl_add_u64 v[4:5], s[0:1], 3, v[4:5]
	v_lshl_add_u64 v[6:7], v[6:7], 3, s[12:13]
	flat_load_dwordx2 v[4:5], v[4:5]
	s_nop 0
	flat_load_dwordx2 v[6:7], v[6:7]
	s_waitcnt vmcnt(0) lgkmcnt(0)
	v_fmac_f64_e32 v[2:3], v[4:5], v[6:7]
.LBB276_20:
	s_or_b64 exec, exec, s[4:5]
	v_and_b32_e32 v6, 63, v0
	v_cmp_gt_u32_e32 vcc, 64, v0
	v_lshlrev_b32_e32 v1, 3, v6
	s_and_saveexec_b64 s[0:1], vcc
	s_cbranch_execz .LBB276_22
; %bb.21:
	v_mov_b32_e32 v4, 0
	v_mov_b32_e32 v5, v4
	ds_write_b64 v1, v[4:5]
.LBB276_22:
	s_or_b64 exec, exec, s[0:1]
	v_mbcnt_lo_u32_b32 v4, -1, 0
	v_mbcnt_hi_u32_b32 v10, -1, v4
	v_and_b32_e32 v11, 63, v10
	v_cmp_gt_u32_e64 s[0:1], 32, v11
	s_waitcnt lgkmcnt(0)
	s_barrier
	v_cndmask_b32_e64 v4, 0, 1, s[0:1]
	v_lshlrev_b32_e32 v4, 5, v4
	v_add_lshl_u32 v5, v4, v10, 2
	ds_bpermute_b32 v4, v5, v2
	ds_bpermute_b32 v5, v5, v3
	v_cmp_gt_u32_e64 s[0:1], 48, v11
	s_waitcnt lgkmcnt(0)
	v_add_f64 v[2:3], v[2:3], v[4:5]
	v_cndmask_b32_e64 v7, 0, 1, s[0:1]
	v_lshlrev_b32_e32 v4, 4, v7
	v_add_lshl_u32 v5, v4, v10, 2
	ds_bpermute_b32 v4, v5, v2
	ds_bpermute_b32 v5, v5, v3
	v_cmp_gt_u32_e64 s[0:1], 56, v11
	s_waitcnt lgkmcnt(0)
	v_add_f64 v[2:3], v[2:3], v[4:5]
	;; [unrolled: 8-line block ×4, first 2 shown]
	v_cndmask_b32_e64 v4, 0, 1, s[0:1]
	v_lshlrev_b32_e32 v4, 1, v4
	v_add_lshl_u32 v9, v4, v10, 2
	ds_bpermute_b32 v4, v9, v2
	ds_bpermute_b32 v5, v9, v3
	v_cmp_ne_u32_e64 s[0:1], 63, v11
	s_waitcnt lgkmcnt(0)
	v_add_f64 v[2:3], v[2:3], v[4:5]
	v_addc_co_u32_e64 v4, s[0:1], 0, v10, s[0:1]
	v_lshlrev_b32_e32 v10, 2, v4
	ds_bpermute_b32 v4, v10, v2
	ds_bpermute_b32 v5, v10, v3
	v_cmp_eq_u32_e64 s[0:1], 0, v6
	s_and_saveexec_b64 s[4:5], s[0:1]
	s_cbranch_execz .LBB276_24
; %bb.23:
	v_lshrrev_b32_e32 v6, 3, v0
	v_and_b32_e32 v6, 0x78, v6
	s_waitcnt lgkmcnt(0)
	v_add_f64 v[2:3], v[2:3], v[4:5]
	ds_write_b64 v6, v[2:3]
.LBB276_24:
	s_or_b64 exec, exec, s[4:5]
	v_cmp_gt_u32_e64 s[0:1], 16, v0
	s_waitcnt lgkmcnt(0)
	v_mov_b64_e32 v[4:5], 0
	s_barrier
	s_and_saveexec_b64 s[4:5], s[0:1]
	s_cbranch_execz .LBB276_26
; %bb.25:
	ds_read_b64 v[4:5], v1
	s_or_b64 exec, exec, s[4:5]
	s_and_saveexec_b64 s[0:1], vcc
	s_cbranch_execz .LBB276_28
	s_branch .LBB276_27
.LBB276_26:
	s_or_b64 exec, exec, s[4:5]
	s_and_saveexec_b64 s[0:1], vcc
	s_cbranch_execz .LBB276_28
.LBB276_27:
	s_waitcnt lgkmcnt(0)
	ds_bpermute_b32 v2, v7, v4
	ds_bpermute_b32 v3, v7, v5
	s_waitcnt lgkmcnt(0)
	v_add_f64 v[2:3], v[4:5], v[2:3]
	ds_bpermute_b32 v4, v8, v2
	ds_bpermute_b32 v5, v8, v3
	s_waitcnt lgkmcnt(0)
	v_add_f64 v[2:3], v[2:3], v[4:5]
	;; [unrolled: 4-line block ×4, first 2 shown]
.LBB276_28:
	s_or_b64 exec, exec, s[0:1]
	v_cmp_eq_u32_e32 vcc, 0, v0
                                        ; implicit-def: $vgpr2_vgpr3
                                        ; implicit-def: $sgpr16_sgpr17
	s_and_saveexec_b64 s[0:1], vcc
	s_cbranch_execz .LBB276_32
; %bb.29:
	v_cmp_eq_f64_e64 s[4:5], s[6:7], 0
	s_mul_i32 s16, s2, s23
	s_waitcnt lgkmcnt(0)
	v_mul_f64 v[2:3], v[4:5], s[8:9]
	s_ashr_i32 s17, s16, 31
	s_and_b64 vcc, exec, s[4:5]
	s_cbranch_vccnz .LBB276_31
; %bb.30:
	s_lshl_b64 s[4:5], s[16:17], 3
	s_add_u32 s4, s3, s4
	s_addc_u32 s5, s22, s5
	s_load_dwordx2 s[4:5], s[4:5], 0x0
	v_mov_b64_e32 v[0:1], s[6:7]
	s_waitcnt lgkmcnt(0)
	v_fmac_f64_e32 v[2:3], s[4:5], v[0:1]
.LBB276_31:
	s_or_b64 s[10:11], s[10:11], exec
.LBB276_32:
	s_or_b64 exec, exec, s[0:1]
.LBB276_33:
	s_and_saveexec_b64 s[0:1], s[10:11]
	s_cbranch_execz .LBB276_35
; %bb.34:
	s_lshl_b64 s[0:1], s[16:17], 3
	s_add_u32 s0, s3, s0
	s_addc_u32 s1, s22, s1
	v_mov_b32_e32 v0, 0
	global_store_dwordx2 v0, v[2:3], s[0:1]
.LBB276_35:
	s_endpgm
	.section	.rodata,"a",@progbits
	.p2align	6, 0x0
	.amdhsa_kernel _ZL32rocblas_gemvt_warp_reduce_kernelILb0ELi1024EiPKddKPdEviiT3_lPKT2_lT1_lS7_lS8_lS4_lPT4_lS8_li
		.amdhsa_group_segment_fixed_size 512
		.amdhsa_private_segment_fixed_size 0
		.amdhsa_kernarg_size 140
		.amdhsa_user_sgpr_count 2
		.amdhsa_user_sgpr_dispatch_ptr 0
		.amdhsa_user_sgpr_queue_ptr 0
		.amdhsa_user_sgpr_kernarg_segment_ptr 1
		.amdhsa_user_sgpr_dispatch_id 0
		.amdhsa_user_sgpr_kernarg_preload_length 0
		.amdhsa_user_sgpr_kernarg_preload_offset 0
		.amdhsa_user_sgpr_private_segment_size 0
		.amdhsa_uses_dynamic_stack 0
		.amdhsa_enable_private_segment 0
		.amdhsa_system_sgpr_workgroup_id_x 1
		.amdhsa_system_sgpr_workgroup_id_y 0
		.amdhsa_system_sgpr_workgroup_id_z 1
		.amdhsa_system_sgpr_workgroup_info 0
		.amdhsa_system_vgpr_workitem_id 0
		.amdhsa_next_free_vgpr 14
		.amdhsa_next_free_sgpr 28
		.amdhsa_accum_offset 16
		.amdhsa_reserve_vcc 1
		.amdhsa_float_round_mode_32 0
		.amdhsa_float_round_mode_16_64 0
		.amdhsa_float_denorm_mode_32 3
		.amdhsa_float_denorm_mode_16_64 3
		.amdhsa_dx10_clamp 1
		.amdhsa_ieee_mode 1
		.amdhsa_fp16_overflow 0
		.amdhsa_tg_split 0
		.amdhsa_exception_fp_ieee_invalid_op 0
		.amdhsa_exception_fp_denorm_src 0
		.amdhsa_exception_fp_ieee_div_zero 0
		.amdhsa_exception_fp_ieee_overflow 0
		.amdhsa_exception_fp_ieee_underflow 0
		.amdhsa_exception_fp_ieee_inexact 0
		.amdhsa_exception_int_div_zero 0
	.end_amdhsa_kernel
	.section	.text._ZL32rocblas_gemvt_warp_reduce_kernelILb0ELi1024EiPKddKPdEviiT3_lPKT2_lT1_lS7_lS8_lS4_lPT4_lS8_li,"axG",@progbits,_ZL32rocblas_gemvt_warp_reduce_kernelILb0ELi1024EiPKddKPdEviiT3_lPKT2_lT1_lS7_lS8_lS4_lPT4_lS8_li,comdat
.Lfunc_end276:
	.size	_ZL32rocblas_gemvt_warp_reduce_kernelILb0ELi1024EiPKddKPdEviiT3_lPKT2_lT1_lS7_lS8_lS4_lPT4_lS8_li, .Lfunc_end276-_ZL32rocblas_gemvt_warp_reduce_kernelILb0ELi1024EiPKddKPdEviiT3_lPKT2_lT1_lS7_lS8_lS4_lPT4_lS8_li
                                        ; -- End function
	.section	.AMDGPU.csdata,"",@progbits
; Kernel info:
; codeLenInByte = 1444
; NumSgprs: 34
; NumVgprs: 14
; NumAgprs: 0
; TotalNumVgprs: 14
; ScratchSize: 0
; MemoryBound: 0
; FloatMode: 240
; IeeeMode: 1
; LDSByteSize: 512 bytes/workgroup (compile time only)
; SGPRBlocks: 4
; VGPRBlocks: 1
; NumSGPRsForWavesPerEU: 34
; NumVGPRsForWavesPerEU: 14
; AccumOffset: 16
; Occupancy: 8
; WaveLimiterHint : 1
; COMPUTE_PGM_RSRC2:SCRATCH_EN: 0
; COMPUTE_PGM_RSRC2:USER_SGPR: 2
; COMPUTE_PGM_RSRC2:TRAP_HANDLER: 0
; COMPUTE_PGM_RSRC2:TGID_X_EN: 1
; COMPUTE_PGM_RSRC2:TGID_Y_EN: 0
; COMPUTE_PGM_RSRC2:TGID_Z_EN: 1
; COMPUTE_PGM_RSRC2:TIDIG_COMP_CNT: 0
; COMPUTE_PGM_RSRC3_GFX90A:ACCUM_OFFSET: 3
; COMPUTE_PGM_RSRC3_GFX90A:TG_SPLIT: 0
	.section	.text._ZL32rocblas_gemvt_warp_reduce_kernelILb0ELi1024ElPKddKPdEviiT3_lPKT2_lT1_lS7_lS8_lS4_lPT4_lS8_li,"axG",@progbits,_ZL32rocblas_gemvt_warp_reduce_kernelILb0ELi1024ElPKddKPdEviiT3_lPKT2_lT1_lS7_lS8_lS4_lPT4_lS8_li,comdat
	.globl	_ZL32rocblas_gemvt_warp_reduce_kernelILb0ELi1024ElPKddKPdEviiT3_lPKT2_lT1_lS7_lS8_lS4_lPT4_lS8_li ; -- Begin function _ZL32rocblas_gemvt_warp_reduce_kernelILb0ELi1024ElPKddKPdEviiT3_lPKT2_lT1_lS7_lS8_lS4_lPT4_lS8_li
	.p2align	8
	.type	_ZL32rocblas_gemvt_warp_reduce_kernelILb0ELi1024ElPKddKPdEviiT3_lPKT2_lT1_lS7_lS8_lS4_lPT4_lS8_li,@function
_ZL32rocblas_gemvt_warp_reduce_kernelILb0ELi1024ElPKddKPdEviiT3_lPKT2_lT1_lS7_lS8_lS4_lPT4_lS8_li: ; @_ZL32rocblas_gemvt_warp_reduce_kernelILb0ELi1024ElPKddKPdEviiT3_lPKT2_lT1_lS7_lS8_lS4_lPT4_lS8_li
; %bb.0:
	s_load_dwordx2 s[10:11], s[0:1], 0x8
	s_load_dwordx2 s[8:9], s[0:1], 0x58
	s_waitcnt lgkmcnt(0)
	v_cmp_eq_f64_e64 s[22:23], s[10:11], 0
	v_cmp_eq_f64_e64 s[4:5], s[8:9], 1.0
	s_and_b64 s[4:5], s[22:23], s[4:5]
	s_and_b64 vcc, exec, s[4:5]
	s_cbranch_vccnz .LBB277_35
; %bb.1:
	s_load_dwordx4 s[4:7], s[0:1], 0x18
	s_load_dwordx2 s[18:19], s[0:1], 0x28
	v_cmp_neq_f64_e64 s[16:17], s[10:11], 0
	s_mov_b32 s24, s3
	s_mov_b64 s[12:13], 0
	s_and_b64 vcc, exec, s[16:17]
	s_cbranch_vccnz .LBB277_3
; %bb.2:
	s_mov_b32 s25, 0
	s_mov_b64 s[20:21], 0
	s_andn2_b64 vcc, exec, s[12:13]
	s_cbranch_vccz .LBB277_4
	s_branch .LBB277_5
.LBB277_3:
                                        ; implicit-def: $sgpr20_sgpr21
.LBB277_4:
	s_mov_b32 s25, 0
	s_lshl_b64 s[12:13], s[24:25], 3
	s_waitcnt lgkmcnt(0)
	s_add_u32 s4, s4, s12
	s_addc_u32 s5, s5, s13
	s_load_dwordx2 s[4:5], s[4:5], 0x0
	s_lshl_b64 s[6:7], s[6:7], 3
	s_waitcnt lgkmcnt(0)
	s_add_u32 s20, s4, s6
	s_addc_u32 s21, s5, s7
.LBB277_5:
	s_waitcnt lgkmcnt(0)
	s_load_dwordx4 s[4:7], s[0:1], 0x38
	s_load_dwordx2 s[14:15], s[0:1], 0x48
	s_mov_b64 s[12:13], 0
	s_andn2_b64 vcc, exec, s[16:17]
	s_mov_b64 s[16:17], 0
	s_cbranch_vccnz .LBB277_7
; %bb.6:
	s_lshl_b64 s[16:17], s[24:25], 3
	s_waitcnt lgkmcnt(0)
	s_add_u32 s4, s4, s16
	s_addc_u32 s5, s5, s17
	s_load_dwordx2 s[4:5], s[4:5], 0x0
	s_lshl_b64 s[6:7], s[6:7], 3
	s_waitcnt lgkmcnt(0)
	s_add_u32 s16, s4, s6
	s_addc_u32 s17, s5, s7
.LBB277_7:
	s_load_dwordx4 s[28:31], s[0:1], 0x68
	s_waitcnt lgkmcnt(0)
	s_load_dwordx2 s[6:7], s[0:1], 0x78
	s_lshl_b64 s[4:5], s[24:25], 3
	s_add_u32 s4, s28, s4
	s_addc_u32 s5, s29, s5
	s_load_dwordx2 s[4:5], s[4:5], 0x0
	s_lshl_b64 s[24:25], s[30:31], 3
	s_waitcnt lgkmcnt(0)
	s_add_u32 s3, s4, s24
	s_addc_u32 s28, s5, s25
	s_andn2_b64 vcc, exec, s[22:23]
	v_cmp_eq_u32_e64 s[4:5], 0, v0
	s_cbranch_vccnz .LBB277_12
; %bb.8:
	s_mov_b64 s[24:25], 0
                                        ; implicit-def: $vgpr2_vgpr3
                                        ; implicit-def: $sgpr22_sgpr23
	s_and_saveexec_b64 s[26:27], s[4:5]
	s_cbranch_execz .LBB277_13
; %bb.9:
	s_ashr_i32 s12, s2, 31
	s_mul_i32 s13, s2, s7
	s_mul_hi_u32 s22, s2, s6
	v_cmp_eq_f64_e64 s[4:5], s[8:9], 0
	s_add_i32 s13, s22, s13
	s_mul_i32 s12, s12, s6
	v_mov_b64_e32 v[2:3], 0
	s_add_i32 s23, s13, s12
	s_mul_i32 s22, s2, s6
	s_and_b64 vcc, exec, s[4:5]
	s_cbranch_vccnz .LBB277_11
; %bb.10:
	s_lshl_b64 s[4:5], s[22:23], 3
	s_add_u32 s4, s3, s4
	s_addc_u32 s5, s28, s5
	s_load_dwordx2 s[4:5], s[4:5], 0x0
	v_mov_b64_e32 v[2:3], s[8:9]
	s_waitcnt lgkmcnt(0)
	v_mul_f64 v[2:3], s[4:5], v[2:3]
.LBB277_11:
	s_mov_b64 s[12:13], exec
	s_or_b64 exec, exec, s[26:27]
	s_and_b64 vcc, exec, s[24:25]
	s_cbranch_vccnz .LBB277_14
	s_branch .LBB277_33
.LBB277_12:
                                        ; implicit-def: $vgpr2_vgpr3
                                        ; implicit-def: $sgpr22_sgpr23
	s_cbranch_execnz .LBB277_14
	s_branch .LBB277_33
.LBB277_13:
	s_or_b64 exec, exec, s[26:27]
	s_and_b64 vcc, exec, s[24:25]
	s_cbranch_vccz .LBB277_33
.LBB277_14:
	s_load_dword s1, s[0:1], 0x0
	s_ashr_i32 s24, s2, 31
	s_mul_i32 s0, s2, s19
	s_mul_hi_u32 s4, s2, s18
	s_add_i32 s0, s4, s0
	s_mul_i32 s4, s24, s18
	s_add_i32 s5, s0, s4
	s_mul_i32 s4, s2, s18
	s_lshl_b64 s[4:5], s[4:5], 3
	s_add_u32 s4, s4, s20
	s_addc_u32 s5, s5, s21
	s_waitcnt lgkmcnt(0)
	s_ashr_i32 s0, s1, 31
	v_cmp_gt_i32_e32 vcc, s1, v0
	s_lshr_b32 s0, s0, 22
	s_add_i32 s0, s1, s0
	v_cndmask_b32_e32 v1, 0, v0, vcc
	v_mov_b32_e32 v3, 0
	v_lshlrev_b32_e32 v2, 3, v1
	s_and_b32 s0, s0, 0xfffffc00
	v_lshl_add_u64 v[4:5], s[4:5], 0, v[2:3]
	v_cmp_gt_i32_e32 vcc, s0, v0
	v_mov_b64_e32 v[2:3], 0
	s_and_saveexec_b64 s[4:5], vcc
	s_cbranch_execz .LBB277_18
; %bb.15:
	v_mad_u64_u32 v[2:3], s[18:19], s14, v0, 0
	v_mov_b32_e32 v6, v3
	v_mad_u64_u32 v[6:7], s[18:19], s15, v0, v[6:7]
	v_mov_b32_e32 v3, v6
	v_lshl_add_u64 v[6:7], v[2:3], 3, s[16:17]
	s_lshl_b64 s[20:21], s[14:15], 13
	s_mov_b64 s[18:19], 0
	v_mov_b64_e32 v[2:3], 0
	s_mov_b64 s[22:23], 0x2000
	v_mov_b64_e32 v[8:9], v[4:5]
	v_mov_b32_e32 v1, v0
.LBB277_16:                             ; =>This Inner Loop Header: Depth=1
	flat_load_dwordx2 v[10:11], v[8:9]
	flat_load_dwordx2 v[12:13], v[6:7]
	v_add_u32_e32 v1, 0x400, v1
	v_cmp_le_i32_e32 vcc, s0, v1
	v_lshl_add_u64 v[8:9], v[8:9], 0, s[22:23]
	v_lshl_add_u64 v[6:7], v[6:7], 0, s[20:21]
	s_or_b64 s[18:19], vcc, s[18:19]
	s_waitcnt vmcnt(0) lgkmcnt(0)
	v_fmac_f64_e32 v[2:3], v[10:11], v[12:13]
	s_andn2_b64 exec, exec, s[18:19]
	s_cbranch_execnz .LBB277_16
; %bb.17:
	s_or_b64 exec, exec, s[18:19]
.LBB277_18:
	s_or_b64 exec, exec, s[4:5]
	v_or_b32_e32 v1, s0, v0
	v_cmp_gt_i32_e32 vcc, s1, v1
	s_and_saveexec_b64 s[4:5], vcc
	s_cbranch_execz .LBB277_20
; %bb.19:
	s_ashr_i32 s1, s0, 31
	v_ashrrev_i32_e32 v6, 31, v1
	v_lshl_add_u64 v[4:5], s[0:1], 3, v[4:5]
	v_mul_lo_u32 v8, v1, s15
	v_mul_lo_u32 v9, v6, s14
	v_mad_u64_u32 v[6:7], s[0:1], v1, s14, 0
	v_add3_u32 v7, v7, v8, v9
	v_lshl_add_u64 v[6:7], v[6:7], 3, s[16:17]
	flat_load_dwordx2 v[4:5], v[4:5]
	s_nop 0
	flat_load_dwordx2 v[6:7], v[6:7]
	s_waitcnt vmcnt(0) lgkmcnt(0)
	v_fmac_f64_e32 v[2:3], v[4:5], v[6:7]
.LBB277_20:
	s_or_b64 exec, exec, s[4:5]
	v_and_b32_e32 v6, 63, v0
	v_cmp_gt_u32_e32 vcc, 64, v0
	v_lshlrev_b32_e32 v1, 3, v6
	s_and_saveexec_b64 s[0:1], vcc
	s_cbranch_execz .LBB277_22
; %bb.21:
	v_mov_b32_e32 v4, 0
	v_mov_b32_e32 v5, v4
	ds_write_b64 v1, v[4:5]
.LBB277_22:
	s_or_b64 exec, exec, s[0:1]
	v_mbcnt_lo_u32_b32 v4, -1, 0
	v_mbcnt_hi_u32_b32 v10, -1, v4
	v_and_b32_e32 v11, 63, v10
	v_cmp_gt_u32_e64 s[0:1], 32, v11
	s_waitcnt lgkmcnt(0)
	s_barrier
	v_cndmask_b32_e64 v4, 0, 1, s[0:1]
	v_lshlrev_b32_e32 v4, 5, v4
	v_add_lshl_u32 v5, v4, v10, 2
	ds_bpermute_b32 v4, v5, v2
	ds_bpermute_b32 v5, v5, v3
	v_cmp_gt_u32_e64 s[0:1], 48, v11
	s_waitcnt lgkmcnt(0)
	v_add_f64 v[2:3], v[2:3], v[4:5]
	v_cndmask_b32_e64 v7, 0, 1, s[0:1]
	v_lshlrev_b32_e32 v4, 4, v7
	v_add_lshl_u32 v5, v4, v10, 2
	ds_bpermute_b32 v4, v5, v2
	ds_bpermute_b32 v5, v5, v3
	v_cmp_gt_u32_e64 s[0:1], 56, v11
	s_waitcnt lgkmcnt(0)
	v_add_f64 v[2:3], v[2:3], v[4:5]
	;; [unrolled: 8-line block ×4, first 2 shown]
	v_cndmask_b32_e64 v4, 0, 1, s[0:1]
	v_lshlrev_b32_e32 v4, 1, v4
	v_add_lshl_u32 v9, v4, v10, 2
	ds_bpermute_b32 v4, v9, v2
	ds_bpermute_b32 v5, v9, v3
	v_cmp_ne_u32_e64 s[0:1], 63, v11
	s_waitcnt lgkmcnt(0)
	v_add_f64 v[2:3], v[2:3], v[4:5]
	v_addc_co_u32_e64 v4, s[0:1], 0, v10, s[0:1]
	v_lshlrev_b32_e32 v10, 2, v4
	ds_bpermute_b32 v4, v10, v2
	ds_bpermute_b32 v5, v10, v3
	v_cmp_eq_u32_e64 s[0:1], 0, v6
	s_and_saveexec_b64 s[4:5], s[0:1]
	s_cbranch_execz .LBB277_24
; %bb.23:
	v_lshrrev_b32_e32 v6, 3, v0
	v_and_b32_e32 v6, 0x78, v6
	s_waitcnt lgkmcnt(0)
	v_add_f64 v[2:3], v[2:3], v[4:5]
	ds_write_b64 v6, v[2:3]
.LBB277_24:
	s_or_b64 exec, exec, s[4:5]
	v_cmp_gt_u32_e64 s[0:1], 16, v0
	s_waitcnt lgkmcnt(0)
	v_mov_b64_e32 v[4:5], 0
	s_barrier
	s_and_saveexec_b64 s[4:5], s[0:1]
	s_cbranch_execz .LBB277_26
; %bb.25:
	ds_read_b64 v[4:5], v1
	s_or_b64 exec, exec, s[4:5]
	s_and_saveexec_b64 s[0:1], vcc
	s_cbranch_execz .LBB277_28
	s_branch .LBB277_27
.LBB277_26:
	s_or_b64 exec, exec, s[4:5]
	s_and_saveexec_b64 s[0:1], vcc
	s_cbranch_execz .LBB277_28
.LBB277_27:
	s_waitcnt lgkmcnt(0)
	ds_bpermute_b32 v2, v7, v4
	ds_bpermute_b32 v3, v7, v5
	s_waitcnt lgkmcnt(0)
	v_add_f64 v[2:3], v[4:5], v[2:3]
	ds_bpermute_b32 v4, v8, v2
	ds_bpermute_b32 v5, v8, v3
	s_waitcnt lgkmcnt(0)
	v_add_f64 v[2:3], v[2:3], v[4:5]
	;; [unrolled: 4-line block ×4, first 2 shown]
.LBB277_28:
	s_or_b64 exec, exec, s[0:1]
	v_cmp_eq_u32_e32 vcc, 0, v0
                                        ; implicit-def: $vgpr2_vgpr3
                                        ; implicit-def: $sgpr22_sgpr23
	s_and_saveexec_b64 s[0:1], vcc
	s_cbranch_execz .LBB277_32
; %bb.29:
	s_waitcnt lgkmcnt(0)
	v_mul_f64 v[2:3], v[4:5], s[10:11]
	s_mul_i32 s7, s2, s7
	s_mul_hi_u32 s10, s2, s6
	v_cmp_eq_f64_e64 s[4:5], s[8:9], 0
	s_add_i32 s7, s10, s7
	s_mul_i32 s10, s24, s6
	s_add_i32 s23, s7, s10
	s_mul_i32 s22, s2, s6
	s_and_b64 vcc, exec, s[4:5]
	s_cbranch_vccnz .LBB277_31
; %bb.30:
	s_lshl_b64 s[4:5], s[22:23], 3
	s_add_u32 s4, s3, s4
	s_addc_u32 s5, s28, s5
	s_load_dwordx2 s[4:5], s[4:5], 0x0
	v_mov_b64_e32 v[0:1], s[8:9]
	s_waitcnt lgkmcnt(0)
	v_fmac_f64_e32 v[2:3], s[4:5], v[0:1]
.LBB277_31:
	s_or_b64 s[12:13], s[12:13], exec
.LBB277_32:
	s_or_b64 exec, exec, s[0:1]
.LBB277_33:
	s_and_saveexec_b64 s[0:1], s[12:13]
	s_cbranch_execz .LBB277_35
; %bb.34:
	s_lshl_b64 s[0:1], s[22:23], 3
	s_add_u32 s0, s3, s0
	s_addc_u32 s1, s28, s1
	v_mov_b32_e32 v0, 0
	global_store_dwordx2 v0, v[2:3], s[0:1]
.LBB277_35:
	s_endpgm
	.section	.rodata,"a",@progbits
	.p2align	6, 0x0
	.amdhsa_kernel _ZL32rocblas_gemvt_warp_reduce_kernelILb0ELi1024ElPKddKPdEviiT3_lPKT2_lT1_lS7_lS8_lS4_lPT4_lS8_li
		.amdhsa_group_segment_fixed_size 512
		.amdhsa_private_segment_fixed_size 0
		.amdhsa_kernarg_size 140
		.amdhsa_user_sgpr_count 2
		.amdhsa_user_sgpr_dispatch_ptr 0
		.amdhsa_user_sgpr_queue_ptr 0
		.amdhsa_user_sgpr_kernarg_segment_ptr 1
		.amdhsa_user_sgpr_dispatch_id 0
		.amdhsa_user_sgpr_kernarg_preload_length 0
		.amdhsa_user_sgpr_kernarg_preload_offset 0
		.amdhsa_user_sgpr_private_segment_size 0
		.amdhsa_uses_dynamic_stack 0
		.amdhsa_enable_private_segment 0
		.amdhsa_system_sgpr_workgroup_id_x 1
		.amdhsa_system_sgpr_workgroup_id_y 0
		.amdhsa_system_sgpr_workgroup_id_z 1
		.amdhsa_system_sgpr_workgroup_info 0
		.amdhsa_system_vgpr_workitem_id 0
		.amdhsa_next_free_vgpr 14
		.amdhsa_next_free_sgpr 32
		.amdhsa_accum_offset 16
		.amdhsa_reserve_vcc 1
		.amdhsa_float_round_mode_32 0
		.amdhsa_float_round_mode_16_64 0
		.amdhsa_float_denorm_mode_32 3
		.amdhsa_float_denorm_mode_16_64 3
		.amdhsa_dx10_clamp 1
		.amdhsa_ieee_mode 1
		.amdhsa_fp16_overflow 0
		.amdhsa_tg_split 0
		.amdhsa_exception_fp_ieee_invalid_op 0
		.amdhsa_exception_fp_denorm_src 0
		.amdhsa_exception_fp_ieee_div_zero 0
		.amdhsa_exception_fp_ieee_overflow 0
		.amdhsa_exception_fp_ieee_underflow 0
		.amdhsa_exception_fp_ieee_inexact 0
		.amdhsa_exception_int_div_zero 0
	.end_amdhsa_kernel
	.section	.text._ZL32rocblas_gemvt_warp_reduce_kernelILb0ELi1024ElPKddKPdEviiT3_lPKT2_lT1_lS7_lS8_lS4_lPT4_lS8_li,"axG",@progbits,_ZL32rocblas_gemvt_warp_reduce_kernelILb0ELi1024ElPKddKPdEviiT3_lPKT2_lT1_lS7_lS8_lS4_lPT4_lS8_li,comdat
.Lfunc_end277:
	.size	_ZL32rocblas_gemvt_warp_reduce_kernelILb0ELi1024ElPKddKPdEviiT3_lPKT2_lT1_lS7_lS8_lS4_lPT4_lS8_li, .Lfunc_end277-_ZL32rocblas_gemvt_warp_reduce_kernelILb0ELi1024ElPKddKPdEviiT3_lPKT2_lT1_lS7_lS8_lS4_lPT4_lS8_li
                                        ; -- End function
	.section	.AMDGPU.csdata,"",@progbits
; Kernel info:
; codeLenInByte = 1544
; NumSgprs: 38
; NumVgprs: 14
; NumAgprs: 0
; TotalNumVgprs: 14
; ScratchSize: 0
; MemoryBound: 0
; FloatMode: 240
; IeeeMode: 1
; LDSByteSize: 512 bytes/workgroup (compile time only)
; SGPRBlocks: 4
; VGPRBlocks: 1
; NumSGPRsForWavesPerEU: 38
; NumVGPRsForWavesPerEU: 14
; AccumOffset: 16
; Occupancy: 8
; WaveLimiterHint : 1
; COMPUTE_PGM_RSRC2:SCRATCH_EN: 0
; COMPUTE_PGM_RSRC2:USER_SGPR: 2
; COMPUTE_PGM_RSRC2:TRAP_HANDLER: 0
; COMPUTE_PGM_RSRC2:TGID_X_EN: 1
; COMPUTE_PGM_RSRC2:TGID_Y_EN: 0
; COMPUTE_PGM_RSRC2:TGID_Z_EN: 1
; COMPUTE_PGM_RSRC2:TIDIG_COMP_CNT: 0
; COMPUTE_PGM_RSRC3_GFX90A:ACCUM_OFFSET: 3
; COMPUTE_PGM_RSRC3_GFX90A:TG_SPLIT: 0
	.section	.text._ZL22rocblas_gemvtsm_kernelILb1ELi256EPKdS1_KPdEviiT2_lPKT1_lilS7_lilS4_lPT3_lil,"axG",@progbits,_ZL22rocblas_gemvtsm_kernelILb1ELi256EPKdS1_KPdEviiT2_lPKT1_lilS7_lilS4_lPT3_lil,comdat
	.globl	_ZL22rocblas_gemvtsm_kernelILb1ELi256EPKdS1_KPdEviiT2_lPKT1_lilS7_lilS4_lPT3_lil ; -- Begin function _ZL22rocblas_gemvtsm_kernelILb1ELi256EPKdS1_KPdEviiT2_lPKT1_lilS7_lilS4_lPT3_lil
	.p2align	8
	.type	_ZL22rocblas_gemvtsm_kernelILb1ELi256EPKdS1_KPdEviiT2_lPKT1_lilS7_lilS4_lPT3_lil,@function
_ZL22rocblas_gemvtsm_kernelILb1ELi256EPKdS1_KPdEviiT2_lPKT1_lilS7_lilS4_lPT3_lil: ; @_ZL22rocblas_gemvtsm_kernelILb1ELi256EPKdS1_KPdEviiT2_lPKT1_lilS7_lilS4_lPT3_lil
; %bb.0:
	s_load_dwordx8 s[12:19], s[0:1], 0x8
	s_load_dwordx8 s[4:11], s[0:1], 0x58
	s_waitcnt lgkmcnt(0)
	s_mul_i32 s3, s2, s15
	s_mul_hi_u32 s15, s2, s14
	s_add_i32 s15, s15, s3
	s_mul_i32 s14, s2, s14
	s_lshl_b64 s[14:15], s[14:15], 3
	s_add_u32 s12, s12, s14
	s_mul_i32 s3, s2, s7
	s_mul_hi_u32 s7, s2, s6
	s_addc_u32 s13, s13, s15
	s_add_i32 s7, s7, s3
	s_mul_i32 s6, s2, s6
	s_lshl_b64 s[6:7], s[6:7], 3
	s_add_u32 s4, s4, s6
	s_addc_u32 s5, s5, s7
	s_load_dwordx2 s[20:21], s[12:13], 0x0
	s_load_dwordx2 s[6:7], s[4:5], 0x0
	s_waitcnt lgkmcnt(0)
	v_cmp_eq_f64_e64 s[24:25], s[20:21], 0
	v_cmp_eq_f64_e64 s[4:5], s[6:7], 1.0
	s_and_b64 s[4:5], s[24:25], s[4:5]
	s_and_b64 vcc, exec, s[4:5]
	s_cbranch_vccnz .LBB278_38
; %bb.1:
	s_mov_b32 s3, 0
	s_mov_b64 s[22:23], 0
	v_cmp_neq_f64_e64 s[12:13], s[20:21], 0
	s_and_b64 vcc, exec, s[24:25]
	s_mov_b64 s[4:5], 0
	s_cbranch_vccnz .LBB278_3
; %bb.2:
	s_lshl_b64 s[4:5], s[2:3], 3
	s_add_u32 s4, s16, s4
	s_addc_u32 s5, s17, s5
	s_load_dwordx2 s[4:5], s[4:5], 0x0
	s_lshl_b64 s[14:15], s[18:19], 3
	s_waitcnt lgkmcnt(0)
	s_add_u32 s4, s4, s14
	s_addc_u32 s5, s5, s15
.LBB278_3:
	s_andn2_b64 vcc, exec, s[12:13]
	s_cbranch_vccnz .LBB278_5
; %bb.4:
	s_load_dwordx4 s[12:15], s[0:1], 0x38
	s_lshl_b64 s[16:17], s[2:3], 3
	s_waitcnt lgkmcnt(0)
	s_add_u32 s12, s12, s16
	s_addc_u32 s13, s13, s17
	s_load_dwordx2 s[12:13], s[12:13], 0x0
	s_lshl_b64 s[14:15], s[14:15], 3
	s_waitcnt lgkmcnt(0)
	s_add_u32 s22, s12, s14
	s_addc_u32 s23, s13, s15
.LBB278_5:
	s_lshl_b64 s[2:3], s[2:3], 3
	s_add_u32 s2, s8, s2
	s_addc_u32 s3, s9, s3
	s_load_dwordx2 s[12:13], s[0:1], 0x0
	s_load_dword s14, s[0:1], 0x78
	s_load_dwordx2 s[8:9], s[2:3], 0x0
	s_andn2_b64 vcc, exec, s[24:25]
	s_mov_b64 s[2:3], -1
	s_cbranch_vccnz .LBB278_20
; %bb.6:
	s_waitcnt lgkmcnt(0)
	s_cmp_gt_i32 s13, 0
	s_cselect_b64 s[16:17], -1, 0
	v_cmp_neq_f64_e64 s[2:3], s[6:7], 0
	v_cndmask_b32_e64 v1, 0, 1, s[16:17]
	s_and_b64 vcc, exec, s[2:3]
	v_cmp_ne_u32_e64 s[2:3], 1, v1
	s_cbranch_vccnz .LBB278_13
; %bb.7:
	s_and_b64 vcc, exec, s[2:3]
	s_cbranch_vccnz .LBB278_12
; %bb.8:
	v_mad_i64_i32 v[2:3], s[16:17], s14, v0, 0
	s_ashr_i32 s15, s14, 31
	s_lshl_b64 s[16:17], s[10:11], 3
	s_add_u32 s16, s8, s16
	s_addc_u32 s17, s9, s17
	v_lshl_add_u64 v[2:3], v[2:3], 3, s[16:17]
	s_lshl_b64 s[16:17], s[14:15], 11
	s_mov_b32 s15, 0
	v_mov_b32_e32 v4, 0
	s_branch .LBB278_10
.LBB278_9:                              ;   in Loop: Header=BB278_10 Depth=1
	s_or_b64 exec, exec, s[18:19]
	s_addk_i32 s15, 0x100
	s_cmp_ge_i32 s15, s13
	v_lshl_add_u64 v[2:3], v[2:3], 0, s[16:17]
	s_cbranch_scc1 .LBB278_12
.LBB278_10:                             ; =>This Inner Loop Header: Depth=1
	v_add_u32_e32 v1, s15, v0
	v_cmp_gt_i32_e32 vcc, s13, v1
	s_and_saveexec_b64 s[18:19], vcc
	s_cbranch_execz .LBB278_9
; %bb.11:                               ;   in Loop: Header=BB278_10 Depth=1
	v_mov_b32_e32 v5, v4
	global_store_dwordx2 v[2:3], v[4:5], off
	s_branch .LBB278_9
.LBB278_12:
	s_cbranch_execz .LBB278_14
	s_branch .LBB278_19
.LBB278_13:
.LBB278_14:
	s_and_b64 vcc, exec, s[2:3]
	s_cbranch_vccnz .LBB278_19
; %bb.15:
	v_mad_i64_i32 v[2:3], s[2:3], s14, v0, 0
	s_ashr_i32 s15, s14, 31
	s_lshl_b64 s[2:3], s[10:11], 3
	s_add_u32 s2, s8, s2
	s_addc_u32 s3, s9, s3
	v_lshl_add_u64 v[2:3], v[2:3], 3, s[2:3]
	s_lshl_b64 s[2:3], s[14:15], 11
	s_mov_b32 s15, 0
	s_branch .LBB278_17
.LBB278_16:                             ;   in Loop: Header=BB278_17 Depth=1
	s_or_b64 exec, exec, s[16:17]
	s_addk_i32 s15, 0x100
	s_cmp_ge_i32 s15, s13
	v_lshl_add_u64 v[2:3], v[2:3], 0, s[2:3]
	s_cbranch_scc1 .LBB278_19
.LBB278_17:                             ; =>This Inner Loop Header: Depth=1
	v_add_u32_e32 v1, s15, v0
	v_cmp_gt_i32_e32 vcc, s13, v1
	s_and_saveexec_b64 s[16:17], vcc
	s_cbranch_execz .LBB278_16
; %bb.18:                               ;   in Loop: Header=BB278_17 Depth=1
	global_load_dwordx2 v[4:5], v[2:3], off
	s_waitcnt vmcnt(0)
	v_mul_f64 v[4:5], s[6:7], v[4:5]
	global_store_dwordx2 v[2:3], v[4:5], off
	s_branch .LBB278_16
.LBB278_19:
	s_mov_b64 s[2:3], 0
.LBB278_20:
	s_andn2_b64 vcc, exec, s[2:3]
	s_cbranch_vccnz .LBB278_38
; %bb.21:
	s_waitcnt lgkmcnt(0)
	v_cmp_gt_i32_e32 vcc, s12, v0
	s_and_saveexec_b64 s[2:3], vcc
	s_cbranch_execz .LBB278_23
; %bb.22:
	s_load_dword s15, s[0:1], 0x48
	v_lshlrev_b32_e32 v1, 3, v0
	s_waitcnt lgkmcnt(0)
	v_mad_i64_i32 v[2:3], s[16:17], s15, v0, 0
	v_lshl_add_u64 v[2:3], v[2:3], 3, s[22:23]
	flat_load_dwordx2 v[2:3], v[2:3]
	s_waitcnt vmcnt(0) lgkmcnt(0)
	v_mul_f64 v[2:3], s[20:21], v[2:3]
	ds_write_b64 v1, v[2:3]
.LBB278_23:
	s_or_b64 exec, exec, s[2:3]
	s_cmp_lt_i32 s13, 1
	s_waitcnt lgkmcnt(0)
	s_barrier
	s_cbranch_scc1 .LBB278_38
; %bb.24:
	s_load_dword s0, s[0:1], 0x28
	s_lshl_b64 s[2:3], s[10:11], 3
	s_add_u32 s8, s8, s2
	s_addc_u32 s9, s9, s3
	s_ashr_i32 s15, s14, 31
	s_waitcnt lgkmcnt(0)
	s_ashr_i32 s1, s0, 31
	s_cmp_gt_i32 s12, 0
	s_cselect_b64 s[2:3], -1, 0
	s_and_b32 s22, s12, 7
	s_cmp_gt_u32 s12, 7
	s_cselect_b64 s[20:21], -1, 0
	s_and_b32 s12, s12, 0x7ffffff8
	s_cmp_lg_u32 s22, 0
	v_mad_i64_i32 v[2:3], s[18:19], s0, v0, 0
	s_cselect_b64 s[16:17], -1, 0
	s_lshl_b64 s[18:19], s[0:1], 11
	v_cmp_neq_f64_e64 s[0:1], s[6:7], 0
	s_mov_b32 s11, 0
	v_lshl_add_u64 v[2:3], v[2:3], 3, s[4:5]
	v_cndmask_b32_e64 v1, 0, 1, s[0:1]
	v_cmp_ne_u32_e64 s[0:1], 1, v1
	v_cndmask_b32_e64 v1, 0, 1, s[2:3]
	v_cmp_ne_u32_e64 s[2:3], 1, v1
	;; [unrolled: 2-line block ×3, first 2 shown]
	s_mov_b32 s23, 0
	s_branch .LBB278_27
.LBB278_25:                             ;   in Loop: Header=BB278_27 Depth=1
	global_store_dwordx2 v[4:5], v[6:7], off
.LBB278_26:                             ;   in Loop: Header=BB278_27 Depth=1
	s_or_b64 exec, exec, s[20:21]
	s_addk_i32 s23, 0x100
	s_cmp_ge_i32 s23, s13
	v_lshl_add_u64 v[2:3], v[2:3], 0, s[18:19]
	s_cbranch_scc1 .LBB278_38
.LBB278_27:                             ; =>This Loop Header: Depth=1
                                        ;     Child Loop BB278_33 Depth 2
                                        ;     Child Loop BB278_37 Depth 2
	v_add_u32_e32 v1, s23, v0
	v_cmp_gt_i32_e32 vcc, s13, v1
	s_and_saveexec_b64 s[20:21], vcc
	s_cbranch_execz .LBB278_26
; %bb.28:                               ;   in Loop: Header=BB278_27 Depth=1
	v_mad_u64_u32 v[4:5], s[24:25], v1, s14, 0
	v_mov_b32_e32 v6, v5
	v_mad_u64_u32 v[6:7], s[24:25], v1, s15, v[6:7]
	v_mov_b32_e32 v5, v6
	s_and_b64 vcc, exec, s[0:1]
	v_lshl_add_u64 v[4:5], v[4:5], 3, s[8:9]
	s_cbranch_vccnz .LBB278_30
; %bb.29:                               ;   in Loop: Header=BB278_27 Depth=1
	global_load_dwordx2 v[6:7], v[4:5], off
	s_waitcnt vmcnt(0)
	v_mul_f64 v[6:7], s[6:7], v[6:7]
	s_and_b64 vcc, exec, s[2:3]
	s_cbranch_vccz .LBB278_31
	s_branch .LBB278_25
.LBB278_30:                             ;   in Loop: Header=BB278_27 Depth=1
	v_mov_b64_e32 v[6:7], 0
	s_and_b64 vcc, exec, s[2:3]
	s_cbranch_vccnz .LBB278_25
.LBB278_31:                             ;   in Loop: Header=BB278_27 Depth=1
	s_mov_b32 s10, 0
	s_and_b64 vcc, exec, s[4:5]
	s_cbranch_vccnz .LBB278_35
; %bb.32:                               ;   in Loop: Header=BB278_27 Depth=1
	s_mov_b32 s24, 0
	v_mov_b64_e32 v[8:9], v[2:3]
.LBB278_33:                             ;   Parent Loop BB278_27 Depth=1
                                        ; =>  This Inner Loop Header: Depth=2
	flat_load_dwordx4 v[10:13], v[8:9]
	flat_load_dwordx4 v[14:17], v[8:9] offset:16
	flat_load_dwordx4 v[18:21], v[8:9] offset:32
	;; [unrolled: 1-line block ×3, first 2 shown]
	v_mov_b32_e32 v1, s10
	ds_read_b128 v[26:29], v1
	ds_read_b128 v[30:33], v1 offset:16
	ds_read_b128 v[34:37], v1 offset:32
	;; [unrolled: 1-line block ×3, first 2 shown]
	s_add_i32 s24, s24, 8
	s_add_i32 s10, s10, 64
	v_lshl_add_u64 v[8:9], v[8:9], 0, 64
	s_cmp_eq_u32 s12, s24
	s_waitcnt vmcnt(0) lgkmcnt(0)
	v_fmac_f64_e32 v[6:7], v[26:27], v[10:11]
	v_fmac_f64_e32 v[6:7], v[28:29], v[12:13]
	;; [unrolled: 1-line block ×8, first 2 shown]
	s_cbranch_scc0 .LBB278_33
; %bb.34:                               ;   in Loop: Header=BB278_27 Depth=1
	s_mov_b32 s10, s12
.LBB278_35:                             ;   in Loop: Header=BB278_27 Depth=1
	s_andn2_b64 vcc, exec, s[16:17]
	s_cbranch_vccnz .LBB278_25
; %bb.36:                               ;   in Loop: Header=BB278_27 Depth=1
	s_lshl_b32 s24, s10, 3
	v_lshl_add_u64 v[8:9], s[10:11], 3, v[2:3]
	s_mov_b32 s10, s22
.LBB278_37:                             ;   Parent Loop BB278_27 Depth=1
                                        ; =>  This Inner Loop Header: Depth=2
	flat_load_dwordx2 v[10:11], v[8:9]
	v_mov_b32_e32 v1, s24
	ds_read_b64 v[12:13], v1
	s_add_i32 s24, s24, 8
	s_add_i32 s10, s10, -1
	v_lshl_add_u64 v[8:9], v[8:9], 0, 8
	s_cmp_lg_u32 s10, 0
	s_waitcnt vmcnt(0) lgkmcnt(0)
	v_fmac_f64_e32 v[6:7], v[12:13], v[10:11]
	s_cbranch_scc1 .LBB278_37
	s_branch .LBB278_25
.LBB278_38:
	s_endpgm
	.section	.rodata,"a",@progbits
	.p2align	6, 0x0
	.amdhsa_kernel _ZL22rocblas_gemvtsm_kernelILb1ELi256EPKdS1_KPdEviiT2_lPKT1_lilS7_lilS4_lPT3_lil
		.amdhsa_group_segment_fixed_size 512
		.amdhsa_private_segment_fixed_size 0
		.amdhsa_kernarg_size 136
		.amdhsa_user_sgpr_count 2
		.amdhsa_user_sgpr_dispatch_ptr 0
		.amdhsa_user_sgpr_queue_ptr 0
		.amdhsa_user_sgpr_kernarg_segment_ptr 1
		.amdhsa_user_sgpr_dispatch_id 0
		.amdhsa_user_sgpr_kernarg_preload_length 0
		.amdhsa_user_sgpr_kernarg_preload_offset 0
		.amdhsa_user_sgpr_private_segment_size 0
		.amdhsa_uses_dynamic_stack 0
		.amdhsa_enable_private_segment 0
		.amdhsa_system_sgpr_workgroup_id_x 1
		.amdhsa_system_sgpr_workgroup_id_y 0
		.amdhsa_system_sgpr_workgroup_id_z 0
		.amdhsa_system_sgpr_workgroup_info 0
		.amdhsa_system_vgpr_workitem_id 0
		.amdhsa_next_free_vgpr 42
		.amdhsa_next_free_sgpr 26
		.amdhsa_accum_offset 44
		.amdhsa_reserve_vcc 1
		.amdhsa_float_round_mode_32 0
		.amdhsa_float_round_mode_16_64 0
		.amdhsa_float_denorm_mode_32 3
		.amdhsa_float_denorm_mode_16_64 3
		.amdhsa_dx10_clamp 1
		.amdhsa_ieee_mode 1
		.amdhsa_fp16_overflow 0
		.amdhsa_tg_split 0
		.amdhsa_exception_fp_ieee_invalid_op 0
		.amdhsa_exception_fp_denorm_src 0
		.amdhsa_exception_fp_ieee_div_zero 0
		.amdhsa_exception_fp_ieee_overflow 0
		.amdhsa_exception_fp_ieee_underflow 0
		.amdhsa_exception_fp_ieee_inexact 0
		.amdhsa_exception_int_div_zero 0
	.end_amdhsa_kernel
	.section	.text._ZL22rocblas_gemvtsm_kernelILb1ELi256EPKdS1_KPdEviiT2_lPKT1_lilS7_lilS4_lPT3_lil,"axG",@progbits,_ZL22rocblas_gemvtsm_kernelILb1ELi256EPKdS1_KPdEviiT2_lPKT1_lilS7_lilS4_lPT3_lil,comdat
.Lfunc_end278:
	.size	_ZL22rocblas_gemvtsm_kernelILb1ELi256EPKdS1_KPdEviiT2_lPKT1_lilS7_lilS4_lPT3_lil, .Lfunc_end278-_ZL22rocblas_gemvtsm_kernelILb1ELi256EPKdS1_KPdEviiT2_lPKT1_lilS7_lilS4_lPT3_lil
                                        ; -- End function
	.section	.AMDGPU.csdata,"",@progbits
; Kernel info:
; codeLenInByte = 1212
; NumSgprs: 32
; NumVgprs: 42
; NumAgprs: 0
; TotalNumVgprs: 42
; ScratchSize: 0
; MemoryBound: 0
; FloatMode: 240
; IeeeMode: 1
; LDSByteSize: 512 bytes/workgroup (compile time only)
; SGPRBlocks: 3
; VGPRBlocks: 5
; NumSGPRsForWavesPerEU: 32
; NumVGPRsForWavesPerEU: 42
; AccumOffset: 44
; Occupancy: 8
; WaveLimiterHint : 1
; COMPUTE_PGM_RSRC2:SCRATCH_EN: 0
; COMPUTE_PGM_RSRC2:USER_SGPR: 2
; COMPUTE_PGM_RSRC2:TRAP_HANDLER: 0
; COMPUTE_PGM_RSRC2:TGID_X_EN: 1
; COMPUTE_PGM_RSRC2:TGID_Y_EN: 0
; COMPUTE_PGM_RSRC2:TGID_Z_EN: 0
; COMPUTE_PGM_RSRC2:TIDIG_COMP_CNT: 0
; COMPUTE_PGM_RSRC3_GFX90A:ACCUM_OFFSET: 10
; COMPUTE_PGM_RSRC3_GFX90A:TG_SPLIT: 0
	.section	.text._ZL22rocblas_gemvtsm_kernelILb1ELi256EPKddKPdEviiT2_lPKT1_lilS7_lilS4_lPT3_lil,"axG",@progbits,_ZL22rocblas_gemvtsm_kernelILb1ELi256EPKddKPdEviiT2_lPKT1_lilS7_lilS4_lPT3_lil,comdat
	.globl	_ZL22rocblas_gemvtsm_kernelILb1ELi256EPKddKPdEviiT2_lPKT1_lilS7_lilS4_lPT3_lil ; -- Begin function _ZL22rocblas_gemvtsm_kernelILb1ELi256EPKddKPdEviiT2_lPKT1_lilS7_lilS4_lPT3_lil
	.p2align	8
	.type	_ZL22rocblas_gemvtsm_kernelILb1ELi256EPKddKPdEviiT2_lPKT1_lilS7_lilS4_lPT3_lil,@function
_ZL22rocblas_gemvtsm_kernelILb1ELi256EPKddKPdEviiT2_lPKT1_lilS7_lilS4_lPT3_lil: ; @_ZL22rocblas_gemvtsm_kernelILb1ELi256EPKddKPdEviiT2_lPKT1_lilS7_lilS4_lPT3_lil
; %bb.0:
	s_load_dwordx2 s[14:15], s[0:1], 0x8
	s_load_dwordx2 s[8:9], s[0:1], 0x58
	s_waitcnt lgkmcnt(0)
	v_cmp_eq_f64_e64 s[20:21], s[14:15], 0
	v_cmp_eq_f64_e64 s[4:5], s[8:9], 1.0
	s_and_b64 s[4:5], s[20:21], s[4:5]
	s_and_b64 vcc, exec, s[4:5]
	s_cbranch_vccnz .LBB279_41
; %bb.1:
	v_cmp_neq_f64_e64 s[4:5], s[14:15], 0
	s_mov_b64 s[6:7], 0
	s_and_b64 vcc, exec, s[4:5]
	s_cbranch_vccnz .LBB279_3
; %bb.2:
	s_mov_b32 s3, 0
	s_mov_b64 s[16:17], 0
	s_andn2_b64 vcc, exec, s[6:7]
	s_cbranch_vccz .LBB279_4
	s_branch .LBB279_5
.LBB279_3:
                                        ; implicit-def: $sgpr16_sgpr17
.LBB279_4:
	s_load_dwordx4 s[16:19], s[0:1], 0x18
	s_mov_b32 s3, 0
	s_lshl_b64 s[6:7], s[2:3], 3
	s_waitcnt lgkmcnt(0)
	s_add_u32 s6, s16, s6
	s_addc_u32 s7, s17, s7
	s_load_dwordx2 s[6:7], s[6:7], 0x0
	s_lshl_b64 s[10:11], s[18:19], 3
	s_waitcnt lgkmcnt(0)
	s_add_u32 s16, s6, s10
	s_addc_u32 s17, s7, s11
.LBB279_5:
	s_andn2_b64 vcc, exec, s[4:5]
	s_cbranch_vccnz .LBB279_7
; %bb.6:
	s_load_dwordx4 s[4:7], s[0:1], 0x38
	s_lshl_b64 s[10:11], s[2:3], 3
	s_waitcnt lgkmcnt(0)
	s_add_u32 s4, s4, s10
	s_addc_u32 s5, s5, s11
	s_load_dwordx2 s[4:5], s[4:5], 0x0
	s_lshl_b64 s[6:7], s[6:7], 3
	s_waitcnt lgkmcnt(0)
	s_add_u32 s18, s4, s6
	s_addc_u32 s19, s5, s7
	s_branch .LBB279_8
.LBB279_7:
	s_mov_b64 s[18:19], 0
.LBB279_8:
	s_load_dwordx4 s[4:7], s[0:1], 0x68
	s_load_dwordx2 s[10:11], s[0:1], 0x0
	s_load_dword s12, s[0:1], 0x78
	s_lshl_b64 s[2:3], s[2:3], 3
	s_waitcnt lgkmcnt(0)
	s_add_u32 s2, s4, s2
	s_addc_u32 s3, s5, s3
	s_load_dwordx2 s[4:5], s[2:3], 0x0
	s_andn2_b64 vcc, exec, s[20:21]
	s_mov_b64 s[2:3], -1
	s_cbranch_vccnz .LBB279_23
; %bb.9:
	s_cmp_gt_i32 s11, 0
	s_cselect_b64 s[20:21], -1, 0
	v_cmp_neq_f64_e64 s[2:3], s[8:9], 0
	v_cndmask_b32_e64 v1, 0, 1, s[20:21]
	s_and_b64 vcc, exec, s[2:3]
	v_cmp_ne_u32_e64 s[2:3], 1, v1
	s_cbranch_vccnz .LBB279_16
; %bb.10:
	s_and_b64 vcc, exec, s[2:3]
	s_cbranch_vccnz .LBB279_15
; %bb.11:
	v_mad_i64_i32 v[2:3], s[20:21], s12, v0, 0
	s_ashr_i32 s13, s12, 31
	s_lshl_b64 s[20:21], s[6:7], 3
	s_waitcnt lgkmcnt(0)
	s_add_u32 s20, s4, s20
	s_addc_u32 s21, s5, s21
	v_lshl_add_u64 v[2:3], v[2:3], 3, s[20:21]
	s_lshl_b64 s[20:21], s[12:13], 11
	s_mov_b32 s13, 0
	v_mov_b32_e32 v4, 0
	s_branch .LBB279_13
.LBB279_12:                             ;   in Loop: Header=BB279_13 Depth=1
	s_or_b64 exec, exec, s[22:23]
	s_addk_i32 s13, 0x100
	s_cmp_ge_i32 s13, s11
	v_lshl_add_u64 v[2:3], v[2:3], 0, s[20:21]
	s_cbranch_scc1 .LBB279_15
.LBB279_13:                             ; =>This Inner Loop Header: Depth=1
	v_add_u32_e32 v1, s13, v0
	v_cmp_gt_i32_e32 vcc, s11, v1
	s_and_saveexec_b64 s[22:23], vcc
	s_cbranch_execz .LBB279_12
; %bb.14:                               ;   in Loop: Header=BB279_13 Depth=1
	v_mov_b32_e32 v5, v4
	global_store_dwordx2 v[2:3], v[4:5], off
	s_branch .LBB279_12
.LBB279_15:
	s_cbranch_execz .LBB279_17
	s_branch .LBB279_22
.LBB279_16:
.LBB279_17:
	s_and_b64 vcc, exec, s[2:3]
	s_cbranch_vccnz .LBB279_22
; %bb.18:
	v_mad_i64_i32 v[2:3], s[2:3], s12, v0, 0
	s_ashr_i32 s13, s12, 31
	s_lshl_b64 s[2:3], s[6:7], 3
	s_waitcnt lgkmcnt(0)
	s_add_u32 s2, s4, s2
	s_addc_u32 s3, s5, s3
	v_lshl_add_u64 v[2:3], v[2:3], 3, s[2:3]
	s_lshl_b64 s[2:3], s[12:13], 11
	s_mov_b32 s13, 0
	s_branch .LBB279_20
.LBB279_19:                             ;   in Loop: Header=BB279_20 Depth=1
	s_or_b64 exec, exec, s[20:21]
	s_addk_i32 s13, 0x100
	s_cmp_ge_i32 s13, s11
	v_lshl_add_u64 v[2:3], v[2:3], 0, s[2:3]
	s_cbranch_scc1 .LBB279_22
.LBB279_20:                             ; =>This Inner Loop Header: Depth=1
	v_add_u32_e32 v1, s13, v0
	v_cmp_gt_i32_e32 vcc, s11, v1
	s_and_saveexec_b64 s[20:21], vcc
	s_cbranch_execz .LBB279_19
; %bb.21:                               ;   in Loop: Header=BB279_20 Depth=1
	global_load_dwordx2 v[4:5], v[2:3], off
	s_waitcnt vmcnt(0)
	v_mul_f64 v[4:5], v[4:5], s[8:9]
	global_store_dwordx2 v[2:3], v[4:5], off
	s_branch .LBB279_19
.LBB279_22:
	s_mov_b64 s[2:3], 0
.LBB279_23:
	s_andn2_b64 vcc, exec, s[2:3]
	s_cbranch_vccnz .LBB279_41
; %bb.24:
	v_cmp_gt_i32_e32 vcc, s10, v0
	s_and_saveexec_b64 s[2:3], vcc
	s_cbranch_execz .LBB279_26
; %bb.25:
	s_load_dword s13, s[0:1], 0x48
	v_lshlrev_b32_e32 v1, 3, v0
	s_waitcnt lgkmcnt(0)
	v_mad_i64_i32 v[2:3], s[20:21], s13, v0, 0
	v_lshl_add_u64 v[2:3], v[2:3], 3, s[18:19]
	flat_load_dwordx2 v[2:3], v[2:3]
	s_waitcnt vmcnt(0) lgkmcnt(0)
	v_mul_f64 v[2:3], v[2:3], s[14:15]
	ds_write_b64 v1, v[2:3]
.LBB279_26:
	s_or_b64 exec, exec, s[2:3]
	s_cmp_lt_i32 s11, 1
	s_waitcnt lgkmcnt(0)
	s_barrier
	s_cbranch_scc1 .LBB279_41
; %bb.27:
	s_load_dword s0, s[0:1], 0x28
	s_lshl_b64 s[2:3], s[6:7], 3
	s_add_u32 s6, s4, s2
	s_addc_u32 s7, s5, s3
	s_ashr_i32 s13, s12, 31
	s_waitcnt lgkmcnt(0)
	s_ashr_i32 s1, s0, 31
	s_cmp_gt_i32 s10, 0
	s_cselect_b64 s[2:3], -1, 0
	s_and_b32 s22, s10, 7
	s_cmp_gt_u32 s10, 7
	s_cselect_b64 s[4:5], -1, 0
	s_and_b32 s10, s10, 0x7ffffff8
	s_cmp_lg_u32 s22, 0
	v_mad_i64_i32 v[2:3], s[20:21], s0, v0, 0
	s_cselect_b64 s[18:19], -1, 0
	v_lshl_add_u64 v[2:3], v[2:3], 3, s[16:17]
	s_lshl_b64 s[16:17], s[0:1], 11
	v_cmp_neq_f64_e64 s[0:1], s[8:9], 0
	s_mov_b32 s15, 0
	s_mov_b32 s23, 0
	v_cndmask_b32_e64 v1, 0, 1, s[0:1]
	v_cmp_ne_u32_e64 s[0:1], 1, v1
	v_cndmask_b32_e64 v1, 0, 1, s[2:3]
	v_cmp_ne_u32_e64 s[2:3], 1, v1
	;; [unrolled: 2-line block ×3, first 2 shown]
	s_branch .LBB279_30
.LBB279_28:                             ;   in Loop: Header=BB279_30 Depth=1
	global_store_dwordx2 v[4:5], v[6:7], off
.LBB279_29:                             ;   in Loop: Header=BB279_30 Depth=1
	s_or_b64 exec, exec, s[20:21]
	s_addk_i32 s23, 0x100
	s_cmp_ge_i32 s23, s11
	v_lshl_add_u64 v[2:3], v[2:3], 0, s[16:17]
	s_cbranch_scc1 .LBB279_41
.LBB279_30:                             ; =>This Loop Header: Depth=1
                                        ;     Child Loop BB279_36 Depth 2
                                        ;     Child Loop BB279_40 Depth 2
	v_add_u32_e32 v1, s23, v0
	v_cmp_gt_i32_e32 vcc, s11, v1
	s_and_saveexec_b64 s[20:21], vcc
	s_cbranch_execz .LBB279_29
; %bb.31:                               ;   in Loop: Header=BB279_30 Depth=1
	v_mad_u64_u32 v[4:5], s[24:25], v1, s12, 0
	v_mov_b32_e32 v6, v5
	v_mad_u64_u32 v[6:7], s[24:25], v1, s13, v[6:7]
	v_mov_b32_e32 v5, v6
	s_and_b64 vcc, exec, s[0:1]
	v_lshl_add_u64 v[4:5], v[4:5], 3, s[6:7]
	s_cbranch_vccnz .LBB279_33
; %bb.32:                               ;   in Loop: Header=BB279_30 Depth=1
	global_load_dwordx2 v[6:7], v[4:5], off
	s_waitcnt vmcnt(0)
	v_mul_f64 v[6:7], v[6:7], s[8:9]
	s_and_b64 vcc, exec, s[2:3]
	s_cbranch_vccz .LBB279_34
	s_branch .LBB279_28
.LBB279_33:                             ;   in Loop: Header=BB279_30 Depth=1
	v_mov_b64_e32 v[6:7], 0
	s_and_b64 vcc, exec, s[2:3]
	s_cbranch_vccnz .LBB279_28
.LBB279_34:                             ;   in Loop: Header=BB279_30 Depth=1
	s_mov_b32 s14, 0
	s_and_b64 vcc, exec, s[4:5]
	s_cbranch_vccnz .LBB279_38
; %bb.35:                               ;   in Loop: Header=BB279_30 Depth=1
	s_mov_b32 s24, 0
	v_mov_b64_e32 v[8:9], v[2:3]
.LBB279_36:                             ;   Parent Loop BB279_30 Depth=1
                                        ; =>  This Inner Loop Header: Depth=2
	flat_load_dwordx4 v[10:13], v[8:9]
	flat_load_dwordx4 v[14:17], v[8:9] offset:16
	flat_load_dwordx4 v[18:21], v[8:9] offset:32
	;; [unrolled: 1-line block ×3, first 2 shown]
	v_mov_b32_e32 v1, s14
	ds_read_b128 v[26:29], v1
	ds_read_b128 v[30:33], v1 offset:16
	ds_read_b128 v[34:37], v1 offset:32
	;; [unrolled: 1-line block ×3, first 2 shown]
	s_add_i32 s24, s24, 8
	s_add_i32 s14, s14, 64
	v_lshl_add_u64 v[8:9], v[8:9], 0, 64
	s_cmp_eq_u32 s10, s24
	s_waitcnt vmcnt(0) lgkmcnt(0)
	v_fmac_f64_e32 v[6:7], v[26:27], v[10:11]
	v_fmac_f64_e32 v[6:7], v[28:29], v[12:13]
	;; [unrolled: 1-line block ×8, first 2 shown]
	s_cbranch_scc0 .LBB279_36
; %bb.37:                               ;   in Loop: Header=BB279_30 Depth=1
	s_mov_b32 s14, s10
.LBB279_38:                             ;   in Loop: Header=BB279_30 Depth=1
	s_andn2_b64 vcc, exec, s[18:19]
	s_cbranch_vccnz .LBB279_28
; %bb.39:                               ;   in Loop: Header=BB279_30 Depth=1
	s_lshl_b32 s24, s14, 3
	v_lshl_add_u64 v[8:9], s[14:15], 3, v[2:3]
	s_mov_b32 s14, s22
.LBB279_40:                             ;   Parent Loop BB279_30 Depth=1
                                        ; =>  This Inner Loop Header: Depth=2
	flat_load_dwordx2 v[10:11], v[8:9]
	v_mov_b32_e32 v1, s24
	ds_read_b64 v[12:13], v1
	s_add_i32 s24, s24, 8
	s_add_i32 s14, s14, -1
	v_lshl_add_u64 v[8:9], v[8:9], 0, 8
	s_cmp_lg_u32 s14, 0
	s_waitcnt vmcnt(0) lgkmcnt(0)
	v_fmac_f64_e32 v[6:7], v[12:13], v[10:11]
	s_cbranch_scc1 .LBB279_40
	s_branch .LBB279_28
.LBB279_41:
	s_endpgm
	.section	.rodata,"a",@progbits
	.p2align	6, 0x0
	.amdhsa_kernel _ZL22rocblas_gemvtsm_kernelILb1ELi256EPKddKPdEviiT2_lPKT1_lilS7_lilS4_lPT3_lil
		.amdhsa_group_segment_fixed_size 512
		.amdhsa_private_segment_fixed_size 0
		.amdhsa_kernarg_size 136
		.amdhsa_user_sgpr_count 2
		.amdhsa_user_sgpr_dispatch_ptr 0
		.amdhsa_user_sgpr_queue_ptr 0
		.amdhsa_user_sgpr_kernarg_segment_ptr 1
		.amdhsa_user_sgpr_dispatch_id 0
		.amdhsa_user_sgpr_kernarg_preload_length 0
		.amdhsa_user_sgpr_kernarg_preload_offset 0
		.amdhsa_user_sgpr_private_segment_size 0
		.amdhsa_uses_dynamic_stack 0
		.amdhsa_enable_private_segment 0
		.amdhsa_system_sgpr_workgroup_id_x 1
		.amdhsa_system_sgpr_workgroup_id_y 0
		.amdhsa_system_sgpr_workgroup_id_z 0
		.amdhsa_system_sgpr_workgroup_info 0
		.amdhsa_system_vgpr_workitem_id 0
		.amdhsa_next_free_vgpr 42
		.amdhsa_next_free_sgpr 26
		.amdhsa_accum_offset 44
		.amdhsa_reserve_vcc 1
		.amdhsa_float_round_mode_32 0
		.amdhsa_float_round_mode_16_64 0
		.amdhsa_float_denorm_mode_32 3
		.amdhsa_float_denorm_mode_16_64 3
		.amdhsa_dx10_clamp 1
		.amdhsa_ieee_mode 1
		.amdhsa_fp16_overflow 0
		.amdhsa_tg_split 0
		.amdhsa_exception_fp_ieee_invalid_op 0
		.amdhsa_exception_fp_denorm_src 0
		.amdhsa_exception_fp_ieee_div_zero 0
		.amdhsa_exception_fp_ieee_overflow 0
		.amdhsa_exception_fp_ieee_underflow 0
		.amdhsa_exception_fp_ieee_inexact 0
		.amdhsa_exception_int_div_zero 0
	.end_amdhsa_kernel
	.section	.text._ZL22rocblas_gemvtsm_kernelILb1ELi256EPKddKPdEviiT2_lPKT1_lilS7_lilS4_lPT3_lil,"axG",@progbits,_ZL22rocblas_gemvtsm_kernelILb1ELi256EPKddKPdEviiT2_lPKT1_lilS7_lilS4_lPT3_lil,comdat
.Lfunc_end279:
	.size	_ZL22rocblas_gemvtsm_kernelILb1ELi256EPKddKPdEviiT2_lPKT1_lilS7_lilS4_lPT3_lil, .Lfunc_end279-_ZL22rocblas_gemvtsm_kernelILb1ELi256EPKddKPdEviiT2_lPKT1_lilS7_lilS4_lPT3_lil
                                        ; -- End function
	.section	.AMDGPU.csdata,"",@progbits
; Kernel info:
; codeLenInByte = 1184
; NumSgprs: 32
; NumVgprs: 42
; NumAgprs: 0
; TotalNumVgprs: 42
; ScratchSize: 0
; MemoryBound: 0
; FloatMode: 240
; IeeeMode: 1
; LDSByteSize: 512 bytes/workgroup (compile time only)
; SGPRBlocks: 3
; VGPRBlocks: 5
; NumSGPRsForWavesPerEU: 32
; NumVGPRsForWavesPerEU: 42
; AccumOffset: 44
; Occupancy: 8
; WaveLimiterHint : 1
; COMPUTE_PGM_RSRC2:SCRATCH_EN: 0
; COMPUTE_PGM_RSRC2:USER_SGPR: 2
; COMPUTE_PGM_RSRC2:TRAP_HANDLER: 0
; COMPUTE_PGM_RSRC2:TGID_X_EN: 1
; COMPUTE_PGM_RSRC2:TGID_Y_EN: 0
; COMPUTE_PGM_RSRC2:TGID_Z_EN: 0
; COMPUTE_PGM_RSRC2:TIDIG_COMP_CNT: 0
; COMPUTE_PGM_RSRC3_GFX90A:ACCUM_OFFSET: 10
; COMPUTE_PGM_RSRC3_GFX90A:TG_SPLIT: 0
	.section	.text._ZL23rocblas_gemvt_sn_kernelILb1ELi256ELi4EiPKdS1_dEviiT4_lPKT3_lilS5_lilPT5_i,"axG",@progbits,_ZL23rocblas_gemvt_sn_kernelILb1ELi256ELi4EiPKdS1_dEviiT4_lPKT3_lilS5_lilPT5_i,comdat
	.globl	_ZL23rocblas_gemvt_sn_kernelILb1ELi256ELi4EiPKdS1_dEviiT4_lPKT3_lilS5_lilPT5_i ; -- Begin function _ZL23rocblas_gemvt_sn_kernelILb1ELi256ELi4EiPKdS1_dEviiT4_lPKT3_lilS5_lilPT5_i
	.p2align	8
	.type	_ZL23rocblas_gemvt_sn_kernelILb1ELi256ELi4EiPKdS1_dEviiT4_lPKT3_lilS5_lilPT5_i,@function
_ZL23rocblas_gemvt_sn_kernelILb1ELi256ELi4EiPKdS1_dEviiT4_lPKT3_lilS5_lilPT5_i: ; @_ZL23rocblas_gemvt_sn_kernelILb1ELi256ELi4EiPKdS1_dEviiT4_lPKT3_lilS5_lilPT5_i
; %bb.0:
	s_load_dwordx8 s[4:11], s[0:1], 0x8
	s_mov_b32 s12, s3
	s_mov_b32 s13, 0
	s_mov_b64 s[24:25], 0
	s_waitcnt lgkmcnt(0)
	s_mul_i32 s3, s3, s7
	s_mul_hi_u32 s7, s12, s6
	s_add_i32 s7, s7, s3
	s_mul_i32 s6, s12, s6
	s_lshl_b64 s[6:7], s[6:7], 3
	s_add_u32 s4, s4, s6
	s_addc_u32 s5, s5, s7
	s_load_dwordx2 s[22:23], s[4:5], 0x0
	s_mov_b64 s[4:5], 0
	s_waitcnt lgkmcnt(0)
	v_cmp_eq_f64_e64 s[6:7], s[22:23], 0
	v_cmp_neq_f64_e64 s[14:15], s[22:23], 0
	s_and_b64 vcc, exec, s[6:7]
	s_cbranch_vccnz .LBB280_2
; %bb.1:
	s_lshl_b64 s[4:5], s[12:13], 3
	s_add_u32 s4, s8, s4
	s_addc_u32 s5, s9, s5
	s_load_dwordx2 s[4:5], s[4:5], 0x0
	s_lshl_b64 s[8:9], s[10:11], 3
	s_waitcnt lgkmcnt(0)
	s_add_u32 s4, s4, s8
	s_addc_u32 s5, s5, s9
.LBB280_2:
	s_andn2_b64 vcc, exec, s[14:15]
	s_cbranch_vccnz .LBB280_4
; %bb.3:
	s_load_dwordx4 s[8:11], s[0:1], 0x38
	s_lshl_b64 s[14:15], s[12:13], 3
	s_waitcnt lgkmcnt(0)
	s_add_u32 s8, s8, s14
	s_addc_u32 s9, s9, s15
	s_load_dwordx2 s[8:9], s[8:9], 0x0
	s_lshl_b64 s[10:11], s[10:11], 3
	s_waitcnt lgkmcnt(0)
	s_add_u32 s24, s8, s10
	s_addc_u32 s25, s9, s11
.LBB280_4:
	s_load_dwordx2 s[26:27], s[0:1], 0x0
	s_load_dwordx2 s[8:9], s[0:1], 0x58
	s_load_dword s28, s[0:1], 0x68
	s_mov_b32 s29, 0
	s_waitcnt lgkmcnt(0)
	s_ashr_i32 s13, s27, 31
	s_mul_hi_u32 s3, s27, s12
	s_mul_i32 s10, s13, s12
	s_add_i32 s3, s3, s10
	s_mul_i32 s10, s27, s12
	s_mul_i32 s3, s3, s28
	s_mul_hi_u32 s11, s10, s28
	s_add_i32 s11, s11, s3
	s_mul_i32 s10, s10, s28
	s_lshl_b64 s[10:11], s[10:11], 3
	s_add_u32 s50, s8, s10
	s_addc_u32 s51, s9, s11
	s_andn2_b64 vcc, exec, s[6:7]
	s_mov_b64 s[6:7], -1
	s_cbranch_vccnz .LBB280_9
; %bb.5:
	s_cmp_gt_i32 s27, 0
	v_cmp_eq_u32_e32 vcc, 0, v0
	s_cselect_b64 s[6:7], -1, 0
	s_and_b64 s[8:9], vcc, s[6:7]
	s_and_saveexec_b64 s[6:7], s[8:9]
	s_cbranch_execz .LBB280_8
; %bb.6:
	s_mov_b32 s3, 0
	s_lshl_b64 s[8:9], s[2:3], 3
	s_add_u32 s8, s50, s8
	v_mov_b32_e32 v2, 0
	s_addc_u32 s9, s51, s9
	s_lshl_b64 s[10:11], s[28:29], 3
	v_mov_b32_e32 v3, v2
	s_mov_b32 s3, s27
.LBB280_7:                              ; =>This Inner Loop Header: Depth=1
	s_add_i32 s3, s3, -1
	global_store_dwordx2 v2, v[2:3], s[8:9]
	s_add_u32 s8, s8, s10
	s_addc_u32 s9, s9, s11
	s_cmp_eq_u32 s3, 0
	s_cbranch_scc0 .LBB280_7
.LBB280_8:
	s_or_b64 exec, exec, s[6:7]
	s_mov_b64 s[6:7], 0
.LBB280_9:
	s_andn2_b64 vcc, exec, s[6:7]
	s_cbranch_vccnz .LBB280_83
; %bb.10:
	s_load_dword s30, s[0:1], 0x28
	s_load_dword s29, s[0:1], 0x48
	s_lshl_b32 s0, s2, 10
	v_lshl_or_b32 v2, v0, 2, s0
	s_lshr_b32 s0, s13, 30
	s_add_i32 s0, s27, s0
	s_and_b32 s3, s0, -4
	s_ashr_i32 s0, s26, 31
	s_lshr_b32 s0, s0, 30
	s_add_i32 s0, s26, s0
	s_and_b32 s0, s0, -4
	v_ashrrev_i32_e32 v3, 31, v2
	s_sub_i32 s33, s26, s0
	v_lshl_add_u64 v[10:11], v[2:3], 3, s[4:5]
	s_cmp_lt_i32 s3, 1
	v_add_u32_e32 v37, 4, v2
	v_add_u32_e32 v38, s33, v2
	v_and_b32_e32 v1, 63, v0
	v_cmp_gt_u32_e64 s[0:1], 64, v0
	v_mbcnt_lo_u32_b32 v36, -1, 0
	v_cmp_gt_u32_e64 s[4:5], 4, v0
	v_lshrrev_b32_e32 v13, 3, v0
	v_cmp_eq_u32_e64 s[6:7], 0, v0
	s_waitcnt lgkmcnt(0)
	v_mul_lo_u32 v12, v2, s29
	s_cbranch_scc1 .LBB280_58
; %bb.11:
	v_mbcnt_hi_u32_b32 v3, -1, v36
	v_and_b32_e32 v4, 63, v3
	v_cmp_gt_u32_e32 vcc, 32, v4
	v_mul_lo_u32 v14, v2, s29
	v_add_u32_e32 v2, s29, v14
	v_cndmask_b32_e64 v5, 0, 1, vcc
	v_lshlrev_b32_e32 v5, 5, v5
	v_cmp_gt_u32_e32 vcc, 48, v4
	v_add_lshl_u32 v39, v5, v3, 2
	s_mov_b32 s35, 0
	v_cndmask_b32_e64 v5, 0, 1, vcc
	v_lshlrev_b32_e32 v5, 4, v5
	v_cmp_gt_u32_e32 vcc, 56, v4
	v_add_lshl_u32 v40, v5, v3, 2
	s_cmp_gt_i32 s33, 0
	v_cndmask_b32_e64 v5, 0, 1, vcc
	v_lshlrev_b32_e32 v5, 3, v5
	v_cmp_gt_u32_e32 vcc, 60, v4
	v_add_lshl_u32 v41, v5, v3, 2
	s_cselect_b64 s[36:37], -1, 0
	v_cndmask_b32_e64 v5, 0, 1, vcc
	v_lshlrev_b32_e32 v5, 2, v5
	v_cmp_gt_u32_e32 vcc, 62, v4
	v_add_lshl_u32 v42, v5, v3, 2
	v_ashrrev_i32_e32 v15, 31, v14
	v_cndmask_b32_e64 v5, 0, 1, vcc
	v_lshlrev_b32_e32 v5, 1, v5
	v_cmp_ne_u32_e32 vcc, 63, v4
	v_add_lshl_u32 v43, v5, v3, 2
	s_mov_b32 s31, s35
	v_addc_co_u32_e32 v3, vcc, 0, v3, vcc
	v_lshlrev_b32_e32 v44, 2, v3
	v_ashrrev_i32_e32 v3, 31, v2
	v_lshl_add_u64 v[18:19], v[2:3], 3, s[24:25]
	v_add_u32_e32 v2, s29, v2
	v_ashrrev_i32_e32 v3, 31, v2
	v_lshl_add_u64 v[20:21], v[2:3], 3, s[24:25]
	v_add_u32_e32 v2, s29, v2
	v_ashrrev_i32_e32 v3, 31, v2
	s_lshl_b32 s34, s30, 1
	v_cmp_ge_i32_e64 s[8:9], s26, v37
	v_cmp_ge_i32_e64 s[10:11], s26, v38
	v_cmp_eq_u32_e64 s[12:13], 0, v1
	v_lshlrev_b32_e32 v45, 3, v1
	v_and_b32_e32 v46, 24, v13
	v_lshl_add_u64 v[16:17], v[14:15], 3, s[24:25]
	v_lshl_add_u64 v[22:23], v[2:3], 3, s[24:25]
	s_lshl_b32 s52, s30, 2
	s_mul_i32 s53, s30, 3
	s_mov_b32 s54, s35
	v_mov_b32_e32 v24, 0
	s_mov_b32 s38, s35
	s_mov_b64 s[40:41], s[34:35]
	s_mov_b64 s[42:43], s[30:31]
	s_mov_b32 s31, 0
                                        ; implicit-def: $vgpr2_vgpr3_vgpr4_vgpr5_vgpr6_vgpr7_vgpr8_vgpr9
	s_branch .LBB280_13
.LBB280_12:                             ;   in Loop: Header=BB280_13 Depth=1
	s_or_b64 exec, exec, s[14:15]
	s_add_i32 s31, s31, 4
	s_add_u32 s42, s42, s52
	s_addc_u32 s43, s43, 0
	s_add_u32 s40, s40, s52
	s_addc_u32 s41, s41, 0
	;; [unrolled: 2-line block ×3, first 2 shown]
	s_add_i32 s38, s38, s52
	s_cmp_ge_i32 s31, s3
	s_cbranch_scc1 .LBB280_59
.LBB280_13:                             ; =>This Loop Header: Depth=1
                                        ;     Child Loop BB280_44 Depth 2
                                        ;     Child Loop BB280_47 Depth 2
                                        ; implicit-def: $vgpr26_vgpr27
                                        ; implicit-def: $vgpr28_vgpr29
                                        ; implicit-def: $vgpr32_vgpr33
                                        ; implicit-def: $vgpr30_vgpr31
	s_and_saveexec_b64 s[14:15], s[8:9]
	s_xor_b64 s[14:15], exec, s[14:15]
	s_cbranch_execnz .LBB280_40
; %bb.14:                               ;   in Loop: Header=BB280_13 Depth=1
	s_andn2_saveexec_b64 s[44:45], s[14:15]
	s_cbranch_execnz .LBB280_41
.LBB280_15:                             ;   in Loop: Header=BB280_13 Depth=1
	s_or_b64 exec, exec, s[44:45]
	s_and_saveexec_b64 s[14:15], s[0:1]
	s_cbranch_execz .LBB280_17
.LBB280_16:                             ;   in Loop: Header=BB280_13 Depth=1
	v_mov_b32_e32 v25, v24
	ds_write_b64 v45, v[24:25]
.LBB280_17:                             ;   in Loop: Header=BB280_13 Depth=1
	s_or_b64 exec, exec, s[14:15]
	ds_bpermute_b32 v34, v39, v30
	ds_bpermute_b32 v35, v39, v31
	s_waitcnt lgkmcnt(0)
	s_barrier
	v_add_f64 v[30:31], v[30:31], v[34:35]
	ds_bpermute_b32 v34, v40, v30
	ds_bpermute_b32 v35, v40, v31
	s_waitcnt lgkmcnt(0)
	v_add_f64 v[30:31], v[30:31], v[34:35]
	ds_bpermute_b32 v34, v41, v30
	ds_bpermute_b32 v35, v41, v31
	s_waitcnt lgkmcnt(0)
	;; [unrolled: 4-line block ×4, first 2 shown]
	v_add_f64 v[30:31], v[30:31], v[34:35]
	ds_bpermute_b32 v34, v44, v30
	ds_bpermute_b32 v35, v44, v31
	s_and_saveexec_b64 s[14:15], s[12:13]
	s_cbranch_execz .LBB280_19
; %bb.18:                               ;   in Loop: Header=BB280_13 Depth=1
	s_waitcnt lgkmcnt(0)
	v_add_f64 v[30:31], v[30:31], v[34:35]
	ds_write_b64 v46, v[30:31]
.LBB280_19:                             ;   in Loop: Header=BB280_13 Depth=1
	s_or_b64 exec, exec, s[14:15]
	v_mov_b64_e32 v[30:31], 0
	s_waitcnt lgkmcnt(0)
	s_barrier
	s_and_saveexec_b64 s[14:15], s[4:5]
	s_cbranch_execnz .LBB280_49
; %bb.20:                               ;   in Loop: Header=BB280_13 Depth=1
	s_or_b64 exec, exec, s[14:15]
	s_and_saveexec_b64 s[14:15], s[0:1]
	s_cbranch_execnz .LBB280_50
.LBB280_21:                             ;   in Loop: Header=BB280_13 Depth=1
	s_or_b64 exec, exec, s[14:15]
	s_and_saveexec_b64 s[14:15], s[0:1]
	s_cbranch_execz .LBB280_23
.LBB280_22:                             ;   in Loop: Header=BB280_13 Depth=1
	v_mov_b32_e32 v25, v24
	ds_write_b64 v45, v[24:25]
.LBB280_23:                             ;   in Loop: Header=BB280_13 Depth=1
	s_or_b64 exec, exec, s[14:15]
	ds_bpermute_b32 v34, v39, v32
	ds_bpermute_b32 v35, v39, v33
	s_waitcnt lgkmcnt(0)
	s_barrier
	v_add_f64 v[32:33], v[32:33], v[34:35]
	ds_bpermute_b32 v34, v40, v32
	ds_bpermute_b32 v35, v40, v33
	s_waitcnt lgkmcnt(0)
	v_add_f64 v[32:33], v[32:33], v[34:35]
	ds_bpermute_b32 v34, v41, v32
	ds_bpermute_b32 v35, v41, v33
	s_waitcnt lgkmcnt(0)
	;; [unrolled: 4-line block ×4, first 2 shown]
	v_add_f64 v[32:33], v[32:33], v[34:35]
	ds_bpermute_b32 v34, v44, v32
	ds_bpermute_b32 v35, v44, v33
	s_and_saveexec_b64 s[14:15], s[12:13]
	s_cbranch_execz .LBB280_25
; %bb.24:                               ;   in Loop: Header=BB280_13 Depth=1
	s_waitcnt lgkmcnt(0)
	v_add_f64 v[32:33], v[32:33], v[34:35]
	ds_write_b64 v46, v[32:33]
.LBB280_25:                             ;   in Loop: Header=BB280_13 Depth=1
	s_or_b64 exec, exec, s[14:15]
	v_mov_b64_e32 v[32:33], 0
	s_waitcnt lgkmcnt(0)
	s_barrier
	s_and_saveexec_b64 s[14:15], s[4:5]
	s_cbranch_execnz .LBB280_51
; %bb.26:                               ;   in Loop: Header=BB280_13 Depth=1
	s_or_b64 exec, exec, s[14:15]
	s_and_saveexec_b64 s[14:15], s[0:1]
	s_cbranch_execnz .LBB280_52
.LBB280_27:                             ;   in Loop: Header=BB280_13 Depth=1
	s_or_b64 exec, exec, s[14:15]
	s_and_saveexec_b64 s[14:15], s[0:1]
	s_cbranch_execz .LBB280_29
.LBB280_28:                             ;   in Loop: Header=BB280_13 Depth=1
	v_mov_b32_e32 v25, v24
	ds_write_b64 v45, v[24:25]
.LBB280_29:                             ;   in Loop: Header=BB280_13 Depth=1
	s_or_b64 exec, exec, s[14:15]
	ds_bpermute_b32 v34, v39, v28
	ds_bpermute_b32 v35, v39, v29
	s_waitcnt lgkmcnt(0)
	s_barrier
	v_add_f64 v[28:29], v[28:29], v[34:35]
	ds_bpermute_b32 v34, v40, v28
	ds_bpermute_b32 v35, v40, v29
	s_waitcnt lgkmcnt(0)
	v_add_f64 v[28:29], v[28:29], v[34:35]
	ds_bpermute_b32 v34, v41, v28
	ds_bpermute_b32 v35, v41, v29
	s_waitcnt lgkmcnt(0)
	;; [unrolled: 4-line block ×4, first 2 shown]
	v_add_f64 v[28:29], v[28:29], v[34:35]
	ds_bpermute_b32 v34, v44, v28
	ds_bpermute_b32 v35, v44, v29
	s_and_saveexec_b64 s[14:15], s[12:13]
	s_cbranch_execz .LBB280_31
; %bb.30:                               ;   in Loop: Header=BB280_13 Depth=1
	s_waitcnt lgkmcnt(0)
	v_add_f64 v[28:29], v[28:29], v[34:35]
	ds_write_b64 v46, v[28:29]
.LBB280_31:                             ;   in Loop: Header=BB280_13 Depth=1
	s_or_b64 exec, exec, s[14:15]
	v_mov_b64_e32 v[28:29], 0
	s_waitcnt lgkmcnt(0)
	s_barrier
	s_and_saveexec_b64 s[14:15], s[4:5]
	s_cbranch_execnz .LBB280_53
; %bb.32:                               ;   in Loop: Header=BB280_13 Depth=1
	s_or_b64 exec, exec, s[14:15]
	s_and_saveexec_b64 s[14:15], s[0:1]
	s_cbranch_execnz .LBB280_54
.LBB280_33:                             ;   in Loop: Header=BB280_13 Depth=1
	s_or_b64 exec, exec, s[14:15]
	s_and_saveexec_b64 s[14:15], s[0:1]
	s_cbranch_execz .LBB280_35
.LBB280_34:                             ;   in Loop: Header=BB280_13 Depth=1
	v_mov_b32_e32 v25, v24
	ds_write_b64 v45, v[24:25]
.LBB280_35:                             ;   in Loop: Header=BB280_13 Depth=1
	s_or_b64 exec, exec, s[14:15]
	ds_bpermute_b32 v34, v39, v26
	ds_bpermute_b32 v35, v39, v27
	s_waitcnt lgkmcnt(0)
	s_barrier
	v_add_f64 v[26:27], v[26:27], v[34:35]
	ds_bpermute_b32 v34, v40, v26
	ds_bpermute_b32 v35, v40, v27
	s_waitcnt lgkmcnt(0)
	v_add_f64 v[26:27], v[26:27], v[34:35]
	ds_bpermute_b32 v34, v41, v26
	ds_bpermute_b32 v35, v41, v27
	s_waitcnt lgkmcnt(0)
	;; [unrolled: 4-line block ×4, first 2 shown]
	v_add_f64 v[26:27], v[26:27], v[34:35]
	ds_bpermute_b32 v34, v44, v26
	ds_bpermute_b32 v35, v44, v27
	s_and_saveexec_b64 s[14:15], s[12:13]
	s_cbranch_execz .LBB280_37
; %bb.36:                               ;   in Loop: Header=BB280_13 Depth=1
	s_waitcnt lgkmcnt(0)
	v_add_f64 v[26:27], v[26:27], v[34:35]
	ds_write_b64 v46, v[26:27]
.LBB280_37:                             ;   in Loop: Header=BB280_13 Depth=1
	s_or_b64 exec, exec, s[14:15]
	v_mov_b64_e32 v[26:27], 0
	s_waitcnt lgkmcnt(0)
	s_barrier
	s_and_saveexec_b64 s[14:15], s[4:5]
	s_cbranch_execnz .LBB280_55
; %bb.38:                               ;   in Loop: Header=BB280_13 Depth=1
	s_or_b64 exec, exec, s[14:15]
	s_and_saveexec_b64 s[14:15], s[0:1]
	s_cbranch_execnz .LBB280_56
.LBB280_39:                             ;   in Loop: Header=BB280_13 Depth=1
	s_or_b64 exec, exec, s[14:15]
	s_and_saveexec_b64 s[14:15], s[6:7]
	s_cbranch_execz .LBB280_12
	s_branch .LBB280_57
.LBB280_40:                             ;   in Loop: Header=BB280_13 Depth=1
	s_mul_i32 s16, s31, s30
	s_ashr_i32 s17, s16, 31
	v_lshl_add_u64 v[30:31], s[16:17], 3, v[10:11]
	s_add_i32 s16, s16, s30
	s_ashr_i32 s17, s16, 31
	v_lshl_add_u64 v[72:73], s[16:17], 3, v[10:11]
	s_add_i32 s16, s16, s30
	s_ashr_i32 s17, s16, 31
	flat_load_dwordx2 v[2:3], v[16:17]
	flat_load_dwordx2 v[4:5], v[18:19]
	;; [unrolled: 1-line block ×3, first 2 shown]
	flat_load_dwordx4 v[32:35], v[72:73]
	v_lshl_add_u64 v[74:75], s[16:17], 3, v[10:11]
	s_waitcnt lgkmcnt(0)
	flat_load_dwordx4 v[26:29], v[30:31]
	flat_load_dwordx4 v[48:51], v[74:75]
	s_add_i32 s16, s16, s30
	s_ashr_i32 s17, s16, 31
	v_lshl_add_u64 v[76:77], s[16:17], 3, v[10:11]
	flat_load_dwordx4 v[52:55], v[30:31] offset:16
	flat_load_dwordx4 v[56:59], v[76:77]
	flat_load_dwordx4 v[60:63], v[72:73] offset:16
	flat_load_dwordx2 v[8:9], v[22:23]
	flat_load_dwordx4 v[64:67], v[74:75] offset:16
	flat_load_dwordx4 v[68:71], v[76:77] offset:16
	s_waitcnt vmcnt(0) lgkmcnt(0)
	v_fma_f64 v[32:33], v[2:3], v[32:33], 0
	v_fma_f64 v[30:31], v[2:3], v[26:27], 0
	v_fmac_f64_e32 v[30:31], v[4:5], v[28:29]
	v_fma_f64 v[28:29], v[2:3], v[48:49], 0
	v_fma_f64 v[26:27], v[2:3], v[56:57], 0
	v_fmac_f64_e32 v[32:33], v[4:5], v[34:35]
	v_fmac_f64_e32 v[28:29], v[4:5], v[50:51]
	;; [unrolled: 1-line block ×11, first 2 shown]
	s_andn2_saveexec_b64 s[44:45], s[14:15]
	s_cbranch_execz .LBB280_15
.LBB280_41:                             ;   in Loop: Header=BB280_13 Depth=1
	s_waitcnt lgkmcnt(0)
	v_mov_b64_e32 v[26:27], 0
	v_mov_b64_e32 v[28:29], v[26:27]
	;; [unrolled: 1-line block ×4, first 2 shown]
	s_and_saveexec_b64 s[46:47], s[10:11]
	s_cbranch_execz .LBB280_48
; %bb.42:                               ;   in Loop: Header=BB280_13 Depth=1
	v_cndmask_b32_e64 v15, 0, 1, s[36:37]
	v_cmp_ne_u32_e64 s[14:15], 1, v15
	s_andn2_b64 vcc, exec, s[36:37]
	s_cbranch_vccnz .LBB280_45
; %bb.43:                               ;   in Loop: Header=BB280_13 Depth=1
	s_mov_b64 s[48:49], 0
	v_mov_b32_e32 v26, v14
.LBB280_44:                             ;   Parent Loop BB280_13 Depth=1
                                        ; =>  This Inner Loop Header: Depth=2
	v_ashrrev_i32_e32 v27, 31, v26
	v_lshl_add_u64 v[28:29], v[26:27], 3, s[24:25]
	flat_load_dwordx2 v[28:29], v[28:29]
	s_cmp_eq_u32 s48, 3
	s_cselect_b64 vcc, -1, 0
	s_cmp_eq_u32 s48, 2
	s_cselect_b64 s[16:17], -1, 0
	s_cmp_eq_u32 s48, 1
	s_cselect_b64 s[18:19], -1, 0
	;; [unrolled: 2-line block ×3, first 2 shown]
	s_add_u32 s48, s48, 1
	s_addc_u32 s49, s49, 0
	v_add_u32_e32 v26, s29, v26
	s_cmp_eq_u32 s33, s48
	s_waitcnt vmcnt(0) lgkmcnt(0)
	v_cndmask_b32_e32 v9, v9, v29, vcc
	v_cndmask_b32_e32 v8, v8, v28, vcc
	v_cndmask_b32_e64 v7, v7, v29, s[16:17]
	v_cndmask_b32_e64 v6, v6, v28, s[16:17]
	v_cndmask_b32_e64 v5, v5, v29, s[18:19]
	v_cndmask_b32_e64 v4, v4, v28, s[18:19]
	v_cndmask_b32_e64 v3, v3, v29, s[20:21]
	v_cndmask_b32_e64 v2, v2, v28, s[20:21]
	s_cbranch_scc0 .LBB280_44
.LBB280_45:                             ;   in Loop: Header=BB280_13 Depth=1
	v_mov_b64_e32 v[26:27], 0
	s_and_b64 vcc, exec, s[14:15]
	v_mov_b64_e32 v[28:29], v[26:27]
	v_mov_b64_e32 v[32:33], v[26:27]
	;; [unrolled: 1-line block ×3, first 2 shown]
	s_cbranch_vccnz .LBB280_48
; %bb.46:                               ;   in Loop: Header=BB280_13 Depth=1
	s_ashr_i32 s39, s38, 31
	v_mov_b64_e32 v[30:31], 0
	v_lshl_add_u64 v[34:35], s[38:39], 3, v[10:11]
	s_mov_b64 s[18:19], 0
	v_mov_b64_e32 v[32:33], v[30:31]
	v_mov_b64_e32 v[28:29], v[30:31]
	v_mov_b64_e32 v[26:27], v[30:31]
.LBB280_47:                             ;   Parent Loop BB280_13 Depth=1
                                        ; =>  This Inner Loop Header: Depth=2
	s_cmp_eq_u32 s18, 1
	s_cselect_b64 vcc, -1, 0
	s_cmp_eq_u32 s18, 2
	s_cselect_b64 s[14:15], -1, 0
	s_cmp_eq_u32 s18, 3
	s_cselect_b64 s[16:17], -1, 0
	s_add_i32 s20, s42, s18
	s_add_i32 s48, s40, s18
	;; [unrolled: 1-line block ×3, first 2 shown]
	s_ashr_i32 s21, s20, 31
	s_ashr_i32 s49, s48, 31
	;; [unrolled: 1-line block ×3, first 2 shown]
	v_lshl_add_u64 v[50:51], s[20:21], 3, v[10:11]
	v_lshl_add_u64 v[52:53], s[48:49], 3, v[10:11]
	;; [unrolled: 1-line block ×3, first 2 shown]
	flat_load_dwordx2 v[48:49], v[34:35]
	s_nop 0
	flat_load_dwordx2 v[50:51], v[50:51]
	s_nop 0
	;; [unrolled: 2-line block ×3, first 2 shown]
	flat_load_dwordx2 v[54:55], v[54:55]
	v_cndmask_b32_e32 v15, v3, v5, vcc
	v_cndmask_b32_e64 v15, v15, v7, s[14:15]
	v_cndmask_b32_e32 v25, v2, v4, vcc
	v_cndmask_b32_e64 v57, v15, v9, s[16:17]
	v_cndmask_b32_e64 v15, v25, v6, s[14:15]
	s_add_u32 s18, s18, 1
	v_cndmask_b32_e64 v56, v15, v8, s[16:17]
	s_addc_u32 s19, s19, 0
	v_lshl_add_u64 v[34:35], v[34:35], 0, 8
	s_cmp_lg_u32 s33, s18
	s_waitcnt vmcnt(0) lgkmcnt(0)
	v_fmac_f64_e32 v[32:33], v[56:57], v[50:51]
	v_fmac_f64_e32 v[30:31], v[56:57], v[48:49]
	;; [unrolled: 1-line block ×4, first 2 shown]
	s_cbranch_scc1 .LBB280_47
.LBB280_48:                             ;   in Loop: Header=BB280_13 Depth=1
	s_or_b64 exec, exec, s[46:47]
	s_or_b64 exec, exec, s[44:45]
	s_and_saveexec_b64 s[14:15], s[0:1]
	s_cbranch_execnz .LBB280_16
	s_branch .LBB280_17
.LBB280_49:                             ;   in Loop: Header=BB280_13 Depth=1
	ds_read_b64 v[30:31], v45
	s_or_b64 exec, exec, s[14:15]
	s_and_saveexec_b64 s[14:15], s[0:1]
	s_cbranch_execz .LBB280_21
.LBB280_50:                             ;   in Loop: Header=BB280_13 Depth=1
	s_waitcnt lgkmcnt(0)
	ds_bpermute_b32 v34, v43, v30
	ds_bpermute_b32 v35, v43, v31
	s_waitcnt lgkmcnt(0)
	v_add_f64 v[30:31], v[30:31], v[34:35]
	ds_bpermute_b32 v34, v44, v30
	ds_bpermute_b32 v35, v44, v31
	s_waitcnt lgkmcnt(0)
	v_add_f64 v[30:31], v[30:31], v[34:35]
	s_or_b64 exec, exec, s[14:15]
	s_and_saveexec_b64 s[14:15], s[0:1]
	s_cbranch_execnz .LBB280_22
	s_branch .LBB280_23
.LBB280_51:                             ;   in Loop: Header=BB280_13 Depth=1
	ds_read_b64 v[32:33], v45
	s_or_b64 exec, exec, s[14:15]
	s_and_saveexec_b64 s[14:15], s[0:1]
	s_cbranch_execz .LBB280_27
.LBB280_52:                             ;   in Loop: Header=BB280_13 Depth=1
	s_waitcnt lgkmcnt(0)
	ds_bpermute_b32 v34, v43, v32
	ds_bpermute_b32 v35, v43, v33
	s_waitcnt lgkmcnt(0)
	v_add_f64 v[32:33], v[32:33], v[34:35]
	ds_bpermute_b32 v34, v44, v32
	ds_bpermute_b32 v35, v44, v33
	s_waitcnt lgkmcnt(0)
	v_add_f64 v[32:33], v[32:33], v[34:35]
	s_or_b64 exec, exec, s[14:15]
	s_and_saveexec_b64 s[14:15], s[0:1]
	s_cbranch_execnz .LBB280_28
	s_branch .LBB280_29
.LBB280_53:                             ;   in Loop: Header=BB280_13 Depth=1
	ds_read_b64 v[28:29], v45
	s_or_b64 exec, exec, s[14:15]
	s_and_saveexec_b64 s[14:15], s[0:1]
	s_cbranch_execz .LBB280_33
.LBB280_54:                             ;   in Loop: Header=BB280_13 Depth=1
	s_waitcnt lgkmcnt(0)
	ds_bpermute_b32 v34, v43, v28
	ds_bpermute_b32 v35, v43, v29
	s_waitcnt lgkmcnt(0)
	v_add_f64 v[28:29], v[28:29], v[34:35]
	ds_bpermute_b32 v34, v44, v28
	ds_bpermute_b32 v35, v44, v29
	s_waitcnt lgkmcnt(0)
	v_add_f64 v[28:29], v[28:29], v[34:35]
	s_or_b64 exec, exec, s[14:15]
	s_and_saveexec_b64 s[14:15], s[0:1]
	s_cbranch_execnz .LBB280_34
	s_branch .LBB280_35
.LBB280_55:                             ;   in Loop: Header=BB280_13 Depth=1
	ds_read_b64 v[26:27], v45
	s_or_b64 exec, exec, s[14:15]
	s_and_saveexec_b64 s[14:15], s[0:1]
	s_cbranch_execz .LBB280_39
.LBB280_56:                             ;   in Loop: Header=BB280_13 Depth=1
	s_waitcnt lgkmcnt(0)
	ds_bpermute_b32 v34, v43, v26
	ds_bpermute_b32 v35, v43, v27
	s_waitcnt lgkmcnt(0)
	v_add_f64 v[26:27], v[26:27], v[34:35]
	ds_bpermute_b32 v34, v44, v26
	ds_bpermute_b32 v35, v44, v27
	s_waitcnt lgkmcnt(0)
	v_add_f64 v[26:27], v[26:27], v[34:35]
	s_or_b64 exec, exec, s[14:15]
	s_and_saveexec_b64 s[14:15], s[6:7]
	s_cbranch_execz .LBB280_12
.LBB280_57:                             ;   in Loop: Header=BB280_13 Depth=1
	s_mul_i32 s16, s31, s28
	s_add_i32 s34, s16, s2
	s_lshl_b64 s[16:17], s[34:35], 3
	s_add_u32 s16, s50, s16
	v_mul_f64 v[30:31], s[22:23], v[30:31]
	s_addc_u32 s17, s51, s17
	s_add_i32 s34, s34, s28
	global_store_dwordx2 v24, v[30:31], s[16:17]
	s_lshl_b64 s[16:17], s[34:35], 3
	s_add_u32 s16, s50, s16
	v_mul_f64 v[30:31], s[22:23], v[32:33]
	s_addc_u32 s17, s51, s17
	s_add_i32 s34, s34, s28
	global_store_dwordx2 v24, v[30:31], s[16:17]
	s_lshl_b64 s[16:17], s[34:35], 3
	s_add_u32 s16, s50, s16
	v_mul_f64 v[28:29], s[22:23], v[28:29]
	s_addc_u32 s17, s51, s17
	s_add_i32 s34, s34, s28
	global_store_dwordx2 v24, v[28:29], s[16:17]
	s_lshl_b64 s[16:17], s[34:35], 3
	s_add_u32 s16, s50, s16
	s_waitcnt lgkmcnt(0)
	v_mul_f64 v[26:27], s[22:23], v[26:27]
	s_addc_u32 s17, s51, s17
	global_store_dwordx2 v24, v[26:27], s[16:17]
	s_branch .LBB280_12
.LBB280_58:
	s_mov_b32 s31, 0
                                        ; implicit-def: $vgpr2_vgpr3_vgpr4_vgpr5_vgpr6_vgpr7_vgpr8_vgpr9
.LBB280_59:
	s_cmp_ge_i32 s31, s27
	s_cbranch_scc1 .LBB280_83
; %bb.60:
	v_mbcnt_hi_u32_b32 v14, -1, v36
	v_and_b32_e32 v15, 63, v14
	v_cmp_gt_u32_e32 vcc, 32, v15
	s_mov_b32 s3, 0
	s_cmp_gt_i32 s33, 0
	v_cndmask_b32_e64 v16, 0, 1, vcc
	v_lshlrev_b32_e32 v16, 5, v16
	v_cmp_gt_u32_e32 vcc, 48, v15
	s_waitcnt lgkmcnt(0)
	v_add_lshl_u32 v27, v16, v14, 2
	s_cselect_b64 s[34:35], -1, 0
	v_cndmask_b32_e64 v16, 0, 1, vcc
	v_lshlrev_b32_e32 v16, 4, v16
	v_cmp_gt_u32_e32 vcc, 56, v15
	v_add_lshl_u32 v28, v16, v14, 2
	s_lshl_b64 s[14:15], s[2:3], 3
	v_cndmask_b32_e64 v16, 0, 1, vcc
	v_lshlrev_b32_e32 v16, 3, v16
	v_cmp_gt_u32_e32 vcc, 60, v15
	v_add_lshl_u32 v29, v16, v14, 2
	v_and_b32_e32 v33, 24, v13
	v_cndmask_b32_e64 v16, 0, 1, vcc
	v_lshlrev_b32_e32 v16, 2, v16
	v_cmp_gt_u32_e32 vcc, 62, v15
	v_add_lshl_u32 v30, v16, v14, 2
	s_add_u32 s2, s50, s14
	v_cndmask_b32_e64 v16, 0, 1, vcc
	v_lshlrev_b32_e32 v16, 1, v16
	v_add_lshl_u32 v31, v16, v14, 2
	v_add_u32_e32 v16, s29, v12
	v_cmp_ne_u32_e32 vcc, 63, v15
	v_add_u32_e32 v18, s29, v16
	v_ashrrev_i32_e32 v17, 31, v16
	v_addc_co_u32_e32 v14, vcc, 0, v14, vcc
	v_ashrrev_i32_e32 v19, 31, v18
	v_lshlrev_b32_e32 v32, 2, v14
	v_lshl_add_u64 v[14:15], v[16:17], 3, s[24:25]
	v_lshl_add_u64 v[16:17], v[18:19], 3, s[24:25]
	v_add_u32_e32 v18, s29, v18
	v_ashrrev_i32_e32 v13, 31, v12
	v_ashrrev_i32_e32 v19, 31, v18
	v_cmp_ge_i32_e64 s[0:1], s26, v37
	v_cmp_ge_i32_e64 s[4:5], s26, v38
	v_cmp_gt_u32_e64 s[6:7], 64, v0
	v_lshlrev_b32_e32 v26, 3, v1
	v_cmp_eq_u32_e64 s[8:9], 0, v1
	v_cmp_gt_u32_e64 s[10:11], 4, v0
	v_cmp_eq_u32_e64 s[12:13], 0, v0
	s_addc_u32 s26, s51, s15
	v_lshl_add_u64 v[0:1], v[12:13], 3, s[24:25]
	v_lshl_add_u64 v[18:19], v[18:19], 3, s[24:25]
	s_mul_i32 s36, s31, s30
	v_mov_b32_e32 v20, 0
	s_branch .LBB280_62
.LBB280_61:                             ;   in Loop: Header=BB280_62 Depth=1
	s_or_b64 exec, exec, s[14:15]
	s_add_i32 s31, s31, 1
	s_add_i32 s36, s36, s30
	s_cmp_ge_i32 s31, s27
	s_cbranch_scc1 .LBB280_83
.LBB280_62:                             ; =>This Loop Header: Depth=1
                                        ;     Child Loop BB280_75 Depth 2
                                        ;     Child Loop BB280_78 Depth 2
	s_waitcnt lgkmcnt(0)
	v_mov_b32_e32 v22, s3
	v_mov_b32_e32 v23, s3
	s_and_saveexec_b64 s[14:15], s[0:1]
	s_xor_b64 s[14:15], exec, s[14:15]
	s_cbranch_execnz .LBB280_71
; %bb.63:                               ;   in Loop: Header=BB280_62 Depth=1
	s_andn2_saveexec_b64 s[38:39], s[14:15]
	s_cbranch_execnz .LBB280_72
.LBB280_64:                             ;   in Loop: Header=BB280_62 Depth=1
	s_or_b64 exec, exec, s[38:39]
	s_and_saveexec_b64 s[14:15], s[6:7]
	s_cbranch_execz .LBB280_66
.LBB280_65:                             ;   in Loop: Header=BB280_62 Depth=1
	v_mov_b32_e32 v21, v20
	ds_write_b64 v26, v[20:21]
.LBB280_66:                             ;   in Loop: Header=BB280_62 Depth=1
	s_or_b64 exec, exec, s[14:15]
	ds_bpermute_b32 v24, v27, v22
	ds_bpermute_b32 v25, v27, v23
	s_waitcnt lgkmcnt(0)
	s_barrier
	v_add_f64 v[22:23], v[22:23], v[24:25]
	ds_bpermute_b32 v24, v28, v22
	ds_bpermute_b32 v25, v28, v23
	s_waitcnt lgkmcnt(0)
	v_add_f64 v[22:23], v[22:23], v[24:25]
	ds_bpermute_b32 v24, v29, v22
	ds_bpermute_b32 v25, v29, v23
	s_waitcnt lgkmcnt(0)
	;; [unrolled: 4-line block ×4, first 2 shown]
	v_add_f64 v[22:23], v[22:23], v[24:25]
	ds_bpermute_b32 v24, v32, v22
	ds_bpermute_b32 v25, v32, v23
	s_and_saveexec_b64 s[14:15], s[8:9]
	s_cbranch_execz .LBB280_68
; %bb.67:                               ;   in Loop: Header=BB280_62 Depth=1
	s_waitcnt lgkmcnt(0)
	v_add_f64 v[22:23], v[22:23], v[24:25]
	ds_write_b64 v33, v[22:23]
.LBB280_68:                             ;   in Loop: Header=BB280_62 Depth=1
	s_or_b64 exec, exec, s[14:15]
	v_mov_b64_e32 v[22:23], 0
	s_waitcnt lgkmcnt(0)
	s_barrier
	s_and_saveexec_b64 s[14:15], s[10:11]
	s_cbranch_execnz .LBB280_80
; %bb.69:                               ;   in Loop: Header=BB280_62 Depth=1
	s_or_b64 exec, exec, s[14:15]
	s_and_saveexec_b64 s[14:15], s[6:7]
	s_cbranch_execnz .LBB280_81
.LBB280_70:                             ;   in Loop: Header=BB280_62 Depth=1
	s_or_b64 exec, exec, s[14:15]
	s_and_saveexec_b64 s[14:15], s[12:13]
	s_cbranch_execz .LBB280_61
	s_branch .LBB280_82
.LBB280_71:                             ;   in Loop: Header=BB280_62 Depth=1
	s_mul_i32 s16, s31, s30
	s_ashr_i32 s17, s16, 31
	v_lshl_add_u64 v[38:39], s[16:17], 3, v[10:11]
	flat_load_dwordx4 v[22:25], v[38:39]
	flat_load_dwordx4 v[34:37], v[38:39] offset:16
	flat_load_dwordx2 v[2:3], v[0:1]
	flat_load_dwordx2 v[4:5], v[14:15]
	;; [unrolled: 1-line block ×4, first 2 shown]
	s_waitcnt vmcnt(0) lgkmcnt(0)
	v_fma_f64 v[22:23], v[2:3], v[22:23], 0
	v_fmac_f64_e32 v[22:23], v[4:5], v[24:25]
	v_fmac_f64_e32 v[22:23], v[6:7], v[34:35]
	;; [unrolled: 1-line block ×3, first 2 shown]
	s_andn2_saveexec_b64 s[38:39], s[14:15]
	s_cbranch_execz .LBB280_64
.LBB280_72:                             ;   in Loop: Header=BB280_62 Depth=1
	s_and_saveexec_b64 s[40:41], s[4:5]
	s_cbranch_execz .LBB280_79
; %bb.73:                               ;   in Loop: Header=BB280_62 Depth=1
	v_cndmask_b32_e64 v13, 0, 1, s[34:35]
	v_cmp_ne_u32_e64 s[14:15], 1, v13
	s_andn2_b64 vcc, exec, s[34:35]
	s_cbranch_vccnz .LBB280_76
; %bb.74:                               ;   in Loop: Header=BB280_62 Depth=1
	s_mov_b64 s[42:43], 0
	v_mov_b32_e32 v24, v12
.LBB280_75:                             ;   Parent Loop BB280_62 Depth=1
                                        ; =>  This Inner Loop Header: Depth=2
	v_ashrrev_i32_e32 v25, 31, v24
	v_lshl_add_u64 v[34:35], v[24:25], 3, s[24:25]
	flat_load_dwordx2 v[34:35], v[34:35]
	s_cmp_eq_u32 s42, 3
	s_cselect_b64 vcc, -1, 0
	s_cmp_eq_u32 s42, 2
	s_cselect_b64 s[16:17], -1, 0
	s_cmp_eq_u32 s42, 1
	s_cselect_b64 s[18:19], -1, 0
	;; [unrolled: 2-line block ×3, first 2 shown]
	s_add_u32 s42, s42, 1
	s_addc_u32 s43, s43, 0
	v_add_u32_e32 v24, s29, v24
	s_cmp_eq_u32 s33, s42
	s_waitcnt vmcnt(0) lgkmcnt(0)
	v_cndmask_b32_e32 v9, v9, v35, vcc
	v_cndmask_b32_e32 v8, v8, v34, vcc
	v_cndmask_b32_e64 v7, v7, v35, s[16:17]
	v_cndmask_b32_e64 v6, v6, v34, s[16:17]
	;; [unrolled: 1-line block ×6, first 2 shown]
	s_cbranch_scc0 .LBB280_75
.LBB280_76:                             ;   in Loop: Header=BB280_62 Depth=1
	s_and_b64 vcc, exec, s[14:15]
	s_cbranch_vccnz .LBB280_79
; %bb.77:                               ;   in Loop: Header=BB280_62 Depth=1
	s_ashr_i32 s37, s36, 31
	v_lshl_add_u64 v[24:25], s[36:37], 3, v[10:11]
	s_mov_b64 s[16:17], 0
.LBB280_78:                             ;   Parent Loop BB280_62 Depth=1
                                        ; =>  This Inner Loop Header: Depth=2
	flat_load_dwordx2 v[34:35], v[24:25]
	s_cmp_eq_u32 s16, 1
	s_cselect_b64 vcc, -1, 0
	s_cmp_eq_u32 s16, 2
	v_cndmask_b32_e32 v13, v3, v5, vcc
	s_cselect_b64 s[14:15], -1, 0
	s_cmp_eq_u32 s16, 3
	v_cndmask_b32_e64 v13, v13, v7, s[14:15]
	v_cndmask_b32_e32 v21, v2, v4, vcc
	s_cselect_b64 vcc, -1, 0
	v_cndmask_b32_e32 v37, v13, v9, vcc
	v_cndmask_b32_e64 v13, v21, v6, s[14:15]
	s_add_u32 s16, s16, 1
	v_cndmask_b32_e32 v36, v13, v8, vcc
	s_addc_u32 s17, s17, 0
	v_lshl_add_u64 v[24:25], v[24:25], 0, 8
	s_cmp_lg_u32 s33, s16
	s_waitcnt vmcnt(0) lgkmcnt(0)
	v_fmac_f64_e32 v[22:23], v[36:37], v[34:35]
	s_cbranch_scc1 .LBB280_78
.LBB280_79:                             ;   in Loop: Header=BB280_62 Depth=1
	s_or_b64 exec, exec, s[40:41]
	s_or_b64 exec, exec, s[38:39]
	s_and_saveexec_b64 s[14:15], s[6:7]
	s_cbranch_execnz .LBB280_65
	s_branch .LBB280_66
.LBB280_80:                             ;   in Loop: Header=BB280_62 Depth=1
	ds_read_b64 v[22:23], v26
	s_or_b64 exec, exec, s[14:15]
	s_and_saveexec_b64 s[14:15], s[6:7]
	s_cbranch_execz .LBB280_70
.LBB280_81:                             ;   in Loop: Header=BB280_62 Depth=1
	s_waitcnt lgkmcnt(0)
	ds_bpermute_b32 v24, v31, v22
	ds_bpermute_b32 v25, v31, v23
	s_waitcnt lgkmcnt(0)
	v_add_f64 v[22:23], v[22:23], v[24:25]
	ds_bpermute_b32 v24, v32, v22
	ds_bpermute_b32 v25, v32, v23
	s_waitcnt lgkmcnt(0)
	v_add_f64 v[22:23], v[22:23], v[24:25]
	s_or_b64 exec, exec, s[14:15]
	s_and_saveexec_b64 s[14:15], s[12:13]
	s_cbranch_execz .LBB280_61
.LBB280_82:                             ;   in Loop: Header=BB280_62 Depth=1
	s_mul_hi_u32 s17, s31, s28
	s_mul_i32 s16, s31, s28
	s_lshl_b64 s[16:17], s[16:17], 3
	s_add_u32 s16, s2, s16
	s_waitcnt lgkmcnt(0)
	v_mul_f64 v[22:23], s[22:23], v[22:23]
	s_addc_u32 s17, s26, s17
	global_store_dwordx2 v20, v[22:23], s[16:17]
	s_branch .LBB280_61
.LBB280_83:
	s_endpgm
	.section	.rodata,"a",@progbits
	.p2align	6, 0x0
	.amdhsa_kernel _ZL23rocblas_gemvt_sn_kernelILb1ELi256ELi4EiPKdS1_dEviiT4_lPKT3_lilS5_lilPT5_i
		.amdhsa_group_segment_fixed_size 512
		.amdhsa_private_segment_fixed_size 0
		.amdhsa_kernarg_size 360
		.amdhsa_user_sgpr_count 2
		.amdhsa_user_sgpr_dispatch_ptr 0
		.amdhsa_user_sgpr_queue_ptr 0
		.amdhsa_user_sgpr_kernarg_segment_ptr 1
		.amdhsa_user_sgpr_dispatch_id 0
		.amdhsa_user_sgpr_kernarg_preload_length 0
		.amdhsa_user_sgpr_kernarg_preload_offset 0
		.amdhsa_user_sgpr_private_segment_size 0
		.amdhsa_uses_dynamic_stack 0
		.amdhsa_enable_private_segment 0
		.amdhsa_system_sgpr_workgroup_id_x 1
		.amdhsa_system_sgpr_workgroup_id_y 0
		.amdhsa_system_sgpr_workgroup_id_z 1
		.amdhsa_system_sgpr_workgroup_info 0
		.amdhsa_system_vgpr_workitem_id 0
		.amdhsa_next_free_vgpr 78
		.amdhsa_next_free_sgpr 58
		.amdhsa_accum_offset 80
		.amdhsa_reserve_vcc 1
		.amdhsa_float_round_mode_32 0
		.amdhsa_float_round_mode_16_64 0
		.amdhsa_float_denorm_mode_32 3
		.amdhsa_float_denorm_mode_16_64 3
		.amdhsa_dx10_clamp 1
		.amdhsa_ieee_mode 1
		.amdhsa_fp16_overflow 0
		.amdhsa_tg_split 0
		.amdhsa_exception_fp_ieee_invalid_op 0
		.amdhsa_exception_fp_denorm_src 0
		.amdhsa_exception_fp_ieee_div_zero 0
		.amdhsa_exception_fp_ieee_overflow 0
		.amdhsa_exception_fp_ieee_underflow 0
		.amdhsa_exception_fp_ieee_inexact 0
		.amdhsa_exception_int_div_zero 0
	.end_amdhsa_kernel
	.section	.text._ZL23rocblas_gemvt_sn_kernelILb1ELi256ELi4EiPKdS1_dEviiT4_lPKT3_lilS5_lilPT5_i,"axG",@progbits,_ZL23rocblas_gemvt_sn_kernelILb1ELi256ELi4EiPKdS1_dEviiT4_lPKT3_lilS5_lilPT5_i,comdat
.Lfunc_end280:
	.size	_ZL23rocblas_gemvt_sn_kernelILb1ELi256ELi4EiPKdS1_dEviiT4_lPKT3_lilS5_lilPT5_i, .Lfunc_end280-_ZL23rocblas_gemvt_sn_kernelILb1ELi256ELi4EiPKdS1_dEviiT4_lPKT3_lilS5_lilPT5_i
                                        ; -- End function
	.section	.AMDGPU.csdata,"",@progbits
; Kernel info:
; codeLenInByte = 4328
; NumSgprs: 64
; NumVgprs: 78
; NumAgprs: 0
; TotalNumVgprs: 78
; ScratchSize: 0
; MemoryBound: 1
; FloatMode: 240
; IeeeMode: 1
; LDSByteSize: 512 bytes/workgroup (compile time only)
; SGPRBlocks: 7
; VGPRBlocks: 9
; NumSGPRsForWavesPerEU: 64
; NumVGPRsForWavesPerEU: 78
; AccumOffset: 80
; Occupancy: 6
; WaveLimiterHint : 0
; COMPUTE_PGM_RSRC2:SCRATCH_EN: 0
; COMPUTE_PGM_RSRC2:USER_SGPR: 2
; COMPUTE_PGM_RSRC2:TRAP_HANDLER: 0
; COMPUTE_PGM_RSRC2:TGID_X_EN: 1
; COMPUTE_PGM_RSRC2:TGID_Y_EN: 0
; COMPUTE_PGM_RSRC2:TGID_Z_EN: 1
; COMPUTE_PGM_RSRC2:TIDIG_COMP_CNT: 0
; COMPUTE_PGM_RSRC3_GFX90A:ACCUM_OFFSET: 19
; COMPUTE_PGM_RSRC3_GFX90A:TG_SPLIT: 0
	.section	.text._ZL23rocblas_gemvt_sn_kernelILb1ELi256ELi4ElPKdS1_dEviiT4_lPKT3_lilS5_lilPT5_i,"axG",@progbits,_ZL23rocblas_gemvt_sn_kernelILb1ELi256ELi4ElPKdS1_dEviiT4_lPKT3_lilS5_lilPT5_i,comdat
	.globl	_ZL23rocblas_gemvt_sn_kernelILb1ELi256ELi4ElPKdS1_dEviiT4_lPKT3_lilS5_lilPT5_i ; -- Begin function _ZL23rocblas_gemvt_sn_kernelILb1ELi256ELi4ElPKdS1_dEviiT4_lPKT3_lilS5_lilPT5_i
	.p2align	8
	.type	_ZL23rocblas_gemvt_sn_kernelILb1ELi256ELi4ElPKdS1_dEviiT4_lPKT3_lilS5_lilPT5_i,@function
_ZL23rocblas_gemvt_sn_kernelILb1ELi256ELi4ElPKdS1_dEviiT4_lPKT3_lilS5_lilPT5_i: ; @_ZL23rocblas_gemvt_sn_kernelILb1ELi256ELi4ElPKdS1_dEviiT4_lPKT3_lilS5_lilPT5_i
; %bb.0:
	s_load_dwordx8 s[4:11], s[0:1], 0x8
	s_mov_b32 s12, s3
	s_mov_b32 s13, 0
	s_mov_b64 s[34:35], 0
	s_mov_b64 s[30:31], 0
	s_waitcnt lgkmcnt(0)
	s_mul_i32 s3, s3, s7
	s_mul_hi_u32 s7, s12, s6
	s_add_i32 s7, s7, s3
	s_mul_i32 s6, s12, s6
	s_lshl_b64 s[6:7], s[6:7], 3
	s_add_u32 s4, s4, s6
	s_addc_u32 s5, s5, s7
	s_load_dwordx2 s[22:23], s[4:5], 0x0
	s_waitcnt lgkmcnt(0)
	v_cmp_eq_f64_e64 s[4:5], s[22:23], 0
	v_cmp_neq_f64_e64 s[6:7], s[22:23], 0
	s_and_b64 vcc, exec, s[4:5]
	s_cbranch_vccnz .LBB281_2
; %bb.1:
	s_lshl_b64 s[14:15], s[12:13], 3
	s_add_u32 s8, s8, s14
	s_addc_u32 s9, s9, s15
	s_load_dwordx2 s[8:9], s[8:9], 0x0
	s_lshl_b64 s[10:11], s[10:11], 3
	s_waitcnt lgkmcnt(0)
	s_add_u32 s30, s8, s10
	s_addc_u32 s31, s9, s11
.LBB281_2:
	s_andn2_b64 vcc, exec, s[6:7]
	s_cbranch_vccnz .LBB281_4
; %bb.3:
	s_load_dwordx4 s[8:11], s[0:1], 0x38
	s_lshl_b64 s[6:7], s[12:13], 3
	s_waitcnt lgkmcnt(0)
	s_add_u32 s6, s8, s6
	s_addc_u32 s7, s9, s7
	s_load_dwordx2 s[6:7], s[6:7], 0x0
	s_lshl_b64 s[8:9], s[10:11], 3
	s_waitcnt lgkmcnt(0)
	s_add_u32 s34, s6, s8
	s_addc_u32 s35, s7, s9
.LBB281_4:
	s_load_dwordx2 s[24:25], s[0:1], 0x0
	s_load_dwordx2 s[6:7], s[0:1], 0x58
	s_load_dword s26, s[0:1], 0x68
	s_mov_b32 s27, 0
	s_waitcnt lgkmcnt(0)
	s_ashr_i32 s10, s25, 31
	s_mul_hi_u32 s3, s25, s12
	s_mul_i32 s8, s10, s12
	s_add_i32 s3, s3, s8
	s_mul_i32 s8, s25, s12
	s_mul_i32 s3, s3, s26
	s_mul_hi_u32 s9, s8, s26
	s_add_i32 s9, s9, s3
	s_mul_i32 s8, s8, s26
	s_lshl_b64 s[8:9], s[8:9], 3
	s_add_u32 s33, s6, s8
	s_addc_u32 s56, s7, s9
	s_andn2_b64 vcc, exec, s[4:5]
	s_mov_b64 s[4:5], -1
	s_cbranch_vccnz .LBB281_9
; %bb.5:
	s_cmp_gt_i32 s25, 0
	v_cmp_eq_u32_e32 vcc, 0, v0
	s_cselect_b64 s[4:5], -1, 0
	s_and_b64 s[6:7], vcc, s[4:5]
	s_and_saveexec_b64 s[4:5], s[6:7]
	s_cbranch_execz .LBB281_8
; %bb.6:
	s_mov_b32 s3, 0
	s_lshl_b64 s[6:7], s[2:3], 3
	s_add_u32 s6, s33, s6
	v_mov_b32_e32 v2, 0
	s_addc_u32 s7, s56, s7
	s_lshl_b64 s[8:9], s[26:27], 3
	v_mov_b32_e32 v3, v2
	s_mov_b32 s3, s25
.LBB281_7:                              ; =>This Inner Loop Header: Depth=1
	s_add_i32 s3, s3, -1
	global_store_dwordx2 v2, v[2:3], s[6:7]
	s_add_u32 s6, s6, s8
	s_addc_u32 s7, s7, s9
	s_cmp_eq_u32 s3, 0
	s_cbranch_scc0 .LBB281_7
.LBB281_8:
	s_or_b64 exec, exec, s[4:5]
	s_mov_b64 s[4:5], 0
.LBB281_9:
	s_andn2_b64 vcc, exec, s[4:5]
	s_cbranch_vccnz .LBB281_83
; %bb.10:
	s_load_dword s28, s[0:1], 0x28
	s_load_dword s36, s[0:1], 0x48
	s_lshl_b32 s0, s2, 10
	v_lshl_or_b32 v12, v0, 2, s0
	s_lshr_b32 s0, s10, 30
	s_add_i32 s0, s25, s0
	s_and_b32 s57, s0, -4
	s_ashr_i32 s0, s24, 31
	s_lshr_b32 s0, s0, 30
	s_add_i32 s0, s24, s0
	s_and_b32 s0, s0, -4
	s_waitcnt lgkmcnt(0)
	s_ashr_i32 s29, s28, 31
	s_ashr_i32 s37, s36, 31
	v_ashrrev_i32_e32 v13, 31, v12
	s_sub_i32 s27, s24, s0
	v_lshl_add_u64 v[10:11], v[12:13], 3, s[30:31]
	s_cmp_lt_i32 s57, 1
	v_add_u32_e32 v41, 4, v12
	v_add_u32_e32 v42, s27, v12
	v_and_b32_e32 v1, 63, v0
	v_cmp_gt_u32_e64 s[0:1], 64, v0
	v_mbcnt_lo_u32_b32 v40, -1, 0
	v_cmp_gt_u32_e64 s[4:5], 4, v0
	v_lshrrev_b32_e32 v39, 3, v0
	v_cmp_eq_u32_e64 s[6:7], 0, v0
	v_or_b32_e32 v38, 1, v12
	v_or_b32_e32 v37, 2, v12
	;; [unrolled: 1-line block ×3, first 2 shown]
	s_cbranch_scc1 .LBB281_58
; %bb.11:
	v_mbcnt_hi_u32_b32 v2, -1, v40
	v_and_b32_e32 v3, 63, v2
	v_cmp_gt_u32_e32 vcc, 32, v3
	s_mov_b32 s3, 0
	s_cmp_gt_i32 s27, 0
	v_cndmask_b32_e64 v4, 0, 1, vcc
	v_lshlrev_b32_e32 v4, 5, v4
	v_cmp_gt_u32_e32 vcc, 48, v3
	v_add_lshl_u32 v43, v4, v2, 2
	s_cselect_b64 s[38:39], -1, 0
	v_cndmask_b32_e64 v4, 0, 1, vcc
	v_lshlrev_b32_e32 v4, 4, v4
	v_cmp_gt_u32_e32 vcc, 56, v3
	v_add_lshl_u32 v44, v4, v2, 2
	s_lshl_b64 s[14:15], s[2:3], 3
	v_cndmask_b32_e64 v4, 0, 1, vcc
	v_lshlrev_b32_e32 v4, 3, v4
	v_cmp_gt_u32_e32 vcc, 60, v3
	v_add_lshl_u32 v45, v4, v2, 2
	s_add_u32 s58, s33, s14
	v_cndmask_b32_e64 v4, 0, 1, vcc
	v_lshlrev_b32_e32 v4, 2, v4
	v_cmp_gt_u32_e32 vcc, 62, v3
	v_add_lshl_u32 v46, v4, v2, 2
	s_addc_u32 s59, s56, s15
	v_cndmask_b32_e64 v4, 0, 1, vcc
	v_lshlrev_b32_e32 v4, 1, v4
	v_cmp_ne_u32_e32 vcc, 63, v3
	v_add_lshl_u32 v47, v4, v2, 2
	v_cmp_ge_i32_e64 s[8:9], s24, v41
	v_addc_co_u32_e32 v2, vcc, 0, v2, vcc
	v_lshlrev_b32_e32 v48, 2, v2
	v_mad_i64_i32 v[2:3], s[14:15], s36, v12, 0
	v_lshl_add_u64 v[14:15], v[2:3], 3, s[34:35]
	v_mad_i64_i32 v[2:3], s[14:15], s36, v38, 0
	v_lshl_add_u64 v[16:17], v[2:3], 3, s[34:35]
	;; [unrolled: 2-line block ×3, first 2 shown]
	v_mad_i64_i32 v[2:3], s[14:15], s36, v36, 0
	v_cmp_ge_i32_e64 s[10:11], s24, v42
	v_cmp_eq_u32_e64 s[12:13], 0, v1
	v_lshlrev_b32_e32 v49, 3, v1
	v_and_b32_e32 v50, 24, v39
	v_lshl_add_u64 v[20:21], v[2:3], 3, s[34:35]
	s_lshl_b64 s[40:41], s[36:37], 3
	s_mul_hi_i32 s43, s28, 24
	s_mul_i32 s42, s28, 24
	s_lshl_b64 s[44:45], s[28:29], 5
	s_lshl_b64 s[46:47], s[28:29], 4
	;; [unrolled: 1-line block ×3, first 2 shown]
	v_mov_b32_e32 v22, 0
	v_mov_b64_e32 v[24:25], v[10:11]
                                        ; implicit-def: $vgpr2_vgpr3_vgpr4_vgpr5_vgpr6_vgpr7_vgpr8_vgpr9
	s_branch .LBB281_13
.LBB281_12:                             ;   in Loop: Header=BB281_13 Depth=1
	s_or_b64 exec, exec, s[14:15]
	s_add_i32 s3, s3, 4
	s_cmp_ge_i32 s3, s57
	v_lshl_add_u64 v[24:25], v[24:25], 0, s[44:45]
	s_cbranch_scc1 .LBB281_59
.LBB281_13:                             ; =>This Loop Header: Depth=1
                                        ;     Child Loop BB281_44 Depth 2
                                        ;     Child Loop BB281_47 Depth 2
                                        ; implicit-def: $vgpr26_vgpr27
                                        ; implicit-def: $vgpr28_vgpr29
                                        ; implicit-def: $vgpr32_vgpr33
                                        ; implicit-def: $vgpr30_vgpr31
	s_and_saveexec_b64 s[14:15], s[8:9]
	s_xor_b64 s[14:15], exec, s[14:15]
	s_cbranch_execnz .LBB281_40
; %bb.14:                               ;   in Loop: Header=BB281_13 Depth=1
	s_andn2_saveexec_b64 s[50:51], s[14:15]
	s_cbranch_execnz .LBB281_41
.LBB281_15:                             ;   in Loop: Header=BB281_13 Depth=1
	s_or_b64 exec, exec, s[50:51]
	s_and_saveexec_b64 s[14:15], s[0:1]
	s_cbranch_execz .LBB281_17
.LBB281_16:                             ;   in Loop: Header=BB281_13 Depth=1
	v_mov_b32_e32 v23, v22
	ds_write_b64 v49, v[22:23]
.LBB281_17:                             ;   in Loop: Header=BB281_13 Depth=1
	s_or_b64 exec, exec, s[14:15]
	ds_bpermute_b32 v34, v43, v30
	ds_bpermute_b32 v35, v43, v31
	s_waitcnt lgkmcnt(0)
	s_barrier
	v_add_f64 v[30:31], v[30:31], v[34:35]
	ds_bpermute_b32 v34, v44, v30
	ds_bpermute_b32 v35, v44, v31
	s_waitcnt lgkmcnt(0)
	v_add_f64 v[30:31], v[30:31], v[34:35]
	ds_bpermute_b32 v34, v45, v30
	ds_bpermute_b32 v35, v45, v31
	s_waitcnt lgkmcnt(0)
	;; [unrolled: 4-line block ×4, first 2 shown]
	v_add_f64 v[30:31], v[30:31], v[34:35]
	ds_bpermute_b32 v34, v48, v30
	ds_bpermute_b32 v35, v48, v31
	s_and_saveexec_b64 s[14:15], s[12:13]
	s_cbranch_execz .LBB281_19
; %bb.18:                               ;   in Loop: Header=BB281_13 Depth=1
	s_waitcnt lgkmcnt(0)
	v_add_f64 v[30:31], v[30:31], v[34:35]
	ds_write_b64 v50, v[30:31]
.LBB281_19:                             ;   in Loop: Header=BB281_13 Depth=1
	s_or_b64 exec, exec, s[14:15]
	v_mov_b64_e32 v[30:31], 0
	s_waitcnt lgkmcnt(0)
	s_barrier
	s_and_saveexec_b64 s[14:15], s[4:5]
	s_cbranch_execnz .LBB281_49
; %bb.20:                               ;   in Loop: Header=BB281_13 Depth=1
	s_or_b64 exec, exec, s[14:15]
	s_and_saveexec_b64 s[14:15], s[0:1]
	s_cbranch_execnz .LBB281_50
.LBB281_21:                             ;   in Loop: Header=BB281_13 Depth=1
	s_or_b64 exec, exec, s[14:15]
	s_and_saveexec_b64 s[14:15], s[0:1]
	s_cbranch_execz .LBB281_23
.LBB281_22:                             ;   in Loop: Header=BB281_13 Depth=1
	v_mov_b32_e32 v23, v22
	ds_write_b64 v49, v[22:23]
.LBB281_23:                             ;   in Loop: Header=BB281_13 Depth=1
	s_or_b64 exec, exec, s[14:15]
	ds_bpermute_b32 v34, v43, v32
	ds_bpermute_b32 v35, v43, v33
	s_waitcnt lgkmcnt(0)
	s_barrier
	v_add_f64 v[32:33], v[32:33], v[34:35]
	ds_bpermute_b32 v34, v44, v32
	ds_bpermute_b32 v35, v44, v33
	s_waitcnt lgkmcnt(0)
	v_add_f64 v[32:33], v[32:33], v[34:35]
	ds_bpermute_b32 v34, v45, v32
	ds_bpermute_b32 v35, v45, v33
	s_waitcnt lgkmcnt(0)
	;; [unrolled: 4-line block ×4, first 2 shown]
	v_add_f64 v[32:33], v[32:33], v[34:35]
	ds_bpermute_b32 v34, v48, v32
	ds_bpermute_b32 v35, v48, v33
	s_and_saveexec_b64 s[14:15], s[12:13]
	s_cbranch_execz .LBB281_25
; %bb.24:                               ;   in Loop: Header=BB281_13 Depth=1
	s_waitcnt lgkmcnt(0)
	v_add_f64 v[32:33], v[32:33], v[34:35]
	ds_write_b64 v50, v[32:33]
.LBB281_25:                             ;   in Loop: Header=BB281_13 Depth=1
	s_or_b64 exec, exec, s[14:15]
	v_mov_b64_e32 v[32:33], 0
	s_waitcnt lgkmcnt(0)
	s_barrier
	s_and_saveexec_b64 s[14:15], s[4:5]
	s_cbranch_execnz .LBB281_51
; %bb.26:                               ;   in Loop: Header=BB281_13 Depth=1
	s_or_b64 exec, exec, s[14:15]
	s_and_saveexec_b64 s[14:15], s[0:1]
	s_cbranch_execnz .LBB281_52
.LBB281_27:                             ;   in Loop: Header=BB281_13 Depth=1
	s_or_b64 exec, exec, s[14:15]
	s_and_saveexec_b64 s[14:15], s[0:1]
	s_cbranch_execz .LBB281_29
.LBB281_28:                             ;   in Loop: Header=BB281_13 Depth=1
	v_mov_b32_e32 v23, v22
	ds_write_b64 v49, v[22:23]
.LBB281_29:                             ;   in Loop: Header=BB281_13 Depth=1
	s_or_b64 exec, exec, s[14:15]
	ds_bpermute_b32 v34, v43, v28
	ds_bpermute_b32 v35, v43, v29
	s_waitcnt lgkmcnt(0)
	s_barrier
	v_add_f64 v[28:29], v[28:29], v[34:35]
	ds_bpermute_b32 v34, v44, v28
	ds_bpermute_b32 v35, v44, v29
	s_waitcnt lgkmcnt(0)
	v_add_f64 v[28:29], v[28:29], v[34:35]
	ds_bpermute_b32 v34, v45, v28
	ds_bpermute_b32 v35, v45, v29
	s_waitcnt lgkmcnt(0)
	;; [unrolled: 4-line block ×4, first 2 shown]
	v_add_f64 v[28:29], v[28:29], v[34:35]
	ds_bpermute_b32 v34, v48, v28
	ds_bpermute_b32 v35, v48, v29
	s_and_saveexec_b64 s[14:15], s[12:13]
	s_cbranch_execz .LBB281_31
; %bb.30:                               ;   in Loop: Header=BB281_13 Depth=1
	s_waitcnt lgkmcnt(0)
	v_add_f64 v[28:29], v[28:29], v[34:35]
	ds_write_b64 v50, v[28:29]
.LBB281_31:                             ;   in Loop: Header=BB281_13 Depth=1
	s_or_b64 exec, exec, s[14:15]
	v_mov_b64_e32 v[28:29], 0
	s_waitcnt lgkmcnt(0)
	s_barrier
	s_and_saveexec_b64 s[14:15], s[4:5]
	s_cbranch_execnz .LBB281_53
; %bb.32:                               ;   in Loop: Header=BB281_13 Depth=1
	s_or_b64 exec, exec, s[14:15]
	s_and_saveexec_b64 s[14:15], s[0:1]
	s_cbranch_execnz .LBB281_54
.LBB281_33:                             ;   in Loop: Header=BB281_13 Depth=1
	s_or_b64 exec, exec, s[14:15]
	s_and_saveexec_b64 s[14:15], s[0:1]
	s_cbranch_execz .LBB281_35
.LBB281_34:                             ;   in Loop: Header=BB281_13 Depth=1
	v_mov_b32_e32 v23, v22
	ds_write_b64 v49, v[22:23]
.LBB281_35:                             ;   in Loop: Header=BB281_13 Depth=1
	s_or_b64 exec, exec, s[14:15]
	ds_bpermute_b32 v34, v43, v26
	ds_bpermute_b32 v35, v43, v27
	s_waitcnt lgkmcnt(0)
	s_barrier
	v_add_f64 v[26:27], v[26:27], v[34:35]
	ds_bpermute_b32 v34, v44, v26
	ds_bpermute_b32 v35, v44, v27
	s_waitcnt lgkmcnt(0)
	v_add_f64 v[26:27], v[26:27], v[34:35]
	ds_bpermute_b32 v34, v45, v26
	ds_bpermute_b32 v35, v45, v27
	s_waitcnt lgkmcnt(0)
	;; [unrolled: 4-line block ×4, first 2 shown]
	v_add_f64 v[26:27], v[26:27], v[34:35]
	ds_bpermute_b32 v34, v48, v26
	ds_bpermute_b32 v35, v48, v27
	s_and_saveexec_b64 s[14:15], s[12:13]
	s_cbranch_execz .LBB281_37
; %bb.36:                               ;   in Loop: Header=BB281_13 Depth=1
	s_waitcnt lgkmcnt(0)
	v_add_f64 v[26:27], v[26:27], v[34:35]
	ds_write_b64 v50, v[26:27]
.LBB281_37:                             ;   in Loop: Header=BB281_13 Depth=1
	s_or_b64 exec, exec, s[14:15]
	v_mov_b64_e32 v[26:27], 0
	s_waitcnt lgkmcnt(0)
	s_barrier
	s_and_saveexec_b64 s[14:15], s[4:5]
	s_cbranch_execnz .LBB281_55
; %bb.38:                               ;   in Loop: Header=BB281_13 Depth=1
	s_or_b64 exec, exec, s[14:15]
	s_and_saveexec_b64 s[14:15], s[0:1]
	s_cbranch_execnz .LBB281_56
.LBB281_39:                             ;   in Loop: Header=BB281_13 Depth=1
	s_or_b64 exec, exec, s[14:15]
	s_and_saveexec_b64 s[14:15], s[6:7]
	s_cbranch_execz .LBB281_12
	s_branch .LBB281_57
.LBB281_40:                             ;   in Loop: Header=BB281_13 Depth=1
	s_mul_i32 s16, s3, s29
	s_mul_hi_u32 s17, s3, s28
	s_add_i32 s17, s17, s16
	s_mul_i32 s16, s3, s28
	s_waitcnt lgkmcnt(0)
	v_lshl_add_u64 v[26:27], s[16:17], 3, v[10:11]
	s_or_b32 s16, s3, 1
	s_mul_i32 s17, s16, s29
	s_mul_hi_u32 s18, s16, s28
	s_add_i32 s17, s18, s17
	s_mul_i32 s16, s16, s28
	v_lshl_add_u64 v[28:29], s[16:17], 3, v[10:11]
	s_or_b32 s16, s3, 2
	s_mul_i32 s17, s16, s29
	s_mul_hi_u32 s18, s16, s28
	s_add_i32 s17, s18, s17
	s_mul_i32 s16, s16, s28
	v_lshl_add_u64 v[30:31], s[16:17], 3, v[10:11]
	s_or_b32 s16, s3, 3
	flat_load_dwordx2 v[2:3], v[14:15]
	flat_load_dwordx4 v[32:35], v[26:27]
	flat_load_dwordx4 v[52:55], v[28:29]
	;; [unrolled: 1-line block ×3, first 2 shown]
	s_mul_i32 s17, s16, s29
	s_mul_hi_u32 s18, s16, s28
	s_add_i32 s17, s18, s17
	s_mul_i32 s16, s16, s28
	v_lshl_add_u64 v[80:81], s[16:17], 3, v[10:11]
	flat_load_dwordx4 v[60:63], v[80:81]
	flat_load_dwordx2 v[4:5], v[16:17]
	flat_load_dwordx2 v[6:7], v[18:19]
	flat_load_dwordx4 v[64:67], v[26:27] offset:16
	flat_load_dwordx4 v[68:71], v[28:29] offset:16
	;; [unrolled: 1-line block ×4, first 2 shown]
	flat_load_dwordx2 v[8:9], v[20:21]
	s_waitcnt vmcnt(0) lgkmcnt(0)
	v_fma_f64 v[30:31], v[2:3], v[32:33], 0
	v_fma_f64 v[32:33], v[2:3], v[52:53], 0
	;; [unrolled: 1-line block ×4, first 2 shown]
	v_fmac_f64_e32 v[30:31], v[4:5], v[34:35]
	v_fmac_f64_e32 v[32:33], v[4:5], v[54:55]
	;; [unrolled: 1-line block ×12, first 2 shown]
	s_andn2_saveexec_b64 s[50:51], s[14:15]
	s_cbranch_execz .LBB281_15
.LBB281_41:                             ;   in Loop: Header=BB281_13 Depth=1
	s_waitcnt lgkmcnt(0)
	v_mov_b64_e32 v[26:27], 0
	v_mov_b64_e32 v[28:29], v[26:27]
	;; [unrolled: 1-line block ×4, first 2 shown]
	s_and_saveexec_b64 s[52:53], s[10:11]
	s_cbranch_execz .LBB281_48
; %bb.42:                               ;   in Loop: Header=BB281_13 Depth=1
	v_cndmask_b32_e64 v23, 0, 1, s[38:39]
	v_cmp_ne_u32_e64 s[14:15], 1, v23
	s_andn2_b64 vcc, exec, s[38:39]
	s_cbranch_vccnz .LBB281_45
; %bb.43:                               ;   in Loop: Header=BB281_13 Depth=1
	s_mov_b64 s[54:55], 0
	v_mov_b64_e32 v[26:27], v[14:15]
.LBB281_44:                             ;   Parent Loop BB281_13 Depth=1
                                        ; =>  This Inner Loop Header: Depth=2
	flat_load_dwordx2 v[28:29], v[26:27]
	s_cmp_eq_u32 s54, 3
	s_cselect_b64 vcc, -1, 0
	s_cmp_eq_u32 s54, 2
	s_cselect_b64 s[16:17], -1, 0
	s_cmp_eq_u32 s54, 1
	s_cselect_b64 s[18:19], -1, 0
	;; [unrolled: 2-line block ×3, first 2 shown]
	s_add_u32 s54, s54, 1
	s_addc_u32 s55, s55, 0
	v_lshl_add_u64 v[26:27], v[26:27], 0, s[40:41]
	s_cmp_eq_u32 s27, s54
	s_waitcnt vmcnt(0) lgkmcnt(0)
	v_cndmask_b32_e32 v9, v9, v29, vcc
	v_cndmask_b32_e32 v8, v8, v28, vcc
	v_cndmask_b32_e64 v7, v7, v29, s[16:17]
	v_cndmask_b32_e64 v6, v6, v28, s[16:17]
	;; [unrolled: 1-line block ×6, first 2 shown]
	s_cbranch_scc0 .LBB281_44
.LBB281_45:                             ;   in Loop: Header=BB281_13 Depth=1
	v_mov_b64_e32 v[26:27], 0
	s_and_b64 vcc, exec, s[14:15]
	v_mov_b64_e32 v[28:29], v[26:27]
	v_mov_b64_e32 v[32:33], v[26:27]
	;; [unrolled: 1-line block ×3, first 2 shown]
	s_cbranch_vccnz .LBB281_48
; %bb.46:                               ;   in Loop: Header=BB281_13 Depth=1
	v_mov_b64_e32 v[30:31], 0
	s_mov_b64 s[16:17], 0
	v_mov_b64_e32 v[34:35], v[24:25]
	v_mov_b64_e32 v[32:33], v[30:31]
	;; [unrolled: 1-line block ×4, first 2 shown]
.LBB281_47:                             ;   Parent Loop BB281_13 Depth=1
                                        ; =>  This Inner Loop Header: Depth=2
	v_lshl_add_u64 v[54:55], v[34:35], 0, s[48:49]
	v_lshl_add_u64 v[56:57], v[34:35], 0, s[46:47]
	;; [unrolled: 1-line block ×3, first 2 shown]
	flat_load_dwordx2 v[52:53], v[34:35]
	s_nop 0
	flat_load_dwordx2 v[54:55], v[54:55]
	s_nop 0
	;; [unrolled: 2-line block ×3, first 2 shown]
	flat_load_dwordx2 v[58:59], v[58:59]
	s_cmp_eq_u32 s16, 1
	s_cselect_b64 vcc, -1, 0
	s_cmp_eq_u32 s16, 2
	v_cndmask_b32_e32 v23, v3, v5, vcc
	s_cselect_b64 s[14:15], -1, 0
	s_cmp_eq_u32 s16, 3
	v_cndmask_b32_e64 v23, v23, v7, s[14:15]
	v_cndmask_b32_e32 v51, v2, v4, vcc
	s_cselect_b64 vcc, -1, 0
	v_cndmask_b32_e32 v61, v23, v9, vcc
	v_cndmask_b32_e64 v23, v51, v6, s[14:15]
	s_add_u32 s16, s16, 1
	v_cndmask_b32_e32 v60, v23, v8, vcc
	s_addc_u32 s17, s17, 0
	v_lshl_add_u64 v[34:35], v[34:35], 0, 8
	s_cmp_lg_u32 s27, s16
	s_waitcnt vmcnt(0) lgkmcnt(0)
	v_fmac_f64_e32 v[32:33], v[60:61], v[54:55]
	v_fmac_f64_e32 v[30:31], v[60:61], v[52:53]
	;; [unrolled: 1-line block ×4, first 2 shown]
	s_cbranch_scc1 .LBB281_47
.LBB281_48:                             ;   in Loop: Header=BB281_13 Depth=1
	s_or_b64 exec, exec, s[52:53]
	s_or_b64 exec, exec, s[50:51]
	s_and_saveexec_b64 s[14:15], s[0:1]
	s_cbranch_execnz .LBB281_16
	s_branch .LBB281_17
.LBB281_49:                             ;   in Loop: Header=BB281_13 Depth=1
	ds_read_b64 v[30:31], v49
	s_or_b64 exec, exec, s[14:15]
	s_and_saveexec_b64 s[14:15], s[0:1]
	s_cbranch_execz .LBB281_21
.LBB281_50:                             ;   in Loop: Header=BB281_13 Depth=1
	s_waitcnt lgkmcnt(0)
	ds_bpermute_b32 v34, v47, v30
	ds_bpermute_b32 v35, v47, v31
	s_waitcnt lgkmcnt(0)
	v_add_f64 v[30:31], v[30:31], v[34:35]
	ds_bpermute_b32 v34, v48, v30
	ds_bpermute_b32 v35, v48, v31
	s_waitcnt lgkmcnt(0)
	v_add_f64 v[30:31], v[30:31], v[34:35]
	s_or_b64 exec, exec, s[14:15]
	s_and_saveexec_b64 s[14:15], s[0:1]
	s_cbranch_execnz .LBB281_22
	s_branch .LBB281_23
.LBB281_51:                             ;   in Loop: Header=BB281_13 Depth=1
	ds_read_b64 v[32:33], v49
	s_or_b64 exec, exec, s[14:15]
	s_and_saveexec_b64 s[14:15], s[0:1]
	s_cbranch_execz .LBB281_27
.LBB281_52:                             ;   in Loop: Header=BB281_13 Depth=1
	s_waitcnt lgkmcnt(0)
	ds_bpermute_b32 v34, v47, v32
	ds_bpermute_b32 v35, v47, v33
	s_waitcnt lgkmcnt(0)
	v_add_f64 v[32:33], v[32:33], v[34:35]
	ds_bpermute_b32 v34, v48, v32
	ds_bpermute_b32 v35, v48, v33
	s_waitcnt lgkmcnt(0)
	v_add_f64 v[32:33], v[32:33], v[34:35]
	s_or_b64 exec, exec, s[14:15]
	s_and_saveexec_b64 s[14:15], s[0:1]
	s_cbranch_execnz .LBB281_28
	s_branch .LBB281_29
.LBB281_53:                             ;   in Loop: Header=BB281_13 Depth=1
	ds_read_b64 v[28:29], v49
	s_or_b64 exec, exec, s[14:15]
	s_and_saveexec_b64 s[14:15], s[0:1]
	s_cbranch_execz .LBB281_33
.LBB281_54:                             ;   in Loop: Header=BB281_13 Depth=1
	s_waitcnt lgkmcnt(0)
	ds_bpermute_b32 v34, v47, v28
	ds_bpermute_b32 v35, v47, v29
	s_waitcnt lgkmcnt(0)
	v_add_f64 v[28:29], v[28:29], v[34:35]
	ds_bpermute_b32 v34, v48, v28
	ds_bpermute_b32 v35, v48, v29
	s_waitcnt lgkmcnt(0)
	v_add_f64 v[28:29], v[28:29], v[34:35]
	s_or_b64 exec, exec, s[14:15]
	s_and_saveexec_b64 s[14:15], s[0:1]
	s_cbranch_execnz .LBB281_34
	s_branch .LBB281_35
.LBB281_55:                             ;   in Loop: Header=BB281_13 Depth=1
	ds_read_b64 v[26:27], v49
	s_or_b64 exec, exec, s[14:15]
	s_and_saveexec_b64 s[14:15], s[0:1]
	s_cbranch_execz .LBB281_39
.LBB281_56:                             ;   in Loop: Header=BB281_13 Depth=1
	s_waitcnt lgkmcnt(0)
	ds_bpermute_b32 v34, v47, v26
	ds_bpermute_b32 v35, v47, v27
	s_waitcnt lgkmcnt(0)
	v_add_f64 v[26:27], v[26:27], v[34:35]
	ds_bpermute_b32 v34, v48, v26
	ds_bpermute_b32 v35, v48, v27
	s_waitcnt lgkmcnt(0)
	v_add_f64 v[26:27], v[26:27], v[34:35]
	s_or_b64 exec, exec, s[14:15]
	s_and_saveexec_b64 s[14:15], s[6:7]
	s_cbranch_execz .LBB281_12
.LBB281_57:                             ;   in Loop: Header=BB281_13 Depth=1
	s_mul_hi_u32 s17, s3, s26
	s_mul_i32 s16, s3, s26
	s_lshl_b64 s[16:17], s[16:17], 3
	s_add_u32 s16, s58, s16
	v_mul_f64 v[30:31], s[22:23], v[30:31]
	s_addc_u32 s17, s59, s17
	global_store_dwordx2 v22, v[30:31], s[16:17]
	s_or_b32 s16, s3, 1
	s_mul_hi_u32 s17, s16, s26
	s_mul_i32 s16, s16, s26
	s_lshl_b64 s[16:17], s[16:17], 3
	s_add_u32 s16, s58, s16
	v_mul_f64 v[30:31], s[22:23], v[32:33]
	s_addc_u32 s17, s59, s17
	global_store_dwordx2 v22, v[30:31], s[16:17]
	s_or_b32 s16, s3, 2
	;; [unrolled: 8-line block ×3, first 2 shown]
	s_mul_hi_u32 s17, s16, s26
	s_mul_i32 s16, s16, s26
	s_lshl_b64 s[16:17], s[16:17], 3
	s_add_u32 s16, s58, s16
	s_waitcnt lgkmcnt(0)
	v_mul_f64 v[26:27], s[22:23], v[26:27]
	s_addc_u32 s17, s59, s17
	global_store_dwordx2 v22, v[26:27], s[16:17]
	s_branch .LBB281_12
.LBB281_58:
	s_mov_b32 s3, 0
                                        ; implicit-def: $vgpr2_vgpr3_vgpr4_vgpr5_vgpr6_vgpr7_vgpr8_vgpr9
.LBB281_59:
	s_cmp_ge_i32 s3, s25
	s_cbranch_scc1 .LBB281_83
; %bb.60:
	v_mbcnt_hi_u32_b32 v14, -1, v40
	v_and_b32_e32 v15, 63, v14
	v_cmp_gt_u32_e32 vcc, 32, v15
	s_mov_b32 s39, 0
	s_cmp_gt_i32 s27, 0
	v_cndmask_b32_e64 v16, 0, 1, vcc
	v_lshlrev_b32_e32 v16, 5, v16
	v_cmp_gt_u32_e32 vcc, 48, v15
	s_waitcnt lgkmcnt(0)
	v_add_lshl_u32 v27, v16, v14, 2
	s_mov_b32 s38, s2
	v_cndmask_b32_e64 v16, 0, 1, vcc
	v_lshlrev_b32_e32 v16, 4, v16
	v_cmp_gt_u32_e32 vcc, 56, v15
	v_add_lshl_u32 v28, v16, v14, 2
	s_cselect_b64 s[40:41], -1, 0
	v_cndmask_b32_e64 v16, 0, 1, vcc
	v_lshlrev_b32_e32 v16, 3, v16
	v_cmp_gt_u32_e32 vcc, 60, v15
	v_add_lshl_u32 v29, v16, v14, 2
	s_lshl_b64 s[14:15], s[38:39], 3
	v_cndmask_b32_e64 v16, 0, 1, vcc
	v_lshlrev_b32_e32 v16, 2, v16
	v_cmp_gt_u32_e32 vcc, 62, v15
	v_add_lshl_u32 v30, v16, v14, 2
	s_add_u32 s2, s33, s14
	v_cndmask_b32_e64 v16, 0, 1, vcc
	v_lshlrev_b32_e32 v16, 1, v16
	v_cmp_ne_u32_e32 vcc, 63, v15
	v_add_lshl_u32 v31, v16, v14, 2
	v_cmp_ge_i32_e64 s[0:1], s24, v41
	v_addc_co_u32_e32 v14, vcc, 0, v14, vcc
	v_cmp_ge_i32_e64 s[4:5], s24, v42
	v_cmp_gt_u32_e64 s[6:7], 64, v0
	v_lshlrev_b32_e32 v26, 3, v1
	v_lshlrev_b32_e32 v32, 2, v14
	v_cmp_eq_u32_e64 s[8:9], 0, v1
	v_cmp_gt_u32_e64 s[10:11], 4, v0
	v_cmp_eq_u32_e64 s[12:13], 0, v0
	s_addc_u32 s24, s56, s15
	v_mad_i64_i32 v[0:1], s[14:15], s36, v12, 0
	v_mad_i64_i32 v[14:15], s[14:15], s36, v38, 0
	;; [unrolled: 1-line block ×4, first 2 shown]
	s_mul_i32 s14, s29, s3
	s_mul_hi_u32 s15, s28, s3
	s_add_i32 s15, s15, s14
	s_mul_i32 s14, s28, s3
	v_lshl_add_u64 v[0:1], v[0:1], 3, s[34:35]
	v_lshl_add_u64 v[14:15], v[14:15], 3, s[34:35]
	v_lshl_add_u64 v[16:17], v[16:17], 3, s[34:35]
	v_lshl_add_u64 v[18:19], v[18:19], 3, s[34:35]
	s_lshl_b64 s[34:35], s[36:37], 3
	s_lshl_b64 s[14:15], s[14:15], 3
	s_add_u32 s14, s30, s14
	s_addc_u32 s15, s31, s15
	v_and_b32_e32 v33, 24, v39
	v_lshl_add_u64 v[12:13], v[12:13], 3, s[14:15]
	s_lshl_b64 s[30:31], s[28:29], 3
	v_mov_b32_e32 v20, 0
	s_branch .LBB281_62
.LBB281_61:                             ;   in Loop: Header=BB281_62 Depth=1
	s_or_b64 exec, exec, s[14:15]
	s_add_i32 s3, s3, 1
	s_cmp_ge_i32 s3, s25
	v_lshl_add_u64 v[12:13], v[12:13], 0, s[30:31]
	s_cbranch_scc1 .LBB281_83
.LBB281_62:                             ; =>This Loop Header: Depth=1
                                        ;     Child Loop BB281_75 Depth 2
                                        ;     Child Loop BB281_78 Depth 2
	s_waitcnt lgkmcnt(0)
	v_mov_b32_e32 v22, s39
	v_mov_b32_e32 v23, s39
	s_and_saveexec_b64 s[14:15], s[0:1]
	s_xor_b64 s[14:15], exec, s[14:15]
	s_cbranch_execnz .LBB281_71
; %bb.63:                               ;   in Loop: Header=BB281_62 Depth=1
	s_andn2_saveexec_b64 s[36:37], s[14:15]
	s_cbranch_execnz .LBB281_72
.LBB281_64:                             ;   in Loop: Header=BB281_62 Depth=1
	s_or_b64 exec, exec, s[36:37]
	s_and_saveexec_b64 s[14:15], s[6:7]
	s_cbranch_execz .LBB281_66
.LBB281_65:                             ;   in Loop: Header=BB281_62 Depth=1
	v_mov_b32_e32 v21, v20
	ds_write_b64 v26, v[20:21]
.LBB281_66:                             ;   in Loop: Header=BB281_62 Depth=1
	s_or_b64 exec, exec, s[14:15]
	ds_bpermute_b32 v24, v27, v22
	ds_bpermute_b32 v25, v27, v23
	s_waitcnt lgkmcnt(0)
	s_barrier
	v_add_f64 v[22:23], v[22:23], v[24:25]
	ds_bpermute_b32 v24, v28, v22
	ds_bpermute_b32 v25, v28, v23
	s_waitcnt lgkmcnt(0)
	v_add_f64 v[22:23], v[22:23], v[24:25]
	ds_bpermute_b32 v24, v29, v22
	ds_bpermute_b32 v25, v29, v23
	s_waitcnt lgkmcnt(0)
	;; [unrolled: 4-line block ×4, first 2 shown]
	v_add_f64 v[22:23], v[22:23], v[24:25]
	ds_bpermute_b32 v24, v32, v22
	ds_bpermute_b32 v25, v32, v23
	s_and_saveexec_b64 s[14:15], s[8:9]
	s_cbranch_execz .LBB281_68
; %bb.67:                               ;   in Loop: Header=BB281_62 Depth=1
	s_waitcnt lgkmcnt(0)
	v_add_f64 v[22:23], v[22:23], v[24:25]
	ds_write_b64 v33, v[22:23]
.LBB281_68:                             ;   in Loop: Header=BB281_62 Depth=1
	s_or_b64 exec, exec, s[14:15]
	v_mov_b64_e32 v[22:23], 0
	s_waitcnt lgkmcnt(0)
	s_barrier
	s_and_saveexec_b64 s[14:15], s[10:11]
	s_cbranch_execnz .LBB281_80
; %bb.69:                               ;   in Loop: Header=BB281_62 Depth=1
	s_or_b64 exec, exec, s[14:15]
	s_and_saveexec_b64 s[14:15], s[6:7]
	s_cbranch_execnz .LBB281_81
.LBB281_70:                             ;   in Loop: Header=BB281_62 Depth=1
	s_or_b64 exec, exec, s[14:15]
	s_and_saveexec_b64 s[14:15], s[12:13]
	s_cbranch_execz .LBB281_61
	s_branch .LBB281_82
.LBB281_71:                             ;   in Loop: Header=BB281_62 Depth=1
	flat_load_dwordx2 v[2:3], v[0:1]
	s_mul_i32 s16, s3, s29
	s_mul_hi_u32 s17, s3, s28
	s_add_i32 s17, s17, s16
	s_mul_i32 s16, s3, s28
	v_lshl_add_u64 v[38:39], s[16:17], 3, v[10:11]
	flat_load_dwordx4 v[22:25], v[38:39]
	flat_load_dwordx2 v[4:5], v[14:15]
	flat_load_dwordx2 v[6:7], v[16:17]
	flat_load_dwordx4 v[34:37], v[38:39] offset:16
	flat_load_dwordx2 v[8:9], v[18:19]
	s_waitcnt vmcnt(0) lgkmcnt(0)
	v_fma_f64 v[22:23], v[2:3], v[22:23], 0
	v_fmac_f64_e32 v[22:23], v[4:5], v[24:25]
	v_fmac_f64_e32 v[22:23], v[6:7], v[34:35]
	v_fmac_f64_e32 v[22:23], v[8:9], v[36:37]
	s_andn2_saveexec_b64 s[36:37], s[14:15]
	s_cbranch_execz .LBB281_64
.LBB281_72:                             ;   in Loop: Header=BB281_62 Depth=1
	s_and_saveexec_b64 s[42:43], s[4:5]
	s_cbranch_execz .LBB281_79
; %bb.73:                               ;   in Loop: Header=BB281_62 Depth=1
	v_cndmask_b32_e64 v21, 0, 1, s[40:41]
	v_cmp_ne_u32_e64 s[14:15], 1, v21
	s_andn2_b64 vcc, exec, s[40:41]
	s_cbranch_vccnz .LBB281_76
; %bb.74:                               ;   in Loop: Header=BB281_62 Depth=1
	s_mov_b64 s[44:45], 0
	v_mov_b64_e32 v[24:25], v[0:1]
.LBB281_75:                             ;   Parent Loop BB281_62 Depth=1
                                        ; =>  This Inner Loop Header: Depth=2
	flat_load_dwordx2 v[34:35], v[24:25]
	s_cmp_eq_u32 s44, 3
	s_cselect_b64 vcc, -1, 0
	s_cmp_eq_u32 s44, 2
	s_cselect_b64 s[16:17], -1, 0
	s_cmp_eq_u32 s44, 1
	s_cselect_b64 s[18:19], -1, 0
	;; [unrolled: 2-line block ×3, first 2 shown]
	s_add_u32 s44, s44, 1
	s_addc_u32 s45, s45, 0
	v_lshl_add_u64 v[24:25], v[24:25], 0, s[34:35]
	s_cmp_eq_u32 s27, s44
	s_waitcnt vmcnt(0) lgkmcnt(0)
	v_cndmask_b32_e32 v9, v9, v35, vcc
	v_cndmask_b32_e32 v8, v8, v34, vcc
	v_cndmask_b32_e64 v7, v7, v35, s[16:17]
	v_cndmask_b32_e64 v6, v6, v34, s[16:17]
	;; [unrolled: 1-line block ×6, first 2 shown]
	s_cbranch_scc0 .LBB281_75
.LBB281_76:                             ;   in Loop: Header=BB281_62 Depth=1
	s_and_b64 vcc, exec, s[14:15]
	s_cbranch_vccnz .LBB281_79
; %bb.77:                               ;   in Loop: Header=BB281_62 Depth=1
	s_mov_b64 s[16:17], 0
	v_mov_b64_e32 v[24:25], v[12:13]
.LBB281_78:                             ;   Parent Loop BB281_62 Depth=1
                                        ; =>  This Inner Loop Header: Depth=2
	flat_load_dwordx2 v[34:35], v[24:25]
	s_cmp_eq_u32 s16, 1
	s_cselect_b64 vcc, -1, 0
	s_cmp_eq_u32 s16, 2
	v_cndmask_b32_e32 v21, v3, v5, vcc
	s_cselect_b64 s[14:15], -1, 0
	s_cmp_eq_u32 s16, 3
	v_cndmask_b32_e64 v21, v21, v7, s[14:15]
	v_cndmask_b32_e32 v36, v2, v4, vcc
	s_cselect_b64 vcc, -1, 0
	v_cndmask_b32_e32 v37, v21, v9, vcc
	v_cndmask_b32_e64 v21, v36, v6, s[14:15]
	s_add_u32 s16, s16, 1
	v_cndmask_b32_e32 v36, v21, v8, vcc
	s_addc_u32 s17, s17, 0
	v_lshl_add_u64 v[24:25], v[24:25], 0, 8
	s_cmp_lg_u32 s27, s16
	s_waitcnt vmcnt(0) lgkmcnt(0)
	v_fmac_f64_e32 v[22:23], v[36:37], v[34:35]
	s_cbranch_scc1 .LBB281_78
.LBB281_79:                             ;   in Loop: Header=BB281_62 Depth=1
	s_or_b64 exec, exec, s[42:43]
	s_or_b64 exec, exec, s[36:37]
	s_and_saveexec_b64 s[14:15], s[6:7]
	s_cbranch_execnz .LBB281_65
	s_branch .LBB281_66
.LBB281_80:                             ;   in Loop: Header=BB281_62 Depth=1
	ds_read_b64 v[22:23], v26
	s_or_b64 exec, exec, s[14:15]
	s_and_saveexec_b64 s[14:15], s[6:7]
	s_cbranch_execz .LBB281_70
.LBB281_81:                             ;   in Loop: Header=BB281_62 Depth=1
	s_waitcnt lgkmcnt(0)
	ds_bpermute_b32 v24, v31, v22
	ds_bpermute_b32 v25, v31, v23
	s_waitcnt lgkmcnt(0)
	v_add_f64 v[22:23], v[22:23], v[24:25]
	ds_bpermute_b32 v24, v32, v22
	ds_bpermute_b32 v25, v32, v23
	s_waitcnt lgkmcnt(0)
	v_add_f64 v[22:23], v[22:23], v[24:25]
	s_or_b64 exec, exec, s[14:15]
	s_and_saveexec_b64 s[14:15], s[12:13]
	s_cbranch_execz .LBB281_61
.LBB281_82:                             ;   in Loop: Header=BB281_62 Depth=1
	s_mul_hi_u32 s17, s3, s26
	s_mul_i32 s16, s3, s26
	s_lshl_b64 s[16:17], s[16:17], 3
	s_add_u32 s16, s2, s16
	s_waitcnt lgkmcnt(0)
	v_mul_f64 v[22:23], s[22:23], v[22:23]
	s_addc_u32 s17, s24, s17
	global_store_dwordx2 v20, v[22:23], s[16:17]
	s_branch .LBB281_61
.LBB281_83:
	s_endpgm
	.section	.rodata,"a",@progbits
	.p2align	6, 0x0
	.amdhsa_kernel _ZL23rocblas_gemvt_sn_kernelILb1ELi256ELi4ElPKdS1_dEviiT4_lPKT3_lilS5_lilPT5_i
		.amdhsa_group_segment_fixed_size 512
		.amdhsa_private_segment_fixed_size 0
		.amdhsa_kernarg_size 360
		.amdhsa_user_sgpr_count 2
		.amdhsa_user_sgpr_dispatch_ptr 0
		.amdhsa_user_sgpr_queue_ptr 0
		.amdhsa_user_sgpr_kernarg_segment_ptr 1
		.amdhsa_user_sgpr_dispatch_id 0
		.amdhsa_user_sgpr_kernarg_preload_length 0
		.amdhsa_user_sgpr_kernarg_preload_offset 0
		.amdhsa_user_sgpr_private_segment_size 0
		.amdhsa_uses_dynamic_stack 0
		.amdhsa_enable_private_segment 0
		.amdhsa_system_sgpr_workgroup_id_x 1
		.amdhsa_system_sgpr_workgroup_id_y 0
		.amdhsa_system_sgpr_workgroup_id_z 1
		.amdhsa_system_sgpr_workgroup_info 0
		.amdhsa_system_vgpr_workitem_id 0
		.amdhsa_next_free_vgpr 82
		.amdhsa_next_free_sgpr 60
		.amdhsa_accum_offset 84
		.amdhsa_reserve_vcc 1
		.amdhsa_float_round_mode_32 0
		.amdhsa_float_round_mode_16_64 0
		.amdhsa_float_denorm_mode_32 3
		.amdhsa_float_denorm_mode_16_64 3
		.amdhsa_dx10_clamp 1
		.amdhsa_ieee_mode 1
		.amdhsa_fp16_overflow 0
		.amdhsa_tg_split 0
		.amdhsa_exception_fp_ieee_invalid_op 0
		.amdhsa_exception_fp_denorm_src 0
		.amdhsa_exception_fp_ieee_div_zero 0
		.amdhsa_exception_fp_ieee_overflow 0
		.amdhsa_exception_fp_ieee_underflow 0
		.amdhsa_exception_fp_ieee_inexact 0
		.amdhsa_exception_int_div_zero 0
	.end_amdhsa_kernel
	.section	.text._ZL23rocblas_gemvt_sn_kernelILb1ELi256ELi4ElPKdS1_dEviiT4_lPKT3_lilS5_lilPT5_i,"axG",@progbits,_ZL23rocblas_gemvt_sn_kernelILb1ELi256ELi4ElPKdS1_dEviiT4_lPKT3_lilS5_lilPT5_i,comdat
.Lfunc_end281:
	.size	_ZL23rocblas_gemvt_sn_kernelILb1ELi256ELi4ElPKdS1_dEviiT4_lPKT3_lilS5_lilPT5_i, .Lfunc_end281-_ZL23rocblas_gemvt_sn_kernelILb1ELi256ELi4ElPKdS1_dEviiT4_lPKT3_lilS5_lilPT5_i
                                        ; -- End function
	.section	.AMDGPU.csdata,"",@progbits
; Kernel info:
; codeLenInByte = 4384
; NumSgprs: 66
; NumVgprs: 82
; NumAgprs: 0
; TotalNumVgprs: 82
; ScratchSize: 0
; MemoryBound: 1
; FloatMode: 240
; IeeeMode: 1
; LDSByteSize: 512 bytes/workgroup (compile time only)
; SGPRBlocks: 8
; VGPRBlocks: 10
; NumSGPRsForWavesPerEU: 66
; NumVGPRsForWavesPerEU: 82
; AccumOffset: 84
; Occupancy: 5
; WaveLimiterHint : 0
; COMPUTE_PGM_RSRC2:SCRATCH_EN: 0
; COMPUTE_PGM_RSRC2:USER_SGPR: 2
; COMPUTE_PGM_RSRC2:TRAP_HANDLER: 0
; COMPUTE_PGM_RSRC2:TGID_X_EN: 1
; COMPUTE_PGM_RSRC2:TGID_Y_EN: 0
; COMPUTE_PGM_RSRC2:TGID_Z_EN: 1
; COMPUTE_PGM_RSRC2:TIDIG_COMP_CNT: 0
; COMPUTE_PGM_RSRC3_GFX90A:ACCUM_OFFSET: 20
; COMPUTE_PGM_RSRC3_GFX90A:TG_SPLIT: 0
	.section	.text._ZL23rocblas_gemvt_sn_kernelILb1ELi256ELi4EiPKdddEviiT4_lPKT3_lilS5_lilPT5_i,"axG",@progbits,_ZL23rocblas_gemvt_sn_kernelILb1ELi256ELi4EiPKdddEviiT4_lPKT3_lilS5_lilPT5_i,comdat
	.globl	_ZL23rocblas_gemvt_sn_kernelILb1ELi256ELi4EiPKdddEviiT4_lPKT3_lilS5_lilPT5_i ; -- Begin function _ZL23rocblas_gemvt_sn_kernelILb1ELi256ELi4EiPKdddEviiT4_lPKT3_lilS5_lilPT5_i
	.p2align	8
	.type	_ZL23rocblas_gemvt_sn_kernelILb1ELi256ELi4EiPKdddEviiT4_lPKT3_lilS5_lilPT5_i,@function
_ZL23rocblas_gemvt_sn_kernelILb1ELi256ELi4EiPKdddEviiT4_lPKT3_lilS5_lilPT5_i: ; @_ZL23rocblas_gemvt_sn_kernelILb1ELi256ELi4EiPKdddEviiT4_lPKT3_lilS5_lilPT5_i
; %bb.0:
	s_load_dwordx2 s[22:23], s[0:1], 0x8
	s_mov_b32 s8, s3
	s_mov_b64 s[12:13], 0
	s_waitcnt lgkmcnt(0)
	v_cmp_neq_f64_e64 s[10:11], s[22:23], 0
	v_cmp_eq_f64_e64 s[6:7], s[22:23], 0
	s_and_b64 vcc, exec, s[10:11]
	s_cbranch_vccnz .LBB282_2
; %bb.1:
	s_mov_b32 s9, 0
	s_mov_b64 s[4:5], 0
	s_andn2_b64 vcc, exec, s[12:13]
	s_cbranch_vccz .LBB282_3
	s_branch .LBB282_4
.LBB282_2:
                                        ; implicit-def: $sgpr4_sgpr5
.LBB282_3:
	s_load_dwordx4 s[12:15], s[0:1], 0x18
	s_mov_b32 s9, 0
	s_lshl_b64 s[4:5], s[8:9], 3
	s_waitcnt lgkmcnt(0)
	s_add_u32 s4, s12, s4
	s_addc_u32 s5, s13, s5
	s_load_dwordx2 s[4:5], s[4:5], 0x0
	s_lshl_b64 s[12:13], s[14:15], 3
	s_waitcnt lgkmcnt(0)
	s_add_u32 s4, s4, s12
	s_addc_u32 s5, s5, s13
.LBB282_4:
	s_andn2_b64 vcc, exec, s[10:11]
	s_cbranch_vccnz .LBB282_6
; %bb.5:
	s_load_dwordx4 s[12:15], s[0:1], 0x38
	s_lshl_b64 s[10:11], s[8:9], 3
	s_waitcnt lgkmcnt(0)
	s_add_u32 s10, s12, s10
	s_addc_u32 s11, s13, s11
	s_load_dwordx2 s[10:11], s[10:11], 0x0
	s_lshl_b64 s[12:13], s[14:15], 3
	s_waitcnt lgkmcnt(0)
	s_add_u32 s24, s10, s12
	s_addc_u32 s25, s11, s13
	s_branch .LBB282_7
.LBB282_6:
	s_mov_b64 s[24:25], 0
.LBB282_7:
	s_load_dwordx2 s[26:27], s[0:1], 0x0
	s_load_dwordx2 s[10:11], s[0:1], 0x58
	s_load_dword s28, s[0:1], 0x68
	s_mov_b32 s29, 0
	s_waitcnt lgkmcnt(0)
	s_ashr_i32 s12, s27, 31
	s_mul_hi_u32 s3, s8, s27
	s_mul_i32 s13, s8, s12
	s_add_i32 s3, s3, s13
	s_mul_i32 s9, s9, s27
	s_add_i32 s3, s3, s9
	s_mul_i32 s8, s8, s27
	s_mul_i32 s3, s3, s28
	s_mul_hi_u32 s9, s8, s28
	s_add_i32 s9, s9, s3
	s_mul_i32 s8, s8, s28
	s_lshl_b64 s[8:9], s[8:9], 3
	s_add_u32 s50, s10, s8
	s_addc_u32 s51, s11, s9
	s_andn2_b64 vcc, exec, s[6:7]
	s_mov_b64 s[6:7], -1
	s_cbranch_vccnz .LBB282_12
; %bb.8:
	s_cmp_gt_i32 s27, 0
	v_cmp_eq_u32_e32 vcc, 0, v0
	s_cselect_b64 s[6:7], -1, 0
	s_and_b64 s[8:9], vcc, s[6:7]
	s_and_saveexec_b64 s[6:7], s[8:9]
	s_cbranch_execz .LBB282_11
; %bb.9:
	s_mov_b32 s3, 0
	s_lshl_b64 s[8:9], s[2:3], 3
	s_add_u32 s8, s50, s8
	v_mov_b32_e32 v2, 0
	s_addc_u32 s9, s51, s9
	s_lshl_b64 s[10:11], s[28:29], 3
	v_mov_b32_e32 v3, v2
	s_mov_b32 s3, s27
.LBB282_10:                             ; =>This Inner Loop Header: Depth=1
	s_add_i32 s3, s3, -1
	global_store_dwordx2 v2, v[2:3], s[8:9]
	s_add_u32 s8, s8, s10
	s_addc_u32 s9, s9, s11
	s_cmp_eq_u32 s3, 0
	s_cbranch_scc0 .LBB282_10
.LBB282_11:
	s_or_b64 exec, exec, s[6:7]
	s_mov_b64 s[6:7], 0
.LBB282_12:
	s_andn2_b64 vcc, exec, s[6:7]
	s_cbranch_vccnz .LBB282_86
; %bb.13:
	s_load_dword s30, s[0:1], 0x28
	s_load_dword s29, s[0:1], 0x48
	s_lshl_b32 s0, s2, 10
	v_lshl_or_b32 v2, v0, 2, s0
	s_lshr_b32 s0, s12, 30
	s_add_i32 s0, s27, s0
	s_and_b32 s3, s0, -4
	s_ashr_i32 s0, s26, 31
	s_lshr_b32 s0, s0, 30
	s_add_i32 s0, s26, s0
	s_and_b32 s0, s0, -4
	v_ashrrev_i32_e32 v3, 31, v2
	s_sub_i32 s33, s26, s0
	v_lshl_add_u64 v[10:11], v[2:3], 3, s[4:5]
	s_cmp_lt_i32 s3, 1
	v_add_u32_e32 v37, 4, v2
	v_add_u32_e32 v38, s33, v2
	v_and_b32_e32 v1, 63, v0
	v_cmp_gt_u32_e64 s[0:1], 64, v0
	v_mbcnt_lo_u32_b32 v36, -1, 0
	v_cmp_gt_u32_e64 s[4:5], 4, v0
	v_lshrrev_b32_e32 v13, 3, v0
	v_cmp_eq_u32_e64 s[6:7], 0, v0
	s_waitcnt lgkmcnt(0)
	v_mul_lo_u32 v12, v2, s29
	s_cbranch_scc1 .LBB282_61
; %bb.14:
	v_mbcnt_hi_u32_b32 v3, -1, v36
	v_and_b32_e32 v4, 63, v3
	v_cmp_gt_u32_e32 vcc, 32, v4
	v_mul_lo_u32 v14, v2, s29
	v_add_u32_e32 v2, s29, v14
	v_cndmask_b32_e64 v5, 0, 1, vcc
	v_lshlrev_b32_e32 v5, 5, v5
	v_cmp_gt_u32_e32 vcc, 48, v4
	v_add_lshl_u32 v39, v5, v3, 2
	s_mov_b32 s35, 0
	v_cndmask_b32_e64 v5, 0, 1, vcc
	v_lshlrev_b32_e32 v5, 4, v5
	v_cmp_gt_u32_e32 vcc, 56, v4
	v_add_lshl_u32 v40, v5, v3, 2
	s_cmp_gt_i32 s33, 0
	v_cndmask_b32_e64 v5, 0, 1, vcc
	v_lshlrev_b32_e32 v5, 3, v5
	v_cmp_gt_u32_e32 vcc, 60, v4
	v_add_lshl_u32 v41, v5, v3, 2
	s_cselect_b64 s[36:37], -1, 0
	v_cndmask_b32_e64 v5, 0, 1, vcc
	v_lshlrev_b32_e32 v5, 2, v5
	v_cmp_gt_u32_e32 vcc, 62, v4
	v_add_lshl_u32 v42, v5, v3, 2
	v_ashrrev_i32_e32 v15, 31, v14
	v_cndmask_b32_e64 v5, 0, 1, vcc
	v_lshlrev_b32_e32 v5, 1, v5
	v_cmp_ne_u32_e32 vcc, 63, v4
	v_add_lshl_u32 v43, v5, v3, 2
	s_mov_b32 s31, s35
	v_addc_co_u32_e32 v3, vcc, 0, v3, vcc
	v_lshlrev_b32_e32 v44, 2, v3
	v_ashrrev_i32_e32 v3, 31, v2
	v_lshl_add_u64 v[18:19], v[2:3], 3, s[24:25]
	v_add_u32_e32 v2, s29, v2
	v_ashrrev_i32_e32 v3, 31, v2
	v_lshl_add_u64 v[20:21], v[2:3], 3, s[24:25]
	v_add_u32_e32 v2, s29, v2
	v_ashrrev_i32_e32 v3, 31, v2
	s_lshl_b32 s34, s30, 1
	v_cmp_ge_i32_e64 s[8:9], s26, v37
	v_cmp_ge_i32_e64 s[10:11], s26, v38
	v_cmp_eq_u32_e64 s[12:13], 0, v1
	v_lshlrev_b32_e32 v45, 3, v1
	v_and_b32_e32 v46, 24, v13
	v_lshl_add_u64 v[16:17], v[14:15], 3, s[24:25]
	v_lshl_add_u64 v[22:23], v[2:3], 3, s[24:25]
	s_lshl_b32 s52, s30, 2
	s_mul_i32 s53, s30, 3
	s_mov_b32 s54, s35
	v_mov_b32_e32 v24, 0
	s_mov_b32 s38, s35
	s_mov_b64 s[40:41], s[34:35]
	s_mov_b64 s[42:43], s[30:31]
	s_mov_b32 s31, 0
                                        ; implicit-def: $vgpr2_vgpr3_vgpr4_vgpr5_vgpr6_vgpr7_vgpr8_vgpr9
	s_branch .LBB282_16
.LBB282_15:                             ;   in Loop: Header=BB282_16 Depth=1
	s_or_b64 exec, exec, s[14:15]
	s_add_i32 s31, s31, 4
	s_add_u32 s42, s42, s52
	s_addc_u32 s43, s43, 0
	s_add_u32 s40, s40, s52
	s_addc_u32 s41, s41, 0
	;; [unrolled: 2-line block ×3, first 2 shown]
	s_add_i32 s38, s38, s52
	s_cmp_ge_i32 s31, s3
	s_cbranch_scc1 .LBB282_62
.LBB282_16:                             ; =>This Loop Header: Depth=1
                                        ;     Child Loop BB282_47 Depth 2
                                        ;     Child Loop BB282_50 Depth 2
                                        ; implicit-def: $vgpr26_vgpr27
                                        ; implicit-def: $vgpr28_vgpr29
                                        ; implicit-def: $vgpr32_vgpr33
                                        ; implicit-def: $vgpr30_vgpr31
	s_and_saveexec_b64 s[14:15], s[8:9]
	s_xor_b64 s[14:15], exec, s[14:15]
	s_cbranch_execnz .LBB282_43
; %bb.17:                               ;   in Loop: Header=BB282_16 Depth=1
	s_andn2_saveexec_b64 s[44:45], s[14:15]
	s_cbranch_execnz .LBB282_44
.LBB282_18:                             ;   in Loop: Header=BB282_16 Depth=1
	s_or_b64 exec, exec, s[44:45]
	s_and_saveexec_b64 s[14:15], s[0:1]
	s_cbranch_execz .LBB282_20
.LBB282_19:                             ;   in Loop: Header=BB282_16 Depth=1
	v_mov_b32_e32 v25, v24
	ds_write_b64 v45, v[24:25]
.LBB282_20:                             ;   in Loop: Header=BB282_16 Depth=1
	s_or_b64 exec, exec, s[14:15]
	ds_bpermute_b32 v34, v39, v30
	ds_bpermute_b32 v35, v39, v31
	s_waitcnt lgkmcnt(0)
	s_barrier
	v_add_f64 v[30:31], v[30:31], v[34:35]
	ds_bpermute_b32 v34, v40, v30
	ds_bpermute_b32 v35, v40, v31
	s_waitcnt lgkmcnt(0)
	v_add_f64 v[30:31], v[30:31], v[34:35]
	ds_bpermute_b32 v34, v41, v30
	ds_bpermute_b32 v35, v41, v31
	s_waitcnt lgkmcnt(0)
	v_add_f64 v[30:31], v[30:31], v[34:35]
	ds_bpermute_b32 v34, v42, v30
	ds_bpermute_b32 v35, v42, v31
	s_waitcnt lgkmcnt(0)
	v_add_f64 v[30:31], v[30:31], v[34:35]
	ds_bpermute_b32 v34, v43, v30
	ds_bpermute_b32 v35, v43, v31
	s_waitcnt lgkmcnt(0)
	v_add_f64 v[30:31], v[30:31], v[34:35]
	ds_bpermute_b32 v34, v44, v30
	ds_bpermute_b32 v35, v44, v31
	s_and_saveexec_b64 s[14:15], s[12:13]
	s_cbranch_execz .LBB282_22
; %bb.21:                               ;   in Loop: Header=BB282_16 Depth=1
	s_waitcnt lgkmcnt(0)
	v_add_f64 v[30:31], v[30:31], v[34:35]
	ds_write_b64 v46, v[30:31]
.LBB282_22:                             ;   in Loop: Header=BB282_16 Depth=1
	s_or_b64 exec, exec, s[14:15]
	v_mov_b64_e32 v[30:31], 0
	s_waitcnt lgkmcnt(0)
	s_barrier
	s_and_saveexec_b64 s[14:15], s[4:5]
	s_cbranch_execnz .LBB282_52
; %bb.23:                               ;   in Loop: Header=BB282_16 Depth=1
	s_or_b64 exec, exec, s[14:15]
	s_and_saveexec_b64 s[14:15], s[0:1]
	s_cbranch_execnz .LBB282_53
.LBB282_24:                             ;   in Loop: Header=BB282_16 Depth=1
	s_or_b64 exec, exec, s[14:15]
	s_and_saveexec_b64 s[14:15], s[0:1]
	s_cbranch_execz .LBB282_26
.LBB282_25:                             ;   in Loop: Header=BB282_16 Depth=1
	v_mov_b32_e32 v25, v24
	ds_write_b64 v45, v[24:25]
.LBB282_26:                             ;   in Loop: Header=BB282_16 Depth=1
	s_or_b64 exec, exec, s[14:15]
	ds_bpermute_b32 v34, v39, v32
	ds_bpermute_b32 v35, v39, v33
	s_waitcnt lgkmcnt(0)
	s_barrier
	v_add_f64 v[32:33], v[32:33], v[34:35]
	ds_bpermute_b32 v34, v40, v32
	ds_bpermute_b32 v35, v40, v33
	s_waitcnt lgkmcnt(0)
	v_add_f64 v[32:33], v[32:33], v[34:35]
	ds_bpermute_b32 v34, v41, v32
	ds_bpermute_b32 v35, v41, v33
	s_waitcnt lgkmcnt(0)
	;; [unrolled: 4-line block ×4, first 2 shown]
	v_add_f64 v[32:33], v[32:33], v[34:35]
	ds_bpermute_b32 v34, v44, v32
	ds_bpermute_b32 v35, v44, v33
	s_and_saveexec_b64 s[14:15], s[12:13]
	s_cbranch_execz .LBB282_28
; %bb.27:                               ;   in Loop: Header=BB282_16 Depth=1
	s_waitcnt lgkmcnt(0)
	v_add_f64 v[32:33], v[32:33], v[34:35]
	ds_write_b64 v46, v[32:33]
.LBB282_28:                             ;   in Loop: Header=BB282_16 Depth=1
	s_or_b64 exec, exec, s[14:15]
	v_mov_b64_e32 v[32:33], 0
	s_waitcnt lgkmcnt(0)
	s_barrier
	s_and_saveexec_b64 s[14:15], s[4:5]
	s_cbranch_execnz .LBB282_54
; %bb.29:                               ;   in Loop: Header=BB282_16 Depth=1
	s_or_b64 exec, exec, s[14:15]
	s_and_saveexec_b64 s[14:15], s[0:1]
	s_cbranch_execnz .LBB282_55
.LBB282_30:                             ;   in Loop: Header=BB282_16 Depth=1
	s_or_b64 exec, exec, s[14:15]
	s_and_saveexec_b64 s[14:15], s[0:1]
	s_cbranch_execz .LBB282_32
.LBB282_31:                             ;   in Loop: Header=BB282_16 Depth=1
	v_mov_b32_e32 v25, v24
	ds_write_b64 v45, v[24:25]
.LBB282_32:                             ;   in Loop: Header=BB282_16 Depth=1
	s_or_b64 exec, exec, s[14:15]
	ds_bpermute_b32 v34, v39, v28
	ds_bpermute_b32 v35, v39, v29
	s_waitcnt lgkmcnt(0)
	s_barrier
	v_add_f64 v[28:29], v[28:29], v[34:35]
	ds_bpermute_b32 v34, v40, v28
	ds_bpermute_b32 v35, v40, v29
	s_waitcnt lgkmcnt(0)
	v_add_f64 v[28:29], v[28:29], v[34:35]
	ds_bpermute_b32 v34, v41, v28
	ds_bpermute_b32 v35, v41, v29
	s_waitcnt lgkmcnt(0)
	;; [unrolled: 4-line block ×4, first 2 shown]
	v_add_f64 v[28:29], v[28:29], v[34:35]
	ds_bpermute_b32 v34, v44, v28
	ds_bpermute_b32 v35, v44, v29
	s_and_saveexec_b64 s[14:15], s[12:13]
	s_cbranch_execz .LBB282_34
; %bb.33:                               ;   in Loop: Header=BB282_16 Depth=1
	s_waitcnt lgkmcnt(0)
	v_add_f64 v[28:29], v[28:29], v[34:35]
	ds_write_b64 v46, v[28:29]
.LBB282_34:                             ;   in Loop: Header=BB282_16 Depth=1
	s_or_b64 exec, exec, s[14:15]
	v_mov_b64_e32 v[28:29], 0
	s_waitcnt lgkmcnt(0)
	s_barrier
	s_and_saveexec_b64 s[14:15], s[4:5]
	s_cbranch_execnz .LBB282_56
; %bb.35:                               ;   in Loop: Header=BB282_16 Depth=1
	s_or_b64 exec, exec, s[14:15]
	s_and_saveexec_b64 s[14:15], s[0:1]
	s_cbranch_execnz .LBB282_57
.LBB282_36:                             ;   in Loop: Header=BB282_16 Depth=1
	s_or_b64 exec, exec, s[14:15]
	s_and_saveexec_b64 s[14:15], s[0:1]
	s_cbranch_execz .LBB282_38
.LBB282_37:                             ;   in Loop: Header=BB282_16 Depth=1
	v_mov_b32_e32 v25, v24
	ds_write_b64 v45, v[24:25]
.LBB282_38:                             ;   in Loop: Header=BB282_16 Depth=1
	s_or_b64 exec, exec, s[14:15]
	ds_bpermute_b32 v34, v39, v26
	ds_bpermute_b32 v35, v39, v27
	s_waitcnt lgkmcnt(0)
	s_barrier
	v_add_f64 v[26:27], v[26:27], v[34:35]
	ds_bpermute_b32 v34, v40, v26
	ds_bpermute_b32 v35, v40, v27
	s_waitcnt lgkmcnt(0)
	v_add_f64 v[26:27], v[26:27], v[34:35]
	ds_bpermute_b32 v34, v41, v26
	ds_bpermute_b32 v35, v41, v27
	s_waitcnt lgkmcnt(0)
	;; [unrolled: 4-line block ×4, first 2 shown]
	v_add_f64 v[26:27], v[26:27], v[34:35]
	ds_bpermute_b32 v34, v44, v26
	ds_bpermute_b32 v35, v44, v27
	s_and_saveexec_b64 s[14:15], s[12:13]
	s_cbranch_execz .LBB282_40
; %bb.39:                               ;   in Loop: Header=BB282_16 Depth=1
	s_waitcnt lgkmcnt(0)
	v_add_f64 v[26:27], v[26:27], v[34:35]
	ds_write_b64 v46, v[26:27]
.LBB282_40:                             ;   in Loop: Header=BB282_16 Depth=1
	s_or_b64 exec, exec, s[14:15]
	v_mov_b64_e32 v[26:27], 0
	s_waitcnt lgkmcnt(0)
	s_barrier
	s_and_saveexec_b64 s[14:15], s[4:5]
	s_cbranch_execnz .LBB282_58
; %bb.41:                               ;   in Loop: Header=BB282_16 Depth=1
	s_or_b64 exec, exec, s[14:15]
	s_and_saveexec_b64 s[14:15], s[0:1]
	s_cbranch_execnz .LBB282_59
.LBB282_42:                             ;   in Loop: Header=BB282_16 Depth=1
	s_or_b64 exec, exec, s[14:15]
	s_and_saveexec_b64 s[14:15], s[6:7]
	s_cbranch_execz .LBB282_15
	s_branch .LBB282_60
.LBB282_43:                             ;   in Loop: Header=BB282_16 Depth=1
	s_mul_i32 s16, s31, s30
	s_ashr_i32 s17, s16, 31
	v_lshl_add_u64 v[30:31], s[16:17], 3, v[10:11]
	s_add_i32 s16, s16, s30
	s_ashr_i32 s17, s16, 31
	v_lshl_add_u64 v[72:73], s[16:17], 3, v[10:11]
	s_add_i32 s16, s16, s30
	s_ashr_i32 s17, s16, 31
	flat_load_dwordx2 v[2:3], v[16:17]
	flat_load_dwordx2 v[4:5], v[18:19]
	;; [unrolled: 1-line block ×3, first 2 shown]
	flat_load_dwordx4 v[32:35], v[72:73]
	v_lshl_add_u64 v[74:75], s[16:17], 3, v[10:11]
	s_waitcnt lgkmcnt(0)
	flat_load_dwordx4 v[26:29], v[30:31]
	flat_load_dwordx4 v[48:51], v[74:75]
	s_add_i32 s16, s16, s30
	s_ashr_i32 s17, s16, 31
	v_lshl_add_u64 v[76:77], s[16:17], 3, v[10:11]
	flat_load_dwordx4 v[52:55], v[30:31] offset:16
	flat_load_dwordx4 v[56:59], v[76:77]
	flat_load_dwordx4 v[60:63], v[72:73] offset:16
	flat_load_dwordx2 v[8:9], v[22:23]
	flat_load_dwordx4 v[64:67], v[74:75] offset:16
	flat_load_dwordx4 v[68:71], v[76:77] offset:16
	s_waitcnt vmcnt(0) lgkmcnt(0)
	v_fma_f64 v[32:33], v[2:3], v[32:33], 0
	v_fma_f64 v[30:31], v[2:3], v[26:27], 0
	v_fmac_f64_e32 v[30:31], v[4:5], v[28:29]
	v_fma_f64 v[28:29], v[2:3], v[48:49], 0
	v_fma_f64 v[26:27], v[2:3], v[56:57], 0
	v_fmac_f64_e32 v[32:33], v[4:5], v[34:35]
	v_fmac_f64_e32 v[28:29], v[4:5], v[50:51]
	;; [unrolled: 1-line block ×11, first 2 shown]
	s_andn2_saveexec_b64 s[44:45], s[14:15]
	s_cbranch_execz .LBB282_18
.LBB282_44:                             ;   in Loop: Header=BB282_16 Depth=1
	s_waitcnt lgkmcnt(0)
	v_mov_b64_e32 v[26:27], 0
	v_mov_b64_e32 v[28:29], v[26:27]
	;; [unrolled: 1-line block ×4, first 2 shown]
	s_and_saveexec_b64 s[46:47], s[10:11]
	s_cbranch_execz .LBB282_51
; %bb.45:                               ;   in Loop: Header=BB282_16 Depth=1
	v_cndmask_b32_e64 v15, 0, 1, s[36:37]
	v_cmp_ne_u32_e64 s[14:15], 1, v15
	s_andn2_b64 vcc, exec, s[36:37]
	s_cbranch_vccnz .LBB282_48
; %bb.46:                               ;   in Loop: Header=BB282_16 Depth=1
	s_mov_b64 s[48:49], 0
	v_mov_b32_e32 v26, v14
.LBB282_47:                             ;   Parent Loop BB282_16 Depth=1
                                        ; =>  This Inner Loop Header: Depth=2
	v_ashrrev_i32_e32 v27, 31, v26
	v_lshl_add_u64 v[28:29], v[26:27], 3, s[24:25]
	flat_load_dwordx2 v[28:29], v[28:29]
	s_cmp_eq_u32 s48, 3
	s_cselect_b64 vcc, -1, 0
	s_cmp_eq_u32 s48, 2
	s_cselect_b64 s[16:17], -1, 0
	s_cmp_eq_u32 s48, 1
	s_cselect_b64 s[18:19], -1, 0
	;; [unrolled: 2-line block ×3, first 2 shown]
	s_add_u32 s48, s48, 1
	s_addc_u32 s49, s49, 0
	v_add_u32_e32 v26, s29, v26
	s_cmp_eq_u32 s33, s48
	s_waitcnt vmcnt(0) lgkmcnt(0)
	v_cndmask_b32_e32 v9, v9, v29, vcc
	v_cndmask_b32_e32 v8, v8, v28, vcc
	v_cndmask_b32_e64 v7, v7, v29, s[16:17]
	v_cndmask_b32_e64 v6, v6, v28, s[16:17]
	;; [unrolled: 1-line block ×6, first 2 shown]
	s_cbranch_scc0 .LBB282_47
.LBB282_48:                             ;   in Loop: Header=BB282_16 Depth=1
	v_mov_b64_e32 v[26:27], 0
	s_and_b64 vcc, exec, s[14:15]
	v_mov_b64_e32 v[28:29], v[26:27]
	v_mov_b64_e32 v[32:33], v[26:27]
	;; [unrolled: 1-line block ×3, first 2 shown]
	s_cbranch_vccnz .LBB282_51
; %bb.49:                               ;   in Loop: Header=BB282_16 Depth=1
	s_ashr_i32 s39, s38, 31
	v_mov_b64_e32 v[30:31], 0
	v_lshl_add_u64 v[34:35], s[38:39], 3, v[10:11]
	s_mov_b64 s[18:19], 0
	v_mov_b64_e32 v[32:33], v[30:31]
	v_mov_b64_e32 v[28:29], v[30:31]
	;; [unrolled: 1-line block ×3, first 2 shown]
.LBB282_50:                             ;   Parent Loop BB282_16 Depth=1
                                        ; =>  This Inner Loop Header: Depth=2
	s_cmp_eq_u32 s18, 1
	s_cselect_b64 vcc, -1, 0
	s_cmp_eq_u32 s18, 2
	s_cselect_b64 s[14:15], -1, 0
	s_cmp_eq_u32 s18, 3
	s_cselect_b64 s[16:17], -1, 0
	s_add_i32 s20, s42, s18
	s_add_i32 s48, s40, s18
	;; [unrolled: 1-line block ×3, first 2 shown]
	s_ashr_i32 s21, s20, 31
	s_ashr_i32 s49, s48, 31
	;; [unrolled: 1-line block ×3, first 2 shown]
	v_lshl_add_u64 v[50:51], s[20:21], 3, v[10:11]
	v_lshl_add_u64 v[52:53], s[48:49], 3, v[10:11]
	;; [unrolled: 1-line block ×3, first 2 shown]
	flat_load_dwordx2 v[48:49], v[34:35]
	s_nop 0
	flat_load_dwordx2 v[50:51], v[50:51]
	s_nop 0
	;; [unrolled: 2-line block ×3, first 2 shown]
	flat_load_dwordx2 v[54:55], v[54:55]
	v_cndmask_b32_e32 v15, v3, v5, vcc
	v_cndmask_b32_e64 v15, v15, v7, s[14:15]
	v_cndmask_b32_e32 v25, v2, v4, vcc
	v_cndmask_b32_e64 v57, v15, v9, s[16:17]
	v_cndmask_b32_e64 v15, v25, v6, s[14:15]
	s_add_u32 s18, s18, 1
	v_cndmask_b32_e64 v56, v15, v8, s[16:17]
	s_addc_u32 s19, s19, 0
	v_lshl_add_u64 v[34:35], v[34:35], 0, 8
	s_cmp_lg_u32 s33, s18
	s_waitcnt vmcnt(0) lgkmcnt(0)
	v_fmac_f64_e32 v[32:33], v[56:57], v[50:51]
	v_fmac_f64_e32 v[30:31], v[56:57], v[48:49]
	v_fmac_f64_e32 v[28:29], v[56:57], v[52:53]
	v_fmac_f64_e32 v[26:27], v[56:57], v[54:55]
	s_cbranch_scc1 .LBB282_50
.LBB282_51:                             ;   in Loop: Header=BB282_16 Depth=1
	s_or_b64 exec, exec, s[46:47]
	s_or_b64 exec, exec, s[44:45]
	s_and_saveexec_b64 s[14:15], s[0:1]
	s_cbranch_execnz .LBB282_19
	s_branch .LBB282_20
.LBB282_52:                             ;   in Loop: Header=BB282_16 Depth=1
	ds_read_b64 v[30:31], v45
	s_or_b64 exec, exec, s[14:15]
	s_and_saveexec_b64 s[14:15], s[0:1]
	s_cbranch_execz .LBB282_24
.LBB282_53:                             ;   in Loop: Header=BB282_16 Depth=1
	s_waitcnt lgkmcnt(0)
	ds_bpermute_b32 v34, v43, v30
	ds_bpermute_b32 v35, v43, v31
	s_waitcnt lgkmcnt(0)
	v_add_f64 v[30:31], v[30:31], v[34:35]
	ds_bpermute_b32 v34, v44, v30
	ds_bpermute_b32 v35, v44, v31
	s_waitcnt lgkmcnt(0)
	v_add_f64 v[30:31], v[30:31], v[34:35]
	s_or_b64 exec, exec, s[14:15]
	s_and_saveexec_b64 s[14:15], s[0:1]
	s_cbranch_execnz .LBB282_25
	s_branch .LBB282_26
.LBB282_54:                             ;   in Loop: Header=BB282_16 Depth=1
	ds_read_b64 v[32:33], v45
	s_or_b64 exec, exec, s[14:15]
	s_and_saveexec_b64 s[14:15], s[0:1]
	s_cbranch_execz .LBB282_30
.LBB282_55:                             ;   in Loop: Header=BB282_16 Depth=1
	s_waitcnt lgkmcnt(0)
	ds_bpermute_b32 v34, v43, v32
	ds_bpermute_b32 v35, v43, v33
	s_waitcnt lgkmcnt(0)
	v_add_f64 v[32:33], v[32:33], v[34:35]
	ds_bpermute_b32 v34, v44, v32
	ds_bpermute_b32 v35, v44, v33
	s_waitcnt lgkmcnt(0)
	v_add_f64 v[32:33], v[32:33], v[34:35]
	s_or_b64 exec, exec, s[14:15]
	s_and_saveexec_b64 s[14:15], s[0:1]
	s_cbranch_execnz .LBB282_31
	s_branch .LBB282_32
.LBB282_56:                             ;   in Loop: Header=BB282_16 Depth=1
	ds_read_b64 v[28:29], v45
	s_or_b64 exec, exec, s[14:15]
	s_and_saveexec_b64 s[14:15], s[0:1]
	s_cbranch_execz .LBB282_36
.LBB282_57:                             ;   in Loop: Header=BB282_16 Depth=1
	s_waitcnt lgkmcnt(0)
	ds_bpermute_b32 v34, v43, v28
	ds_bpermute_b32 v35, v43, v29
	s_waitcnt lgkmcnt(0)
	v_add_f64 v[28:29], v[28:29], v[34:35]
	ds_bpermute_b32 v34, v44, v28
	ds_bpermute_b32 v35, v44, v29
	s_waitcnt lgkmcnt(0)
	v_add_f64 v[28:29], v[28:29], v[34:35]
	s_or_b64 exec, exec, s[14:15]
	s_and_saveexec_b64 s[14:15], s[0:1]
	s_cbranch_execnz .LBB282_37
	s_branch .LBB282_38
.LBB282_58:                             ;   in Loop: Header=BB282_16 Depth=1
	ds_read_b64 v[26:27], v45
	s_or_b64 exec, exec, s[14:15]
	s_and_saveexec_b64 s[14:15], s[0:1]
	s_cbranch_execz .LBB282_42
.LBB282_59:                             ;   in Loop: Header=BB282_16 Depth=1
	s_waitcnt lgkmcnt(0)
	ds_bpermute_b32 v34, v43, v26
	ds_bpermute_b32 v35, v43, v27
	s_waitcnt lgkmcnt(0)
	v_add_f64 v[26:27], v[26:27], v[34:35]
	ds_bpermute_b32 v34, v44, v26
	ds_bpermute_b32 v35, v44, v27
	s_waitcnt lgkmcnt(0)
	v_add_f64 v[26:27], v[26:27], v[34:35]
	s_or_b64 exec, exec, s[14:15]
	s_and_saveexec_b64 s[14:15], s[6:7]
	s_cbranch_execz .LBB282_15
.LBB282_60:                             ;   in Loop: Header=BB282_16 Depth=1
	s_mul_i32 s16, s31, s28
	s_add_i32 s34, s16, s2
	s_lshl_b64 s[16:17], s[34:35], 3
	s_add_u32 s16, s50, s16
	v_mul_f64 v[30:31], v[30:31], s[22:23]
	s_addc_u32 s17, s51, s17
	s_add_i32 s34, s34, s28
	global_store_dwordx2 v24, v[30:31], s[16:17]
	s_lshl_b64 s[16:17], s[34:35], 3
	s_add_u32 s16, s50, s16
	v_mul_f64 v[30:31], v[32:33], s[22:23]
	s_addc_u32 s17, s51, s17
	s_add_i32 s34, s34, s28
	global_store_dwordx2 v24, v[30:31], s[16:17]
	;; [unrolled: 6-line block ×3, first 2 shown]
	s_lshl_b64 s[16:17], s[34:35], 3
	s_add_u32 s16, s50, s16
	s_waitcnt lgkmcnt(0)
	v_mul_f64 v[26:27], v[26:27], s[22:23]
	s_addc_u32 s17, s51, s17
	global_store_dwordx2 v24, v[26:27], s[16:17]
	s_branch .LBB282_15
.LBB282_61:
	s_mov_b32 s31, 0
                                        ; implicit-def: $vgpr2_vgpr3_vgpr4_vgpr5_vgpr6_vgpr7_vgpr8_vgpr9
.LBB282_62:
	s_cmp_ge_i32 s31, s27
	s_cbranch_scc1 .LBB282_86
; %bb.63:
	v_mbcnt_hi_u32_b32 v14, -1, v36
	v_and_b32_e32 v15, 63, v14
	v_cmp_gt_u32_e32 vcc, 32, v15
	s_mov_b32 s3, 0
	s_cmp_gt_i32 s33, 0
	v_cndmask_b32_e64 v16, 0, 1, vcc
	v_lshlrev_b32_e32 v16, 5, v16
	v_cmp_gt_u32_e32 vcc, 48, v15
	s_waitcnt lgkmcnt(0)
	v_add_lshl_u32 v27, v16, v14, 2
	s_cselect_b64 s[34:35], -1, 0
	v_cndmask_b32_e64 v16, 0, 1, vcc
	v_lshlrev_b32_e32 v16, 4, v16
	v_cmp_gt_u32_e32 vcc, 56, v15
	v_add_lshl_u32 v28, v16, v14, 2
	s_lshl_b64 s[14:15], s[2:3], 3
	v_cndmask_b32_e64 v16, 0, 1, vcc
	v_lshlrev_b32_e32 v16, 3, v16
	v_cmp_gt_u32_e32 vcc, 60, v15
	v_add_lshl_u32 v29, v16, v14, 2
	v_and_b32_e32 v33, 24, v13
	v_cndmask_b32_e64 v16, 0, 1, vcc
	v_lshlrev_b32_e32 v16, 2, v16
	v_cmp_gt_u32_e32 vcc, 62, v15
	v_add_lshl_u32 v30, v16, v14, 2
	s_add_u32 s2, s50, s14
	v_cndmask_b32_e64 v16, 0, 1, vcc
	v_lshlrev_b32_e32 v16, 1, v16
	v_add_lshl_u32 v31, v16, v14, 2
	v_add_u32_e32 v16, s29, v12
	v_cmp_ne_u32_e32 vcc, 63, v15
	v_add_u32_e32 v18, s29, v16
	v_ashrrev_i32_e32 v17, 31, v16
	v_addc_co_u32_e32 v14, vcc, 0, v14, vcc
	v_ashrrev_i32_e32 v19, 31, v18
	v_lshlrev_b32_e32 v32, 2, v14
	v_lshl_add_u64 v[14:15], v[16:17], 3, s[24:25]
	v_lshl_add_u64 v[16:17], v[18:19], 3, s[24:25]
	v_add_u32_e32 v18, s29, v18
	v_ashrrev_i32_e32 v13, 31, v12
	v_ashrrev_i32_e32 v19, 31, v18
	v_cmp_ge_i32_e64 s[0:1], s26, v37
	v_cmp_ge_i32_e64 s[4:5], s26, v38
	v_cmp_gt_u32_e64 s[6:7], 64, v0
	v_lshlrev_b32_e32 v26, 3, v1
	v_cmp_eq_u32_e64 s[8:9], 0, v1
	v_cmp_gt_u32_e64 s[10:11], 4, v0
	v_cmp_eq_u32_e64 s[12:13], 0, v0
	s_addc_u32 s26, s51, s15
	v_lshl_add_u64 v[0:1], v[12:13], 3, s[24:25]
	v_lshl_add_u64 v[18:19], v[18:19], 3, s[24:25]
	s_mul_i32 s36, s31, s30
	v_mov_b32_e32 v20, 0
	s_branch .LBB282_65
.LBB282_64:                             ;   in Loop: Header=BB282_65 Depth=1
	s_or_b64 exec, exec, s[14:15]
	s_add_i32 s31, s31, 1
	s_add_i32 s36, s36, s30
	s_cmp_ge_i32 s31, s27
	s_cbranch_scc1 .LBB282_86
.LBB282_65:                             ; =>This Loop Header: Depth=1
                                        ;     Child Loop BB282_78 Depth 2
                                        ;     Child Loop BB282_81 Depth 2
	s_waitcnt lgkmcnt(0)
	v_mov_b32_e32 v22, s3
	v_mov_b32_e32 v23, s3
	s_and_saveexec_b64 s[14:15], s[0:1]
	s_xor_b64 s[14:15], exec, s[14:15]
	s_cbranch_execnz .LBB282_74
; %bb.66:                               ;   in Loop: Header=BB282_65 Depth=1
	s_andn2_saveexec_b64 s[38:39], s[14:15]
	s_cbranch_execnz .LBB282_75
.LBB282_67:                             ;   in Loop: Header=BB282_65 Depth=1
	s_or_b64 exec, exec, s[38:39]
	s_and_saveexec_b64 s[14:15], s[6:7]
	s_cbranch_execz .LBB282_69
.LBB282_68:                             ;   in Loop: Header=BB282_65 Depth=1
	v_mov_b32_e32 v21, v20
	ds_write_b64 v26, v[20:21]
.LBB282_69:                             ;   in Loop: Header=BB282_65 Depth=1
	s_or_b64 exec, exec, s[14:15]
	ds_bpermute_b32 v24, v27, v22
	ds_bpermute_b32 v25, v27, v23
	s_waitcnt lgkmcnt(0)
	s_barrier
	v_add_f64 v[22:23], v[22:23], v[24:25]
	ds_bpermute_b32 v24, v28, v22
	ds_bpermute_b32 v25, v28, v23
	s_waitcnt lgkmcnt(0)
	v_add_f64 v[22:23], v[22:23], v[24:25]
	ds_bpermute_b32 v24, v29, v22
	ds_bpermute_b32 v25, v29, v23
	s_waitcnt lgkmcnt(0)
	;; [unrolled: 4-line block ×4, first 2 shown]
	v_add_f64 v[22:23], v[22:23], v[24:25]
	ds_bpermute_b32 v24, v32, v22
	ds_bpermute_b32 v25, v32, v23
	s_and_saveexec_b64 s[14:15], s[8:9]
	s_cbranch_execz .LBB282_71
; %bb.70:                               ;   in Loop: Header=BB282_65 Depth=1
	s_waitcnt lgkmcnt(0)
	v_add_f64 v[22:23], v[22:23], v[24:25]
	ds_write_b64 v33, v[22:23]
.LBB282_71:                             ;   in Loop: Header=BB282_65 Depth=1
	s_or_b64 exec, exec, s[14:15]
	v_mov_b64_e32 v[22:23], 0
	s_waitcnt lgkmcnt(0)
	s_barrier
	s_and_saveexec_b64 s[14:15], s[10:11]
	s_cbranch_execnz .LBB282_83
; %bb.72:                               ;   in Loop: Header=BB282_65 Depth=1
	s_or_b64 exec, exec, s[14:15]
	s_and_saveexec_b64 s[14:15], s[6:7]
	s_cbranch_execnz .LBB282_84
.LBB282_73:                             ;   in Loop: Header=BB282_65 Depth=1
	s_or_b64 exec, exec, s[14:15]
	s_and_saveexec_b64 s[14:15], s[12:13]
	s_cbranch_execz .LBB282_64
	s_branch .LBB282_85
.LBB282_74:                             ;   in Loop: Header=BB282_65 Depth=1
	s_mul_i32 s16, s31, s30
	s_ashr_i32 s17, s16, 31
	v_lshl_add_u64 v[38:39], s[16:17], 3, v[10:11]
	flat_load_dwordx4 v[22:25], v[38:39]
	flat_load_dwordx4 v[34:37], v[38:39] offset:16
	flat_load_dwordx2 v[2:3], v[0:1]
	flat_load_dwordx2 v[4:5], v[14:15]
	;; [unrolled: 1-line block ×4, first 2 shown]
	s_waitcnt vmcnt(0) lgkmcnt(0)
	v_fma_f64 v[22:23], v[2:3], v[22:23], 0
	v_fmac_f64_e32 v[22:23], v[4:5], v[24:25]
	v_fmac_f64_e32 v[22:23], v[6:7], v[34:35]
	;; [unrolled: 1-line block ×3, first 2 shown]
	s_andn2_saveexec_b64 s[38:39], s[14:15]
	s_cbranch_execz .LBB282_67
.LBB282_75:                             ;   in Loop: Header=BB282_65 Depth=1
	s_and_saveexec_b64 s[40:41], s[4:5]
	s_cbranch_execz .LBB282_82
; %bb.76:                               ;   in Loop: Header=BB282_65 Depth=1
	v_cndmask_b32_e64 v13, 0, 1, s[34:35]
	v_cmp_ne_u32_e64 s[14:15], 1, v13
	s_andn2_b64 vcc, exec, s[34:35]
	s_cbranch_vccnz .LBB282_79
; %bb.77:                               ;   in Loop: Header=BB282_65 Depth=1
	s_mov_b64 s[42:43], 0
	v_mov_b32_e32 v24, v12
.LBB282_78:                             ;   Parent Loop BB282_65 Depth=1
                                        ; =>  This Inner Loop Header: Depth=2
	v_ashrrev_i32_e32 v25, 31, v24
	v_lshl_add_u64 v[34:35], v[24:25], 3, s[24:25]
	flat_load_dwordx2 v[34:35], v[34:35]
	s_cmp_eq_u32 s42, 3
	s_cselect_b64 vcc, -1, 0
	s_cmp_eq_u32 s42, 2
	s_cselect_b64 s[16:17], -1, 0
	s_cmp_eq_u32 s42, 1
	s_cselect_b64 s[18:19], -1, 0
	;; [unrolled: 2-line block ×3, first 2 shown]
	s_add_u32 s42, s42, 1
	s_addc_u32 s43, s43, 0
	v_add_u32_e32 v24, s29, v24
	s_cmp_eq_u32 s33, s42
	s_waitcnt vmcnt(0) lgkmcnt(0)
	v_cndmask_b32_e32 v9, v9, v35, vcc
	v_cndmask_b32_e32 v8, v8, v34, vcc
	v_cndmask_b32_e64 v7, v7, v35, s[16:17]
	v_cndmask_b32_e64 v6, v6, v34, s[16:17]
	;; [unrolled: 1-line block ×6, first 2 shown]
	s_cbranch_scc0 .LBB282_78
.LBB282_79:                             ;   in Loop: Header=BB282_65 Depth=1
	s_and_b64 vcc, exec, s[14:15]
	s_cbranch_vccnz .LBB282_82
; %bb.80:                               ;   in Loop: Header=BB282_65 Depth=1
	s_ashr_i32 s37, s36, 31
	v_lshl_add_u64 v[24:25], s[36:37], 3, v[10:11]
	s_mov_b64 s[16:17], 0
.LBB282_81:                             ;   Parent Loop BB282_65 Depth=1
                                        ; =>  This Inner Loop Header: Depth=2
	flat_load_dwordx2 v[34:35], v[24:25]
	s_cmp_eq_u32 s16, 1
	s_cselect_b64 vcc, -1, 0
	s_cmp_eq_u32 s16, 2
	v_cndmask_b32_e32 v13, v3, v5, vcc
	s_cselect_b64 s[14:15], -1, 0
	s_cmp_eq_u32 s16, 3
	v_cndmask_b32_e64 v13, v13, v7, s[14:15]
	v_cndmask_b32_e32 v21, v2, v4, vcc
	s_cselect_b64 vcc, -1, 0
	v_cndmask_b32_e32 v37, v13, v9, vcc
	v_cndmask_b32_e64 v13, v21, v6, s[14:15]
	s_add_u32 s16, s16, 1
	v_cndmask_b32_e32 v36, v13, v8, vcc
	s_addc_u32 s17, s17, 0
	v_lshl_add_u64 v[24:25], v[24:25], 0, 8
	s_cmp_lg_u32 s33, s16
	s_waitcnt vmcnt(0) lgkmcnt(0)
	v_fmac_f64_e32 v[22:23], v[36:37], v[34:35]
	s_cbranch_scc1 .LBB282_81
.LBB282_82:                             ;   in Loop: Header=BB282_65 Depth=1
	s_or_b64 exec, exec, s[40:41]
	s_or_b64 exec, exec, s[38:39]
	s_and_saveexec_b64 s[14:15], s[6:7]
	s_cbranch_execnz .LBB282_68
	s_branch .LBB282_69
.LBB282_83:                             ;   in Loop: Header=BB282_65 Depth=1
	ds_read_b64 v[22:23], v26
	s_or_b64 exec, exec, s[14:15]
	s_and_saveexec_b64 s[14:15], s[6:7]
	s_cbranch_execz .LBB282_73
.LBB282_84:                             ;   in Loop: Header=BB282_65 Depth=1
	s_waitcnt lgkmcnt(0)
	ds_bpermute_b32 v24, v31, v22
	ds_bpermute_b32 v25, v31, v23
	s_waitcnt lgkmcnt(0)
	v_add_f64 v[22:23], v[22:23], v[24:25]
	ds_bpermute_b32 v24, v32, v22
	ds_bpermute_b32 v25, v32, v23
	s_waitcnt lgkmcnt(0)
	v_add_f64 v[22:23], v[22:23], v[24:25]
	s_or_b64 exec, exec, s[14:15]
	s_and_saveexec_b64 s[14:15], s[12:13]
	s_cbranch_execz .LBB282_64
.LBB282_85:                             ;   in Loop: Header=BB282_65 Depth=1
	s_mul_hi_u32 s17, s31, s28
	s_mul_i32 s16, s31, s28
	s_lshl_b64 s[16:17], s[16:17], 3
	s_add_u32 s16, s2, s16
	s_waitcnt lgkmcnt(0)
	v_mul_f64 v[22:23], v[22:23], s[22:23]
	s_addc_u32 s17, s26, s17
	global_store_dwordx2 v20, v[22:23], s[16:17]
	s_branch .LBB282_64
.LBB282_86:
	s_endpgm
	.section	.rodata,"a",@progbits
	.p2align	6, 0x0
	.amdhsa_kernel _ZL23rocblas_gemvt_sn_kernelILb1ELi256ELi4EiPKdddEviiT4_lPKT3_lilS5_lilPT5_i
		.amdhsa_group_segment_fixed_size 512
		.amdhsa_private_segment_fixed_size 0
		.amdhsa_kernarg_size 360
		.amdhsa_user_sgpr_count 2
		.amdhsa_user_sgpr_dispatch_ptr 0
		.amdhsa_user_sgpr_queue_ptr 0
		.amdhsa_user_sgpr_kernarg_segment_ptr 1
		.amdhsa_user_sgpr_dispatch_id 0
		.amdhsa_user_sgpr_kernarg_preload_length 0
		.amdhsa_user_sgpr_kernarg_preload_offset 0
		.amdhsa_user_sgpr_private_segment_size 0
		.amdhsa_uses_dynamic_stack 0
		.amdhsa_enable_private_segment 0
		.amdhsa_system_sgpr_workgroup_id_x 1
		.amdhsa_system_sgpr_workgroup_id_y 0
		.amdhsa_system_sgpr_workgroup_id_z 1
		.amdhsa_system_sgpr_workgroup_info 0
		.amdhsa_system_vgpr_workitem_id 0
		.amdhsa_next_free_vgpr 78
		.amdhsa_next_free_sgpr 58
		.amdhsa_accum_offset 80
		.amdhsa_reserve_vcc 1
		.amdhsa_float_round_mode_32 0
		.amdhsa_float_round_mode_16_64 0
		.amdhsa_float_denorm_mode_32 3
		.amdhsa_float_denorm_mode_16_64 3
		.amdhsa_dx10_clamp 1
		.amdhsa_ieee_mode 1
		.amdhsa_fp16_overflow 0
		.amdhsa_tg_split 0
		.amdhsa_exception_fp_ieee_invalid_op 0
		.amdhsa_exception_fp_denorm_src 0
		.amdhsa_exception_fp_ieee_div_zero 0
		.amdhsa_exception_fp_ieee_overflow 0
		.amdhsa_exception_fp_ieee_underflow 0
		.amdhsa_exception_fp_ieee_inexact 0
		.amdhsa_exception_int_div_zero 0
	.end_amdhsa_kernel
	.section	.text._ZL23rocblas_gemvt_sn_kernelILb1ELi256ELi4EiPKdddEviiT4_lPKT3_lilS5_lilPT5_i,"axG",@progbits,_ZL23rocblas_gemvt_sn_kernelILb1ELi256ELi4EiPKdddEviiT4_lPKT3_lilS5_lilPT5_i,comdat
.Lfunc_end282:
	.size	_ZL23rocblas_gemvt_sn_kernelILb1ELi256ELi4EiPKdddEviiT4_lPKT3_lilS5_lilPT5_i, .Lfunc_end282-_ZL23rocblas_gemvt_sn_kernelILb1ELi256ELi4EiPKdddEviiT4_lPKT3_lilS5_lilPT5_i
                                        ; -- End function
	.section	.AMDGPU.csdata,"",@progbits
; Kernel info:
; codeLenInByte = 4332
; NumSgprs: 64
; NumVgprs: 78
; NumAgprs: 0
; TotalNumVgprs: 78
; ScratchSize: 0
; MemoryBound: 1
; FloatMode: 240
; IeeeMode: 1
; LDSByteSize: 512 bytes/workgroup (compile time only)
; SGPRBlocks: 7
; VGPRBlocks: 9
; NumSGPRsForWavesPerEU: 64
; NumVGPRsForWavesPerEU: 78
; AccumOffset: 80
; Occupancy: 6
; WaveLimiterHint : 0
; COMPUTE_PGM_RSRC2:SCRATCH_EN: 0
; COMPUTE_PGM_RSRC2:USER_SGPR: 2
; COMPUTE_PGM_RSRC2:TRAP_HANDLER: 0
; COMPUTE_PGM_RSRC2:TGID_X_EN: 1
; COMPUTE_PGM_RSRC2:TGID_Y_EN: 0
; COMPUTE_PGM_RSRC2:TGID_Z_EN: 1
; COMPUTE_PGM_RSRC2:TIDIG_COMP_CNT: 0
; COMPUTE_PGM_RSRC3_GFX90A:ACCUM_OFFSET: 19
; COMPUTE_PGM_RSRC3_GFX90A:TG_SPLIT: 0
	.section	.text._ZL23rocblas_gemvt_sn_kernelILb1ELi256ELi4ElPKdddEviiT4_lPKT3_lilS5_lilPT5_i,"axG",@progbits,_ZL23rocblas_gemvt_sn_kernelILb1ELi256ELi4ElPKdddEviiT4_lPKT3_lilS5_lilPT5_i,comdat
	.globl	_ZL23rocblas_gemvt_sn_kernelILb1ELi256ELi4ElPKdddEviiT4_lPKT3_lilS5_lilPT5_i ; -- Begin function _ZL23rocblas_gemvt_sn_kernelILb1ELi256ELi4ElPKdddEviiT4_lPKT3_lilS5_lilPT5_i
	.p2align	8
	.type	_ZL23rocblas_gemvt_sn_kernelILb1ELi256ELi4ElPKdddEviiT4_lPKT3_lilS5_lilPT5_i,@function
_ZL23rocblas_gemvt_sn_kernelILb1ELi256ELi4ElPKdddEviiT4_lPKT3_lilS5_lilPT5_i: ; @_ZL23rocblas_gemvt_sn_kernelILb1ELi256ELi4ElPKdddEviiT4_lPKT3_lilS5_lilPT5_i
; %bb.0:
	s_load_dwordx2 s[22:23], s[0:1], 0x8
	s_mov_b32 s6, s3
	s_mov_b64 s[10:11], 0
	s_waitcnt lgkmcnt(0)
	v_cmp_neq_f64_e64 s[8:9], s[22:23], 0
	v_cmp_eq_f64_e64 s[4:5], s[22:23], 0
	s_and_b64 vcc, exec, s[8:9]
	s_cbranch_vccnz .LBB283_2
; %bb.1:
	s_mov_b32 s7, 0
	s_mov_b64 s[30:31], 0
	s_andn2_b64 vcc, exec, s[10:11]
	s_cbranch_vccz .LBB283_3
	s_branch .LBB283_4
.LBB283_2:
                                        ; implicit-def: $sgpr30_sgpr31
.LBB283_3:
	s_load_dwordx4 s[12:15], s[0:1], 0x18
	s_mov_b32 s7, 0
	s_lshl_b64 s[10:11], s[6:7], 3
	s_waitcnt lgkmcnt(0)
	s_add_u32 s10, s12, s10
	s_addc_u32 s11, s13, s11
	s_load_dwordx2 s[10:11], s[10:11], 0x0
	s_lshl_b64 s[12:13], s[14:15], 3
	s_waitcnt lgkmcnt(0)
	s_add_u32 s30, s10, s12
	s_addc_u32 s31, s11, s13
.LBB283_4:
	s_andn2_b64 vcc, exec, s[8:9]
	s_cbranch_vccnz .LBB283_6
; %bb.5:
	s_load_dwordx4 s[8:11], s[0:1], 0x38
	s_lshl_b64 s[12:13], s[6:7], 3
	s_waitcnt lgkmcnt(0)
	s_add_u32 s8, s8, s12
	s_addc_u32 s9, s9, s13
	s_load_dwordx2 s[8:9], s[8:9], 0x0
	s_lshl_b64 s[10:11], s[10:11], 3
	s_waitcnt lgkmcnt(0)
	s_add_u32 s34, s8, s10
	s_addc_u32 s35, s9, s11
	s_branch .LBB283_7
.LBB283_6:
	s_mov_b64 s[34:35], 0
.LBB283_7:
	s_load_dwordx2 s[24:25], s[0:1], 0x0
	s_load_dwordx2 s[8:9], s[0:1], 0x58
	s_load_dword s26, s[0:1], 0x68
	s_mov_b32 s27, 0
	s_waitcnt lgkmcnt(0)
	s_ashr_i32 s10, s25, 31
	s_mul_hi_u32 s3, s6, s25
	s_mul_i32 s11, s6, s10
	s_add_i32 s3, s3, s11
	s_mul_i32 s7, s7, s25
	s_add_i32 s3, s3, s7
	s_mul_i32 s6, s6, s25
	s_mul_i32 s3, s3, s26
	s_mul_hi_u32 s7, s6, s26
	s_add_i32 s7, s7, s3
	s_mul_i32 s6, s6, s26
	s_lshl_b64 s[6:7], s[6:7], 3
	s_add_u32 s33, s8, s6
	s_addc_u32 s56, s9, s7
	s_andn2_b64 vcc, exec, s[4:5]
	s_mov_b64 s[4:5], -1
	s_cbranch_vccnz .LBB283_12
; %bb.8:
	s_cmp_gt_i32 s25, 0
	v_cmp_eq_u32_e32 vcc, 0, v0
	s_cselect_b64 s[4:5], -1, 0
	s_and_b64 s[6:7], vcc, s[4:5]
	s_and_saveexec_b64 s[4:5], s[6:7]
	s_cbranch_execz .LBB283_11
; %bb.9:
	s_mov_b32 s3, 0
	s_lshl_b64 s[6:7], s[2:3], 3
	s_add_u32 s6, s33, s6
	v_mov_b32_e32 v2, 0
	s_addc_u32 s7, s56, s7
	s_lshl_b64 s[8:9], s[26:27], 3
	v_mov_b32_e32 v3, v2
	s_mov_b32 s3, s25
.LBB283_10:                             ; =>This Inner Loop Header: Depth=1
	s_add_i32 s3, s3, -1
	global_store_dwordx2 v2, v[2:3], s[6:7]
	s_add_u32 s6, s6, s8
	s_addc_u32 s7, s7, s9
	s_cmp_eq_u32 s3, 0
	s_cbranch_scc0 .LBB283_10
.LBB283_11:
	s_or_b64 exec, exec, s[4:5]
	s_mov_b64 s[4:5], 0
.LBB283_12:
	s_andn2_b64 vcc, exec, s[4:5]
	s_cbranch_vccnz .LBB283_86
; %bb.13:
	s_load_dword s28, s[0:1], 0x28
	s_load_dword s36, s[0:1], 0x48
	s_lshl_b32 s0, s2, 10
	v_lshl_or_b32 v12, v0, 2, s0
	s_lshr_b32 s0, s10, 30
	s_add_i32 s0, s25, s0
	s_and_b32 s57, s0, -4
	s_ashr_i32 s0, s24, 31
	s_lshr_b32 s0, s0, 30
	s_add_i32 s0, s24, s0
	s_and_b32 s0, s0, -4
	s_waitcnt lgkmcnt(0)
	s_ashr_i32 s29, s28, 31
	s_ashr_i32 s37, s36, 31
	v_ashrrev_i32_e32 v13, 31, v12
	s_sub_i32 s27, s24, s0
	v_lshl_add_u64 v[10:11], v[12:13], 3, s[30:31]
	s_cmp_lt_i32 s57, 1
	v_add_u32_e32 v41, 4, v12
	v_add_u32_e32 v42, s27, v12
	v_and_b32_e32 v1, 63, v0
	v_cmp_gt_u32_e64 s[0:1], 64, v0
	v_mbcnt_lo_u32_b32 v40, -1, 0
	v_cmp_gt_u32_e64 s[4:5], 4, v0
	v_lshrrev_b32_e32 v39, 3, v0
	v_cmp_eq_u32_e64 s[6:7], 0, v0
	v_or_b32_e32 v38, 1, v12
	v_or_b32_e32 v37, 2, v12
	;; [unrolled: 1-line block ×3, first 2 shown]
	s_cbranch_scc1 .LBB283_61
; %bb.14:
	v_mbcnt_hi_u32_b32 v2, -1, v40
	v_and_b32_e32 v3, 63, v2
	v_cmp_gt_u32_e32 vcc, 32, v3
	s_mov_b32 s3, 0
	s_cmp_gt_i32 s27, 0
	v_cndmask_b32_e64 v4, 0, 1, vcc
	v_lshlrev_b32_e32 v4, 5, v4
	v_cmp_gt_u32_e32 vcc, 48, v3
	v_add_lshl_u32 v43, v4, v2, 2
	s_cselect_b64 s[38:39], -1, 0
	v_cndmask_b32_e64 v4, 0, 1, vcc
	v_lshlrev_b32_e32 v4, 4, v4
	v_cmp_gt_u32_e32 vcc, 56, v3
	v_add_lshl_u32 v44, v4, v2, 2
	s_lshl_b64 s[14:15], s[2:3], 3
	v_cndmask_b32_e64 v4, 0, 1, vcc
	v_lshlrev_b32_e32 v4, 3, v4
	v_cmp_gt_u32_e32 vcc, 60, v3
	v_add_lshl_u32 v45, v4, v2, 2
	s_add_u32 s58, s33, s14
	v_cndmask_b32_e64 v4, 0, 1, vcc
	v_lshlrev_b32_e32 v4, 2, v4
	v_cmp_gt_u32_e32 vcc, 62, v3
	v_add_lshl_u32 v46, v4, v2, 2
	s_addc_u32 s59, s56, s15
	v_cndmask_b32_e64 v4, 0, 1, vcc
	v_lshlrev_b32_e32 v4, 1, v4
	v_cmp_ne_u32_e32 vcc, 63, v3
	v_add_lshl_u32 v47, v4, v2, 2
	v_cmp_ge_i32_e64 s[8:9], s24, v41
	v_addc_co_u32_e32 v2, vcc, 0, v2, vcc
	v_lshlrev_b32_e32 v48, 2, v2
	v_mad_i64_i32 v[2:3], s[14:15], s36, v12, 0
	v_lshl_add_u64 v[14:15], v[2:3], 3, s[34:35]
	v_mad_i64_i32 v[2:3], s[14:15], s36, v38, 0
	v_lshl_add_u64 v[16:17], v[2:3], 3, s[34:35]
	v_mad_i64_i32 v[2:3], s[14:15], s36, v37, 0
	v_lshl_add_u64 v[18:19], v[2:3], 3, s[34:35]
	v_mad_i64_i32 v[2:3], s[14:15], s36, v36, 0
	v_cmp_ge_i32_e64 s[10:11], s24, v42
	v_cmp_eq_u32_e64 s[12:13], 0, v1
	v_lshlrev_b32_e32 v49, 3, v1
	v_and_b32_e32 v50, 24, v39
	v_lshl_add_u64 v[20:21], v[2:3], 3, s[34:35]
	s_lshl_b64 s[40:41], s[36:37], 3
	s_mul_hi_i32 s43, s28, 24
	s_mul_i32 s42, s28, 24
	s_lshl_b64 s[44:45], s[28:29], 5
	s_lshl_b64 s[46:47], s[28:29], 4
	;; [unrolled: 1-line block ×3, first 2 shown]
	v_mov_b32_e32 v22, 0
	v_mov_b64_e32 v[24:25], v[10:11]
                                        ; implicit-def: $vgpr2_vgpr3_vgpr4_vgpr5_vgpr6_vgpr7_vgpr8_vgpr9
	s_branch .LBB283_16
.LBB283_15:                             ;   in Loop: Header=BB283_16 Depth=1
	s_or_b64 exec, exec, s[14:15]
	s_add_i32 s3, s3, 4
	s_cmp_ge_i32 s3, s57
	v_lshl_add_u64 v[24:25], v[24:25], 0, s[44:45]
	s_cbranch_scc1 .LBB283_62
.LBB283_16:                             ; =>This Loop Header: Depth=1
                                        ;     Child Loop BB283_47 Depth 2
                                        ;     Child Loop BB283_50 Depth 2
                                        ; implicit-def: $vgpr26_vgpr27
                                        ; implicit-def: $vgpr28_vgpr29
                                        ; implicit-def: $vgpr32_vgpr33
                                        ; implicit-def: $vgpr30_vgpr31
	s_and_saveexec_b64 s[14:15], s[8:9]
	s_xor_b64 s[14:15], exec, s[14:15]
	s_cbranch_execnz .LBB283_43
; %bb.17:                               ;   in Loop: Header=BB283_16 Depth=1
	s_andn2_saveexec_b64 s[50:51], s[14:15]
	s_cbranch_execnz .LBB283_44
.LBB283_18:                             ;   in Loop: Header=BB283_16 Depth=1
	s_or_b64 exec, exec, s[50:51]
	s_and_saveexec_b64 s[14:15], s[0:1]
	s_cbranch_execz .LBB283_20
.LBB283_19:                             ;   in Loop: Header=BB283_16 Depth=1
	v_mov_b32_e32 v23, v22
	ds_write_b64 v49, v[22:23]
.LBB283_20:                             ;   in Loop: Header=BB283_16 Depth=1
	s_or_b64 exec, exec, s[14:15]
	ds_bpermute_b32 v34, v43, v30
	ds_bpermute_b32 v35, v43, v31
	s_waitcnt lgkmcnt(0)
	s_barrier
	v_add_f64 v[30:31], v[30:31], v[34:35]
	ds_bpermute_b32 v34, v44, v30
	ds_bpermute_b32 v35, v44, v31
	s_waitcnt lgkmcnt(0)
	v_add_f64 v[30:31], v[30:31], v[34:35]
	ds_bpermute_b32 v34, v45, v30
	ds_bpermute_b32 v35, v45, v31
	s_waitcnt lgkmcnt(0)
	;; [unrolled: 4-line block ×4, first 2 shown]
	v_add_f64 v[30:31], v[30:31], v[34:35]
	ds_bpermute_b32 v34, v48, v30
	ds_bpermute_b32 v35, v48, v31
	s_and_saveexec_b64 s[14:15], s[12:13]
	s_cbranch_execz .LBB283_22
; %bb.21:                               ;   in Loop: Header=BB283_16 Depth=1
	s_waitcnt lgkmcnt(0)
	v_add_f64 v[30:31], v[30:31], v[34:35]
	ds_write_b64 v50, v[30:31]
.LBB283_22:                             ;   in Loop: Header=BB283_16 Depth=1
	s_or_b64 exec, exec, s[14:15]
	v_mov_b64_e32 v[30:31], 0
	s_waitcnt lgkmcnt(0)
	s_barrier
	s_and_saveexec_b64 s[14:15], s[4:5]
	s_cbranch_execnz .LBB283_52
; %bb.23:                               ;   in Loop: Header=BB283_16 Depth=1
	s_or_b64 exec, exec, s[14:15]
	s_and_saveexec_b64 s[14:15], s[0:1]
	s_cbranch_execnz .LBB283_53
.LBB283_24:                             ;   in Loop: Header=BB283_16 Depth=1
	s_or_b64 exec, exec, s[14:15]
	s_and_saveexec_b64 s[14:15], s[0:1]
	s_cbranch_execz .LBB283_26
.LBB283_25:                             ;   in Loop: Header=BB283_16 Depth=1
	v_mov_b32_e32 v23, v22
	ds_write_b64 v49, v[22:23]
.LBB283_26:                             ;   in Loop: Header=BB283_16 Depth=1
	s_or_b64 exec, exec, s[14:15]
	ds_bpermute_b32 v34, v43, v32
	ds_bpermute_b32 v35, v43, v33
	s_waitcnt lgkmcnt(0)
	s_barrier
	v_add_f64 v[32:33], v[32:33], v[34:35]
	ds_bpermute_b32 v34, v44, v32
	ds_bpermute_b32 v35, v44, v33
	s_waitcnt lgkmcnt(0)
	v_add_f64 v[32:33], v[32:33], v[34:35]
	ds_bpermute_b32 v34, v45, v32
	ds_bpermute_b32 v35, v45, v33
	s_waitcnt lgkmcnt(0)
	;; [unrolled: 4-line block ×4, first 2 shown]
	v_add_f64 v[32:33], v[32:33], v[34:35]
	ds_bpermute_b32 v34, v48, v32
	ds_bpermute_b32 v35, v48, v33
	s_and_saveexec_b64 s[14:15], s[12:13]
	s_cbranch_execz .LBB283_28
; %bb.27:                               ;   in Loop: Header=BB283_16 Depth=1
	s_waitcnt lgkmcnt(0)
	v_add_f64 v[32:33], v[32:33], v[34:35]
	ds_write_b64 v50, v[32:33]
.LBB283_28:                             ;   in Loop: Header=BB283_16 Depth=1
	s_or_b64 exec, exec, s[14:15]
	v_mov_b64_e32 v[32:33], 0
	s_waitcnt lgkmcnt(0)
	s_barrier
	s_and_saveexec_b64 s[14:15], s[4:5]
	s_cbranch_execnz .LBB283_54
; %bb.29:                               ;   in Loop: Header=BB283_16 Depth=1
	s_or_b64 exec, exec, s[14:15]
	s_and_saveexec_b64 s[14:15], s[0:1]
	s_cbranch_execnz .LBB283_55
.LBB283_30:                             ;   in Loop: Header=BB283_16 Depth=1
	s_or_b64 exec, exec, s[14:15]
	s_and_saveexec_b64 s[14:15], s[0:1]
	s_cbranch_execz .LBB283_32
.LBB283_31:                             ;   in Loop: Header=BB283_16 Depth=1
	v_mov_b32_e32 v23, v22
	ds_write_b64 v49, v[22:23]
.LBB283_32:                             ;   in Loop: Header=BB283_16 Depth=1
	s_or_b64 exec, exec, s[14:15]
	ds_bpermute_b32 v34, v43, v28
	ds_bpermute_b32 v35, v43, v29
	s_waitcnt lgkmcnt(0)
	s_barrier
	v_add_f64 v[28:29], v[28:29], v[34:35]
	ds_bpermute_b32 v34, v44, v28
	ds_bpermute_b32 v35, v44, v29
	s_waitcnt lgkmcnt(0)
	v_add_f64 v[28:29], v[28:29], v[34:35]
	ds_bpermute_b32 v34, v45, v28
	ds_bpermute_b32 v35, v45, v29
	s_waitcnt lgkmcnt(0)
	;; [unrolled: 4-line block ×4, first 2 shown]
	v_add_f64 v[28:29], v[28:29], v[34:35]
	ds_bpermute_b32 v34, v48, v28
	ds_bpermute_b32 v35, v48, v29
	s_and_saveexec_b64 s[14:15], s[12:13]
	s_cbranch_execz .LBB283_34
; %bb.33:                               ;   in Loop: Header=BB283_16 Depth=1
	s_waitcnt lgkmcnt(0)
	v_add_f64 v[28:29], v[28:29], v[34:35]
	ds_write_b64 v50, v[28:29]
.LBB283_34:                             ;   in Loop: Header=BB283_16 Depth=1
	s_or_b64 exec, exec, s[14:15]
	v_mov_b64_e32 v[28:29], 0
	s_waitcnt lgkmcnt(0)
	s_barrier
	s_and_saveexec_b64 s[14:15], s[4:5]
	s_cbranch_execnz .LBB283_56
; %bb.35:                               ;   in Loop: Header=BB283_16 Depth=1
	s_or_b64 exec, exec, s[14:15]
	s_and_saveexec_b64 s[14:15], s[0:1]
	s_cbranch_execnz .LBB283_57
.LBB283_36:                             ;   in Loop: Header=BB283_16 Depth=1
	s_or_b64 exec, exec, s[14:15]
	s_and_saveexec_b64 s[14:15], s[0:1]
	s_cbranch_execz .LBB283_38
.LBB283_37:                             ;   in Loop: Header=BB283_16 Depth=1
	v_mov_b32_e32 v23, v22
	ds_write_b64 v49, v[22:23]
.LBB283_38:                             ;   in Loop: Header=BB283_16 Depth=1
	s_or_b64 exec, exec, s[14:15]
	ds_bpermute_b32 v34, v43, v26
	ds_bpermute_b32 v35, v43, v27
	s_waitcnt lgkmcnt(0)
	s_barrier
	v_add_f64 v[26:27], v[26:27], v[34:35]
	ds_bpermute_b32 v34, v44, v26
	ds_bpermute_b32 v35, v44, v27
	s_waitcnt lgkmcnt(0)
	v_add_f64 v[26:27], v[26:27], v[34:35]
	ds_bpermute_b32 v34, v45, v26
	ds_bpermute_b32 v35, v45, v27
	s_waitcnt lgkmcnt(0)
	;; [unrolled: 4-line block ×4, first 2 shown]
	v_add_f64 v[26:27], v[26:27], v[34:35]
	ds_bpermute_b32 v34, v48, v26
	ds_bpermute_b32 v35, v48, v27
	s_and_saveexec_b64 s[14:15], s[12:13]
	s_cbranch_execz .LBB283_40
; %bb.39:                               ;   in Loop: Header=BB283_16 Depth=1
	s_waitcnt lgkmcnt(0)
	v_add_f64 v[26:27], v[26:27], v[34:35]
	ds_write_b64 v50, v[26:27]
.LBB283_40:                             ;   in Loop: Header=BB283_16 Depth=1
	s_or_b64 exec, exec, s[14:15]
	v_mov_b64_e32 v[26:27], 0
	s_waitcnt lgkmcnt(0)
	s_barrier
	s_and_saveexec_b64 s[14:15], s[4:5]
	s_cbranch_execnz .LBB283_58
; %bb.41:                               ;   in Loop: Header=BB283_16 Depth=1
	s_or_b64 exec, exec, s[14:15]
	s_and_saveexec_b64 s[14:15], s[0:1]
	s_cbranch_execnz .LBB283_59
.LBB283_42:                             ;   in Loop: Header=BB283_16 Depth=1
	s_or_b64 exec, exec, s[14:15]
	s_and_saveexec_b64 s[14:15], s[6:7]
	s_cbranch_execz .LBB283_15
	s_branch .LBB283_60
.LBB283_43:                             ;   in Loop: Header=BB283_16 Depth=1
	s_mul_i32 s16, s3, s29
	s_mul_hi_u32 s17, s3, s28
	s_add_i32 s17, s17, s16
	s_mul_i32 s16, s3, s28
	s_waitcnt lgkmcnt(0)
	v_lshl_add_u64 v[26:27], s[16:17], 3, v[10:11]
	s_or_b32 s16, s3, 1
	s_mul_i32 s17, s16, s29
	s_mul_hi_u32 s18, s16, s28
	s_add_i32 s17, s18, s17
	s_mul_i32 s16, s16, s28
	v_lshl_add_u64 v[28:29], s[16:17], 3, v[10:11]
	s_or_b32 s16, s3, 2
	s_mul_i32 s17, s16, s29
	s_mul_hi_u32 s18, s16, s28
	s_add_i32 s17, s18, s17
	s_mul_i32 s16, s16, s28
	v_lshl_add_u64 v[30:31], s[16:17], 3, v[10:11]
	s_or_b32 s16, s3, 3
	flat_load_dwordx2 v[2:3], v[14:15]
	flat_load_dwordx4 v[32:35], v[26:27]
	flat_load_dwordx4 v[52:55], v[28:29]
	;; [unrolled: 1-line block ×3, first 2 shown]
	s_mul_i32 s17, s16, s29
	s_mul_hi_u32 s18, s16, s28
	s_add_i32 s17, s18, s17
	s_mul_i32 s16, s16, s28
	v_lshl_add_u64 v[80:81], s[16:17], 3, v[10:11]
	flat_load_dwordx4 v[60:63], v[80:81]
	flat_load_dwordx2 v[4:5], v[16:17]
	flat_load_dwordx2 v[6:7], v[18:19]
	flat_load_dwordx4 v[64:67], v[26:27] offset:16
	flat_load_dwordx4 v[68:71], v[28:29] offset:16
	;; [unrolled: 1-line block ×4, first 2 shown]
	flat_load_dwordx2 v[8:9], v[20:21]
	s_waitcnt vmcnt(0) lgkmcnt(0)
	v_fma_f64 v[30:31], v[2:3], v[32:33], 0
	v_fma_f64 v[32:33], v[2:3], v[52:53], 0
	;; [unrolled: 1-line block ×4, first 2 shown]
	v_fmac_f64_e32 v[30:31], v[4:5], v[34:35]
	v_fmac_f64_e32 v[32:33], v[4:5], v[54:55]
	;; [unrolled: 1-line block ×12, first 2 shown]
	s_andn2_saveexec_b64 s[50:51], s[14:15]
	s_cbranch_execz .LBB283_18
.LBB283_44:                             ;   in Loop: Header=BB283_16 Depth=1
	s_waitcnt lgkmcnt(0)
	v_mov_b64_e32 v[26:27], 0
	v_mov_b64_e32 v[28:29], v[26:27]
	;; [unrolled: 1-line block ×4, first 2 shown]
	s_and_saveexec_b64 s[52:53], s[10:11]
	s_cbranch_execz .LBB283_51
; %bb.45:                               ;   in Loop: Header=BB283_16 Depth=1
	v_cndmask_b32_e64 v23, 0, 1, s[38:39]
	v_cmp_ne_u32_e64 s[14:15], 1, v23
	s_andn2_b64 vcc, exec, s[38:39]
	s_cbranch_vccnz .LBB283_48
; %bb.46:                               ;   in Loop: Header=BB283_16 Depth=1
	s_mov_b64 s[54:55], 0
	v_mov_b64_e32 v[26:27], v[14:15]
.LBB283_47:                             ;   Parent Loop BB283_16 Depth=1
                                        ; =>  This Inner Loop Header: Depth=2
	flat_load_dwordx2 v[28:29], v[26:27]
	s_cmp_eq_u32 s54, 3
	s_cselect_b64 vcc, -1, 0
	s_cmp_eq_u32 s54, 2
	s_cselect_b64 s[16:17], -1, 0
	s_cmp_eq_u32 s54, 1
	s_cselect_b64 s[18:19], -1, 0
	s_cmp_eq_u32 s54, 0
	s_cselect_b64 s[20:21], -1, 0
	s_add_u32 s54, s54, 1
	s_addc_u32 s55, s55, 0
	v_lshl_add_u64 v[26:27], v[26:27], 0, s[40:41]
	s_cmp_eq_u32 s27, s54
	s_waitcnt vmcnt(0) lgkmcnt(0)
	v_cndmask_b32_e32 v9, v9, v29, vcc
	v_cndmask_b32_e32 v8, v8, v28, vcc
	v_cndmask_b32_e64 v7, v7, v29, s[16:17]
	v_cndmask_b32_e64 v6, v6, v28, s[16:17]
	;; [unrolled: 1-line block ×6, first 2 shown]
	s_cbranch_scc0 .LBB283_47
.LBB283_48:                             ;   in Loop: Header=BB283_16 Depth=1
	v_mov_b64_e32 v[26:27], 0
	s_and_b64 vcc, exec, s[14:15]
	v_mov_b64_e32 v[28:29], v[26:27]
	v_mov_b64_e32 v[32:33], v[26:27]
	;; [unrolled: 1-line block ×3, first 2 shown]
	s_cbranch_vccnz .LBB283_51
; %bb.49:                               ;   in Loop: Header=BB283_16 Depth=1
	v_mov_b64_e32 v[30:31], 0
	s_mov_b64 s[16:17], 0
	v_mov_b64_e32 v[34:35], v[24:25]
	v_mov_b64_e32 v[32:33], v[30:31]
	;; [unrolled: 1-line block ×4, first 2 shown]
.LBB283_50:                             ;   Parent Loop BB283_16 Depth=1
                                        ; =>  This Inner Loop Header: Depth=2
	v_lshl_add_u64 v[54:55], v[34:35], 0, s[48:49]
	v_lshl_add_u64 v[56:57], v[34:35], 0, s[46:47]
	;; [unrolled: 1-line block ×3, first 2 shown]
	flat_load_dwordx2 v[52:53], v[34:35]
	s_nop 0
	flat_load_dwordx2 v[54:55], v[54:55]
	s_nop 0
	;; [unrolled: 2-line block ×3, first 2 shown]
	flat_load_dwordx2 v[58:59], v[58:59]
	s_cmp_eq_u32 s16, 1
	s_cselect_b64 vcc, -1, 0
	s_cmp_eq_u32 s16, 2
	v_cndmask_b32_e32 v23, v3, v5, vcc
	s_cselect_b64 s[14:15], -1, 0
	s_cmp_eq_u32 s16, 3
	v_cndmask_b32_e64 v23, v23, v7, s[14:15]
	v_cndmask_b32_e32 v51, v2, v4, vcc
	s_cselect_b64 vcc, -1, 0
	v_cndmask_b32_e32 v61, v23, v9, vcc
	v_cndmask_b32_e64 v23, v51, v6, s[14:15]
	s_add_u32 s16, s16, 1
	v_cndmask_b32_e32 v60, v23, v8, vcc
	s_addc_u32 s17, s17, 0
	v_lshl_add_u64 v[34:35], v[34:35], 0, 8
	s_cmp_lg_u32 s27, s16
	s_waitcnt vmcnt(0) lgkmcnt(0)
	v_fmac_f64_e32 v[32:33], v[60:61], v[54:55]
	v_fmac_f64_e32 v[30:31], v[60:61], v[52:53]
	;; [unrolled: 1-line block ×4, first 2 shown]
	s_cbranch_scc1 .LBB283_50
.LBB283_51:                             ;   in Loop: Header=BB283_16 Depth=1
	s_or_b64 exec, exec, s[52:53]
	s_or_b64 exec, exec, s[50:51]
	s_and_saveexec_b64 s[14:15], s[0:1]
	s_cbranch_execnz .LBB283_19
	s_branch .LBB283_20
.LBB283_52:                             ;   in Loop: Header=BB283_16 Depth=1
	ds_read_b64 v[30:31], v49
	s_or_b64 exec, exec, s[14:15]
	s_and_saveexec_b64 s[14:15], s[0:1]
	s_cbranch_execz .LBB283_24
.LBB283_53:                             ;   in Loop: Header=BB283_16 Depth=1
	s_waitcnt lgkmcnt(0)
	ds_bpermute_b32 v34, v47, v30
	ds_bpermute_b32 v35, v47, v31
	s_waitcnt lgkmcnt(0)
	v_add_f64 v[30:31], v[30:31], v[34:35]
	ds_bpermute_b32 v34, v48, v30
	ds_bpermute_b32 v35, v48, v31
	s_waitcnt lgkmcnt(0)
	v_add_f64 v[30:31], v[30:31], v[34:35]
	s_or_b64 exec, exec, s[14:15]
	s_and_saveexec_b64 s[14:15], s[0:1]
	s_cbranch_execnz .LBB283_25
	s_branch .LBB283_26
.LBB283_54:                             ;   in Loop: Header=BB283_16 Depth=1
	ds_read_b64 v[32:33], v49
	s_or_b64 exec, exec, s[14:15]
	s_and_saveexec_b64 s[14:15], s[0:1]
	s_cbranch_execz .LBB283_30
.LBB283_55:                             ;   in Loop: Header=BB283_16 Depth=1
	s_waitcnt lgkmcnt(0)
	ds_bpermute_b32 v34, v47, v32
	ds_bpermute_b32 v35, v47, v33
	s_waitcnt lgkmcnt(0)
	v_add_f64 v[32:33], v[32:33], v[34:35]
	ds_bpermute_b32 v34, v48, v32
	ds_bpermute_b32 v35, v48, v33
	s_waitcnt lgkmcnt(0)
	v_add_f64 v[32:33], v[32:33], v[34:35]
	s_or_b64 exec, exec, s[14:15]
	s_and_saveexec_b64 s[14:15], s[0:1]
	s_cbranch_execnz .LBB283_31
	s_branch .LBB283_32
.LBB283_56:                             ;   in Loop: Header=BB283_16 Depth=1
	ds_read_b64 v[28:29], v49
	s_or_b64 exec, exec, s[14:15]
	s_and_saveexec_b64 s[14:15], s[0:1]
	s_cbranch_execz .LBB283_36
.LBB283_57:                             ;   in Loop: Header=BB283_16 Depth=1
	s_waitcnt lgkmcnt(0)
	ds_bpermute_b32 v34, v47, v28
	ds_bpermute_b32 v35, v47, v29
	s_waitcnt lgkmcnt(0)
	v_add_f64 v[28:29], v[28:29], v[34:35]
	ds_bpermute_b32 v34, v48, v28
	ds_bpermute_b32 v35, v48, v29
	s_waitcnt lgkmcnt(0)
	v_add_f64 v[28:29], v[28:29], v[34:35]
	s_or_b64 exec, exec, s[14:15]
	s_and_saveexec_b64 s[14:15], s[0:1]
	s_cbranch_execnz .LBB283_37
	s_branch .LBB283_38
.LBB283_58:                             ;   in Loop: Header=BB283_16 Depth=1
	ds_read_b64 v[26:27], v49
	s_or_b64 exec, exec, s[14:15]
	s_and_saveexec_b64 s[14:15], s[0:1]
	s_cbranch_execz .LBB283_42
.LBB283_59:                             ;   in Loop: Header=BB283_16 Depth=1
	s_waitcnt lgkmcnt(0)
	ds_bpermute_b32 v34, v47, v26
	ds_bpermute_b32 v35, v47, v27
	s_waitcnt lgkmcnt(0)
	v_add_f64 v[26:27], v[26:27], v[34:35]
	ds_bpermute_b32 v34, v48, v26
	ds_bpermute_b32 v35, v48, v27
	s_waitcnt lgkmcnt(0)
	v_add_f64 v[26:27], v[26:27], v[34:35]
	s_or_b64 exec, exec, s[14:15]
	s_and_saveexec_b64 s[14:15], s[6:7]
	s_cbranch_execz .LBB283_15
.LBB283_60:                             ;   in Loop: Header=BB283_16 Depth=1
	s_mul_hi_u32 s17, s3, s26
	s_mul_i32 s16, s3, s26
	s_lshl_b64 s[16:17], s[16:17], 3
	s_add_u32 s16, s58, s16
	v_mul_f64 v[30:31], v[30:31], s[22:23]
	s_addc_u32 s17, s59, s17
	global_store_dwordx2 v22, v[30:31], s[16:17]
	s_or_b32 s16, s3, 1
	s_mul_hi_u32 s17, s16, s26
	s_mul_i32 s16, s16, s26
	s_lshl_b64 s[16:17], s[16:17], 3
	s_add_u32 s16, s58, s16
	v_mul_f64 v[30:31], v[32:33], s[22:23]
	s_addc_u32 s17, s59, s17
	global_store_dwordx2 v22, v[30:31], s[16:17]
	s_or_b32 s16, s3, 2
	;; [unrolled: 8-line block ×3, first 2 shown]
	s_mul_hi_u32 s17, s16, s26
	s_mul_i32 s16, s16, s26
	s_lshl_b64 s[16:17], s[16:17], 3
	s_add_u32 s16, s58, s16
	s_waitcnt lgkmcnt(0)
	v_mul_f64 v[26:27], v[26:27], s[22:23]
	s_addc_u32 s17, s59, s17
	global_store_dwordx2 v22, v[26:27], s[16:17]
	s_branch .LBB283_15
.LBB283_61:
	s_mov_b32 s3, 0
                                        ; implicit-def: $vgpr2_vgpr3_vgpr4_vgpr5_vgpr6_vgpr7_vgpr8_vgpr9
.LBB283_62:
	s_cmp_ge_i32 s3, s25
	s_cbranch_scc1 .LBB283_86
; %bb.63:
	v_mbcnt_hi_u32_b32 v14, -1, v40
	v_and_b32_e32 v15, 63, v14
	v_cmp_gt_u32_e32 vcc, 32, v15
	s_mov_b32 s39, 0
	s_cmp_gt_i32 s27, 0
	v_cndmask_b32_e64 v16, 0, 1, vcc
	v_lshlrev_b32_e32 v16, 5, v16
	v_cmp_gt_u32_e32 vcc, 48, v15
	s_waitcnt lgkmcnt(0)
	v_add_lshl_u32 v27, v16, v14, 2
	s_mov_b32 s38, s2
	v_cndmask_b32_e64 v16, 0, 1, vcc
	v_lshlrev_b32_e32 v16, 4, v16
	v_cmp_gt_u32_e32 vcc, 56, v15
	v_add_lshl_u32 v28, v16, v14, 2
	s_cselect_b64 s[40:41], -1, 0
	v_cndmask_b32_e64 v16, 0, 1, vcc
	v_lshlrev_b32_e32 v16, 3, v16
	v_cmp_gt_u32_e32 vcc, 60, v15
	v_add_lshl_u32 v29, v16, v14, 2
	s_lshl_b64 s[14:15], s[38:39], 3
	v_cndmask_b32_e64 v16, 0, 1, vcc
	v_lshlrev_b32_e32 v16, 2, v16
	v_cmp_gt_u32_e32 vcc, 62, v15
	v_add_lshl_u32 v30, v16, v14, 2
	s_add_u32 s2, s33, s14
	v_cndmask_b32_e64 v16, 0, 1, vcc
	v_lshlrev_b32_e32 v16, 1, v16
	v_cmp_ne_u32_e32 vcc, 63, v15
	v_add_lshl_u32 v31, v16, v14, 2
	v_cmp_ge_i32_e64 s[0:1], s24, v41
	v_addc_co_u32_e32 v14, vcc, 0, v14, vcc
	v_cmp_ge_i32_e64 s[4:5], s24, v42
	v_cmp_gt_u32_e64 s[6:7], 64, v0
	v_lshlrev_b32_e32 v26, 3, v1
	v_lshlrev_b32_e32 v32, 2, v14
	v_cmp_eq_u32_e64 s[8:9], 0, v1
	v_cmp_gt_u32_e64 s[10:11], 4, v0
	v_cmp_eq_u32_e64 s[12:13], 0, v0
	s_addc_u32 s24, s56, s15
	v_mad_i64_i32 v[0:1], s[14:15], s36, v12, 0
	v_mad_i64_i32 v[14:15], s[14:15], s36, v38, 0
	v_mad_i64_i32 v[16:17], s[14:15], s36, v37, 0
	v_mad_i64_i32 v[18:19], s[14:15], s36, v36, 0
	s_mul_i32 s14, s29, s3
	s_mul_hi_u32 s15, s28, s3
	s_add_i32 s15, s15, s14
	s_mul_i32 s14, s28, s3
	v_lshl_add_u64 v[0:1], v[0:1], 3, s[34:35]
	v_lshl_add_u64 v[14:15], v[14:15], 3, s[34:35]
	;; [unrolled: 1-line block ×4, first 2 shown]
	s_lshl_b64 s[34:35], s[36:37], 3
	s_lshl_b64 s[14:15], s[14:15], 3
	s_add_u32 s14, s30, s14
	s_addc_u32 s15, s31, s15
	v_and_b32_e32 v33, 24, v39
	v_lshl_add_u64 v[12:13], v[12:13], 3, s[14:15]
	s_lshl_b64 s[30:31], s[28:29], 3
	v_mov_b32_e32 v20, 0
	s_branch .LBB283_65
.LBB283_64:                             ;   in Loop: Header=BB283_65 Depth=1
	s_or_b64 exec, exec, s[14:15]
	s_add_i32 s3, s3, 1
	s_cmp_ge_i32 s3, s25
	v_lshl_add_u64 v[12:13], v[12:13], 0, s[30:31]
	s_cbranch_scc1 .LBB283_86
.LBB283_65:                             ; =>This Loop Header: Depth=1
                                        ;     Child Loop BB283_78 Depth 2
                                        ;     Child Loop BB283_81 Depth 2
	s_waitcnt lgkmcnt(0)
	v_mov_b32_e32 v22, s39
	v_mov_b32_e32 v23, s39
	s_and_saveexec_b64 s[14:15], s[0:1]
	s_xor_b64 s[14:15], exec, s[14:15]
	s_cbranch_execnz .LBB283_74
; %bb.66:                               ;   in Loop: Header=BB283_65 Depth=1
	s_andn2_saveexec_b64 s[36:37], s[14:15]
	s_cbranch_execnz .LBB283_75
.LBB283_67:                             ;   in Loop: Header=BB283_65 Depth=1
	s_or_b64 exec, exec, s[36:37]
	s_and_saveexec_b64 s[14:15], s[6:7]
	s_cbranch_execz .LBB283_69
.LBB283_68:                             ;   in Loop: Header=BB283_65 Depth=1
	v_mov_b32_e32 v21, v20
	ds_write_b64 v26, v[20:21]
.LBB283_69:                             ;   in Loop: Header=BB283_65 Depth=1
	s_or_b64 exec, exec, s[14:15]
	ds_bpermute_b32 v24, v27, v22
	ds_bpermute_b32 v25, v27, v23
	s_waitcnt lgkmcnt(0)
	s_barrier
	v_add_f64 v[22:23], v[22:23], v[24:25]
	ds_bpermute_b32 v24, v28, v22
	ds_bpermute_b32 v25, v28, v23
	s_waitcnt lgkmcnt(0)
	v_add_f64 v[22:23], v[22:23], v[24:25]
	ds_bpermute_b32 v24, v29, v22
	ds_bpermute_b32 v25, v29, v23
	s_waitcnt lgkmcnt(0)
	;; [unrolled: 4-line block ×4, first 2 shown]
	v_add_f64 v[22:23], v[22:23], v[24:25]
	ds_bpermute_b32 v24, v32, v22
	ds_bpermute_b32 v25, v32, v23
	s_and_saveexec_b64 s[14:15], s[8:9]
	s_cbranch_execz .LBB283_71
; %bb.70:                               ;   in Loop: Header=BB283_65 Depth=1
	s_waitcnt lgkmcnt(0)
	v_add_f64 v[22:23], v[22:23], v[24:25]
	ds_write_b64 v33, v[22:23]
.LBB283_71:                             ;   in Loop: Header=BB283_65 Depth=1
	s_or_b64 exec, exec, s[14:15]
	v_mov_b64_e32 v[22:23], 0
	s_waitcnt lgkmcnt(0)
	s_barrier
	s_and_saveexec_b64 s[14:15], s[10:11]
	s_cbranch_execnz .LBB283_83
; %bb.72:                               ;   in Loop: Header=BB283_65 Depth=1
	s_or_b64 exec, exec, s[14:15]
	s_and_saveexec_b64 s[14:15], s[6:7]
	s_cbranch_execnz .LBB283_84
.LBB283_73:                             ;   in Loop: Header=BB283_65 Depth=1
	s_or_b64 exec, exec, s[14:15]
	s_and_saveexec_b64 s[14:15], s[12:13]
	s_cbranch_execz .LBB283_64
	s_branch .LBB283_85
.LBB283_74:                             ;   in Loop: Header=BB283_65 Depth=1
	flat_load_dwordx2 v[2:3], v[0:1]
	s_mul_i32 s16, s3, s29
	s_mul_hi_u32 s17, s3, s28
	s_add_i32 s17, s17, s16
	s_mul_i32 s16, s3, s28
	v_lshl_add_u64 v[38:39], s[16:17], 3, v[10:11]
	flat_load_dwordx4 v[22:25], v[38:39]
	flat_load_dwordx2 v[4:5], v[14:15]
	flat_load_dwordx2 v[6:7], v[16:17]
	flat_load_dwordx4 v[34:37], v[38:39] offset:16
	flat_load_dwordx2 v[8:9], v[18:19]
	s_waitcnt vmcnt(0) lgkmcnt(0)
	v_fma_f64 v[22:23], v[2:3], v[22:23], 0
	v_fmac_f64_e32 v[22:23], v[4:5], v[24:25]
	v_fmac_f64_e32 v[22:23], v[6:7], v[34:35]
	v_fmac_f64_e32 v[22:23], v[8:9], v[36:37]
	s_andn2_saveexec_b64 s[36:37], s[14:15]
	s_cbranch_execz .LBB283_67
.LBB283_75:                             ;   in Loop: Header=BB283_65 Depth=1
	s_and_saveexec_b64 s[42:43], s[4:5]
	s_cbranch_execz .LBB283_82
; %bb.76:                               ;   in Loop: Header=BB283_65 Depth=1
	v_cndmask_b32_e64 v21, 0, 1, s[40:41]
	v_cmp_ne_u32_e64 s[14:15], 1, v21
	s_andn2_b64 vcc, exec, s[40:41]
	s_cbranch_vccnz .LBB283_79
; %bb.77:                               ;   in Loop: Header=BB283_65 Depth=1
	s_mov_b64 s[44:45], 0
	v_mov_b64_e32 v[24:25], v[0:1]
.LBB283_78:                             ;   Parent Loop BB283_65 Depth=1
                                        ; =>  This Inner Loop Header: Depth=2
	flat_load_dwordx2 v[34:35], v[24:25]
	s_cmp_eq_u32 s44, 3
	s_cselect_b64 vcc, -1, 0
	s_cmp_eq_u32 s44, 2
	s_cselect_b64 s[16:17], -1, 0
	s_cmp_eq_u32 s44, 1
	s_cselect_b64 s[18:19], -1, 0
	;; [unrolled: 2-line block ×3, first 2 shown]
	s_add_u32 s44, s44, 1
	s_addc_u32 s45, s45, 0
	v_lshl_add_u64 v[24:25], v[24:25], 0, s[34:35]
	s_cmp_eq_u32 s27, s44
	s_waitcnt vmcnt(0) lgkmcnt(0)
	v_cndmask_b32_e32 v9, v9, v35, vcc
	v_cndmask_b32_e32 v8, v8, v34, vcc
	v_cndmask_b32_e64 v7, v7, v35, s[16:17]
	v_cndmask_b32_e64 v6, v6, v34, s[16:17]
	;; [unrolled: 1-line block ×6, first 2 shown]
	s_cbranch_scc0 .LBB283_78
.LBB283_79:                             ;   in Loop: Header=BB283_65 Depth=1
	s_and_b64 vcc, exec, s[14:15]
	s_cbranch_vccnz .LBB283_82
; %bb.80:                               ;   in Loop: Header=BB283_65 Depth=1
	s_mov_b64 s[16:17], 0
	v_mov_b64_e32 v[24:25], v[12:13]
.LBB283_81:                             ;   Parent Loop BB283_65 Depth=1
                                        ; =>  This Inner Loop Header: Depth=2
	flat_load_dwordx2 v[34:35], v[24:25]
	s_cmp_eq_u32 s16, 1
	s_cselect_b64 vcc, -1, 0
	s_cmp_eq_u32 s16, 2
	v_cndmask_b32_e32 v21, v3, v5, vcc
	s_cselect_b64 s[14:15], -1, 0
	s_cmp_eq_u32 s16, 3
	v_cndmask_b32_e64 v21, v21, v7, s[14:15]
	v_cndmask_b32_e32 v36, v2, v4, vcc
	s_cselect_b64 vcc, -1, 0
	v_cndmask_b32_e32 v37, v21, v9, vcc
	v_cndmask_b32_e64 v21, v36, v6, s[14:15]
	s_add_u32 s16, s16, 1
	v_cndmask_b32_e32 v36, v21, v8, vcc
	s_addc_u32 s17, s17, 0
	v_lshl_add_u64 v[24:25], v[24:25], 0, 8
	s_cmp_lg_u32 s27, s16
	s_waitcnt vmcnt(0) lgkmcnt(0)
	v_fmac_f64_e32 v[22:23], v[36:37], v[34:35]
	s_cbranch_scc1 .LBB283_81
.LBB283_82:                             ;   in Loop: Header=BB283_65 Depth=1
	s_or_b64 exec, exec, s[42:43]
	s_or_b64 exec, exec, s[36:37]
	s_and_saveexec_b64 s[14:15], s[6:7]
	s_cbranch_execnz .LBB283_68
	s_branch .LBB283_69
.LBB283_83:                             ;   in Loop: Header=BB283_65 Depth=1
	ds_read_b64 v[22:23], v26
	s_or_b64 exec, exec, s[14:15]
	s_and_saveexec_b64 s[14:15], s[6:7]
	s_cbranch_execz .LBB283_73
.LBB283_84:                             ;   in Loop: Header=BB283_65 Depth=1
	s_waitcnt lgkmcnt(0)
	ds_bpermute_b32 v24, v31, v22
	ds_bpermute_b32 v25, v31, v23
	s_waitcnt lgkmcnt(0)
	v_add_f64 v[22:23], v[22:23], v[24:25]
	ds_bpermute_b32 v24, v32, v22
	ds_bpermute_b32 v25, v32, v23
	s_waitcnt lgkmcnt(0)
	v_add_f64 v[22:23], v[22:23], v[24:25]
	s_or_b64 exec, exec, s[14:15]
	s_and_saveexec_b64 s[14:15], s[12:13]
	s_cbranch_execz .LBB283_64
.LBB283_85:                             ;   in Loop: Header=BB283_65 Depth=1
	s_mul_hi_u32 s17, s3, s26
	s_mul_i32 s16, s3, s26
	s_lshl_b64 s[16:17], s[16:17], 3
	s_add_u32 s16, s2, s16
	s_waitcnt lgkmcnt(0)
	v_mul_f64 v[22:23], v[22:23], s[22:23]
	s_addc_u32 s17, s24, s17
	global_store_dwordx2 v20, v[22:23], s[16:17]
	s_branch .LBB283_64
.LBB283_86:
	s_endpgm
	.section	.rodata,"a",@progbits
	.p2align	6, 0x0
	.amdhsa_kernel _ZL23rocblas_gemvt_sn_kernelILb1ELi256ELi4ElPKdddEviiT4_lPKT3_lilS5_lilPT5_i
		.amdhsa_group_segment_fixed_size 512
		.amdhsa_private_segment_fixed_size 0
		.amdhsa_kernarg_size 360
		.amdhsa_user_sgpr_count 2
		.amdhsa_user_sgpr_dispatch_ptr 0
		.amdhsa_user_sgpr_queue_ptr 0
		.amdhsa_user_sgpr_kernarg_segment_ptr 1
		.amdhsa_user_sgpr_dispatch_id 0
		.amdhsa_user_sgpr_kernarg_preload_length 0
		.amdhsa_user_sgpr_kernarg_preload_offset 0
		.amdhsa_user_sgpr_private_segment_size 0
		.amdhsa_uses_dynamic_stack 0
		.amdhsa_enable_private_segment 0
		.amdhsa_system_sgpr_workgroup_id_x 1
		.amdhsa_system_sgpr_workgroup_id_y 0
		.amdhsa_system_sgpr_workgroup_id_z 1
		.amdhsa_system_sgpr_workgroup_info 0
		.amdhsa_system_vgpr_workitem_id 0
		.amdhsa_next_free_vgpr 82
		.amdhsa_next_free_sgpr 60
		.amdhsa_accum_offset 84
		.amdhsa_reserve_vcc 1
		.amdhsa_float_round_mode_32 0
		.amdhsa_float_round_mode_16_64 0
		.amdhsa_float_denorm_mode_32 3
		.amdhsa_float_denorm_mode_16_64 3
		.amdhsa_dx10_clamp 1
		.amdhsa_ieee_mode 1
		.amdhsa_fp16_overflow 0
		.amdhsa_tg_split 0
		.amdhsa_exception_fp_ieee_invalid_op 0
		.amdhsa_exception_fp_denorm_src 0
		.amdhsa_exception_fp_ieee_div_zero 0
		.amdhsa_exception_fp_ieee_overflow 0
		.amdhsa_exception_fp_ieee_underflow 0
		.amdhsa_exception_fp_ieee_inexact 0
		.amdhsa_exception_int_div_zero 0
	.end_amdhsa_kernel
	.section	.text._ZL23rocblas_gemvt_sn_kernelILb1ELi256ELi4ElPKdddEviiT4_lPKT3_lilS5_lilPT5_i,"axG",@progbits,_ZL23rocblas_gemvt_sn_kernelILb1ELi256ELi4ElPKdddEviiT4_lPKT3_lilS5_lilPT5_i,comdat
.Lfunc_end283:
	.size	_ZL23rocblas_gemvt_sn_kernelILb1ELi256ELi4ElPKdddEviiT4_lPKT3_lilS5_lilPT5_i, .Lfunc_end283-_ZL23rocblas_gemvt_sn_kernelILb1ELi256ELi4ElPKdddEviiT4_lPKT3_lilS5_lilPT5_i
                                        ; -- End function
	.section	.AMDGPU.csdata,"",@progbits
; Kernel info:
; codeLenInByte = 4388
; NumSgprs: 66
; NumVgprs: 82
; NumAgprs: 0
; TotalNumVgprs: 82
; ScratchSize: 0
; MemoryBound: 1
; FloatMode: 240
; IeeeMode: 1
; LDSByteSize: 512 bytes/workgroup (compile time only)
; SGPRBlocks: 8
; VGPRBlocks: 10
; NumSGPRsForWavesPerEU: 66
; NumVGPRsForWavesPerEU: 82
; AccumOffset: 84
; Occupancy: 5
; WaveLimiterHint : 0
; COMPUTE_PGM_RSRC2:SCRATCH_EN: 0
; COMPUTE_PGM_RSRC2:USER_SGPR: 2
; COMPUTE_PGM_RSRC2:TRAP_HANDLER: 0
; COMPUTE_PGM_RSRC2:TGID_X_EN: 1
; COMPUTE_PGM_RSRC2:TGID_Y_EN: 0
; COMPUTE_PGM_RSRC2:TGID_Z_EN: 1
; COMPUTE_PGM_RSRC2:TIDIG_COMP_CNT: 0
; COMPUTE_PGM_RSRC3_GFX90A:ACCUM_OFFSET: 20
; COMPUTE_PGM_RSRC3_GFX90A:TG_SPLIT: 0
	.section	.text._ZL36rocblas_gemvt_double_buffered_kernelILb1ELi128ELi4ELi16EPKdS1_KPdEviiT4_lPKT3_lilS7_lilPT5_lili,"axG",@progbits,_ZL36rocblas_gemvt_double_buffered_kernelILb1ELi128ELi4ELi16EPKdS1_KPdEviiT4_lPKT3_lilS7_lilPT5_lili,comdat
	.globl	_ZL36rocblas_gemvt_double_buffered_kernelILb1ELi128ELi4ELi16EPKdS1_KPdEviiT4_lPKT3_lilS7_lilPT5_lili ; -- Begin function _ZL36rocblas_gemvt_double_buffered_kernelILb1ELi128ELi4ELi16EPKdS1_KPdEviiT4_lPKT3_lilS7_lilPT5_lili
	.p2align	8
	.type	_ZL36rocblas_gemvt_double_buffered_kernelILb1ELi128ELi4ELi16EPKdS1_KPdEviiT4_lPKT3_lilS7_lilPT5_lili,@function
_ZL36rocblas_gemvt_double_buffered_kernelILb1ELi128ELi4ELi16EPKdS1_KPdEviiT4_lPKT3_lilS7_lilPT5_lili: ; @_ZL36rocblas_gemvt_double_buffered_kernelILb1ELi128ELi4ELi16EPKdS1_KPdEviiT4_lPKT3_lilS7_lilPT5_lili
; %bb.0:
	s_load_dwordx8 s[8:15], s[0:1], 0x8
	s_waitcnt lgkmcnt(0)
	s_mul_i32 s5, s4, s11
	s_mul_hi_u32 s6, s4, s10
	s_add_i32 s7, s6, s5
	s_mul_i32 s6, s4, s10
	s_lshl_b64 s[6:7], s[6:7], 3
	s_add_u32 s6, s8, s6
	s_addc_u32 s7, s9, s7
	s_load_dwordx2 s[6:7], s[6:7], 0x0
	s_waitcnt lgkmcnt(0)
	v_cmp_eq_f64_e64 s[8:9], s[6:7], 0
	s_and_b64 vcc, exec, s[8:9]
	s_cbranch_vccnz .LBB284_10
; %bb.1:
	s_load_dword s5, s[0:1], 0x84
	s_load_dword s8, s[0:1], 0x0
	s_waitcnt lgkmcnt(0)
	v_cvt_f32_u32_e32 v1, s5
	s_ashr_i32 s9, s8, 31
	s_lshr_b32 s9, s9, 25
	s_sub_i32 s10, 0, s5
	v_rcp_iflag_f32_e32 v1, v1
	s_add_i32 s8, s8, s9
	s_ashr_i32 s8, s8, 7
	v_mul_f32_e32 v1, 0x4f7ffffe, v1
	v_cvt_u32_f32_e32 v1, v1
	s_nop 0
	v_readfirstlane_b32 s9, v1
	s_mul_i32 s10, s10, s9
	s_mul_hi_u32 s10, s9, s10
	s_add_i32 s9, s9, s10
	s_mul_hi_u32 s9, s8, s9
	s_mul_i32 s10, s9, s5
	s_sub_i32 s10, s8, s10
	s_add_i32 s11, s9, 1
	s_sub_i32 s16, s10, s5
	s_cmp_ge_u32 s10, s5
	s_cselect_b32 s9, s11, s9
	s_cselect_b32 s10, s16, s10
	s_add_i32 s11, s9, 1
	s_cmp_ge_u32 s10, s5
	s_cselect_b32 s25, s11, s9
	s_mul_i32 s5, s25, s5
	s_sub_i32 s24, s8, s5
	s_cmp_lt_u32 s3, s24
	s_cselect_b64 s[8:9], -1, 0
	s_cmp_lg_u64 s[8:9], 0
	s_addc_u32 s22, s25, 0
	s_cmp_eq_u32 s22, 0
	s_mov_b32 s5, 0
	s_cbranch_scc1 .LBB284_10
; %bb.2:
	s_load_dwordx4 s[8:11], s[0:1], 0x58
	s_lshl_b64 s[16:17], s[4:5], 3
	v_and_b32_e32 v172, 0x3ff, v0
	v_bfe_u32 v173, v0, 10, 10
	v_lshl_add_u32 v4, v173, 7, v172
	s_waitcnt lgkmcnt(0)
	s_add_u32 s4, s8, s16
	s_addc_u32 s5, s9, s17
	s_load_dwordx2 s[8:9], s[4:5], 0x0
	s_lshl_b32 s4, s2, 7
	v_and_b32_e32 v0, 63, v172
	s_ashr_i32 s5, s4, 31
	v_lshrrev_b32_e32 v174, 2, v4
	v_mov_b64_e32 v[70:71], 0
	v_and_b32_e32 v175, 0x7ff0, v174
	s_cmp_lt_i32 s22, 1
	v_lshlrev_b32_e32 v2, 3, v0
	v_mov_b64_e32 v[72:73], v[70:71]
	v_mov_b64_e32 v[76:77], v[70:71]
	;; [unrolled: 1-line block ×15, first 2 shown]
	s_cbranch_scc1 .LBB284_8
; %bb.3:
	s_load_dword s20, s[0:1], 0x28
	s_load_dwordx4 s[28:31], s[0:1], 0x38
	s_load_dword s18, s[0:1], 0x48
	s_mul_i32 s25, s25, s3
	v_cvt_f64_i32_e32 v[10:11], s3
	s_waitcnt lgkmcnt(0)
	s_ashr_i32 s21, s20, 31
	s_add_u32 s12, s12, s16
	s_addc_u32 s13, s13, s17
	s_load_dwordx2 s[12:13], s[12:13], 0x0
	s_add_u32 s16, s28, s16
	s_addc_u32 s17, s29, s17
	v_cvt_f64_u32_e32 v[12:13], s24
	s_load_dwordx2 s[16:17], s[16:17], 0x0
	v_cvt_f64_u32_e32 v[8:9], s25
	v_min_f64 v[10:11], v[10:11], v[12:13]
	v_add_f64 v[8:9], v[10:11], v[8:9]
	s_ashr_i32 s19, s18, 31
	s_lshl_b64 s[14:15], s[14:15], 3
	v_cvt_i32_f64_e32 v3, v[8:9]
	s_waitcnt lgkmcnt(0)
	s_add_u32 s14, s12, s14
	v_lshlrev_b32_e32 v8, 7, v3
	s_addc_u32 s15, s13, s15
	s_lshl_b64 s[12:13], s[30:31], 3
	v_ashrrev_i32_e32 v9, 31, v8
	s_add_u32 s12, s16, s12
	s_mul_hi_i32 s3, s20, s4
	s_mul_i32 s2, s20, s4
	v_lshlrev_b64 v[60:61], 3, v[8:9]
	v_mov_b32_e32 v1, 0
	s_addc_u32 s13, s17, s13
	s_lshl_b64 s[2:3], s[2:3], 3
	v_lshl_add_u64 v[68:69], s[14:15], 0, v[60:61]
	v_mad_i64_i32 v[6:7], s[26:27], s20, v175, v[0:1]
	v_lshl_add_u64 v[8:9], v[68:69], 0, s[2:3]
	v_lshl_add_u64 v[6:7], v[6:7], 3, v[8:9]
	v_mov_b32_e32 v3, 0x78
	v_mad_i64_i32 v[8:9], s[2:3], s20, v3, v[6:7]
	s_lshl_b64 s[2:3], s[20:21], 3
	s_nop 0
	v_mov_b32_e32 v3, s3
	v_subrev_co_u32_e32 v12, vcc, s2, v8
	v_lshlrev_b32_e32 v4, 1, v4
	s_nop 0
	v_subb_co_u32_e32 v13, vcc, v9, v3, vcc
	v_subrev_co_u32_e32 v14, vcc, s2, v12
	global_load_dwordx2 v[10:11], v[12:13], off
	s_nop 0
	v_subb_co_u32_e32 v15, vcc, v13, v3, vcc
	global_load_dwordx2 v[12:13], v[14:15], off
	v_subrev_co_u32_e32 v14, vcc, s2, v14
	v_and_b32_e32 v4, 0x7ff80, v4
	s_nop 0
	v_subb_co_u32_e32 v15, vcc, v15, v3, vcc
	global_load_dwordx2 v[16:17], v[14:15], off
	v_subrev_co_u32_e32 v14, vcc, s2, v14
	v_mov_b32_e32 v5, v1
	s_nop 0
	v_subb_co_u32_e32 v15, vcc, v15, v3, vcc
	global_load_dwordx2 v[20:21], v[14:15], off
	v_subrev_co_u32_e32 v14, vcc, s2, v14
	v_lshl_add_u64 v[70:71], s[4:5], 3, v[4:5]
	s_nop 0
	v_subb_co_u32_e32 v15, vcc, v15, v3, vcc
	global_load_dwordx2 v[22:23], v[14:15], off
	v_subrev_co_u32_e32 v14, vcc, s2, v14
	v_lshl_add_u64 v[4:5], v[70:71], 0, 8
	s_nop 0
	v_subb_co_u32_e32 v15, vcc, v15, v3, vcc
	global_load_dwordx2 v[26:27], v[14:15], off
	v_subrev_co_u32_e32 v14, vcc, s2, v14
	s_lshl_b64 s[14:15], s[18:19], 10
	s_nop 0
	v_subb_co_u32_e32 v15, vcc, v15, v3, vcc
	global_load_dwordx2 v[30:31], v[14:15], off
	v_subrev_co_u32_e32 v14, vcc, s2, v14
	s_mov_b32 s23, 0
	s_nop 0
	v_subb_co_u32_e32 v15, vcc, v15, v3, vcc
	global_load_dwordx2 v[32:33], v[14:15], off
	v_subrev_co_u32_e32 v14, vcc, s2, v14
	s_add_i32 s24, s22, -1
	s_nop 0
	v_subb_co_u32_e32 v15, vcc, v15, v3, vcc
	global_load_dwordx2 v[36:37], v[14:15], off
	v_subrev_co_u32_e32 v14, vcc, s2, v14
	s_waitcnt vmcnt(8)
	v_mov_b64_e32 v[132:133], v[10:11]
	v_subb_co_u32_e32 v15, vcc, v15, v3, vcc
	global_load_dwordx2 v[38:39], v[14:15], off
	v_subrev_co_u32_e32 v14, vcc, s2, v14
	s_waitcnt vmcnt(8)
	v_mov_b64_e32 v[130:131], v[12:13]
	;; [unrolled: 5-line block ×5, first 2 shown]
	v_subb_co_u32_e32 v15, vcc, v15, v3, vcc
	global_load_dwordx2 v[52:53], v[14:15], off
	global_load_dwordx2 v[54:55], v[8:9], off
	;; [unrolled: 1-line block ×3, first 2 shown]
	v_mov_b32_e32 v3, v1
	v_mad_u64_u32 v[6:7], s[16:17], v4, s20, v[68:69]
	v_mul_lo_u32 v1, v4, s21
	v_mul_lo_u32 v4, v5, s20
	v_add3_u32 v7, v4, v7, v1
	s_mov_b64 s[16:17], 0x400
	v_lshl_add_u64 v[4:5], v[6:7], 0, s[16:17]
	v_lshl_add_u64 v[6:7], v[70:71], 0, 16
	v_mad_u64_u32 v[8:9], s[26:27], v6, s20, v[68:69]
	v_mul_lo_u32 v1, v6, s21
	v_mul_lo_u32 v6, v7, s20
	v_add3_u32 v9, v6, v9, v1
	v_lshl_add_u64 v[6:7], v[8:9], 0, s[16:17]
	v_lshl_add_u64 v[8:9], v[70:71], 0, 24
	v_mad_u64_u32 v[14:15], s[26:27], v8, s20, v[68:69]
	v_mul_lo_u32 v1, v8, s21
	v_mul_lo_u32 v8, v9, s20
	v_add3_u32 v15, v8, v15, v1
	;; [unrolled: 6-line block ×7, first 2 shown]
	s_mov_b64 s[26:27], 0x48
	v_lshl_add_u64 v[34:35], v[40:41], 0, s[16:17]
	v_lshl_add_u64 v[40:41], v[70:71], 0, s[26:27]
	v_mad_u64_u32 v[46:47], s[26:27], v40, s20, v[68:69]
	v_mul_lo_u32 v1, v40, s21
	v_mul_lo_u32 v40, v41, s20
	v_add3_u32 v47, v40, v47, v1
	s_mov_b64 s[26:27], 0x50
	v_lshl_add_u64 v[40:41], v[46:47], 0, s[16:17]
	v_lshl_add_u64 v[46:47], v[70:71], 0, s[26:27]
	v_mad_u64_u32 v[50:51], s[26:27], v46, s20, v[68:69]
	v_mul_lo_u32 v1, v46, s21
	v_mul_lo_u32 v46, v47, s20
	v_add3_u32 v51, v46, v51, v1
	s_mov_b64 s[26:27], 0x58
	v_lshl_add_u64 v[46:47], v[50:51], 0, s[16:17]
	v_lshl_add_u64 v[50:51], v[70:71], 0, s[26:27]
	v_mad_u64_u32 v[58:59], s[26:27], v50, s20, v[68:69]
	v_mul_lo_u32 v1, v50, s21
	v_mul_lo_u32 v50, v51, s20
	v_add3_u32 v59, v50, v59, v1
	s_mov_b64 s[26:27], 0x60
	v_lshl_add_u64 v[50:51], v[58:59], 0, s[16:17]
	v_lshl_add_u64 v[58:59], v[70:71], 0, s[26:27]
	v_mad_u64_u32 v[62:63], s[26:27], v58, s20, v[68:69]
	v_mul_lo_u32 v1, v58, s21
	v_mul_lo_u32 v58, v59, s20
	v_add3_u32 v63, v58, v63, v1
	s_mov_b64 s[26:27], 0x68
	v_lshl_add_u64 v[58:59], v[62:63], 0, s[16:17]
	v_lshl_add_u64 v[62:63], v[70:71], 0, s[26:27]
	v_mad_u64_u32 v[64:65], s[26:27], v62, s20, v[68:69]
	v_mul_lo_u32 v1, v62, s21
	v_mul_lo_u32 v62, v63, s20
	v_add3_u32 v65, v62, v65, v1
	s_mov_b64 s[26:27], 0x70
	v_lshl_add_u64 v[62:63], v[64:65], 0, s[16:17]
	v_lshl_add_u64 v[64:65], v[70:71], 0, s[26:27]
	v_mad_u64_u32 v[66:67], s[26:27], v64, s20, v[68:69]
	v_mul_lo_u32 v1, v64, s21
	v_mul_lo_u32 v64, v65, s20
	v_add3_u32 v67, v64, v67, v1
	s_mov_b64 s[26:27], 0x78
	v_lshl_add_u64 v[64:65], v[66:67], 0, s[16:17]
	v_lshl_add_u64 v[66:67], v[70:71], 0, s[26:27]
	v_mad_u64_u32 v[72:73], s[26:27], v66, s20, v[68:69]
	v_mul_lo_u32 v1, v66, s21
	v_mul_lo_u32 v66, v67, s20
	v_add3_u32 v73, v66, v73, v1
	v_mad_u64_u32 v[68:69], s[26:27], v70, s20, v[68:69]
	v_mul_lo_u32 v1, v70, s21
	v_mul_lo_u32 v70, v71, s20
	v_add3_u32 v69, v70, v69, v1
	v_or_b32_e32 v1, v60, v2
	v_mul_lo_u32 v60, v61, s18
	v_mul_lo_u32 v61, v1, s19
	v_mad_u64_u32 v[78:79], s[20:21], v1, s18, 0
	v_or_b32_e32 v1, 0x200, v1
	v_add3_u32 v79, v79, v61, v60
	v_mul_lo_u32 v61, v1, s19
	v_mad_u64_u32 v[102:103], s[18:19], v1, s18, 0
	v_add3_u32 v103, v103, v61, v60
	v_mov_b64_e32 v[60:61], 0
	v_lshl_add_u64 v[66:67], v[72:73], 0, s[16:17]
	s_mov_b64 s[18:19], 0x200
	v_mov_b64_e32 v[100:101], v[60:61]
	v_mov_b64_e32 v[96:97], v[60:61]
	;; [unrolled: 1-line block ×15, first 2 shown]
	s_waitcnt vmcnt(0)
	v_mov_b64_e32 v[104:105], v[56:57]
	v_mov_b64_e32 v[106:107], v[52:53]
	;; [unrolled: 1-line block ×11, first 2 shown]
.LBB284_4:                              ; =>This Inner Loop Header: Depth=1
	v_lshl_add_u64 v[170:171], v[68:69], 0, v[2:3]
	v_lshl_add_u64 v[136:137], v[170:171], 0, s[18:19]
	;; [unrolled: 1-line block ×15, first 2 shown]
	global_load_dwordx2 v[136:137], v[170:171], off offset:512
	s_nop 0
	global_load_dwordx2 v[138:139], v[138:139], off
	s_nop 0
	global_load_dwordx2 v[140:141], v[140:141], off
	;; [unrolled: 2-line block ×3, first 2 shown]
	v_lshl_add_u64 v[166:167], v[164:165], 0, s[2:3]
	global_load_dwordx2 v[144:145], v[146:147], off
	v_lshl_add_u64 v[168:169], s[12:13], 0, v[78:79]
	global_load_dwordx2 v[146:147], v[148:149], off
	s_cmp_lg_u32 s24, s23
	global_load_dwordx2 v[148:149], v[150:151], off
	s_nop 0
	global_load_dwordx2 v[150:151], v[152:153], off
	s_nop 0
	;; [unrolled: 2-line block ×8, first 2 shown]
	global_load_dwordx2 v[164:165], v[166:167], off
	v_lshl_add_u64 v[166:167], v[166:167], 0, s[2:3]
	global_load_dwordx2 v[166:167], v[166:167], off
	s_nop 0
	global_load_dwordx2 v[168:169], v[168:169], off
	s_cbranch_scc0 .LBB284_6
; %bb.5:                                ;   in Loop: Header=BB284_4 Depth=1
	v_lshl_add_u64 v[106:107], v[4:5], 0, v[2:3]
	v_lshl_add_u64 v[108:109], v[6:7], 0, v[2:3]
	;; [unrolled: 1-line block ×15, first 2 shown]
	global_load_dwordx2 v[104:105], v[170:171], off offset:1024
	s_nop 0
	global_load_dwordx2 v[106:107], v[106:107], off
	s_nop 0
	global_load_dwordx2 v[108:109], v[108:109], off
	s_nop 0
	global_load_dwordx2 v[110:111], v[110:111], off
	s_nop 0
	global_load_dwordx2 v[112:113], v[112:113], off
	s_nop 0
	global_load_dwordx2 v[114:115], v[114:115], off
	s_nop 0
	global_load_dwordx2 v[116:117], v[116:117], off
	s_nop 0
	global_load_dwordx2 v[118:119], v[118:119], off
	s_nop 0
	global_load_dwordx2 v[120:121], v[120:121], off
	s_nop 0
	global_load_dwordx2 v[122:123], v[122:123], off
	s_nop 0
	global_load_dwordx2 v[124:125], v[124:125], off
	s_nop 0
	global_load_dwordx2 v[126:127], v[126:127], off
	s_nop 0
	global_load_dwordx2 v[128:129], v[128:129], off
	s_nop 0
	global_load_dwordx2 v[130:131], v[130:131], off
	s_nop 0
	global_load_dwordx2 v[132:133], v[132:133], off
	s_nop 0
	global_load_dwordx2 v[134:135], v[134:135], off
.LBB284_6:                              ;   in Loop: Header=BB284_4 Depth=1
	v_lshl_add_u64 v[170:171], s[12:13], 0, v[102:103]
	global_load_dwordx2 v[170:171], v[170:171], off
	s_add_i32 s23, s23, 1
	s_add_u32 s12, s12, s14
	s_waitcnt vmcnt(1)
	v_fmac_f64_e32 v[60:61], v[56:57], v[168:169]
	v_fmac_f64_e32 v[100:101], v[52:53], v[168:169]
	;; [unrolled: 1-line block ×16, first 2 shown]
	s_addc_u32 s13, s13, s15
	v_lshl_add_u64 v[4:5], v[4:5], 0, s[16:17]
	v_lshl_add_u64 v[6:7], v[6:7], 0, s[16:17]
	;; [unrolled: 1-line block ×15, first 2 shown]
	s_cmp_ge_i32 s23, s22
	v_lshl_add_u64 v[68:69], v[68:69], 0, s[16:17]
	s_waitcnt vmcnt(0)
	v_fmac_f64_e32 v[60:61], v[136:137], v[170:171]
	v_fmac_f64_e32 v[100:101], v[138:139], v[170:171]
	;; [unrolled: 1-line block ×16, first 2 shown]
	s_cbranch_scc1 .LBB284_8
; %bb.7:                                ;   in Loop: Header=BB284_4 Depth=1
	v_mov_b64_e32 v[56:57], v[104:105]
	v_mov_b64_e32 v[52:53], v[106:107]
	;; [unrolled: 1-line block ×16, first 2 shown]
	s_branch .LBB284_4
.LBB284_8:
	v_lshl_or_b32 v1, v175, 9, v2
	ds_write2st64_b64 v1, v[60:61], v[100:101] offset1:1
	ds_write2st64_b64 v1, v[96:97], v[98:99] offset0:2 offset1:3
	ds_write2st64_b64 v1, v[92:93], v[94:95] offset0:4 offset1:5
	;; [unrolled: 1-line block ×6, first 2 shown]
	ds_write_b64 v1, v[72:73] offset:7168
	v_lshlrev_b32_e32 v1, 3, v172
	v_lshlrev_b32_e32 v2, 9, v174
	s_movk_i32 s2, 0x1e00
	v_or3_b32 v1, v2, v1, s2
	v_cmp_eq_u32_e32 vcc, 0, v173
	ds_write_b64 v1, v[70:71]
	s_waitcnt lgkmcnt(0)
	s_barrier
	s_and_saveexec_b64 s[2:3], vcc
	s_cbranch_execz .LBB284_10
; %bb.9:
	v_lshlrev_b32_e32 v12, 6, v172
	v_add_u32_e32 v1, 1, v172
	v_and_or_b32 v1, v1, 63, v12
	v_lshlrev_b32_e32 v2, 3, v1
	v_add_u32_e32 v1, 2, v172
	v_or_b32_e32 v13, v0, v12
	v_and_or_b32 v1, v1, 63, v12
	v_lshlrev_b32_e32 v0, 3, v13
	v_lshlrev_b32_e32 v4, 3, v1
	v_add_u32_e32 v1, 3, v172
	v_and_or_b32 v6, v1, 63, v12
	ds_read_b64 v[0:1], v0
	ds_read_b64 v[2:3], v2
	;; [unrolled: 1-line block ×3, first 2 shown]
	v_lshlrev_b32_e32 v6, 3, v6
	ds_read_b64 v[6:7], v6
	s_waitcnt lgkmcnt(3)
	v_add_f64 v[0:1], v[0:1], 0
	s_waitcnt lgkmcnt(2)
	v_add_f64 v[0:1], v[0:1], v[2:3]
	v_add_u32_e32 v3, 5, v172
	v_and_or_b32 v3, v3, 63, v12
	s_waitcnt lgkmcnt(1)
	v_add_f64 v[0:1], v[0:1], v[4:5]
	v_lshlrev_b32_e32 v4, 3, v3
	v_add_u32_e32 v3, 6, v172
	v_and_or_b32 v3, v3, 63, v12
	v_add_u32_e32 v2, 4, v172
	v_lshlrev_b32_e32 v8, 3, v3
	v_add_u32_e32 v3, 7, v172
	v_and_or_b32 v2, v2, 63, v12
	v_and_or_b32 v3, v3, 63, v12
	v_lshlrev_b32_e32 v2, 3, v2
	v_lshlrev_b32_e32 v10, 3, v3
	ds_read_b64 v[2:3], v2
	ds_read_b64 v[4:5], v4
	;; [unrolled: 1-line block ×4, first 2 shown]
	s_waitcnt lgkmcnt(4)
	v_add_f64 v[0:1], v[0:1], v[6:7]
	s_waitcnt lgkmcnt(3)
	v_add_f64 v[0:1], v[0:1], v[2:3]
	v_add_u32_e32 v3, 9, v172
	v_and_or_b32 v3, v3, 63, v12
	s_waitcnt lgkmcnt(2)
	v_add_f64 v[0:1], v[0:1], v[4:5]
	v_add_u32_e32 v2, 8, v172
	v_lshlrev_b32_e32 v4, 3, v3
	v_add_u32_e32 v3, 10, v172
	v_and_or_b32 v2, v2, 63, v12
	v_and_or_b32 v3, v3, 63, v12
	v_lshlrev_b32_e32 v2, 3, v2
	v_lshlrev_b32_e32 v6, 3, v3
	v_add_u32_e32 v3, 11, v172
	s_waitcnt lgkmcnt(1)
	v_add_f64 v[0:1], v[0:1], v[8:9]
	v_and_or_b32 v8, v3, 63, v12
	ds_read_b64 v[2:3], v2
	ds_read_b64 v[4:5], v4
	;; [unrolled: 1-line block ×3, first 2 shown]
	s_waitcnt lgkmcnt(3)
	v_add_f64 v[0:1], v[0:1], v[10:11]
	v_lshlrev_b32_e32 v8, 3, v8
	s_waitcnt lgkmcnt(2)
	v_add_f64 v[0:1], v[0:1], v[2:3]
	v_add_u32_e32 v3, 13, v172
	v_and_or_b32 v3, v3, 63, v12
	s_waitcnt lgkmcnt(1)
	v_add_f64 v[0:1], v[0:1], v[4:5]
	v_lshlrev_b32_e32 v4, 3, v3
	v_add_u32_e32 v3, 14, v172
	ds_read_b64 v[8:9], v8
	v_and_or_b32 v3, v3, 63, v12
	s_waitcnt lgkmcnt(1)
	v_add_f64 v[0:1], v[0:1], v[6:7]
	v_add_u32_e32 v2, 12, v172
	v_lshlrev_b32_e32 v6, 3, v3
	v_add_u32_e32 v3, 15, v172
	v_and_or_b32 v2, v2, 63, v12
	v_and_or_b32 v3, v3, 63, v12
	v_lshlrev_b32_e32 v2, 3, v2
	v_lshlrev_b32_e32 v10, 3, v3
	ds_read_b64 v[2:3], v2
	ds_read_b64 v[4:5], v4
	ds_read_b64 v[6:7], v6
	ds_read_b64 v[10:11], v10
	s_waitcnt lgkmcnt(4)
	v_add_f64 v[0:1], v[0:1], v[8:9]
	s_waitcnt lgkmcnt(3)
	v_add_f64 v[0:1], v[0:1], v[2:3]
	v_add_u32_e32 v3, 17, v172
	v_and_or_b32 v3, v3, 63, v12
	s_waitcnt lgkmcnt(2)
	v_add_f64 v[0:1], v[0:1], v[4:5]
	v_add_u32_e32 v2, 16, v172
	v_lshlrev_b32_e32 v4, 3, v3
	v_add_u32_e32 v3, 18, v172
	v_and_or_b32 v2, v2, 63, v12
	v_and_or_b32 v3, v3, 63, v12
	s_waitcnt lgkmcnt(1)
	v_add_f64 v[0:1], v[0:1], v[6:7]
	v_lshlrev_b32_e32 v2, 3, v2
	v_lshlrev_b32_e32 v6, 3, v3
	v_add_u32_e32 v3, 19, v172
	v_and_or_b32 v8, v3, 63, v12
	ds_read_b64 v[2:3], v2
	ds_read_b64 v[4:5], v4
	;; [unrolled: 1-line block ×3, first 2 shown]
	s_waitcnt lgkmcnt(3)
	v_add_f64 v[0:1], v[0:1], v[10:11]
	v_lshlrev_b32_e32 v8, 3, v8
	s_waitcnt lgkmcnt(2)
	v_add_f64 v[0:1], v[0:1], v[2:3]
	v_add_u32_e32 v3, 21, v172
	v_and_or_b32 v3, v3, 63, v12
	s_waitcnt lgkmcnt(1)
	v_add_f64 v[0:1], v[0:1], v[4:5]
	v_lshlrev_b32_e32 v4, 3, v3
	v_add_u32_e32 v3, 22, v172
	ds_read_b64 v[8:9], v8
	v_and_or_b32 v3, v3, 63, v12
	s_waitcnt lgkmcnt(1)
	v_add_f64 v[0:1], v[0:1], v[6:7]
	v_add_u32_e32 v2, 20, v172
	v_lshlrev_b32_e32 v6, 3, v3
	v_add_u32_e32 v3, 23, v172
	v_and_or_b32 v2, v2, 63, v12
	v_and_or_b32 v3, v3, 63, v12
	v_lshlrev_b32_e32 v2, 3, v2
	v_lshlrev_b32_e32 v10, 3, v3
	ds_read_b64 v[2:3], v2
	ds_read_b64 v[4:5], v4
	;; [unrolled: 1-line block ×4, first 2 shown]
	s_waitcnt lgkmcnt(4)
	v_add_f64 v[0:1], v[0:1], v[8:9]
	s_waitcnt lgkmcnt(3)
	v_add_f64 v[0:1], v[0:1], v[2:3]
	v_add_u32_e32 v3, 25, v172
	v_and_or_b32 v3, v3, 63, v12
	s_waitcnt lgkmcnt(2)
	v_add_f64 v[0:1], v[0:1], v[4:5]
	v_add_u32_e32 v2, 24, v172
	v_lshlrev_b32_e32 v4, 3, v3
	v_add_u32_e32 v3, 26, v172
	v_and_or_b32 v2, v2, 63, v12
	v_and_or_b32 v3, v3, 63, v12
	s_waitcnt lgkmcnt(1)
	v_add_f64 v[0:1], v[0:1], v[6:7]
	v_lshlrev_b32_e32 v2, 3, v2
	v_lshlrev_b32_e32 v6, 3, v3
	v_add_u32_e32 v3, 27, v172
	v_and_or_b32 v8, v3, 63, v12
	ds_read_b64 v[2:3], v2
	ds_read_b64 v[4:5], v4
	;; [unrolled: 1-line block ×3, first 2 shown]
	s_waitcnt lgkmcnt(3)
	v_add_f64 v[0:1], v[0:1], v[10:11]
	v_lshlrev_b32_e32 v8, 3, v8
	s_waitcnt lgkmcnt(2)
	v_add_f64 v[0:1], v[0:1], v[2:3]
	v_add_u32_e32 v3, 29, v172
	v_and_or_b32 v3, v3, 63, v12
	s_waitcnt lgkmcnt(1)
	v_add_f64 v[0:1], v[0:1], v[4:5]
	v_lshlrev_b32_e32 v4, 3, v3
	v_add_u32_e32 v3, 30, v172
	ds_read_b64 v[8:9], v8
	v_and_or_b32 v3, v3, 63, v12
	s_waitcnt lgkmcnt(1)
	v_add_f64 v[0:1], v[0:1], v[6:7]
	v_add_u32_e32 v2, 28, v172
	v_lshlrev_b32_e32 v6, 3, v3
	v_add_u32_e32 v3, 31, v172
	v_and_or_b32 v2, v2, 63, v12
	v_and_or_b32 v3, v3, 63, v12
	v_lshlrev_b32_e32 v2, 3, v2
	v_lshlrev_b32_e32 v10, 3, v3
	ds_read_b64 v[2:3], v2
	ds_read_b64 v[4:5], v4
	ds_read_b64 v[6:7], v6
	ds_read_b64 v[10:11], v10
	s_waitcnt lgkmcnt(4)
	v_add_f64 v[0:1], v[0:1], v[8:9]
	s_waitcnt lgkmcnt(3)
	v_add_f64 v[0:1], v[0:1], v[2:3]
	v_add_u32_e32 v3, 33, v172
	v_and_or_b32 v3, v3, 63, v12
	s_waitcnt lgkmcnt(2)
	v_add_f64 v[0:1], v[0:1], v[4:5]
	v_lshlrev_b32_e32 v4, 3, v3
	v_add_u32_e32 v3, 34, v172
	v_xor_b32_e32 v2, 32, v13
	v_and_or_b32 v3, v3, 63, v12
	s_waitcnt lgkmcnt(1)
	v_add_f64 v[0:1], v[0:1], v[6:7]
	v_lshlrev_b32_e32 v2, 3, v2
	v_lshlrev_b32_e32 v6, 3, v3
	v_add_u32_e32 v3, 35, v172
	v_and_or_b32 v8, v3, 63, v12
	ds_read_b64 v[2:3], v2
	ds_read_b64 v[4:5], v4
	ds_read_b64 v[6:7], v6
	s_waitcnt lgkmcnt(3)
	v_add_f64 v[0:1], v[0:1], v[10:11]
	v_lshlrev_b32_e32 v8, 3, v8
	s_waitcnt lgkmcnt(2)
	v_add_f64 v[0:1], v[0:1], v[2:3]
	v_add_u32_e32 v3, 37, v172
	v_and_or_b32 v3, v3, 63, v12
	s_waitcnt lgkmcnt(1)
	v_add_f64 v[0:1], v[0:1], v[4:5]
	v_lshlrev_b32_e32 v4, 3, v3
	v_add_u32_e32 v3, 38, v172
	ds_read_b64 v[8:9], v8
	v_and_or_b32 v3, v3, 63, v12
	s_waitcnt lgkmcnt(1)
	v_add_f64 v[0:1], v[0:1], v[6:7]
	v_add_u32_e32 v2, 36, v172
	v_lshlrev_b32_e32 v6, 3, v3
	v_add_u32_e32 v3, 39, v172
	v_and_or_b32 v2, v2, 63, v12
	v_and_or_b32 v3, v3, 63, v12
	v_lshlrev_b32_e32 v2, 3, v2
	v_lshlrev_b32_e32 v10, 3, v3
	ds_read_b64 v[2:3], v2
	ds_read_b64 v[4:5], v4
	ds_read_b64 v[6:7], v6
	ds_read_b64 v[10:11], v10
	s_waitcnt lgkmcnt(4)
	v_add_f64 v[0:1], v[0:1], v[8:9]
	s_waitcnt lgkmcnt(3)
	v_add_f64 v[0:1], v[0:1], v[2:3]
	v_add_u32_e32 v3, 41, v172
	v_and_or_b32 v3, v3, 63, v12
	s_waitcnt lgkmcnt(2)
	v_add_f64 v[0:1], v[0:1], v[4:5]
	v_add_u32_e32 v2, 40, v172
	v_lshlrev_b32_e32 v4, 3, v3
	v_add_u32_e32 v3, 42, v172
	v_and_or_b32 v2, v2, 63, v12
	v_and_or_b32 v3, v3, 63, v12
	s_waitcnt lgkmcnt(1)
	v_add_f64 v[0:1], v[0:1], v[6:7]
	v_lshlrev_b32_e32 v2, 3, v2
	v_lshlrev_b32_e32 v6, 3, v3
	v_add_u32_e32 v3, 43, v172
	v_and_or_b32 v8, v3, 63, v12
	ds_read_b64 v[2:3], v2
	ds_read_b64 v[4:5], v4
	ds_read_b64 v[6:7], v6
	s_waitcnt lgkmcnt(3)
	v_add_f64 v[0:1], v[0:1], v[10:11]
	v_lshlrev_b32_e32 v8, 3, v8
	s_waitcnt lgkmcnt(2)
	v_add_f64 v[0:1], v[0:1], v[2:3]
	v_add_u32_e32 v3, 45, v172
	v_and_or_b32 v3, v3, 63, v12
	s_waitcnt lgkmcnt(1)
	v_add_f64 v[0:1], v[0:1], v[4:5]
	v_lshlrev_b32_e32 v4, 3, v3
	v_add_u32_e32 v3, 46, v172
	ds_read_b64 v[8:9], v8
	v_and_or_b32 v3, v3, 63, v12
	s_waitcnt lgkmcnt(1)
	v_add_f64 v[0:1], v[0:1], v[6:7]
	v_add_u32_e32 v2, 44, v172
	v_lshlrev_b32_e32 v6, 3, v3
	v_add_u32_e32 v3, 47, v172
	v_and_or_b32 v2, v2, 63, v12
	v_and_or_b32 v3, v3, 63, v12
	v_lshlrev_b32_e32 v2, 3, v2
	v_lshlrev_b32_e32 v10, 3, v3
	ds_read_b64 v[2:3], v2
	ds_read_b64 v[4:5], v4
	ds_read_b64 v[6:7], v6
	ds_read_b64 v[10:11], v10
	s_waitcnt lgkmcnt(4)
	v_add_f64 v[0:1], v[0:1], v[8:9]
	s_waitcnt lgkmcnt(3)
	v_add_f64 v[0:1], v[0:1], v[2:3]
	v_add_u32_e32 v3, 49, v172
	v_and_or_b32 v3, v3, 63, v12
	s_waitcnt lgkmcnt(2)
	v_add_f64 v[0:1], v[0:1], v[4:5]
	v_add_u32_e32 v2, 48, v172
	v_lshlrev_b32_e32 v4, 3, v3
	v_add_u32_e32 v3, 50, v172
	v_and_or_b32 v2, v2, 63, v12
	;; [unrolled: 48-line block ×3, first 2 shown]
	v_and_or_b32 v3, v3, 63, v12
	s_waitcnt lgkmcnt(1)
	v_add_f64 v[0:1], v[0:1], v[6:7]
	v_lshlrev_b32_e32 v2, 3, v2
	v_lshlrev_b32_e32 v6, 3, v3
	v_add_u32_e32 v3, 59, v172
	v_and_or_b32 v8, v3, 63, v12
	ds_read_b64 v[2:3], v2
	ds_read_b64 v[4:5], v4
	;; [unrolled: 1-line block ×3, first 2 shown]
	s_waitcnt lgkmcnt(3)
	v_add_f64 v[0:1], v[0:1], v[10:11]
	v_lshlrev_b32_e32 v8, 3, v8
	s_waitcnt lgkmcnt(2)
	v_add_f64 v[0:1], v[0:1], v[2:3]
	v_add_u32_e32 v3, 61, v172
	v_and_or_b32 v3, v3, 63, v12
	s_waitcnt lgkmcnt(1)
	v_add_f64 v[0:1], v[0:1], v[4:5]
	v_lshlrev_b32_e32 v4, 3, v3
	v_add_u32_e32 v3, 62, v172
	ds_read_b64 v[8:9], v8
	v_and_or_b32 v3, v3, 63, v12
	s_load_dword s2, s[0:1], 0x68
	s_waitcnt lgkmcnt(0)
	v_add_f64 v[0:1], v[0:1], v[6:7]
	v_add_u32_e32 v2, 60, v172
	v_lshlrev_b32_e32 v6, 3, v3
	v_add_u32_e32 v3, -1, v172
	v_and_or_b32 v2, v2, 63, v12
	v_and_or_b32 v3, v3, 63, v12
	v_lshlrev_b32_e32 v2, 3, v2
	v_lshlrev_b32_e32 v10, 3, v3
	s_lshl_b64 s[0:1], s[10:11], 3
	ds_read_b64 v[2:3], v2
	ds_read_b64 v[4:5], v4
	;; [unrolled: 1-line block ×4, first 2 shown]
	s_add_u32 s3, s8, s0
	v_add_f64 v[0:1], v[0:1], v[8:9]
	s_addc_u32 s5, s9, s1
	s_mul_hi_i32 s1, s2, s4
	s_mul_i32 s0, s2, s4
	s_waitcnt lgkmcnt(3)
	v_add_f64 v[0:1], v[0:1], v[2:3]
	s_lshl_b64 s[0:1], s[0:1], 3
	s_waitcnt lgkmcnt(2)
	v_add_f64 v[0:1], v[0:1], v[4:5]
	s_add_u32 s0, s3, s0
	s_waitcnt lgkmcnt(1)
	v_add_f64 v[0:1], v[0:1], v[6:7]
	s_addc_u32 s1, s5, s1
	s_waitcnt lgkmcnt(0)
	v_add_f64 v[0:1], v[0:1], v[10:11]
	v_mad_i64_i32 v[2:3], s[2:3], s2, v172, 0
	v_lshl_add_u64 v[2:3], v[2:3], 3, s[0:1]
	v_mul_f64 v[0:1], s[6:7], v[0:1]
	global_atomic_add_f64 v[2:3], v[0:1], off
.LBB284_10:
	s_endpgm
	.section	.rodata,"a",@progbits
	.p2align	6, 0x0
	.amdhsa_kernel _ZL36rocblas_gemvt_double_buffered_kernelILb1ELi128ELi4ELi16EPKdS1_KPdEviiT4_lPKT3_lilS7_lilPT5_lili
		.amdhsa_group_segment_fixed_size 65536
		.amdhsa_private_segment_fixed_size 0
		.amdhsa_kernarg_size 384
		.amdhsa_user_sgpr_count 2
		.amdhsa_user_sgpr_dispatch_ptr 0
		.amdhsa_user_sgpr_queue_ptr 0
		.amdhsa_user_sgpr_kernarg_segment_ptr 1
		.amdhsa_user_sgpr_dispatch_id 0
		.amdhsa_user_sgpr_kernarg_preload_length 0
		.amdhsa_user_sgpr_kernarg_preload_offset 0
		.amdhsa_user_sgpr_private_segment_size 0
		.amdhsa_uses_dynamic_stack 0
		.amdhsa_enable_private_segment 0
		.amdhsa_system_sgpr_workgroup_id_x 1
		.amdhsa_system_sgpr_workgroup_id_y 1
		.amdhsa_system_sgpr_workgroup_id_z 1
		.amdhsa_system_sgpr_workgroup_info 0
		.amdhsa_system_vgpr_workitem_id 1
		.amdhsa_next_free_vgpr 176
		.amdhsa_next_free_sgpr 32
		.amdhsa_accum_offset 176
		.amdhsa_reserve_vcc 1
		.amdhsa_float_round_mode_32 0
		.amdhsa_float_round_mode_16_64 0
		.amdhsa_float_denorm_mode_32 3
		.amdhsa_float_denorm_mode_16_64 3
		.amdhsa_dx10_clamp 1
		.amdhsa_ieee_mode 1
		.amdhsa_fp16_overflow 0
		.amdhsa_tg_split 0
		.amdhsa_exception_fp_ieee_invalid_op 0
		.amdhsa_exception_fp_denorm_src 0
		.amdhsa_exception_fp_ieee_div_zero 0
		.amdhsa_exception_fp_ieee_overflow 0
		.amdhsa_exception_fp_ieee_underflow 0
		.amdhsa_exception_fp_ieee_inexact 0
		.amdhsa_exception_int_div_zero 0
	.end_amdhsa_kernel
	.section	.text._ZL36rocblas_gemvt_double_buffered_kernelILb1ELi128ELi4ELi16EPKdS1_KPdEviiT4_lPKT3_lilS7_lilPT5_lili,"axG",@progbits,_ZL36rocblas_gemvt_double_buffered_kernelILb1ELi128ELi4ELi16EPKdS1_KPdEviiT4_lPKT3_lilS7_lilPT5_lili,comdat
.Lfunc_end284:
	.size	_ZL36rocblas_gemvt_double_buffered_kernelILb1ELi128ELi4ELi16EPKdS1_KPdEviiT4_lPKT3_lilS7_lilPT5_lili, .Lfunc_end284-_ZL36rocblas_gemvt_double_buffered_kernelILb1ELi128ELi4ELi16EPKdS1_KPdEviiT4_lPKT3_lilS7_lilPT5_lili
                                        ; -- End function
	.section	.AMDGPU.csdata,"",@progbits
; Kernel info:
; codeLenInByte = 5464
; NumSgprs: 38
; NumVgprs: 176
; NumAgprs: 0
; TotalNumVgprs: 176
; ScratchSize: 0
; MemoryBound: 0
; FloatMode: 240
; IeeeMode: 1
; LDSByteSize: 65536 bytes/workgroup (compile time only)
; SGPRBlocks: 4
; VGPRBlocks: 21
; NumSGPRsForWavesPerEU: 38
; NumVGPRsForWavesPerEU: 176
; AccumOffset: 176
; Occupancy: 2
; WaveLimiterHint : 1
; COMPUTE_PGM_RSRC2:SCRATCH_EN: 0
; COMPUTE_PGM_RSRC2:USER_SGPR: 2
; COMPUTE_PGM_RSRC2:TRAP_HANDLER: 0
; COMPUTE_PGM_RSRC2:TGID_X_EN: 1
; COMPUTE_PGM_RSRC2:TGID_Y_EN: 1
; COMPUTE_PGM_RSRC2:TGID_Z_EN: 1
; COMPUTE_PGM_RSRC2:TIDIG_COMP_CNT: 1
; COMPUTE_PGM_RSRC3_GFX90A:ACCUM_OFFSET: 43
; COMPUTE_PGM_RSRC3_GFX90A:TG_SPLIT: 0
	.section	.text._ZL36rocblas_gemvt_double_buffered_kernelILb1ELi128ELi4ELi16EPKddKPdEviiT4_lPKT3_lilS7_lilPT5_lili,"axG",@progbits,_ZL36rocblas_gemvt_double_buffered_kernelILb1ELi128ELi4ELi16EPKddKPdEviiT4_lPKT3_lilS7_lilPT5_lili,comdat
	.globl	_ZL36rocblas_gemvt_double_buffered_kernelILb1ELi128ELi4ELi16EPKddKPdEviiT4_lPKT3_lilS7_lilPT5_lili ; -- Begin function _ZL36rocblas_gemvt_double_buffered_kernelILb1ELi128ELi4ELi16EPKddKPdEviiT4_lPKT3_lilS7_lilPT5_lili
	.p2align	8
	.type	_ZL36rocblas_gemvt_double_buffered_kernelILb1ELi128ELi4ELi16EPKddKPdEviiT4_lPKT3_lilS7_lilPT5_lili,@function
_ZL36rocblas_gemvt_double_buffered_kernelILb1ELi128ELi4ELi16EPKddKPdEviiT4_lPKT3_lilS7_lilPT5_lili: ; @_ZL36rocblas_gemvt_double_buffered_kernelILb1ELi128ELi4ELi16EPKddKPdEviiT4_lPKT3_lilS7_lilPT5_lili
; %bb.0:
	s_load_dwordx2 s[6:7], s[0:1], 0x8
	s_waitcnt lgkmcnt(0)
	v_cmp_eq_f64_e64 s[8:9], s[6:7], 0
	s_and_b64 vcc, exec, s[8:9]
	s_cbranch_vccnz .LBB285_10
; %bb.1:
	s_load_dword s5, s[0:1], 0x84
	s_load_dword s8, s[0:1], 0x0
	s_waitcnt lgkmcnt(0)
	v_cvt_f32_u32_e32 v1, s5
	s_ashr_i32 s9, s8, 31
	s_lshr_b32 s9, s9, 25
	s_sub_i32 s10, 0, s5
	v_rcp_iflag_f32_e32 v1, v1
	s_add_i32 s8, s8, s9
	s_ashr_i32 s8, s8, 7
	v_mul_f32_e32 v1, 0x4f7ffffe, v1
	v_cvt_u32_f32_e32 v1, v1
	s_nop 0
	v_readfirstlane_b32 s9, v1
	s_mul_i32 s10, s10, s9
	s_mul_hi_u32 s10, s9, s10
	s_add_i32 s9, s9, s10
	s_mul_hi_u32 s9, s8, s9
	s_mul_i32 s10, s9, s5
	s_sub_i32 s10, s8, s10
	s_add_i32 s11, s9, 1
	s_sub_i32 s12, s10, s5
	s_cmp_ge_u32 s10, s5
	s_cselect_b32 s9, s11, s9
	s_cselect_b32 s10, s12, s10
	s_add_i32 s11, s9, 1
	s_cmp_ge_u32 s10, s5
	s_cselect_b32 s15, s11, s9
	s_mul_i32 s5, s15, s5
	s_sub_i32 s14, s8, s5
	s_cmp_lt_u32 s3, s14
	s_cselect_b64 s[8:9], -1, 0
	s_cmp_lg_u64 s[8:9], 0
	s_addc_u32 s22, s15, 0
	s_cmp_eq_u32 s22, 0
	s_mov_b32 s5, 0
	s_cbranch_scc1 .LBB285_10
; %bb.2:
	s_load_dwordx4 s[8:11], s[0:1], 0x58
	s_lshl_b64 s[12:13], s[4:5], 3
	v_and_b32_e32 v172, 0x3ff, v0
	v_bfe_u32 v173, v0, 10, 10
	v_lshl_add_u32 v4, v173, 7, v172
	s_waitcnt lgkmcnt(0)
	s_add_u32 s4, s8, s12
	s_addc_u32 s5, s9, s13
	s_load_dwordx2 s[8:9], s[4:5], 0x0
	s_lshl_b32 s4, s2, 7
	v_and_b32_e32 v0, 63, v172
	s_ashr_i32 s5, s4, 31
	v_lshrrev_b32_e32 v174, 2, v4
	v_mov_b64_e32 v[70:71], 0
	v_and_b32_e32 v175, 0x7ff0, v174
	s_cmp_lt_i32 s22, 1
	v_lshlrev_b32_e32 v2, 3, v0
	v_mov_b64_e32 v[72:73], v[70:71]
	v_mov_b64_e32 v[76:77], v[70:71]
	;; [unrolled: 1-line block ×15, first 2 shown]
	s_cbranch_scc1 .LBB285_8
; %bb.3:
	s_load_dword s20, s[0:1], 0x28
	s_load_dwordx4 s[24:27], s[0:1], 0x18
	s_load_dwordx4 s[28:31], s[0:1], 0x38
	s_load_dword s18, s[0:1], 0x48
	s_mul_i32 s15, s15, s3
	s_waitcnt lgkmcnt(0)
	s_ashr_i32 s21, s20, 31
	s_add_u32 s16, s24, s12
	s_addc_u32 s17, s25, s13
	s_load_dwordx2 s[16:17], s[16:17], 0x0
	s_add_u32 s12, s28, s12
	s_addc_u32 s13, s29, s13
	v_cvt_f64_i32_e32 v[10:11], s3
	v_cvt_f64_u32_e32 v[12:13], s14
	s_load_dwordx2 s[12:13], s[12:13], 0x0
	v_mov_b32_e32 v1, 0
	v_cvt_f64_u32_e32 v[8:9], s15
	v_min_f64 v[10:11], v[10:11], v[12:13]
	v_mad_i64_i32 v[6:7], s[24:25], s20, v175, v[0:1]
	v_add_f64 v[8:9], v[10:11], v[8:9]
	s_ashr_i32 s19, s18, 31
	s_lshl_b64 s[24:25], s[26:27], 3
	v_cvt_i32_f64_e32 v3, v[8:9]
	s_waitcnt lgkmcnt(0)
	s_add_u32 s16, s16, s24
	v_lshlrev_b32_e32 v8, 7, v3
	s_addc_u32 s17, s17, s25
	s_lshl_b64 s[24:25], s[30:31], 3
	v_ashrrev_i32_e32 v9, 31, v8
	s_add_u32 s12, s12, s24
	s_mul_hi_i32 s3, s20, s4
	s_mul_i32 s2, s20, s4
	v_lshlrev_b64 v[60:61], 3, v[8:9]
	s_addc_u32 s13, s13, s25
	s_lshl_b64 s[2:3], s[2:3], 3
	v_lshl_add_u64 v[68:69], s[16:17], 0, v[60:61]
	v_lshl_add_u64 v[8:9], v[68:69], 0, s[2:3]
	;; [unrolled: 1-line block ×3, first 2 shown]
	v_mov_b32_e32 v3, 0x78
	v_mad_i64_i32 v[8:9], s[2:3], s20, v3, v[6:7]
	s_lshl_b64 s[2:3], s[20:21], 3
	s_nop 0
	v_mov_b32_e32 v3, s3
	v_subrev_co_u32_e32 v12, vcc, s2, v8
	v_lshlrev_b32_e32 v4, 1, v4
	s_nop 0
	v_subb_co_u32_e32 v13, vcc, v9, v3, vcc
	v_subrev_co_u32_e32 v14, vcc, s2, v12
	global_load_dwordx2 v[10:11], v[12:13], off
	s_nop 0
	v_subb_co_u32_e32 v15, vcc, v13, v3, vcc
	global_load_dwordx2 v[12:13], v[14:15], off
	v_subrev_co_u32_e32 v14, vcc, s2, v14
	v_and_b32_e32 v4, 0x7ff80, v4
	s_nop 0
	v_subb_co_u32_e32 v15, vcc, v15, v3, vcc
	global_load_dwordx2 v[16:17], v[14:15], off
	v_subrev_co_u32_e32 v14, vcc, s2, v14
	v_mov_b32_e32 v5, v1
	s_nop 0
	v_subb_co_u32_e32 v15, vcc, v15, v3, vcc
	global_load_dwordx2 v[20:21], v[14:15], off
	v_subrev_co_u32_e32 v14, vcc, s2, v14
	v_lshl_add_u64 v[70:71], s[4:5], 3, v[4:5]
	s_nop 0
	v_subb_co_u32_e32 v15, vcc, v15, v3, vcc
	global_load_dwordx2 v[22:23], v[14:15], off
	v_subrev_co_u32_e32 v14, vcc, s2, v14
	v_lshl_add_u64 v[4:5], v[70:71], 0, 8
	s_nop 0
	v_subb_co_u32_e32 v15, vcc, v15, v3, vcc
	global_load_dwordx2 v[26:27], v[14:15], off
	v_subrev_co_u32_e32 v14, vcc, s2, v14
	s_lshl_b64 s[14:15], s[18:19], 10
	s_nop 0
	v_subb_co_u32_e32 v15, vcc, v15, v3, vcc
	global_load_dwordx2 v[30:31], v[14:15], off
	v_subrev_co_u32_e32 v14, vcc, s2, v14
	s_mov_b32 s23, 0
	s_nop 0
	v_subb_co_u32_e32 v15, vcc, v15, v3, vcc
	global_load_dwordx2 v[32:33], v[14:15], off
	v_subrev_co_u32_e32 v14, vcc, s2, v14
	s_add_i32 s24, s22, -1
	s_nop 0
	v_subb_co_u32_e32 v15, vcc, v15, v3, vcc
	global_load_dwordx2 v[36:37], v[14:15], off
	v_subrev_co_u32_e32 v14, vcc, s2, v14
	s_waitcnt vmcnt(8)
	v_mov_b64_e32 v[132:133], v[10:11]
	v_subb_co_u32_e32 v15, vcc, v15, v3, vcc
	global_load_dwordx2 v[38:39], v[14:15], off
	v_subrev_co_u32_e32 v14, vcc, s2, v14
	s_waitcnt vmcnt(8)
	v_mov_b64_e32 v[130:131], v[12:13]
	;; [unrolled: 5-line block ×5, first 2 shown]
	v_subb_co_u32_e32 v15, vcc, v15, v3, vcc
	global_load_dwordx2 v[52:53], v[14:15], off
	global_load_dwordx2 v[54:55], v[8:9], off
	;; [unrolled: 1-line block ×3, first 2 shown]
	v_mov_b32_e32 v3, v1
	v_mad_u64_u32 v[6:7], s[16:17], v4, s20, v[68:69]
	v_mul_lo_u32 v1, v4, s21
	v_mul_lo_u32 v4, v5, s20
	v_add3_u32 v7, v4, v7, v1
	s_mov_b64 s[16:17], 0x400
	v_lshl_add_u64 v[4:5], v[6:7], 0, s[16:17]
	v_lshl_add_u64 v[6:7], v[70:71], 0, 16
	v_mad_u64_u32 v[8:9], s[26:27], v6, s20, v[68:69]
	v_mul_lo_u32 v1, v6, s21
	v_mul_lo_u32 v6, v7, s20
	v_add3_u32 v9, v6, v9, v1
	v_lshl_add_u64 v[6:7], v[8:9], 0, s[16:17]
	v_lshl_add_u64 v[8:9], v[70:71], 0, 24
	v_mad_u64_u32 v[14:15], s[26:27], v8, s20, v[68:69]
	v_mul_lo_u32 v1, v8, s21
	v_mul_lo_u32 v8, v9, s20
	v_add3_u32 v15, v8, v15, v1
	;; [unrolled: 6-line block ×7, first 2 shown]
	s_mov_b64 s[26:27], 0x48
	v_lshl_add_u64 v[34:35], v[40:41], 0, s[16:17]
	v_lshl_add_u64 v[40:41], v[70:71], 0, s[26:27]
	v_mad_u64_u32 v[46:47], s[26:27], v40, s20, v[68:69]
	v_mul_lo_u32 v1, v40, s21
	v_mul_lo_u32 v40, v41, s20
	v_add3_u32 v47, v40, v47, v1
	s_mov_b64 s[26:27], 0x50
	v_lshl_add_u64 v[40:41], v[46:47], 0, s[16:17]
	v_lshl_add_u64 v[46:47], v[70:71], 0, s[26:27]
	v_mad_u64_u32 v[50:51], s[26:27], v46, s20, v[68:69]
	v_mul_lo_u32 v1, v46, s21
	v_mul_lo_u32 v46, v47, s20
	v_add3_u32 v51, v46, v51, v1
	;; [unrolled: 7-line block ×7, first 2 shown]
	v_mad_u64_u32 v[68:69], s[26:27], v70, s20, v[68:69]
	v_mul_lo_u32 v1, v70, s21
	v_mul_lo_u32 v70, v71, s20
	v_add3_u32 v69, v70, v69, v1
	v_or_b32_e32 v1, v60, v2
	v_mul_lo_u32 v60, v61, s18
	v_mul_lo_u32 v61, v1, s19
	v_mad_u64_u32 v[78:79], s[20:21], v1, s18, 0
	v_or_b32_e32 v1, 0x200, v1
	v_add3_u32 v79, v79, v61, v60
	v_mul_lo_u32 v61, v1, s19
	v_mad_u64_u32 v[102:103], s[18:19], v1, s18, 0
	v_add3_u32 v103, v103, v61, v60
	v_mov_b64_e32 v[60:61], 0
	v_lshl_add_u64 v[66:67], v[72:73], 0, s[16:17]
	s_mov_b64 s[18:19], 0x200
	v_mov_b64_e32 v[100:101], v[60:61]
	v_mov_b64_e32 v[96:97], v[60:61]
	;; [unrolled: 1-line block ×15, first 2 shown]
	s_waitcnt vmcnt(0)
	v_mov_b64_e32 v[104:105], v[56:57]
	v_mov_b64_e32 v[106:107], v[52:53]
	v_mov_b64_e32 v[108:109], v[48:49]
	v_mov_b64_e32 v[110:111], v[44:45]
	v_mov_b64_e32 v[112:113], v[42:43]
	v_mov_b64_e32 v[114:115], v[38:39]
	v_mov_b64_e32 v[116:117], v[36:37]
	v_mov_b64_e32 v[118:119], v[32:33]
	v_mov_b64_e32 v[120:121], v[30:31]
	v_mov_b64_e32 v[122:123], v[26:27]
	v_mov_b64_e32 v[134:135], v[54:55]
.LBB285_4:                              ; =>This Inner Loop Header: Depth=1
	v_lshl_add_u64 v[170:171], v[68:69], 0, v[2:3]
	v_lshl_add_u64 v[136:137], v[170:171], 0, s[18:19]
	;; [unrolled: 1-line block ×15, first 2 shown]
	global_load_dwordx2 v[136:137], v[170:171], off offset:512
	s_nop 0
	global_load_dwordx2 v[138:139], v[138:139], off
	s_nop 0
	global_load_dwordx2 v[140:141], v[140:141], off
	;; [unrolled: 2-line block ×3, first 2 shown]
	v_lshl_add_u64 v[166:167], v[164:165], 0, s[2:3]
	global_load_dwordx2 v[144:145], v[146:147], off
	v_lshl_add_u64 v[168:169], s[12:13], 0, v[78:79]
	global_load_dwordx2 v[146:147], v[148:149], off
	s_cmp_lg_u32 s24, s23
	global_load_dwordx2 v[148:149], v[150:151], off
	s_nop 0
	global_load_dwordx2 v[150:151], v[152:153], off
	s_nop 0
	;; [unrolled: 2-line block ×8, first 2 shown]
	global_load_dwordx2 v[164:165], v[166:167], off
	v_lshl_add_u64 v[166:167], v[166:167], 0, s[2:3]
	global_load_dwordx2 v[166:167], v[166:167], off
	s_nop 0
	global_load_dwordx2 v[168:169], v[168:169], off
	s_cbranch_scc0 .LBB285_6
; %bb.5:                                ;   in Loop: Header=BB285_4 Depth=1
	v_lshl_add_u64 v[106:107], v[4:5], 0, v[2:3]
	v_lshl_add_u64 v[108:109], v[6:7], 0, v[2:3]
	v_lshl_add_u64 v[110:111], v[8:9], 0, v[2:3]
	v_lshl_add_u64 v[112:113], v[14:15], 0, v[2:3]
	v_lshl_add_u64 v[114:115], v[18:19], 0, v[2:3]
	v_lshl_add_u64 v[116:117], v[24:25], 0, v[2:3]
	v_lshl_add_u64 v[118:119], v[28:29], 0, v[2:3]
	v_lshl_add_u64 v[120:121], v[34:35], 0, v[2:3]
	v_lshl_add_u64 v[122:123], v[40:41], 0, v[2:3]
	v_lshl_add_u64 v[124:125], v[46:47], 0, v[2:3]
	v_lshl_add_u64 v[126:127], v[50:51], 0, v[2:3]
	v_lshl_add_u64 v[128:129], v[58:59], 0, v[2:3]
	v_lshl_add_u64 v[130:131], v[62:63], 0, v[2:3]
	v_lshl_add_u64 v[132:133], v[64:65], 0, v[2:3]
	v_lshl_add_u64 v[134:135], v[66:67], 0, v[2:3]
	global_load_dwordx2 v[104:105], v[170:171], off offset:1024
	s_nop 0
	global_load_dwordx2 v[106:107], v[106:107], off
	s_nop 0
	global_load_dwordx2 v[108:109], v[108:109], off
	;; [unrolled: 2-line block ×15, first 2 shown]
.LBB285_6:                              ;   in Loop: Header=BB285_4 Depth=1
	v_lshl_add_u64 v[170:171], s[12:13], 0, v[102:103]
	global_load_dwordx2 v[170:171], v[170:171], off
	s_add_i32 s23, s23, 1
	s_add_u32 s12, s12, s14
	s_waitcnt vmcnt(1)
	v_fmac_f64_e32 v[60:61], v[56:57], v[168:169]
	v_fmac_f64_e32 v[100:101], v[52:53], v[168:169]
	;; [unrolled: 1-line block ×16, first 2 shown]
	s_addc_u32 s13, s13, s15
	v_lshl_add_u64 v[4:5], v[4:5], 0, s[16:17]
	v_lshl_add_u64 v[6:7], v[6:7], 0, s[16:17]
	;; [unrolled: 1-line block ×15, first 2 shown]
	s_cmp_ge_i32 s23, s22
	v_lshl_add_u64 v[68:69], v[68:69], 0, s[16:17]
	s_waitcnt vmcnt(0)
	v_fmac_f64_e32 v[60:61], v[136:137], v[170:171]
	v_fmac_f64_e32 v[100:101], v[138:139], v[170:171]
	;; [unrolled: 1-line block ×16, first 2 shown]
	s_cbranch_scc1 .LBB285_8
; %bb.7:                                ;   in Loop: Header=BB285_4 Depth=1
	v_mov_b64_e32 v[56:57], v[104:105]
	v_mov_b64_e32 v[52:53], v[106:107]
	;; [unrolled: 1-line block ×16, first 2 shown]
	s_branch .LBB285_4
.LBB285_8:
	v_lshl_or_b32 v1, v175, 9, v2
	ds_write2st64_b64 v1, v[60:61], v[100:101] offset1:1
	ds_write2st64_b64 v1, v[96:97], v[98:99] offset0:2 offset1:3
	ds_write2st64_b64 v1, v[92:93], v[94:95] offset0:4 offset1:5
	;; [unrolled: 1-line block ×6, first 2 shown]
	ds_write_b64 v1, v[72:73] offset:7168
	v_lshlrev_b32_e32 v1, 3, v172
	v_lshlrev_b32_e32 v2, 9, v174
	s_movk_i32 s2, 0x1e00
	v_or3_b32 v1, v2, v1, s2
	v_cmp_eq_u32_e32 vcc, 0, v173
	ds_write_b64 v1, v[70:71]
	s_waitcnt lgkmcnt(0)
	s_barrier
	s_and_saveexec_b64 s[2:3], vcc
	s_cbranch_execz .LBB285_10
; %bb.9:
	v_lshlrev_b32_e32 v12, 6, v172
	v_add_u32_e32 v1, 1, v172
	v_and_or_b32 v1, v1, 63, v12
	v_lshlrev_b32_e32 v2, 3, v1
	v_add_u32_e32 v1, 2, v172
	v_or_b32_e32 v13, v0, v12
	v_and_or_b32 v1, v1, 63, v12
	v_lshlrev_b32_e32 v0, 3, v13
	v_lshlrev_b32_e32 v4, 3, v1
	v_add_u32_e32 v1, 3, v172
	v_and_or_b32 v6, v1, 63, v12
	ds_read_b64 v[0:1], v0
	ds_read_b64 v[2:3], v2
	;; [unrolled: 1-line block ×3, first 2 shown]
	v_lshlrev_b32_e32 v6, 3, v6
	ds_read_b64 v[6:7], v6
	s_waitcnt lgkmcnt(3)
	v_add_f64 v[0:1], v[0:1], 0
	s_waitcnt lgkmcnt(2)
	v_add_f64 v[0:1], v[0:1], v[2:3]
	v_add_u32_e32 v3, 5, v172
	v_and_or_b32 v3, v3, 63, v12
	s_waitcnt lgkmcnt(1)
	v_add_f64 v[0:1], v[0:1], v[4:5]
	v_lshlrev_b32_e32 v4, 3, v3
	v_add_u32_e32 v3, 6, v172
	v_and_or_b32 v3, v3, 63, v12
	v_add_u32_e32 v2, 4, v172
	v_lshlrev_b32_e32 v8, 3, v3
	v_add_u32_e32 v3, 7, v172
	v_and_or_b32 v2, v2, 63, v12
	v_and_or_b32 v3, v3, 63, v12
	v_lshlrev_b32_e32 v2, 3, v2
	v_lshlrev_b32_e32 v10, 3, v3
	ds_read_b64 v[2:3], v2
	ds_read_b64 v[4:5], v4
	ds_read_b64 v[8:9], v8
	ds_read_b64 v[10:11], v10
	s_waitcnt lgkmcnt(4)
	v_add_f64 v[0:1], v[0:1], v[6:7]
	s_waitcnt lgkmcnt(3)
	v_add_f64 v[0:1], v[0:1], v[2:3]
	v_add_u32_e32 v3, 9, v172
	v_and_or_b32 v3, v3, 63, v12
	s_waitcnt lgkmcnt(2)
	v_add_f64 v[0:1], v[0:1], v[4:5]
	v_add_u32_e32 v2, 8, v172
	v_lshlrev_b32_e32 v4, 3, v3
	v_add_u32_e32 v3, 10, v172
	v_and_or_b32 v2, v2, 63, v12
	v_and_or_b32 v3, v3, 63, v12
	v_lshlrev_b32_e32 v2, 3, v2
	v_lshlrev_b32_e32 v6, 3, v3
	v_add_u32_e32 v3, 11, v172
	s_waitcnt lgkmcnt(1)
	v_add_f64 v[0:1], v[0:1], v[8:9]
	v_and_or_b32 v8, v3, 63, v12
	ds_read_b64 v[2:3], v2
	ds_read_b64 v[4:5], v4
	;; [unrolled: 1-line block ×3, first 2 shown]
	s_waitcnt lgkmcnt(3)
	v_add_f64 v[0:1], v[0:1], v[10:11]
	v_lshlrev_b32_e32 v8, 3, v8
	s_waitcnt lgkmcnt(2)
	v_add_f64 v[0:1], v[0:1], v[2:3]
	v_add_u32_e32 v3, 13, v172
	v_and_or_b32 v3, v3, 63, v12
	s_waitcnt lgkmcnt(1)
	v_add_f64 v[0:1], v[0:1], v[4:5]
	v_lshlrev_b32_e32 v4, 3, v3
	v_add_u32_e32 v3, 14, v172
	ds_read_b64 v[8:9], v8
	v_and_or_b32 v3, v3, 63, v12
	s_waitcnt lgkmcnt(1)
	v_add_f64 v[0:1], v[0:1], v[6:7]
	v_add_u32_e32 v2, 12, v172
	v_lshlrev_b32_e32 v6, 3, v3
	v_add_u32_e32 v3, 15, v172
	v_and_or_b32 v2, v2, 63, v12
	v_and_or_b32 v3, v3, 63, v12
	v_lshlrev_b32_e32 v2, 3, v2
	v_lshlrev_b32_e32 v10, 3, v3
	ds_read_b64 v[2:3], v2
	ds_read_b64 v[4:5], v4
	ds_read_b64 v[6:7], v6
	ds_read_b64 v[10:11], v10
	s_waitcnt lgkmcnt(4)
	v_add_f64 v[0:1], v[0:1], v[8:9]
	s_waitcnt lgkmcnt(3)
	v_add_f64 v[0:1], v[0:1], v[2:3]
	v_add_u32_e32 v3, 17, v172
	v_and_or_b32 v3, v3, 63, v12
	s_waitcnt lgkmcnt(2)
	v_add_f64 v[0:1], v[0:1], v[4:5]
	v_add_u32_e32 v2, 16, v172
	v_lshlrev_b32_e32 v4, 3, v3
	v_add_u32_e32 v3, 18, v172
	v_and_or_b32 v2, v2, 63, v12
	v_and_or_b32 v3, v3, 63, v12
	s_waitcnt lgkmcnt(1)
	v_add_f64 v[0:1], v[0:1], v[6:7]
	v_lshlrev_b32_e32 v2, 3, v2
	v_lshlrev_b32_e32 v6, 3, v3
	v_add_u32_e32 v3, 19, v172
	v_and_or_b32 v8, v3, 63, v12
	ds_read_b64 v[2:3], v2
	ds_read_b64 v[4:5], v4
	;; [unrolled: 1-line block ×3, first 2 shown]
	s_waitcnt lgkmcnt(3)
	v_add_f64 v[0:1], v[0:1], v[10:11]
	v_lshlrev_b32_e32 v8, 3, v8
	s_waitcnt lgkmcnt(2)
	v_add_f64 v[0:1], v[0:1], v[2:3]
	v_add_u32_e32 v3, 21, v172
	v_and_or_b32 v3, v3, 63, v12
	s_waitcnt lgkmcnt(1)
	v_add_f64 v[0:1], v[0:1], v[4:5]
	v_lshlrev_b32_e32 v4, 3, v3
	v_add_u32_e32 v3, 22, v172
	ds_read_b64 v[8:9], v8
	v_and_or_b32 v3, v3, 63, v12
	s_waitcnt lgkmcnt(1)
	v_add_f64 v[0:1], v[0:1], v[6:7]
	v_add_u32_e32 v2, 20, v172
	v_lshlrev_b32_e32 v6, 3, v3
	v_add_u32_e32 v3, 23, v172
	v_and_or_b32 v2, v2, 63, v12
	v_and_or_b32 v3, v3, 63, v12
	v_lshlrev_b32_e32 v2, 3, v2
	v_lshlrev_b32_e32 v10, 3, v3
	ds_read_b64 v[2:3], v2
	ds_read_b64 v[4:5], v4
	;; [unrolled: 1-line block ×4, first 2 shown]
	s_waitcnt lgkmcnt(4)
	v_add_f64 v[0:1], v[0:1], v[8:9]
	s_waitcnt lgkmcnt(3)
	v_add_f64 v[0:1], v[0:1], v[2:3]
	v_add_u32_e32 v3, 25, v172
	v_and_or_b32 v3, v3, 63, v12
	s_waitcnt lgkmcnt(2)
	v_add_f64 v[0:1], v[0:1], v[4:5]
	v_add_u32_e32 v2, 24, v172
	v_lshlrev_b32_e32 v4, 3, v3
	v_add_u32_e32 v3, 26, v172
	v_and_or_b32 v2, v2, 63, v12
	v_and_or_b32 v3, v3, 63, v12
	s_waitcnt lgkmcnt(1)
	v_add_f64 v[0:1], v[0:1], v[6:7]
	v_lshlrev_b32_e32 v2, 3, v2
	v_lshlrev_b32_e32 v6, 3, v3
	v_add_u32_e32 v3, 27, v172
	v_and_or_b32 v8, v3, 63, v12
	ds_read_b64 v[2:3], v2
	ds_read_b64 v[4:5], v4
	ds_read_b64 v[6:7], v6
	s_waitcnt lgkmcnt(3)
	v_add_f64 v[0:1], v[0:1], v[10:11]
	v_lshlrev_b32_e32 v8, 3, v8
	s_waitcnt lgkmcnt(2)
	v_add_f64 v[0:1], v[0:1], v[2:3]
	v_add_u32_e32 v3, 29, v172
	v_and_or_b32 v3, v3, 63, v12
	s_waitcnt lgkmcnt(1)
	v_add_f64 v[0:1], v[0:1], v[4:5]
	v_lshlrev_b32_e32 v4, 3, v3
	v_add_u32_e32 v3, 30, v172
	ds_read_b64 v[8:9], v8
	v_and_or_b32 v3, v3, 63, v12
	s_waitcnt lgkmcnt(1)
	v_add_f64 v[0:1], v[0:1], v[6:7]
	v_add_u32_e32 v2, 28, v172
	v_lshlrev_b32_e32 v6, 3, v3
	v_add_u32_e32 v3, 31, v172
	v_and_or_b32 v2, v2, 63, v12
	v_and_or_b32 v3, v3, 63, v12
	v_lshlrev_b32_e32 v2, 3, v2
	v_lshlrev_b32_e32 v10, 3, v3
	ds_read_b64 v[2:3], v2
	ds_read_b64 v[4:5], v4
	;; [unrolled: 1-line block ×4, first 2 shown]
	s_waitcnt lgkmcnt(4)
	v_add_f64 v[0:1], v[0:1], v[8:9]
	s_waitcnt lgkmcnt(3)
	v_add_f64 v[0:1], v[0:1], v[2:3]
	v_add_u32_e32 v3, 33, v172
	v_and_or_b32 v3, v3, 63, v12
	s_waitcnt lgkmcnt(2)
	v_add_f64 v[0:1], v[0:1], v[4:5]
	v_lshlrev_b32_e32 v4, 3, v3
	v_add_u32_e32 v3, 34, v172
	v_xor_b32_e32 v2, 32, v13
	v_and_or_b32 v3, v3, 63, v12
	s_waitcnt lgkmcnt(1)
	v_add_f64 v[0:1], v[0:1], v[6:7]
	v_lshlrev_b32_e32 v2, 3, v2
	v_lshlrev_b32_e32 v6, 3, v3
	v_add_u32_e32 v3, 35, v172
	v_and_or_b32 v8, v3, 63, v12
	ds_read_b64 v[2:3], v2
	ds_read_b64 v[4:5], v4
	ds_read_b64 v[6:7], v6
	s_waitcnt lgkmcnt(3)
	v_add_f64 v[0:1], v[0:1], v[10:11]
	v_lshlrev_b32_e32 v8, 3, v8
	s_waitcnt lgkmcnt(2)
	v_add_f64 v[0:1], v[0:1], v[2:3]
	v_add_u32_e32 v3, 37, v172
	v_and_or_b32 v3, v3, 63, v12
	s_waitcnt lgkmcnt(1)
	v_add_f64 v[0:1], v[0:1], v[4:5]
	v_lshlrev_b32_e32 v4, 3, v3
	v_add_u32_e32 v3, 38, v172
	ds_read_b64 v[8:9], v8
	v_and_or_b32 v3, v3, 63, v12
	s_waitcnt lgkmcnt(1)
	v_add_f64 v[0:1], v[0:1], v[6:7]
	v_add_u32_e32 v2, 36, v172
	v_lshlrev_b32_e32 v6, 3, v3
	v_add_u32_e32 v3, 39, v172
	v_and_or_b32 v2, v2, 63, v12
	v_and_or_b32 v3, v3, 63, v12
	v_lshlrev_b32_e32 v2, 3, v2
	v_lshlrev_b32_e32 v10, 3, v3
	ds_read_b64 v[2:3], v2
	ds_read_b64 v[4:5], v4
	ds_read_b64 v[6:7], v6
	ds_read_b64 v[10:11], v10
	s_waitcnt lgkmcnt(4)
	v_add_f64 v[0:1], v[0:1], v[8:9]
	s_waitcnt lgkmcnt(3)
	v_add_f64 v[0:1], v[0:1], v[2:3]
	v_add_u32_e32 v3, 41, v172
	v_and_or_b32 v3, v3, 63, v12
	s_waitcnt lgkmcnt(2)
	v_add_f64 v[0:1], v[0:1], v[4:5]
	v_add_u32_e32 v2, 40, v172
	v_lshlrev_b32_e32 v4, 3, v3
	v_add_u32_e32 v3, 42, v172
	v_and_or_b32 v2, v2, 63, v12
	v_and_or_b32 v3, v3, 63, v12
	s_waitcnt lgkmcnt(1)
	v_add_f64 v[0:1], v[0:1], v[6:7]
	v_lshlrev_b32_e32 v2, 3, v2
	v_lshlrev_b32_e32 v6, 3, v3
	v_add_u32_e32 v3, 43, v172
	v_and_or_b32 v8, v3, 63, v12
	ds_read_b64 v[2:3], v2
	ds_read_b64 v[4:5], v4
	ds_read_b64 v[6:7], v6
	s_waitcnt lgkmcnt(3)
	v_add_f64 v[0:1], v[0:1], v[10:11]
	v_lshlrev_b32_e32 v8, 3, v8
	s_waitcnt lgkmcnt(2)
	v_add_f64 v[0:1], v[0:1], v[2:3]
	v_add_u32_e32 v3, 45, v172
	v_and_or_b32 v3, v3, 63, v12
	s_waitcnt lgkmcnt(1)
	v_add_f64 v[0:1], v[0:1], v[4:5]
	v_lshlrev_b32_e32 v4, 3, v3
	v_add_u32_e32 v3, 46, v172
	ds_read_b64 v[8:9], v8
	v_and_or_b32 v3, v3, 63, v12
	s_waitcnt lgkmcnt(1)
	v_add_f64 v[0:1], v[0:1], v[6:7]
	v_add_u32_e32 v2, 44, v172
	v_lshlrev_b32_e32 v6, 3, v3
	v_add_u32_e32 v3, 47, v172
	v_and_or_b32 v2, v2, 63, v12
	v_and_or_b32 v3, v3, 63, v12
	v_lshlrev_b32_e32 v2, 3, v2
	v_lshlrev_b32_e32 v10, 3, v3
	ds_read_b64 v[2:3], v2
	ds_read_b64 v[4:5], v4
	ds_read_b64 v[6:7], v6
	ds_read_b64 v[10:11], v10
	s_waitcnt lgkmcnt(4)
	v_add_f64 v[0:1], v[0:1], v[8:9]
	s_waitcnt lgkmcnt(3)
	v_add_f64 v[0:1], v[0:1], v[2:3]
	v_add_u32_e32 v3, 49, v172
	v_and_or_b32 v3, v3, 63, v12
	s_waitcnt lgkmcnt(2)
	v_add_f64 v[0:1], v[0:1], v[4:5]
	v_add_u32_e32 v2, 48, v172
	v_lshlrev_b32_e32 v4, 3, v3
	v_add_u32_e32 v3, 50, v172
	v_and_or_b32 v2, v2, 63, v12
	;; [unrolled: 48-line block ×3, first 2 shown]
	v_and_or_b32 v3, v3, 63, v12
	s_waitcnt lgkmcnt(1)
	v_add_f64 v[0:1], v[0:1], v[6:7]
	v_lshlrev_b32_e32 v2, 3, v2
	v_lshlrev_b32_e32 v6, 3, v3
	v_add_u32_e32 v3, 59, v172
	v_and_or_b32 v8, v3, 63, v12
	ds_read_b64 v[2:3], v2
	ds_read_b64 v[4:5], v4
	;; [unrolled: 1-line block ×3, first 2 shown]
	s_waitcnt lgkmcnt(3)
	v_add_f64 v[0:1], v[0:1], v[10:11]
	v_lshlrev_b32_e32 v8, 3, v8
	s_waitcnt lgkmcnt(2)
	v_add_f64 v[0:1], v[0:1], v[2:3]
	v_add_u32_e32 v3, 61, v172
	v_and_or_b32 v3, v3, 63, v12
	s_waitcnt lgkmcnt(1)
	v_add_f64 v[0:1], v[0:1], v[4:5]
	v_lshlrev_b32_e32 v4, 3, v3
	v_add_u32_e32 v3, 62, v172
	ds_read_b64 v[8:9], v8
	v_and_or_b32 v3, v3, 63, v12
	s_load_dword s2, s[0:1], 0x68
	s_waitcnt lgkmcnt(0)
	v_add_f64 v[0:1], v[0:1], v[6:7]
	v_add_u32_e32 v2, 60, v172
	v_lshlrev_b32_e32 v6, 3, v3
	v_add_u32_e32 v3, -1, v172
	v_and_or_b32 v2, v2, 63, v12
	v_and_or_b32 v3, v3, 63, v12
	v_lshlrev_b32_e32 v2, 3, v2
	v_lshlrev_b32_e32 v10, 3, v3
	s_lshl_b64 s[0:1], s[10:11], 3
	ds_read_b64 v[2:3], v2
	ds_read_b64 v[4:5], v4
	;; [unrolled: 1-line block ×4, first 2 shown]
	s_add_u32 s3, s8, s0
	v_add_f64 v[0:1], v[0:1], v[8:9]
	s_addc_u32 s5, s9, s1
	s_mul_hi_i32 s1, s2, s4
	s_mul_i32 s0, s2, s4
	s_waitcnt lgkmcnt(3)
	v_add_f64 v[0:1], v[0:1], v[2:3]
	s_lshl_b64 s[0:1], s[0:1], 3
	s_waitcnt lgkmcnt(2)
	v_add_f64 v[0:1], v[0:1], v[4:5]
	s_add_u32 s0, s3, s0
	s_waitcnt lgkmcnt(1)
	v_add_f64 v[0:1], v[0:1], v[6:7]
	s_addc_u32 s1, s5, s1
	s_waitcnt lgkmcnt(0)
	v_add_f64 v[0:1], v[0:1], v[10:11]
	v_mad_i64_i32 v[2:3], s[2:3], s2, v172, 0
	v_lshl_add_u64 v[2:3], v[2:3], 3, s[0:1]
	v_mul_f64 v[0:1], v[0:1], s[6:7]
	global_atomic_add_f64 v[2:3], v[0:1], off
.LBB285_10:
	s_endpgm
	.section	.rodata,"a",@progbits
	.p2align	6, 0x0
	.amdhsa_kernel _ZL36rocblas_gemvt_double_buffered_kernelILb1ELi128ELi4ELi16EPKddKPdEviiT4_lPKT3_lilS7_lilPT5_lili
		.amdhsa_group_segment_fixed_size 65536
		.amdhsa_private_segment_fixed_size 0
		.amdhsa_kernarg_size 384
		.amdhsa_user_sgpr_count 2
		.amdhsa_user_sgpr_dispatch_ptr 0
		.amdhsa_user_sgpr_queue_ptr 0
		.amdhsa_user_sgpr_kernarg_segment_ptr 1
		.amdhsa_user_sgpr_dispatch_id 0
		.amdhsa_user_sgpr_kernarg_preload_length 0
		.amdhsa_user_sgpr_kernarg_preload_offset 0
		.amdhsa_user_sgpr_private_segment_size 0
		.amdhsa_uses_dynamic_stack 0
		.amdhsa_enable_private_segment 0
		.amdhsa_system_sgpr_workgroup_id_x 1
		.amdhsa_system_sgpr_workgroup_id_y 1
		.amdhsa_system_sgpr_workgroup_id_z 1
		.amdhsa_system_sgpr_workgroup_info 0
		.amdhsa_system_vgpr_workitem_id 1
		.amdhsa_next_free_vgpr 176
		.amdhsa_next_free_sgpr 32
		.amdhsa_accum_offset 176
		.amdhsa_reserve_vcc 1
		.amdhsa_float_round_mode_32 0
		.amdhsa_float_round_mode_16_64 0
		.amdhsa_float_denorm_mode_32 3
		.amdhsa_float_denorm_mode_16_64 3
		.amdhsa_dx10_clamp 1
		.amdhsa_ieee_mode 1
		.amdhsa_fp16_overflow 0
		.amdhsa_tg_split 0
		.amdhsa_exception_fp_ieee_invalid_op 0
		.amdhsa_exception_fp_denorm_src 0
		.amdhsa_exception_fp_ieee_div_zero 0
		.amdhsa_exception_fp_ieee_overflow 0
		.amdhsa_exception_fp_ieee_underflow 0
		.amdhsa_exception_fp_ieee_inexact 0
		.amdhsa_exception_int_div_zero 0
	.end_amdhsa_kernel
	.section	.text._ZL36rocblas_gemvt_double_buffered_kernelILb1ELi128ELi4ELi16EPKddKPdEviiT4_lPKT3_lilS7_lilPT5_lili,"axG",@progbits,_ZL36rocblas_gemvt_double_buffered_kernelILb1ELi128ELi4ELi16EPKddKPdEviiT4_lPKT3_lilS7_lilPT5_lili,comdat
.Lfunc_end285:
	.size	_ZL36rocblas_gemvt_double_buffered_kernelILb1ELi128ELi4ELi16EPKddKPdEviiT4_lPKT3_lilS7_lilPT5_lili, .Lfunc_end285-_ZL36rocblas_gemvt_double_buffered_kernelILb1ELi128ELi4ELi16EPKddKPdEviiT4_lPKT3_lilS7_lilPT5_lili
                                        ; -- End function
	.section	.AMDGPU.csdata,"",@progbits
; Kernel info:
; codeLenInByte = 5432
; NumSgprs: 38
; NumVgprs: 176
; NumAgprs: 0
; TotalNumVgprs: 176
; ScratchSize: 0
; MemoryBound: 0
; FloatMode: 240
; IeeeMode: 1
; LDSByteSize: 65536 bytes/workgroup (compile time only)
; SGPRBlocks: 4
; VGPRBlocks: 21
; NumSGPRsForWavesPerEU: 38
; NumVGPRsForWavesPerEU: 176
; AccumOffset: 176
; Occupancy: 2
; WaveLimiterHint : 1
; COMPUTE_PGM_RSRC2:SCRATCH_EN: 0
; COMPUTE_PGM_RSRC2:USER_SGPR: 2
; COMPUTE_PGM_RSRC2:TRAP_HANDLER: 0
; COMPUTE_PGM_RSRC2:TGID_X_EN: 1
; COMPUTE_PGM_RSRC2:TGID_Y_EN: 1
; COMPUTE_PGM_RSRC2:TGID_Z_EN: 1
; COMPUTE_PGM_RSRC2:TIDIG_COMP_CNT: 1
; COMPUTE_PGM_RSRC3_GFX90A:ACCUM_OFFSET: 43
; COMPUTE_PGM_RSRC3_GFX90A:TG_SPLIT: 0
	.section	.text._ZL20rocblas_gemvt_kernelILb1ELi256EPKdS1_KPdEviiT2_lPKT1_lilS7_lilS4_lPT3_lili,"axG",@progbits,_ZL20rocblas_gemvt_kernelILb1ELi256EPKdS1_KPdEviiT2_lPKT1_lilS7_lilS4_lPT3_lili,comdat
	.globl	_ZL20rocblas_gemvt_kernelILb1ELi256EPKdS1_KPdEviiT2_lPKT1_lilS7_lilS4_lPT3_lili ; -- Begin function _ZL20rocblas_gemvt_kernelILb1ELi256EPKdS1_KPdEviiT2_lPKT1_lilS7_lilS4_lPT3_lili
	.p2align	8
	.type	_ZL20rocblas_gemvt_kernelILb1ELi256EPKdS1_KPdEviiT2_lPKT1_lilS7_lilS4_lPT3_lili,@function
_ZL20rocblas_gemvt_kernelILb1ELi256EPKdS1_KPdEviiT2_lPKT1_lilS7_lilS4_lPT3_lili: ; @_ZL20rocblas_gemvt_kernelILb1ELi256EPKdS1_KPdEviiT2_lPKT1_lilS7_lilS4_lPT3_lili
; %bb.0:
	s_load_dwordx8 s[12:19], s[0:1], 0x8
	s_load_dwordx8 s[4:11], s[0:1], 0x58
	s_mov_b32 s22, s3
	s_waitcnt lgkmcnt(0)
	s_mul_i32 s3, s3, s15
	s_mul_hi_u32 s15, s22, s14
	s_add_i32 s15, s15, s3
	s_mul_i32 s14, s22, s14
	s_lshl_b64 s[14:15], s[14:15], 3
	s_add_u32 s12, s12, s14
	s_mul_i32 s3, s22, s7
	s_mul_hi_u32 s7, s22, s6
	s_addc_u32 s13, s13, s15
	s_add_i32 s7, s7, s3
	s_mul_i32 s6, s22, s6
	s_lshl_b64 s[6:7], s[6:7], 3
	s_add_u32 s4, s4, s6
	s_addc_u32 s5, s5, s7
	s_load_dwordx2 s[12:13], s[12:13], 0x0
	s_nop 0
	s_load_dwordx2 s[6:7], s[4:5], 0x0
	s_waitcnt lgkmcnt(0)
	v_cmp_eq_f64_e64 s[4:5], s[12:13], 0
	v_cmp_eq_f64_e64 s[14:15], s[6:7], 1.0
	s_and_b64 s[14:15], s[4:5], s[14:15]
	s_and_b64 vcc, exec, s[14:15]
	s_cbranch_vccnz .LBB286_40
; %bb.1:
	s_mov_b32 s23, 0
	s_mov_b64 s[14:15], 0
	v_cmp_neq_f64_e64 s[24:25], s[12:13], 0
	s_and_b64 vcc, exec, s[4:5]
	s_mov_b64 s[20:21], 0
	s_cbranch_vccnz .LBB286_3
; %bb.2:
	s_lshl_b64 s[20:21], s[22:23], 3
	s_add_u32 s16, s16, s20
	s_addc_u32 s17, s17, s21
	s_load_dwordx2 s[16:17], s[16:17], 0x0
	s_lshl_b64 s[18:19], s[18:19], 3
	s_waitcnt lgkmcnt(0)
	s_add_u32 s20, s16, s18
	s_addc_u32 s21, s17, s19
.LBB286_3:
	s_andn2_b64 vcc, exec, s[24:25]
	s_cbranch_vccnz .LBB286_5
; %bb.4:
	s_load_dwordx4 s[16:19], s[0:1], 0x38
	s_lshl_b64 s[14:15], s[22:23], 3
	s_waitcnt lgkmcnt(0)
	s_add_u32 s14, s16, s14
	s_addc_u32 s15, s17, s15
	s_load_dwordx2 s[14:15], s[14:15], 0x0
	s_lshl_b64 s[16:17], s[18:19], 3
	s_waitcnt lgkmcnt(0)
	s_add_u32 s14, s14, s16
	s_addc_u32 s15, s15, s17
.LBB286_5:
	s_lshl_b64 s[16:17], s[22:23], 3
	s_add_u32 s8, s8, s16
	s_addc_u32 s9, s9, s17
	s_load_dwordx2 s[16:17], s[8:9], 0x0
	s_load_dword s23, s[0:1], 0x78
	s_lshl_b64 s[8:9], s[10:11], 3
	s_waitcnt lgkmcnt(0)
	s_add_u32 s3, s16, s8
	s_addc_u32 s22, s17, s9
	s_andn2_b64 vcc, exec, s[4:5]
	v_cmp_eq_u32_e64 s[4:5], 0, v0
	s_cbranch_vccnz .LBB286_10
; %bb.6:
	s_mov_b64 s[16:17], 0
	s_mov_b64 s[8:9], 0
                                        ; implicit-def: $vgpr2_vgpr3
                                        ; implicit-def: $sgpr10_sgpr11
	s_and_saveexec_b64 s[18:19], s[4:5]
	s_cbranch_execz .LBB286_11
; %bb.7:
	v_cmp_eq_f64_e64 s[4:5], s[6:7], 0
	v_mov_b64_e32 v[2:3], 0
	s_mul_hi_i32 s11, s23, s2
	s_mul_i32 s10, s23, s2
	s_and_b64 vcc, exec, s[4:5]
	s_cbranch_vccnz .LBB286_9
; %bb.8:
	s_lshl_b64 s[4:5], s[10:11], 3
	s_add_u32 s4, s3, s4
	s_addc_u32 s5, s22, s5
	s_load_dwordx2 s[4:5], s[4:5], 0x0
	s_waitcnt lgkmcnt(0)
	v_mov_b64_e32 v[2:3], s[4:5]
	v_mul_f64 v[2:3], s[6:7], v[2:3]
.LBB286_9:
	s_mov_b64 s[8:9], exec
	s_or_b64 exec, exec, s[18:19]
	s_and_b64 vcc, exec, s[16:17]
	s_cbranch_vccnz .LBB286_12
	s_branch .LBB286_38
.LBB286_10:
	s_mov_b64 s[8:9], 0
                                        ; implicit-def: $vgpr2_vgpr3
                                        ; implicit-def: $sgpr10_sgpr11
	s_cbranch_execnz .LBB286_12
	s_branch .LBB286_38
.LBB286_11:
	s_or_b64 exec, exec, s[18:19]
	s_and_b64 vcc, exec, s[16:17]
	s_cbranch_vccz .LBB286_38
.LBB286_12:
	s_load_dword s18, s[0:1], 0x0
	s_load_dword s5, s[0:1], 0x28
	;; [unrolled: 1-line block ×3, first 2 shown]
	v_mov_b32_e32 v3, 0
	s_mov_b32 s1, 0
	s_waitcnt lgkmcnt(0)
	v_cmp_gt_i32_e32 vcc, s18, v0
	s_mul_hi_i32 s11, s5, s2
	s_mul_i32 s10, s5, s2
	s_lshl_b64 s[10:11], s[10:11], 3
	s_add_u32 s10, s10, s20
	s_addc_u32 s11, s11, s21
	s_ashr_i32 s0, s18, 31
	s_lshr_b32 s0, s0, 24
	v_cndmask_b32_e32 v1, 0, v0, vcc
	s_add_i32 s0, s18, s0
	v_lshlrev_b32_e32 v2, 3, v1
	s_and_b32 s0, s0, 0xffffff00
	v_lshl_add_u64 v[2:3], s[10:11], 0, v[2:3]
	s_cmpk_lt_i32 s18, 0x100
	v_mov_b64_e32 v[4:5], 0
	s_cbranch_scc1 .LBB286_15
; %bb.13:
	s_ashr_i32 s5, s4, 31
	v_mad_i64_i32 v[4:5], s[10:11], s4, v0, 0
	v_lshl_add_u64 v[6:7], v[4:5], 3, s[14:15]
	s_lshl_b64 s[10:11], s[4:5], 11
	v_mov_b64_e32 v[4:5], 0
	s_mov_b64 s[16:17], 0x800
	v_mov_b64_e32 v[8:9], v[2:3]
.LBB286_14:                             ; =>This Inner Loop Header: Depth=1
	flat_load_dwordx2 v[10:11], v[8:9]
	flat_load_dwordx2 v[12:13], v[6:7]
	s_addk_i32 s1, 0x100
	v_lshl_add_u64 v[6:7], v[6:7], 0, s[10:11]
	v_lshl_add_u64 v[8:9], v[8:9], 0, s[16:17]
	s_cmp_ge_i32 s1, s0
	s_waitcnt vmcnt(0) lgkmcnt(0)
	v_fmac_f64_e32 v[4:5], v[10:11], v[12:13]
	s_cbranch_scc0 .LBB286_14
.LBB286_15:
	v_add_u32_e32 v1, s0, v0
	v_cmp_gt_i32_e32 vcc, s18, v1
	s_and_saveexec_b64 s[10:11], vcc
	s_cbranch_execz .LBB286_17
; %bb.16:
	s_ashr_i32 s1, s0, 31
	v_lshl_add_u64 v[2:3], s[0:1], 3, v[2:3]
	v_mad_i64_i32 v[6:7], s[0:1], s4, v1, 0
	v_lshl_add_u64 v[6:7], v[6:7], 3, s[14:15]
	flat_load_dwordx2 v[2:3], v[2:3]
	s_nop 0
	flat_load_dwordx2 v[6:7], v[6:7]
	s_waitcnt vmcnt(0) lgkmcnt(0)
	v_fmac_f64_e32 v[4:5], v[2:3], v[6:7]
.LBB286_17:
	s_or_b64 exec, exec, s[10:11]
	s_movk_i32 s0, 0x80
	v_lshlrev_b32_e32 v1, 3, v0
	v_cmp_gt_u32_e32 vcc, s0, v0
	ds_write_b64 v1, v[4:5]
	s_waitcnt lgkmcnt(0)
	s_barrier
	s_and_saveexec_b64 s[0:1], vcc
	s_cbranch_execz .LBB286_19
; %bb.18:
	ds_read2st64_b64 v[2:5], v1 offset1:2
	s_waitcnt lgkmcnt(0)
	v_add_f64 v[2:3], v[4:5], v[2:3]
	ds_write_b64 v1, v[2:3]
.LBB286_19:
	s_or_b64 exec, exec, s[0:1]
	v_cmp_gt_u32_e32 vcc, 64, v0
	s_waitcnt lgkmcnt(0)
	s_barrier
	s_and_saveexec_b64 s[0:1], vcc
	s_cbranch_execz .LBB286_21
; %bb.20:
	ds_read2st64_b64 v[2:5], v1 offset1:1
	s_waitcnt lgkmcnt(0)
	v_add_f64 v[2:3], v[4:5], v[2:3]
	ds_write_b64 v1, v[2:3]
.LBB286_21:
	s_or_b64 exec, exec, s[0:1]
	v_cmp_gt_u32_e32 vcc, 32, v0
	s_waitcnt lgkmcnt(0)
	s_barrier
	s_and_saveexec_b64 s[0:1], vcc
	s_cbranch_execz .LBB286_23
; %bb.22:
	ds_read2_b64 v[2:5], v1 offset1:32
	s_waitcnt lgkmcnt(0)
	v_add_f64 v[2:3], v[4:5], v[2:3]
	ds_write_b64 v1, v[2:3]
.LBB286_23:
	s_or_b64 exec, exec, s[0:1]
	v_cmp_gt_u32_e32 vcc, 16, v0
	s_waitcnt lgkmcnt(0)
	s_barrier
	s_and_saveexec_b64 s[0:1], vcc
	s_cbranch_execz .LBB286_25
; %bb.24:
	ds_read2_b64 v[2:5], v1 offset1:16
	s_waitcnt lgkmcnt(0)
	v_add_f64 v[2:3], v[4:5], v[2:3]
	ds_write_b64 v1, v[2:3]
.LBB286_25:
	;; [unrolled: 12-line block ×5, first 2 shown]
	s_or_b64 exec, exec, s[0:1]
	v_cmp_eq_u32_e32 vcc, 0, v0
	s_waitcnt lgkmcnt(0)
	s_barrier
	s_and_saveexec_b64 s[0:1], vcc
	s_cbranch_execz .LBB286_33
; %bb.32:
	v_mov_b32_e32 v4, 0
	ds_read_b128 v[0:3], v4
	s_waitcnt lgkmcnt(0)
	v_add_f64 v[0:1], v[2:3], v[0:1]
	ds_write_b64 v4, v[0:1]
.LBB286_33:
	s_or_b64 exec, exec, s[0:1]
	s_waitcnt lgkmcnt(0)
	s_barrier
	s_waitcnt lgkmcnt(0)
                                        ; implicit-def: $vgpr2_vgpr3
                                        ; implicit-def: $sgpr10_sgpr11
	s_and_saveexec_b64 s[0:1], vcc
	s_cbranch_execz .LBB286_37
; %bb.34:
	v_mov_b32_e32 v0, 0
	ds_read_b64 v[0:1], v0
	v_cmp_eq_f64_e64 s[4:5], s[6:7], 0
	s_mul_hi_i32 s11, s23, s2
	s_mul_i32 s10, s23, s2
	s_and_b64 vcc, exec, s[4:5]
	s_waitcnt lgkmcnt(0)
	v_mul_f64 v[2:3], s[12:13], v[0:1]
	s_cbranch_vccnz .LBB286_36
; %bb.35:
	s_lshl_b64 s[4:5], s[10:11], 3
	s_add_u32 s4, s3, s4
	s_addc_u32 s5, s22, s5
	s_load_dwordx2 s[4:5], s[4:5], 0x0
	s_waitcnt lgkmcnt(0)
	v_mov_b64_e32 v[0:1], s[4:5]
	v_fmac_f64_e32 v[2:3], s[6:7], v[0:1]
.LBB286_36:
	s_or_b64 s[8:9], s[8:9], exec
.LBB286_37:
	s_or_b64 exec, exec, s[0:1]
.LBB286_38:
	s_and_saveexec_b64 s[0:1], s[8:9]
	s_cbranch_execz .LBB286_40
; %bb.39:
	s_lshl_b64 s[0:1], s[10:11], 3
	s_add_u32 s0, s3, s0
	s_addc_u32 s1, s22, s1
	v_mov_b32_e32 v0, 0
	global_store_dwordx2 v0, v[2:3], s[0:1]
.LBB286_40:
	s_endpgm
	.section	.rodata,"a",@progbits
	.p2align	6, 0x0
	.amdhsa_kernel _ZL20rocblas_gemvt_kernelILb1ELi256EPKdS1_KPdEviiT2_lPKT1_lilS7_lilS4_lPT3_lili
		.amdhsa_group_segment_fixed_size 2048
		.amdhsa_private_segment_fixed_size 0
		.amdhsa_kernarg_size 140
		.amdhsa_user_sgpr_count 2
		.amdhsa_user_sgpr_dispatch_ptr 0
		.amdhsa_user_sgpr_queue_ptr 0
		.amdhsa_user_sgpr_kernarg_segment_ptr 1
		.amdhsa_user_sgpr_dispatch_id 0
		.amdhsa_user_sgpr_kernarg_preload_length 0
		.amdhsa_user_sgpr_kernarg_preload_offset 0
		.amdhsa_user_sgpr_private_segment_size 0
		.amdhsa_uses_dynamic_stack 0
		.amdhsa_enable_private_segment 0
		.amdhsa_system_sgpr_workgroup_id_x 1
		.amdhsa_system_sgpr_workgroup_id_y 0
		.amdhsa_system_sgpr_workgroup_id_z 1
		.amdhsa_system_sgpr_workgroup_info 0
		.amdhsa_system_vgpr_workitem_id 0
		.amdhsa_next_free_vgpr 14
		.amdhsa_next_free_sgpr 26
		.amdhsa_accum_offset 16
		.amdhsa_reserve_vcc 1
		.amdhsa_float_round_mode_32 0
		.amdhsa_float_round_mode_16_64 0
		.amdhsa_float_denorm_mode_32 3
		.amdhsa_float_denorm_mode_16_64 3
		.amdhsa_dx10_clamp 1
		.amdhsa_ieee_mode 1
		.amdhsa_fp16_overflow 0
		.amdhsa_tg_split 0
		.amdhsa_exception_fp_ieee_invalid_op 0
		.amdhsa_exception_fp_denorm_src 0
		.amdhsa_exception_fp_ieee_div_zero 0
		.amdhsa_exception_fp_ieee_overflow 0
		.amdhsa_exception_fp_ieee_underflow 0
		.amdhsa_exception_fp_ieee_inexact 0
		.amdhsa_exception_int_div_zero 0
	.end_amdhsa_kernel
	.section	.text._ZL20rocblas_gemvt_kernelILb1ELi256EPKdS1_KPdEviiT2_lPKT1_lilS7_lilS4_lPT3_lili,"axG",@progbits,_ZL20rocblas_gemvt_kernelILb1ELi256EPKdS1_KPdEviiT2_lPKT1_lilS7_lilS4_lPT3_lili,comdat
.Lfunc_end286:
	.size	_ZL20rocblas_gemvt_kernelILb1ELi256EPKdS1_KPdEviiT2_lPKT1_lilS7_lilS4_lPT3_lili, .Lfunc_end286-_ZL20rocblas_gemvt_kernelILb1ELi256EPKdS1_KPdEviiT2_lPKT1_lilS7_lilS4_lPT3_lili
                                        ; -- End function
	.section	.AMDGPU.csdata,"",@progbits
; Kernel info:
; codeLenInByte = 1292
; NumSgprs: 32
; NumVgprs: 14
; NumAgprs: 0
; TotalNumVgprs: 14
; ScratchSize: 0
; MemoryBound: 0
; FloatMode: 240
; IeeeMode: 1
; LDSByteSize: 2048 bytes/workgroup (compile time only)
; SGPRBlocks: 3
; VGPRBlocks: 1
; NumSGPRsForWavesPerEU: 32
; NumVGPRsForWavesPerEU: 14
; AccumOffset: 16
; Occupancy: 8
; WaveLimiterHint : 1
; COMPUTE_PGM_RSRC2:SCRATCH_EN: 0
; COMPUTE_PGM_RSRC2:USER_SGPR: 2
; COMPUTE_PGM_RSRC2:TRAP_HANDLER: 0
; COMPUTE_PGM_RSRC2:TGID_X_EN: 1
; COMPUTE_PGM_RSRC2:TGID_Y_EN: 0
; COMPUTE_PGM_RSRC2:TGID_Z_EN: 1
; COMPUTE_PGM_RSRC2:TIDIG_COMP_CNT: 0
; COMPUTE_PGM_RSRC3_GFX90A:ACCUM_OFFSET: 3
; COMPUTE_PGM_RSRC3_GFX90A:TG_SPLIT: 0
	.section	.text._ZL20rocblas_gemvt_kernelILb1ELi256EPKddKPdEviiT2_lPKT1_lilS7_lilS4_lPT3_lili,"axG",@progbits,_ZL20rocblas_gemvt_kernelILb1ELi256EPKddKPdEviiT2_lPKT1_lilS7_lilS4_lPT3_lili,comdat
	.globl	_ZL20rocblas_gemvt_kernelILb1ELi256EPKddKPdEviiT2_lPKT1_lilS7_lilS4_lPT3_lili ; -- Begin function _ZL20rocblas_gemvt_kernelILb1ELi256EPKddKPdEviiT2_lPKT1_lilS7_lilS4_lPT3_lili
	.p2align	8
	.type	_ZL20rocblas_gemvt_kernelILb1ELi256EPKddKPdEviiT2_lPKT1_lilS7_lilS4_lPT3_lili,@function
_ZL20rocblas_gemvt_kernelILb1ELi256EPKddKPdEviiT2_lPKT1_lilS7_lilS4_lPT3_lili: ; @_ZL20rocblas_gemvt_kernelILb1ELi256EPKddKPdEviiT2_lPKT1_lilS7_lilS4_lPT3_lili
; %bb.0:
	s_load_dwordx2 s[8:9], s[0:1], 0x8
	s_load_dwordx2 s[6:7], s[0:1], 0x58
	s_waitcnt lgkmcnt(0)
	v_cmp_eq_f64_e64 s[4:5], s[8:9], 0
	v_cmp_eq_f64_e64 s[10:11], s[6:7], 1.0
	s_and_b64 s[10:11], s[4:5], s[10:11]
	s_and_b64 vcc, exec, s[10:11]
	s_cbranch_vccnz .LBB287_42
; %bb.1:
	v_cmp_neq_f64_e64 s[12:13], s[8:9], 0
	s_mov_b32 s16, s3
	s_mov_b64 s[10:11], 0
	s_and_b64 vcc, exec, s[12:13]
	s_cbranch_vccnz .LBB287_3
; %bb.2:
	s_mov_b32 s17, 0
	s_mov_b64 s[14:15], 0
	s_andn2_b64 vcc, exec, s[10:11]
	s_cbranch_vccz .LBB287_4
	s_branch .LBB287_5
.LBB287_3:
                                        ; implicit-def: $sgpr14_sgpr15
.LBB287_4:
	s_load_dwordx4 s[20:23], s[0:1], 0x18
	s_mov_b32 s17, 0
	s_lshl_b64 s[10:11], s[16:17], 3
	s_waitcnt lgkmcnt(0)
	s_add_u32 s10, s20, s10
	s_addc_u32 s11, s21, s11
	s_load_dwordx2 s[10:11], s[10:11], 0x0
	s_lshl_b64 s[14:15], s[22:23], 3
	s_waitcnt lgkmcnt(0)
	s_add_u32 s14, s10, s14
	s_addc_u32 s15, s11, s15
.LBB287_5:
	s_mov_b64 s[10:11], 0
	s_andn2_b64 vcc, exec, s[12:13]
	s_mov_b64 s[12:13], 0
	s_cbranch_vccnz .LBB287_7
; %bb.6:
	s_load_dwordx4 s[20:23], s[0:1], 0x38
	s_lshl_b64 s[12:13], s[16:17], 3
	s_waitcnt lgkmcnt(0)
	s_add_u32 s12, s20, s12
	s_addc_u32 s13, s21, s13
	s_load_dwordx2 s[12:13], s[12:13], 0x0
	s_lshl_b64 s[18:19], s[22:23], 3
	s_waitcnt lgkmcnt(0)
	s_add_u32 s12, s12, s18
	s_addc_u32 s13, s13, s19
.LBB287_7:
	s_load_dwordx4 s[24:27], s[0:1], 0x68
	s_load_dword s23, s[0:1], 0x78
	s_lshl_b64 s[16:17], s[16:17], 3
	s_waitcnt lgkmcnt(0)
	s_add_u32 s16, s24, s16
	s_addc_u32 s17, s25, s17
	s_load_dwordx2 s[16:17], s[16:17], 0x0
	s_lshl_b64 s[18:19], s[26:27], 3
	s_waitcnt lgkmcnt(0)
	s_add_u32 s3, s16, s18
	s_addc_u32 s22, s17, s19
	s_andn2_b64 vcc, exec, s[4:5]
	v_cmp_eq_u32_e64 s[4:5], 0, v0
	s_cbranch_vccnz .LBB287_12
; %bb.8:
	s_mov_b64 s[18:19], 0
                                        ; implicit-def: $vgpr2_vgpr3
                                        ; implicit-def: $sgpr16_sgpr17
	s_and_saveexec_b64 s[20:21], s[4:5]
	s_cbranch_execz .LBB287_13
; %bb.9:
	v_cmp_eq_f64_e64 s[4:5], s[6:7], 0
	v_mov_b64_e32 v[2:3], 0
	s_mul_hi_i32 s17, s23, s2
	s_mul_i32 s16, s23, s2
	s_and_b64 vcc, exec, s[4:5]
	s_cbranch_vccnz .LBB287_11
; %bb.10:
	s_lshl_b64 s[4:5], s[16:17], 3
	s_add_u32 s4, s3, s4
	s_addc_u32 s5, s22, s5
	s_load_dwordx2 s[4:5], s[4:5], 0x0
	v_mov_b64_e32 v[2:3], s[6:7]
	s_waitcnt lgkmcnt(0)
	v_mul_f64 v[2:3], s[4:5], v[2:3]
.LBB287_11:
	s_mov_b64 s[10:11], exec
	s_or_b64 exec, exec, s[20:21]
	s_and_b64 vcc, exec, s[18:19]
	s_cbranch_vccnz .LBB287_14
	s_branch .LBB287_40
.LBB287_12:
                                        ; implicit-def: $vgpr2_vgpr3
                                        ; implicit-def: $sgpr16_sgpr17
	s_cbranch_execnz .LBB287_14
	s_branch .LBB287_40
.LBB287_13:
	s_or_b64 exec, exec, s[20:21]
	s_and_b64 vcc, exec, s[18:19]
	s_cbranch_vccz .LBB287_40
.LBB287_14:
	s_load_dword s18, s[0:1], 0x0
	s_load_dword s5, s[0:1], 0x28
	;; [unrolled: 1-line block ×3, first 2 shown]
	v_mov_b32_e32 v3, 0
	s_mov_b32 s1, 0
	s_waitcnt lgkmcnt(0)
	v_cmp_gt_i32_e32 vcc, s18, v0
	s_mul_hi_i32 s17, s5, s2
	s_mul_i32 s16, s5, s2
	s_lshl_b64 s[16:17], s[16:17], 3
	s_add_u32 s14, s16, s14
	s_addc_u32 s15, s17, s15
	s_ashr_i32 s0, s18, 31
	s_lshr_b32 s0, s0, 24
	v_cndmask_b32_e32 v1, 0, v0, vcc
	s_add_i32 s0, s18, s0
	v_lshlrev_b32_e32 v2, 3, v1
	s_and_b32 s0, s0, 0xffffff00
	v_lshl_add_u64 v[2:3], s[14:15], 0, v[2:3]
	s_cmpk_lt_i32 s18, 0x100
	v_mov_b64_e32 v[4:5], 0
	s_cbranch_scc1 .LBB287_17
; %bb.15:
	s_ashr_i32 s5, s4, 31
	v_mad_i64_i32 v[4:5], s[14:15], s4, v0, 0
	v_lshl_add_u64 v[6:7], v[4:5], 3, s[12:13]
	s_lshl_b64 s[14:15], s[4:5], 11
	v_mov_b64_e32 v[4:5], 0
	s_mov_b64 s[16:17], 0x800
	v_mov_b64_e32 v[8:9], v[2:3]
.LBB287_16:                             ; =>This Inner Loop Header: Depth=1
	flat_load_dwordx2 v[10:11], v[8:9]
	flat_load_dwordx2 v[12:13], v[6:7]
	s_addk_i32 s1, 0x100
	v_lshl_add_u64 v[6:7], v[6:7], 0, s[14:15]
	v_lshl_add_u64 v[8:9], v[8:9], 0, s[16:17]
	s_cmp_ge_i32 s1, s0
	s_waitcnt vmcnt(0) lgkmcnt(0)
	v_fmac_f64_e32 v[4:5], v[10:11], v[12:13]
	s_cbranch_scc0 .LBB287_16
.LBB287_17:
	v_add_u32_e32 v1, s0, v0
	v_cmp_gt_i32_e32 vcc, s18, v1
	s_and_saveexec_b64 s[14:15], vcc
	s_cbranch_execz .LBB287_19
; %bb.18:
	s_ashr_i32 s1, s0, 31
	v_lshl_add_u64 v[2:3], s[0:1], 3, v[2:3]
	v_mad_i64_i32 v[6:7], s[0:1], s4, v1, 0
	v_lshl_add_u64 v[6:7], v[6:7], 3, s[12:13]
	flat_load_dwordx2 v[2:3], v[2:3]
	s_nop 0
	flat_load_dwordx2 v[6:7], v[6:7]
	s_waitcnt vmcnt(0) lgkmcnt(0)
	v_fmac_f64_e32 v[4:5], v[2:3], v[6:7]
.LBB287_19:
	s_or_b64 exec, exec, s[14:15]
	s_movk_i32 s0, 0x80
	v_lshlrev_b32_e32 v1, 3, v0
	v_cmp_gt_u32_e32 vcc, s0, v0
	ds_write_b64 v1, v[4:5]
	s_waitcnt lgkmcnt(0)
	s_barrier
	s_and_saveexec_b64 s[0:1], vcc
	s_cbranch_execz .LBB287_21
; %bb.20:
	ds_read2st64_b64 v[2:5], v1 offset1:2
	s_waitcnt lgkmcnt(0)
	v_add_f64 v[2:3], v[4:5], v[2:3]
	ds_write_b64 v1, v[2:3]
.LBB287_21:
	s_or_b64 exec, exec, s[0:1]
	v_cmp_gt_u32_e32 vcc, 64, v0
	s_waitcnt lgkmcnt(0)
	s_barrier
	s_and_saveexec_b64 s[0:1], vcc
	s_cbranch_execz .LBB287_23
; %bb.22:
	ds_read2st64_b64 v[2:5], v1 offset1:1
	s_waitcnt lgkmcnt(0)
	v_add_f64 v[2:3], v[4:5], v[2:3]
	ds_write_b64 v1, v[2:3]
.LBB287_23:
	s_or_b64 exec, exec, s[0:1]
	v_cmp_gt_u32_e32 vcc, 32, v0
	s_waitcnt lgkmcnt(0)
	s_barrier
	s_and_saveexec_b64 s[0:1], vcc
	s_cbranch_execz .LBB287_25
; %bb.24:
	ds_read2_b64 v[2:5], v1 offset1:32
	s_waitcnt lgkmcnt(0)
	v_add_f64 v[2:3], v[4:5], v[2:3]
	ds_write_b64 v1, v[2:3]
.LBB287_25:
	s_or_b64 exec, exec, s[0:1]
	v_cmp_gt_u32_e32 vcc, 16, v0
	s_waitcnt lgkmcnt(0)
	s_barrier
	s_and_saveexec_b64 s[0:1], vcc
	s_cbranch_execz .LBB287_27
; %bb.26:
	ds_read2_b64 v[2:5], v1 offset1:16
	s_waitcnt lgkmcnt(0)
	v_add_f64 v[2:3], v[4:5], v[2:3]
	ds_write_b64 v1, v[2:3]
.LBB287_27:
	;; [unrolled: 12-line block ×5, first 2 shown]
	s_or_b64 exec, exec, s[0:1]
	v_cmp_eq_u32_e32 vcc, 0, v0
	s_waitcnt lgkmcnt(0)
	s_barrier
	s_and_saveexec_b64 s[0:1], vcc
	s_cbranch_execz .LBB287_35
; %bb.34:
	v_mov_b32_e32 v4, 0
	ds_read_b128 v[0:3], v4
	s_waitcnt lgkmcnt(0)
	v_add_f64 v[0:1], v[2:3], v[0:1]
	ds_write_b64 v4, v[0:1]
.LBB287_35:
	s_or_b64 exec, exec, s[0:1]
	s_waitcnt lgkmcnt(0)
	s_barrier
	s_waitcnt lgkmcnt(0)
                                        ; implicit-def: $vgpr2_vgpr3
                                        ; implicit-def: $sgpr16_sgpr17
	s_and_saveexec_b64 s[0:1], vcc
	s_cbranch_execz .LBB287_39
; %bb.36:
	v_mov_b32_e32 v0, 0
	ds_read_b64 v[0:1], v0
	v_cmp_eq_f64_e64 s[4:5], s[6:7], 0
	s_mul_hi_i32 s17, s23, s2
	s_mul_i32 s16, s23, s2
	s_and_b64 vcc, exec, s[4:5]
	s_waitcnt lgkmcnt(0)
	v_mul_f64 v[2:3], v[0:1], s[8:9]
	s_cbranch_vccnz .LBB287_38
; %bb.37:
	s_lshl_b64 s[4:5], s[16:17], 3
	s_add_u32 s4, s3, s4
	s_addc_u32 s5, s22, s5
	s_load_dwordx2 s[4:5], s[4:5], 0x0
	v_mov_b64_e32 v[0:1], s[6:7]
	s_waitcnt lgkmcnt(0)
	v_fmac_f64_e32 v[2:3], s[4:5], v[0:1]
.LBB287_38:
	s_or_b64 s[10:11], s[10:11], exec
.LBB287_39:
	s_or_b64 exec, exec, s[0:1]
.LBB287_40:
	s_and_saveexec_b64 s[0:1], s[10:11]
	s_cbranch_execz .LBB287_42
; %bb.41:
	s_lshl_b64 s[0:1], s[16:17], 3
	s_add_u32 s0, s3, s0
	s_addc_u32 s1, s22, s1
	v_mov_b32_e32 v0, 0
	global_store_dwordx2 v0, v[2:3], s[0:1]
.LBB287_42:
	s_endpgm
	.section	.rodata,"a",@progbits
	.p2align	6, 0x0
	.amdhsa_kernel _ZL20rocblas_gemvt_kernelILb1ELi256EPKddKPdEviiT2_lPKT1_lilS7_lilS4_lPT3_lili
		.amdhsa_group_segment_fixed_size 2048
		.amdhsa_private_segment_fixed_size 0
		.amdhsa_kernarg_size 140
		.amdhsa_user_sgpr_count 2
		.amdhsa_user_sgpr_dispatch_ptr 0
		.amdhsa_user_sgpr_queue_ptr 0
		.amdhsa_user_sgpr_kernarg_segment_ptr 1
		.amdhsa_user_sgpr_dispatch_id 0
		.amdhsa_user_sgpr_kernarg_preload_length 0
		.amdhsa_user_sgpr_kernarg_preload_offset 0
		.amdhsa_user_sgpr_private_segment_size 0
		.amdhsa_uses_dynamic_stack 0
		.amdhsa_enable_private_segment 0
		.amdhsa_system_sgpr_workgroup_id_x 1
		.amdhsa_system_sgpr_workgroup_id_y 0
		.amdhsa_system_sgpr_workgroup_id_z 1
		.amdhsa_system_sgpr_workgroup_info 0
		.amdhsa_system_vgpr_workitem_id 0
		.amdhsa_next_free_vgpr 14
		.amdhsa_next_free_sgpr 28
		.amdhsa_accum_offset 16
		.amdhsa_reserve_vcc 1
		.amdhsa_float_round_mode_32 0
		.amdhsa_float_round_mode_16_64 0
		.amdhsa_float_denorm_mode_32 3
		.amdhsa_float_denorm_mode_16_64 3
		.amdhsa_dx10_clamp 1
		.amdhsa_ieee_mode 1
		.amdhsa_fp16_overflow 0
		.amdhsa_tg_split 0
		.amdhsa_exception_fp_ieee_invalid_op 0
		.amdhsa_exception_fp_denorm_src 0
		.amdhsa_exception_fp_ieee_div_zero 0
		.amdhsa_exception_fp_ieee_overflow 0
		.amdhsa_exception_fp_ieee_underflow 0
		.amdhsa_exception_fp_ieee_inexact 0
		.amdhsa_exception_int_div_zero 0
	.end_amdhsa_kernel
	.section	.text._ZL20rocblas_gemvt_kernelILb1ELi256EPKddKPdEviiT2_lPKT1_lilS7_lilS4_lPT3_lili,"axG",@progbits,_ZL20rocblas_gemvt_kernelILb1ELi256EPKddKPdEviiT2_lPKT1_lilS7_lilS4_lPT3_lili,comdat
.Lfunc_end287:
	.size	_ZL20rocblas_gemvt_kernelILb1ELi256EPKddKPdEviiT2_lPKT1_lilS7_lilS4_lPT3_lili, .Lfunc_end287-_ZL20rocblas_gemvt_kernelILb1ELi256EPKddKPdEviiT2_lPKT1_lilS7_lilS4_lPT3_lili
                                        ; -- End function
	.section	.AMDGPU.csdata,"",@progbits
; Kernel info:
; codeLenInByte = 1252
; NumSgprs: 34
; NumVgprs: 14
; NumAgprs: 0
; TotalNumVgprs: 14
; ScratchSize: 0
; MemoryBound: 0
; FloatMode: 240
; IeeeMode: 1
; LDSByteSize: 2048 bytes/workgroup (compile time only)
; SGPRBlocks: 4
; VGPRBlocks: 1
; NumSGPRsForWavesPerEU: 34
; NumVGPRsForWavesPerEU: 14
; AccumOffset: 16
; Occupancy: 8
; WaveLimiterHint : 1
; COMPUTE_PGM_RSRC2:SCRATCH_EN: 0
; COMPUTE_PGM_RSRC2:USER_SGPR: 2
; COMPUTE_PGM_RSRC2:TRAP_HANDLER: 0
; COMPUTE_PGM_RSRC2:TGID_X_EN: 1
; COMPUTE_PGM_RSRC2:TGID_Y_EN: 0
; COMPUTE_PGM_RSRC2:TGID_Z_EN: 1
; COMPUTE_PGM_RSRC2:TIDIG_COMP_CNT: 0
; COMPUTE_PGM_RSRC3_GFX90A:ACCUM_OFFSET: 3
; COMPUTE_PGM_RSRC3_GFX90A:TG_SPLIT: 0
	.section	.text._ZL32rocblas_gemvt_warp_reduce_kernelILb1ELi1024EiPKdS1_KPdEviiT3_lPKT2_lT1_lS7_lS8_lS4_lPT4_lS8_li,"axG",@progbits,_ZL32rocblas_gemvt_warp_reduce_kernelILb1ELi1024EiPKdS1_KPdEviiT3_lPKT2_lT1_lS7_lS8_lS4_lPT4_lS8_li,comdat
	.globl	_ZL32rocblas_gemvt_warp_reduce_kernelILb1ELi1024EiPKdS1_KPdEviiT3_lPKT2_lT1_lS7_lS8_lS4_lPT4_lS8_li ; -- Begin function _ZL32rocblas_gemvt_warp_reduce_kernelILb1ELi1024EiPKdS1_KPdEviiT3_lPKT2_lT1_lS7_lS8_lS4_lPT4_lS8_li
	.p2align	8
	.type	_ZL32rocblas_gemvt_warp_reduce_kernelILb1ELi1024EiPKdS1_KPdEviiT3_lPKT2_lT1_lS7_lS8_lS4_lPT4_lS8_li,@function
_ZL32rocblas_gemvt_warp_reduce_kernelILb1ELi1024EiPKdS1_KPdEviiT3_lPKT2_lT1_lS7_lS8_lS4_lPT4_lS8_li: ; @_ZL32rocblas_gemvt_warp_reduce_kernelILb1ELi1024EiPKdS1_KPdEviiT3_lPKT2_lT1_lS7_lS8_lS4_lPT4_lS8_li
; %bb.0:
	s_load_dwordx8 s[12:19], s[0:1], 0x8
	s_load_dwordx8 s[4:11], s[0:1], 0x58
	s_mov_b32 s22, s3
	s_waitcnt lgkmcnt(0)
	s_mul_i32 s3, s3, s15
	s_mul_hi_u32 s15, s22, s14
	s_add_i32 s15, s15, s3
	s_mul_i32 s14, s22, s14
	s_lshl_b64 s[14:15], s[14:15], 3
	s_add_u32 s12, s12, s14
	s_mul_i32 s3, s22, s7
	s_mul_hi_u32 s7, s22, s6
	s_addc_u32 s13, s13, s15
	s_add_i32 s7, s7, s3
	s_mul_i32 s6, s22, s6
	s_lshl_b64 s[6:7], s[6:7], 3
	s_add_u32 s4, s4, s6
	s_addc_u32 s5, s5, s7
	s_load_dwordx2 s[12:13], s[12:13], 0x0
	s_nop 0
	s_load_dwordx2 s[6:7], s[4:5], 0x0
	s_waitcnt lgkmcnt(0)
	v_cmp_eq_f64_e64 s[4:5], s[12:13], 0
	v_cmp_eq_f64_e64 s[14:15], s[6:7], 1.0
	s_and_b64 s[14:15], s[4:5], s[14:15]
	s_and_b64 vcc, exec, s[14:15]
	s_cbranch_vccnz .LBB288_33
; %bb.1:
	s_mov_b32 s23, 0
	s_mov_b64 s[14:15], 0
	v_cmp_neq_f64_e64 s[24:25], s[12:13], 0
	s_and_b64 vcc, exec, s[4:5]
	s_mov_b64 s[20:21], 0
	s_cbranch_vccnz .LBB288_3
; %bb.2:
	s_lshl_b64 s[20:21], s[22:23], 3
	s_add_u32 s16, s16, s20
	s_addc_u32 s17, s17, s21
	s_load_dwordx2 s[16:17], s[16:17], 0x0
	s_lshl_b64 s[18:19], s[18:19], 3
	s_waitcnt lgkmcnt(0)
	s_add_u32 s20, s16, s18
	s_addc_u32 s21, s17, s19
.LBB288_3:
	s_andn2_b64 vcc, exec, s[24:25]
	s_cbranch_vccnz .LBB288_5
; %bb.4:
	s_load_dwordx4 s[16:19], s[0:1], 0x38
	s_lshl_b64 s[14:15], s[22:23], 3
	s_waitcnt lgkmcnt(0)
	s_add_u32 s14, s16, s14
	s_addc_u32 s15, s17, s15
	s_load_dwordx2 s[14:15], s[14:15], 0x0
	s_lshl_b64 s[16:17], s[18:19], 3
	s_waitcnt lgkmcnt(0)
	s_add_u32 s14, s14, s16
	s_addc_u32 s15, s15, s17
.LBB288_5:
	s_lshl_b64 s[16:17], s[22:23], 3
	s_add_u32 s8, s8, s16
	s_addc_u32 s9, s9, s17
	s_load_dwordx2 s[16:17], s[8:9], 0x0
	s_load_dword s23, s[0:1], 0x78
	s_lshl_b64 s[8:9], s[10:11], 3
	s_waitcnt lgkmcnt(0)
	s_add_u32 s3, s16, s8
	s_addc_u32 s22, s17, s9
	s_andn2_b64 vcc, exec, s[4:5]
	v_cmp_eq_u32_e64 s[4:5], 0, v0
	s_cbranch_vccnz .LBB288_10
; %bb.6:
	s_mov_b64 s[16:17], 0
	s_mov_b64 s[8:9], 0
                                        ; implicit-def: $vgpr2_vgpr3
                                        ; implicit-def: $sgpr10_sgpr11
	s_and_saveexec_b64 s[18:19], s[4:5]
	s_cbranch_execz .LBB288_11
; %bb.7:
	v_cmp_eq_f64_e64 s[4:5], s[6:7], 0
	s_mul_i32 s10, s2, s23
	v_mov_b64_e32 v[2:3], 0
	s_ashr_i32 s11, s10, 31
	s_and_b64 vcc, exec, s[4:5]
	s_cbranch_vccnz .LBB288_9
; %bb.8:
	s_lshl_b64 s[4:5], s[10:11], 3
	s_add_u32 s4, s3, s4
	s_addc_u32 s5, s22, s5
	s_load_dwordx2 s[4:5], s[4:5], 0x0
	s_waitcnt lgkmcnt(0)
	v_mov_b64_e32 v[2:3], s[4:5]
	v_mul_f64 v[2:3], s[6:7], v[2:3]
.LBB288_9:
	s_mov_b64 s[8:9], exec
	s_or_b64 exec, exec, s[18:19]
	s_and_b64 vcc, exec, s[16:17]
	s_cbranch_vccnz .LBB288_12
	s_branch .LBB288_31
.LBB288_10:
	s_mov_b64 s[8:9], 0
                                        ; implicit-def: $vgpr2_vgpr3
                                        ; implicit-def: $sgpr10_sgpr11
	s_cbranch_execnz .LBB288_12
	s_branch .LBB288_31
.LBB288_11:
	s_or_b64 exec, exec, s[18:19]
	s_and_b64 vcc, exec, s[16:17]
	s_cbranch_vccz .LBB288_31
.LBB288_12:
	s_load_dword s19, s[0:1], 0x0
	s_load_dword s4, s[0:1], 0x28
	;; [unrolled: 1-line block ×3, first 2 shown]
	v_mov_b32_e32 v3, 0
	s_waitcnt lgkmcnt(0)
	v_cmp_gt_i32_e32 vcc, s19, v0
	s_mul_i32 s0, s2, s4
	s_ashr_i32 s1, s0, 31
	s_lshl_b64 s[0:1], s[0:1], 3
	v_cndmask_b32_e32 v1, 0, v0, vcc
	s_add_u32 s0, s0, s20
	v_lshlrev_b32_e32 v2, 3, v1
	s_addc_u32 s1, s1, s21
	v_lshl_add_u64 v[4:5], s[0:1], 0, v[2:3]
	s_ashr_i32 s0, s19, 31
	s_lshr_b32 s0, s0, 22
	s_add_i32 s0, s19, s0
	s_and_b32 s0, s0, 0xfffffc00
	v_cmp_gt_i32_e32 vcc, s0, v0
	v_mov_b64_e32 v[2:3], 0
	s_and_saveexec_b64 s[4:5], vcc
	s_cbranch_execz .LBB288_16
; %bb.13:
	v_mul_lo_u32 v6, v0, s18
	s_lshl_b32 s1, s18, 10
	s_mov_b64 s[10:11], 0
	v_mov_b64_e32 v[2:3], 0
	s_mov_b64 s[16:17], 0x2000
	v_mov_b64_e32 v[8:9], v[4:5]
	v_mov_b32_e32 v1, v0
.LBB288_14:                             ; =>This Inner Loop Header: Depth=1
	v_ashrrev_i32_e32 v7, 31, v6
	v_lshl_add_u64 v[12:13], v[6:7], 3, s[14:15]
	flat_load_dwordx2 v[10:11], v[8:9]
	v_add_u32_e32 v1, 0x400, v1
	flat_load_dwordx2 v[12:13], v[12:13]
	v_cmp_le_i32_e32 vcc, s0, v1
	v_lshl_add_u64 v[8:9], v[8:9], 0, s[16:17]
	v_add_u32_e32 v6, s1, v6
	s_or_b64 s[10:11], vcc, s[10:11]
	s_waitcnt vmcnt(0) lgkmcnt(0)
	v_fmac_f64_e32 v[2:3], v[10:11], v[12:13]
	s_andn2_b64 exec, exec, s[10:11]
	s_cbranch_execnz .LBB288_14
; %bb.15:
	s_or_b64 exec, exec, s[10:11]
.LBB288_16:
	s_or_b64 exec, exec, s[4:5]
	v_or_b32_e32 v1, s0, v0
	v_cmp_gt_i32_e32 vcc, s19, v1
	s_and_saveexec_b64 s[4:5], vcc
	s_cbranch_execz .LBB288_18
; %bb.17:
	v_mul_lo_u32 v6, v1, s18
	s_ashr_i32 s1, s0, 31
	v_ashrrev_i32_e32 v7, 31, v6
	v_lshl_add_u64 v[4:5], s[0:1], 3, v[4:5]
	v_lshl_add_u64 v[6:7], v[6:7], 3, s[14:15]
	flat_load_dwordx2 v[4:5], v[4:5]
	s_nop 0
	flat_load_dwordx2 v[6:7], v[6:7]
	s_waitcnt vmcnt(0) lgkmcnt(0)
	v_fmac_f64_e32 v[2:3], v[4:5], v[6:7]
.LBB288_18:
	s_or_b64 exec, exec, s[4:5]
	v_and_b32_e32 v6, 63, v0
	v_cmp_gt_u32_e32 vcc, 64, v0
	v_lshlrev_b32_e32 v1, 3, v6
	s_and_saveexec_b64 s[0:1], vcc
	s_cbranch_execz .LBB288_20
; %bb.19:
	v_mov_b32_e32 v4, 0
	v_mov_b32_e32 v5, v4
	ds_write_b64 v1, v[4:5]
.LBB288_20:
	s_or_b64 exec, exec, s[0:1]
	v_mbcnt_lo_u32_b32 v4, -1, 0
	v_mbcnt_hi_u32_b32 v10, -1, v4
	v_and_b32_e32 v11, 63, v10
	v_cmp_gt_u32_e64 s[0:1], 32, v11
	s_waitcnt lgkmcnt(0)
	s_barrier
	v_cndmask_b32_e64 v4, 0, 1, s[0:1]
	v_lshlrev_b32_e32 v4, 5, v4
	v_add_lshl_u32 v5, v4, v10, 2
	ds_bpermute_b32 v4, v5, v2
	ds_bpermute_b32 v5, v5, v3
	v_cmp_gt_u32_e64 s[0:1], 48, v11
	s_waitcnt lgkmcnt(0)
	v_add_f64 v[2:3], v[2:3], v[4:5]
	v_cndmask_b32_e64 v7, 0, 1, s[0:1]
	v_lshlrev_b32_e32 v4, 4, v7
	v_add_lshl_u32 v5, v4, v10, 2
	ds_bpermute_b32 v4, v5, v2
	ds_bpermute_b32 v5, v5, v3
	v_cmp_gt_u32_e64 s[0:1], 56, v11
	s_waitcnt lgkmcnt(0)
	v_add_f64 v[2:3], v[2:3], v[4:5]
	;; [unrolled: 8-line block ×4, first 2 shown]
	v_cndmask_b32_e64 v4, 0, 1, s[0:1]
	v_lshlrev_b32_e32 v4, 1, v4
	v_add_lshl_u32 v9, v4, v10, 2
	ds_bpermute_b32 v4, v9, v2
	ds_bpermute_b32 v5, v9, v3
	v_cmp_ne_u32_e64 s[0:1], 63, v11
	s_waitcnt lgkmcnt(0)
	v_add_f64 v[2:3], v[2:3], v[4:5]
	v_addc_co_u32_e64 v4, s[0:1], 0, v10, s[0:1]
	v_lshlrev_b32_e32 v10, 2, v4
	ds_bpermute_b32 v4, v10, v2
	ds_bpermute_b32 v5, v10, v3
	v_cmp_eq_u32_e64 s[0:1], 0, v6
	s_and_saveexec_b64 s[4:5], s[0:1]
	s_cbranch_execz .LBB288_22
; %bb.21:
	v_lshrrev_b32_e32 v6, 3, v0
	v_and_b32_e32 v6, 0x78, v6
	s_waitcnt lgkmcnt(0)
	v_add_f64 v[2:3], v[2:3], v[4:5]
	ds_write_b64 v6, v[2:3]
.LBB288_22:
	s_or_b64 exec, exec, s[4:5]
	v_cmp_gt_u32_e64 s[0:1], 16, v0
	s_waitcnt lgkmcnt(0)
	v_mov_b64_e32 v[4:5], 0
	s_barrier
	s_and_saveexec_b64 s[4:5], s[0:1]
	s_cbranch_execz .LBB288_24
; %bb.23:
	ds_read_b64 v[4:5], v1
	s_or_b64 exec, exec, s[4:5]
	s_and_saveexec_b64 s[0:1], vcc
	s_cbranch_execz .LBB288_26
	s_branch .LBB288_25
.LBB288_24:
	s_or_b64 exec, exec, s[4:5]
	s_and_saveexec_b64 s[0:1], vcc
	s_cbranch_execz .LBB288_26
.LBB288_25:
	s_waitcnt lgkmcnt(0)
	ds_bpermute_b32 v2, v7, v4
	ds_bpermute_b32 v3, v7, v5
	s_waitcnt lgkmcnt(0)
	v_add_f64 v[2:3], v[4:5], v[2:3]
	ds_bpermute_b32 v4, v8, v2
	ds_bpermute_b32 v5, v8, v3
	s_waitcnt lgkmcnt(0)
	v_add_f64 v[2:3], v[2:3], v[4:5]
	;; [unrolled: 4-line block ×4, first 2 shown]
.LBB288_26:
	s_or_b64 exec, exec, s[0:1]
	v_cmp_eq_u32_e32 vcc, 0, v0
                                        ; implicit-def: $vgpr2_vgpr3
                                        ; implicit-def: $sgpr10_sgpr11
	s_and_saveexec_b64 s[0:1], vcc
	s_cbranch_execz .LBB288_30
; %bb.27:
	v_cmp_eq_f64_e64 s[4:5], s[6:7], 0
	s_mul_i32 s10, s2, s23
	s_waitcnt lgkmcnt(0)
	v_mul_f64 v[2:3], s[12:13], v[4:5]
	s_ashr_i32 s11, s10, 31
	s_and_b64 vcc, exec, s[4:5]
	s_cbranch_vccnz .LBB288_29
; %bb.28:
	s_lshl_b64 s[4:5], s[10:11], 3
	s_add_u32 s4, s3, s4
	s_addc_u32 s5, s22, s5
	s_load_dwordx2 s[4:5], s[4:5], 0x0
	s_waitcnt lgkmcnt(0)
	v_mov_b64_e32 v[0:1], s[4:5]
	v_fmac_f64_e32 v[2:3], s[6:7], v[0:1]
.LBB288_29:
	s_or_b64 s[8:9], s[8:9], exec
.LBB288_30:
	s_or_b64 exec, exec, s[0:1]
.LBB288_31:
	s_and_saveexec_b64 s[0:1], s[8:9]
	s_cbranch_execz .LBB288_33
; %bb.32:
	s_lshl_b64 s[0:1], s[10:11], 3
	s_add_u32 s0, s3, s0
	s_addc_u32 s1, s22, s1
	v_mov_b32_e32 v0, 0
	global_store_dwordx2 v0, v[2:3], s[0:1]
.LBB288_33:
	s_endpgm
	.section	.rodata,"a",@progbits
	.p2align	6, 0x0
	.amdhsa_kernel _ZL32rocblas_gemvt_warp_reduce_kernelILb1ELi1024EiPKdS1_KPdEviiT3_lPKT2_lT1_lS7_lS8_lS4_lPT4_lS8_li
		.amdhsa_group_segment_fixed_size 512
		.amdhsa_private_segment_fixed_size 0
		.amdhsa_kernarg_size 140
		.amdhsa_user_sgpr_count 2
		.amdhsa_user_sgpr_dispatch_ptr 0
		.amdhsa_user_sgpr_queue_ptr 0
		.amdhsa_user_sgpr_kernarg_segment_ptr 1
		.amdhsa_user_sgpr_dispatch_id 0
		.amdhsa_user_sgpr_kernarg_preload_length 0
		.amdhsa_user_sgpr_kernarg_preload_offset 0
		.amdhsa_user_sgpr_private_segment_size 0
		.amdhsa_uses_dynamic_stack 0
		.amdhsa_enable_private_segment 0
		.amdhsa_system_sgpr_workgroup_id_x 1
		.amdhsa_system_sgpr_workgroup_id_y 0
		.amdhsa_system_sgpr_workgroup_id_z 1
		.amdhsa_system_sgpr_workgroup_info 0
		.amdhsa_system_vgpr_workitem_id 0
		.amdhsa_next_free_vgpr 14
		.amdhsa_next_free_sgpr 26
		.amdhsa_accum_offset 16
		.amdhsa_reserve_vcc 1
		.amdhsa_float_round_mode_32 0
		.amdhsa_float_round_mode_16_64 0
		.amdhsa_float_denorm_mode_32 3
		.amdhsa_float_denorm_mode_16_64 3
		.amdhsa_dx10_clamp 1
		.amdhsa_ieee_mode 1
		.amdhsa_fp16_overflow 0
		.amdhsa_tg_split 0
		.amdhsa_exception_fp_ieee_invalid_op 0
		.amdhsa_exception_fp_denorm_src 0
		.amdhsa_exception_fp_ieee_div_zero 0
		.amdhsa_exception_fp_ieee_overflow 0
		.amdhsa_exception_fp_ieee_underflow 0
		.amdhsa_exception_fp_ieee_inexact 0
		.amdhsa_exception_int_div_zero 0
	.end_amdhsa_kernel
	.section	.text._ZL32rocblas_gemvt_warp_reduce_kernelILb1ELi1024EiPKdS1_KPdEviiT3_lPKT2_lT1_lS7_lS8_lS4_lPT4_lS8_li,"axG",@progbits,_ZL32rocblas_gemvt_warp_reduce_kernelILb1ELi1024EiPKdS1_KPdEviiT3_lPKT2_lT1_lS7_lS8_lS4_lPT4_lS8_li,comdat
.Lfunc_end288:
	.size	_ZL32rocblas_gemvt_warp_reduce_kernelILb1ELi1024EiPKdS1_KPdEviiT3_lPKT2_lT1_lS7_lS8_lS4_lPT4_lS8_li, .Lfunc_end288-_ZL32rocblas_gemvt_warp_reduce_kernelILb1ELi1024EiPKdS1_KPdEviiT3_lPKT2_lT1_lS7_lS8_lS4_lPT4_lS8_li
                                        ; -- End function
	.section	.AMDGPU.csdata,"",@progbits
; Kernel info:
; codeLenInByte = 1484
; NumSgprs: 32
; NumVgprs: 14
; NumAgprs: 0
; TotalNumVgprs: 14
; ScratchSize: 0
; MemoryBound: 0
; FloatMode: 240
; IeeeMode: 1
; LDSByteSize: 512 bytes/workgroup (compile time only)
; SGPRBlocks: 3
; VGPRBlocks: 1
; NumSGPRsForWavesPerEU: 32
; NumVGPRsForWavesPerEU: 14
; AccumOffset: 16
; Occupancy: 8
; WaveLimiterHint : 1
; COMPUTE_PGM_RSRC2:SCRATCH_EN: 0
; COMPUTE_PGM_RSRC2:USER_SGPR: 2
; COMPUTE_PGM_RSRC2:TRAP_HANDLER: 0
; COMPUTE_PGM_RSRC2:TGID_X_EN: 1
; COMPUTE_PGM_RSRC2:TGID_Y_EN: 0
; COMPUTE_PGM_RSRC2:TGID_Z_EN: 1
; COMPUTE_PGM_RSRC2:TIDIG_COMP_CNT: 0
; COMPUTE_PGM_RSRC3_GFX90A:ACCUM_OFFSET: 3
; COMPUTE_PGM_RSRC3_GFX90A:TG_SPLIT: 0
	.section	.text._ZL32rocblas_gemvt_warp_reduce_kernelILb1ELi1024ElPKdS1_KPdEviiT3_lPKT2_lT1_lS7_lS8_lS4_lPT4_lS8_li,"axG",@progbits,_ZL32rocblas_gemvt_warp_reduce_kernelILb1ELi1024ElPKdS1_KPdEviiT3_lPKT2_lT1_lS7_lS8_lS4_lPT4_lS8_li,comdat
	.globl	_ZL32rocblas_gemvt_warp_reduce_kernelILb1ELi1024ElPKdS1_KPdEviiT3_lPKT2_lT1_lS7_lS8_lS4_lPT4_lS8_li ; -- Begin function _ZL32rocblas_gemvt_warp_reduce_kernelILb1ELi1024ElPKdS1_KPdEviiT3_lPKT2_lT1_lS7_lS8_lS4_lPT4_lS8_li
	.p2align	8
	.type	_ZL32rocblas_gemvt_warp_reduce_kernelILb1ELi1024ElPKdS1_KPdEviiT3_lPKT2_lT1_lS7_lS8_lS4_lPT4_lS8_li,@function
_ZL32rocblas_gemvt_warp_reduce_kernelILb1ELi1024ElPKdS1_KPdEviiT3_lPKT2_lT1_lS7_lS8_lS4_lPT4_lS8_li: ; @_ZL32rocblas_gemvt_warp_reduce_kernelILb1ELi1024ElPKdS1_KPdEviiT3_lPKT2_lT1_lS7_lS8_lS4_lPT4_lS8_li
; %bb.0:
	s_load_dwordx8 s[12:19], s[0:1], 0x8
	s_load_dwordx8 s[4:11], s[0:1], 0x58
	s_mov_b32 s28, s3
	s_waitcnt lgkmcnt(0)
	s_mul_i32 s3, s3, s15
	s_mul_hi_u32 s15, s28, s14
	s_add_i32 s15, s15, s3
	s_mul_i32 s14, s28, s14
	s_lshl_b64 s[14:15], s[14:15], 3
	s_add_u32 s12, s12, s14
	s_mul_i32 s3, s28, s7
	s_mul_hi_u32 s7, s28, s6
	s_addc_u32 s13, s13, s15
	s_add_i32 s7, s7, s3
	s_mul_i32 s6, s28, s6
	s_lshl_b64 s[6:7], s[6:7], 3
	s_add_u32 s4, s4, s6
	s_addc_u32 s5, s5, s7
	s_load_dwordx2 s[14:15], s[12:13], 0x0
	s_waitcnt lgkmcnt(0)
	v_cmp_eq_f64_e64 s[30:31], s[14:15], 0
	s_load_dwordx2 s[12:13], s[4:5], 0x0
	s_waitcnt lgkmcnt(0)
	v_cmp_eq_f64_e64 s[4:5], s[12:13], 1.0
	s_and_b64 s[4:5], s[30:31], s[4:5]
	s_and_b64 vcc, exec, s[4:5]
	s_cbranch_vccnz .LBB289_33
; %bb.1:
	s_load_dwordx2 s[24:25], s[0:1], 0x28
	s_load_dwordx2 s[20:21], s[0:1], 0x78
	s_mov_b32 s29, 0
	s_mov_b64 s[22:23], 0
	v_cmp_neq_f64_e64 s[34:35], s[14:15], 0
	s_and_b64 vcc, exec, s[30:31]
	s_mov_b64 s[26:27], 0
	s_cbranch_vccnz .LBB289_3
; %bb.2:
	s_lshl_b64 s[4:5], s[28:29], 3
	s_add_u32 s4, s16, s4
	s_addc_u32 s5, s17, s5
	s_load_dwordx2 s[4:5], s[4:5], 0x0
	s_lshl_b64 s[6:7], s[18:19], 3
	s_waitcnt lgkmcnt(0)
	s_add_u32 s26, s4, s6
	s_addc_u32 s27, s5, s7
.LBB289_3:
	s_load_dwordx4 s[4:7], s[0:1], 0x38
	s_load_dwordx2 s[16:17], s[0:1], 0x48
	s_andn2_b64 vcc, exec, s[34:35]
	s_cbranch_vccnz .LBB289_5
; %bb.4:
	s_lshl_b64 s[18:19], s[28:29], 3
	s_waitcnt lgkmcnt(0)
	s_add_u32 s4, s4, s18
	s_addc_u32 s5, s5, s19
	s_load_dwordx2 s[4:5], s[4:5], 0x0
	s_lshl_b64 s[6:7], s[6:7], 3
	s_waitcnt lgkmcnt(0)
	s_add_u32 s22, s4, s6
	s_addc_u32 s23, s5, s7
.LBB289_5:
	s_waitcnt lgkmcnt(0)
	s_lshl_b64 s[4:5], s[28:29], 3
	s_add_u32 s4, s8, s4
	s_addc_u32 s5, s9, s5
	s_load_dwordx2 s[4:5], s[4:5], 0x0
	s_lshl_b64 s[6:7], s[10:11], 3
	s_waitcnt lgkmcnt(0)
	s_add_u32 s3, s4, s6
	s_addc_u32 s28, s5, s7
	s_andn2_b64 vcc, exec, s[30:31]
	v_cmp_eq_u32_e64 s[4:5], 0, v0
	s_cbranch_vccnz .LBB289_10
; %bb.6:
	s_mov_b64 s[10:11], 0
	s_mov_b64 s[6:7], 0
                                        ; implicit-def: $vgpr2_vgpr3
                                        ; implicit-def: $sgpr8_sgpr9
	s_and_saveexec_b64 s[18:19], s[4:5]
	s_cbranch_execz .LBB289_11
; %bb.7:
	s_ashr_i32 s6, s2, 31
	s_mul_i32 s7, s2, s21
	s_mul_hi_u32 s8, s2, s20
	v_cmp_eq_f64_e64 s[4:5], s[12:13], 0
	s_add_i32 s7, s8, s7
	s_mul_i32 s6, s6, s20
	v_mov_b64_e32 v[2:3], 0
	s_add_i32 s9, s7, s6
	s_mul_i32 s8, s2, s20
	s_and_b64 vcc, exec, s[4:5]
	s_cbranch_vccnz .LBB289_9
; %bb.8:
	s_lshl_b64 s[4:5], s[8:9], 3
	s_add_u32 s4, s3, s4
	s_addc_u32 s5, s28, s5
	s_load_dwordx2 s[4:5], s[4:5], 0x0
	s_waitcnt lgkmcnt(0)
	v_mov_b64_e32 v[2:3], s[4:5]
	v_mul_f64 v[2:3], s[12:13], v[2:3]
.LBB289_9:
	s_mov_b64 s[6:7], exec
	s_or_b64 exec, exec, s[18:19]
	s_and_b64 vcc, exec, s[10:11]
	s_cbranch_vccnz .LBB289_12
	s_branch .LBB289_31
.LBB289_10:
	s_mov_b64 s[6:7], 0
                                        ; implicit-def: $vgpr2_vgpr3
                                        ; implicit-def: $sgpr8_sgpr9
	s_cbranch_execnz .LBB289_12
	s_branch .LBB289_31
.LBB289_11:
	s_or_b64 exec, exec, s[18:19]
	s_and_b64 vcc, exec, s[10:11]
	s_cbranch_vccz .LBB289_31
.LBB289_12:
	s_load_dword s1, s[0:1], 0x0
	s_ashr_i32 s29, s2, 31
	s_mul_i32 s0, s2, s25
	s_mul_hi_u32 s4, s2, s24
	s_add_i32 s0, s4, s0
	s_mul_i32 s4, s29, s24
	s_add_i32 s5, s0, s4
	s_mul_i32 s4, s2, s24
	s_lshl_b64 s[4:5], s[4:5], 3
	s_add_u32 s4, s4, s26
	s_addc_u32 s5, s5, s27
	s_waitcnt lgkmcnt(0)
	s_ashr_i32 s0, s1, 31
	v_cmp_gt_i32_e32 vcc, s1, v0
	s_lshr_b32 s0, s0, 22
	s_add_i32 s0, s1, s0
	v_cndmask_b32_e32 v1, 0, v0, vcc
	v_mov_b32_e32 v3, 0
	v_lshlrev_b32_e32 v2, 3, v1
	s_and_b32 s0, s0, 0xfffffc00
	v_lshl_add_u64 v[4:5], s[4:5], 0, v[2:3]
	v_cmp_gt_i32_e32 vcc, s0, v0
	v_mov_b64_e32 v[2:3], 0
	s_and_saveexec_b64 s[4:5], vcc
	s_cbranch_execz .LBB289_16
; %bb.13:
	v_mad_u64_u32 v[2:3], s[8:9], s16, v0, 0
	v_mov_b32_e32 v6, v3
	v_mad_u64_u32 v[6:7], s[8:9], s17, v0, v[6:7]
	v_mov_b32_e32 v3, v6
	v_lshl_add_u64 v[6:7], v[2:3], 3, s[22:23]
	s_lshl_b64 s[10:11], s[16:17], 13
	s_mov_b64 s[8:9], 0
	v_mov_b64_e32 v[2:3], 0
	s_mov_b64 s[18:19], 0x2000
	v_mov_b64_e32 v[8:9], v[4:5]
	v_mov_b32_e32 v1, v0
.LBB289_14:                             ; =>This Inner Loop Header: Depth=1
	flat_load_dwordx2 v[10:11], v[8:9]
	flat_load_dwordx2 v[12:13], v[6:7]
	v_add_u32_e32 v1, 0x400, v1
	v_cmp_le_i32_e32 vcc, s0, v1
	v_lshl_add_u64 v[8:9], v[8:9], 0, s[18:19]
	v_lshl_add_u64 v[6:7], v[6:7], 0, s[10:11]
	s_or_b64 s[8:9], vcc, s[8:9]
	s_waitcnt vmcnt(0) lgkmcnt(0)
	v_fmac_f64_e32 v[2:3], v[10:11], v[12:13]
	s_andn2_b64 exec, exec, s[8:9]
	s_cbranch_execnz .LBB289_14
; %bb.15:
	s_or_b64 exec, exec, s[8:9]
.LBB289_16:
	s_or_b64 exec, exec, s[4:5]
	v_or_b32_e32 v1, s0, v0
	v_cmp_gt_i32_e32 vcc, s1, v1
	s_and_saveexec_b64 s[4:5], vcc
	s_cbranch_execz .LBB289_18
; %bb.17:
	s_ashr_i32 s1, s0, 31
	v_ashrrev_i32_e32 v6, 31, v1
	v_lshl_add_u64 v[4:5], s[0:1], 3, v[4:5]
	v_mul_lo_u32 v8, v1, s17
	v_mul_lo_u32 v9, v6, s16
	v_mad_u64_u32 v[6:7], s[0:1], v1, s16, 0
	v_add3_u32 v7, v7, v8, v9
	v_lshl_add_u64 v[6:7], v[6:7], 3, s[22:23]
	flat_load_dwordx2 v[4:5], v[4:5]
	s_nop 0
	flat_load_dwordx2 v[6:7], v[6:7]
	s_waitcnt vmcnt(0) lgkmcnt(0)
	v_fmac_f64_e32 v[2:3], v[4:5], v[6:7]
.LBB289_18:
	s_or_b64 exec, exec, s[4:5]
	v_and_b32_e32 v6, 63, v0
	v_cmp_gt_u32_e32 vcc, 64, v0
	v_lshlrev_b32_e32 v1, 3, v6
	s_and_saveexec_b64 s[0:1], vcc
	s_cbranch_execz .LBB289_20
; %bb.19:
	v_mov_b32_e32 v4, 0
	v_mov_b32_e32 v5, v4
	ds_write_b64 v1, v[4:5]
.LBB289_20:
	s_or_b64 exec, exec, s[0:1]
	v_mbcnt_lo_u32_b32 v4, -1, 0
	v_mbcnt_hi_u32_b32 v10, -1, v4
	v_and_b32_e32 v11, 63, v10
	v_cmp_gt_u32_e64 s[0:1], 32, v11
	s_waitcnt lgkmcnt(0)
	s_barrier
	v_cndmask_b32_e64 v4, 0, 1, s[0:1]
	v_lshlrev_b32_e32 v4, 5, v4
	v_add_lshl_u32 v5, v4, v10, 2
	ds_bpermute_b32 v4, v5, v2
	ds_bpermute_b32 v5, v5, v3
	v_cmp_gt_u32_e64 s[0:1], 48, v11
	s_waitcnt lgkmcnt(0)
	v_add_f64 v[2:3], v[2:3], v[4:5]
	v_cndmask_b32_e64 v7, 0, 1, s[0:1]
	v_lshlrev_b32_e32 v4, 4, v7
	v_add_lshl_u32 v5, v4, v10, 2
	ds_bpermute_b32 v4, v5, v2
	ds_bpermute_b32 v5, v5, v3
	v_cmp_gt_u32_e64 s[0:1], 56, v11
	s_waitcnt lgkmcnt(0)
	v_add_f64 v[2:3], v[2:3], v[4:5]
	;; [unrolled: 8-line block ×4, first 2 shown]
	v_cndmask_b32_e64 v4, 0, 1, s[0:1]
	v_lshlrev_b32_e32 v4, 1, v4
	v_add_lshl_u32 v9, v4, v10, 2
	ds_bpermute_b32 v4, v9, v2
	ds_bpermute_b32 v5, v9, v3
	v_cmp_ne_u32_e64 s[0:1], 63, v11
	s_waitcnt lgkmcnt(0)
	v_add_f64 v[2:3], v[2:3], v[4:5]
	v_addc_co_u32_e64 v4, s[0:1], 0, v10, s[0:1]
	v_lshlrev_b32_e32 v10, 2, v4
	ds_bpermute_b32 v4, v10, v2
	ds_bpermute_b32 v5, v10, v3
	v_cmp_eq_u32_e64 s[0:1], 0, v6
	s_and_saveexec_b64 s[4:5], s[0:1]
	s_cbranch_execz .LBB289_22
; %bb.21:
	v_lshrrev_b32_e32 v6, 3, v0
	v_and_b32_e32 v6, 0x78, v6
	s_waitcnt lgkmcnt(0)
	v_add_f64 v[2:3], v[2:3], v[4:5]
	ds_write_b64 v6, v[2:3]
.LBB289_22:
	s_or_b64 exec, exec, s[4:5]
	v_cmp_gt_u32_e64 s[0:1], 16, v0
	s_waitcnt lgkmcnt(0)
	v_mov_b64_e32 v[4:5], 0
	s_barrier
	s_and_saveexec_b64 s[4:5], s[0:1]
	s_cbranch_execz .LBB289_24
; %bb.23:
	ds_read_b64 v[4:5], v1
	s_or_b64 exec, exec, s[4:5]
	s_and_saveexec_b64 s[0:1], vcc
	s_cbranch_execz .LBB289_26
	s_branch .LBB289_25
.LBB289_24:
	s_or_b64 exec, exec, s[4:5]
	s_and_saveexec_b64 s[0:1], vcc
	s_cbranch_execz .LBB289_26
.LBB289_25:
	s_waitcnt lgkmcnt(0)
	ds_bpermute_b32 v2, v7, v4
	ds_bpermute_b32 v3, v7, v5
	s_waitcnt lgkmcnt(0)
	v_add_f64 v[2:3], v[4:5], v[2:3]
	ds_bpermute_b32 v4, v8, v2
	ds_bpermute_b32 v5, v8, v3
	s_waitcnt lgkmcnt(0)
	v_add_f64 v[2:3], v[2:3], v[4:5]
	;; [unrolled: 4-line block ×4, first 2 shown]
.LBB289_26:
	s_or_b64 exec, exec, s[0:1]
	v_cmp_eq_u32_e32 vcc, 0, v0
                                        ; implicit-def: $vgpr2_vgpr3
                                        ; implicit-def: $sgpr8_sgpr9
	s_and_saveexec_b64 s[0:1], vcc
	s_cbranch_execz .LBB289_30
; %bb.27:
	s_mul_i32 s8, s2, s21
	s_mul_hi_u32 s9, s2, s20
	v_cmp_eq_f64_e64 s[4:5], s[12:13], 0
	s_add_i32 s8, s9, s8
	s_mul_i32 s9, s29, s20
	s_waitcnt lgkmcnt(0)
	v_mul_f64 v[2:3], s[14:15], v[4:5]
	s_add_i32 s9, s8, s9
	s_mul_i32 s8, s2, s20
	s_and_b64 vcc, exec, s[4:5]
	s_cbranch_vccnz .LBB289_29
; %bb.28:
	s_lshl_b64 s[4:5], s[8:9], 3
	s_add_u32 s4, s3, s4
	s_addc_u32 s5, s28, s5
	s_load_dwordx2 s[4:5], s[4:5], 0x0
	s_waitcnt lgkmcnt(0)
	v_mov_b64_e32 v[0:1], s[4:5]
	v_fmac_f64_e32 v[2:3], s[12:13], v[0:1]
.LBB289_29:
	s_or_b64 s[6:7], s[6:7], exec
.LBB289_30:
	s_or_b64 exec, exec, s[0:1]
.LBB289_31:
	s_and_saveexec_b64 s[0:1], s[6:7]
	s_cbranch_execz .LBB289_33
; %bb.32:
	s_lshl_b64 s[0:1], s[8:9], 3
	s_add_u32 s0, s3, s0
	s_addc_u32 s1, s28, s1
	v_mov_b32_e32 v0, 0
	global_store_dwordx2 v0, v[2:3], s[0:1]
.LBB289_33:
	s_endpgm
	.section	.rodata,"a",@progbits
	.p2align	6, 0x0
	.amdhsa_kernel _ZL32rocblas_gemvt_warp_reduce_kernelILb1ELi1024ElPKdS1_KPdEviiT3_lPKT2_lT1_lS7_lS8_lS4_lPT4_lS8_li
		.amdhsa_group_segment_fixed_size 512
		.amdhsa_private_segment_fixed_size 0
		.amdhsa_kernarg_size 140
		.amdhsa_user_sgpr_count 2
		.amdhsa_user_sgpr_dispatch_ptr 0
		.amdhsa_user_sgpr_queue_ptr 0
		.amdhsa_user_sgpr_kernarg_segment_ptr 1
		.amdhsa_user_sgpr_dispatch_id 0
		.amdhsa_user_sgpr_kernarg_preload_length 0
		.amdhsa_user_sgpr_kernarg_preload_offset 0
		.amdhsa_user_sgpr_private_segment_size 0
		.amdhsa_uses_dynamic_stack 0
		.amdhsa_enable_private_segment 0
		.amdhsa_system_sgpr_workgroup_id_x 1
		.amdhsa_system_sgpr_workgroup_id_y 0
		.amdhsa_system_sgpr_workgroup_id_z 1
		.amdhsa_system_sgpr_workgroup_info 0
		.amdhsa_system_vgpr_workitem_id 0
		.amdhsa_next_free_vgpr 14
		.amdhsa_next_free_sgpr 36
		.amdhsa_accum_offset 16
		.amdhsa_reserve_vcc 1
		.amdhsa_float_round_mode_32 0
		.amdhsa_float_round_mode_16_64 0
		.amdhsa_float_denorm_mode_32 3
		.amdhsa_float_denorm_mode_16_64 3
		.amdhsa_dx10_clamp 1
		.amdhsa_ieee_mode 1
		.amdhsa_fp16_overflow 0
		.amdhsa_tg_split 0
		.amdhsa_exception_fp_ieee_invalid_op 0
		.amdhsa_exception_fp_denorm_src 0
		.amdhsa_exception_fp_ieee_div_zero 0
		.amdhsa_exception_fp_ieee_overflow 0
		.amdhsa_exception_fp_ieee_underflow 0
		.amdhsa_exception_fp_ieee_inexact 0
		.amdhsa_exception_int_div_zero 0
	.end_amdhsa_kernel
	.section	.text._ZL32rocblas_gemvt_warp_reduce_kernelILb1ELi1024ElPKdS1_KPdEviiT3_lPKT2_lT1_lS7_lS8_lS4_lPT4_lS8_li,"axG",@progbits,_ZL32rocblas_gemvt_warp_reduce_kernelILb1ELi1024ElPKdS1_KPdEviiT3_lPKT2_lT1_lS7_lS8_lS4_lPT4_lS8_li,comdat
.Lfunc_end289:
	.size	_ZL32rocblas_gemvt_warp_reduce_kernelILb1ELi1024ElPKdS1_KPdEviiT3_lPKT2_lT1_lS7_lS8_lS4_lPT4_lS8_li, .Lfunc_end289-_ZL32rocblas_gemvt_warp_reduce_kernelILb1ELi1024ElPKdS1_KPdEviiT3_lPKT2_lT1_lS7_lS8_lS4_lPT4_lS8_li
                                        ; -- End function
	.section	.AMDGPU.csdata,"",@progbits
; Kernel info:
; codeLenInByte = 1584
; NumSgprs: 42
; NumVgprs: 14
; NumAgprs: 0
; TotalNumVgprs: 14
; ScratchSize: 0
; MemoryBound: 0
; FloatMode: 240
; IeeeMode: 1
; LDSByteSize: 512 bytes/workgroup (compile time only)
; SGPRBlocks: 5
; VGPRBlocks: 1
; NumSGPRsForWavesPerEU: 42
; NumVGPRsForWavesPerEU: 14
; AccumOffset: 16
; Occupancy: 8
; WaveLimiterHint : 1
; COMPUTE_PGM_RSRC2:SCRATCH_EN: 0
; COMPUTE_PGM_RSRC2:USER_SGPR: 2
; COMPUTE_PGM_RSRC2:TRAP_HANDLER: 0
; COMPUTE_PGM_RSRC2:TGID_X_EN: 1
; COMPUTE_PGM_RSRC2:TGID_Y_EN: 0
; COMPUTE_PGM_RSRC2:TGID_Z_EN: 1
; COMPUTE_PGM_RSRC2:TIDIG_COMP_CNT: 0
; COMPUTE_PGM_RSRC3_GFX90A:ACCUM_OFFSET: 3
; COMPUTE_PGM_RSRC3_GFX90A:TG_SPLIT: 0
	.section	.text._ZL32rocblas_gemvt_warp_reduce_kernelILb1ELi1024EiPKddKPdEviiT3_lPKT2_lT1_lS7_lS8_lS4_lPT4_lS8_li,"axG",@progbits,_ZL32rocblas_gemvt_warp_reduce_kernelILb1ELi1024EiPKddKPdEviiT3_lPKT2_lT1_lS7_lS8_lS4_lPT4_lS8_li,comdat
	.globl	_ZL32rocblas_gemvt_warp_reduce_kernelILb1ELi1024EiPKddKPdEviiT3_lPKT2_lT1_lS7_lS8_lS4_lPT4_lS8_li ; -- Begin function _ZL32rocblas_gemvt_warp_reduce_kernelILb1ELi1024EiPKddKPdEviiT3_lPKT2_lT1_lS7_lS8_lS4_lPT4_lS8_li
	.p2align	8
	.type	_ZL32rocblas_gemvt_warp_reduce_kernelILb1ELi1024EiPKddKPdEviiT3_lPKT2_lT1_lS7_lS8_lS4_lPT4_lS8_li,@function
_ZL32rocblas_gemvt_warp_reduce_kernelILb1ELi1024EiPKddKPdEviiT3_lPKT2_lT1_lS7_lS8_lS4_lPT4_lS8_li: ; @_ZL32rocblas_gemvt_warp_reduce_kernelILb1ELi1024EiPKddKPdEviiT3_lPKT2_lT1_lS7_lS8_lS4_lPT4_lS8_li
; %bb.0:
	s_load_dwordx2 s[8:9], s[0:1], 0x8
	s_load_dwordx2 s[6:7], s[0:1], 0x58
	s_waitcnt lgkmcnt(0)
	v_cmp_eq_f64_e64 s[4:5], s[8:9], 0
	v_cmp_eq_f64_e64 s[10:11], s[6:7], 1.0
	s_and_b64 s[10:11], s[4:5], s[10:11]
	s_and_b64 vcc, exec, s[10:11]
	s_cbranch_vccnz .LBB290_35
; %bb.1:
	v_cmp_neq_f64_e64 s[12:13], s[8:9], 0
	s_mov_b32 s16, s3
	s_mov_b64 s[10:11], 0
	s_and_b64 vcc, exec, s[12:13]
	s_cbranch_vccnz .LBB290_3
; %bb.2:
	s_mov_b32 s17, 0
	s_mov_b64 s[14:15], 0
	s_andn2_b64 vcc, exec, s[10:11]
	s_cbranch_vccz .LBB290_4
	s_branch .LBB290_5
.LBB290_3:
                                        ; implicit-def: $sgpr14_sgpr15
.LBB290_4:
	s_load_dwordx4 s[20:23], s[0:1], 0x18
	s_mov_b32 s17, 0
	s_lshl_b64 s[10:11], s[16:17], 3
	s_waitcnt lgkmcnt(0)
	s_add_u32 s10, s20, s10
	s_addc_u32 s11, s21, s11
	s_load_dwordx2 s[10:11], s[10:11], 0x0
	s_lshl_b64 s[14:15], s[22:23], 3
	s_waitcnt lgkmcnt(0)
	s_add_u32 s14, s10, s14
	s_addc_u32 s15, s11, s15
.LBB290_5:
	s_mov_b64 s[10:11], 0
	s_andn2_b64 vcc, exec, s[12:13]
	s_mov_b64 s[12:13], 0
	s_cbranch_vccnz .LBB290_7
; %bb.6:
	s_load_dwordx4 s[20:23], s[0:1], 0x38
	s_lshl_b64 s[12:13], s[16:17], 3
	s_waitcnt lgkmcnt(0)
	s_add_u32 s12, s20, s12
	s_addc_u32 s13, s21, s13
	s_load_dwordx2 s[12:13], s[12:13], 0x0
	s_lshl_b64 s[18:19], s[22:23], 3
	s_waitcnt lgkmcnt(0)
	s_add_u32 s12, s12, s18
	s_addc_u32 s13, s13, s19
.LBB290_7:
	s_load_dwordx4 s[24:27], s[0:1], 0x68
	s_load_dword s23, s[0:1], 0x78
	s_lshl_b64 s[16:17], s[16:17], 3
	s_waitcnt lgkmcnt(0)
	s_add_u32 s16, s24, s16
	s_addc_u32 s17, s25, s17
	s_load_dwordx2 s[16:17], s[16:17], 0x0
	s_lshl_b64 s[18:19], s[26:27], 3
	s_waitcnt lgkmcnt(0)
	s_add_u32 s3, s16, s18
	s_addc_u32 s22, s17, s19
	s_andn2_b64 vcc, exec, s[4:5]
	v_cmp_eq_u32_e64 s[4:5], 0, v0
	s_cbranch_vccnz .LBB290_12
; %bb.8:
	s_mov_b64 s[18:19], 0
                                        ; implicit-def: $vgpr2_vgpr3
                                        ; implicit-def: $sgpr16_sgpr17
	s_and_saveexec_b64 s[20:21], s[4:5]
	s_cbranch_execz .LBB290_13
; %bb.9:
	v_cmp_eq_f64_e64 s[4:5], s[6:7], 0
	s_mul_i32 s16, s2, s23
	v_mov_b64_e32 v[2:3], 0
	s_ashr_i32 s17, s16, 31
	s_and_b64 vcc, exec, s[4:5]
	s_cbranch_vccnz .LBB290_11
; %bb.10:
	s_lshl_b64 s[4:5], s[16:17], 3
	s_add_u32 s4, s3, s4
	s_addc_u32 s5, s22, s5
	s_load_dwordx2 s[4:5], s[4:5], 0x0
	v_mov_b64_e32 v[2:3], s[6:7]
	s_waitcnt lgkmcnt(0)
	v_mul_f64 v[2:3], s[4:5], v[2:3]
.LBB290_11:
	s_mov_b64 s[10:11], exec
	s_or_b64 exec, exec, s[20:21]
	s_and_b64 vcc, exec, s[18:19]
	s_cbranch_vccnz .LBB290_14
	s_branch .LBB290_33
.LBB290_12:
                                        ; implicit-def: $vgpr2_vgpr3
                                        ; implicit-def: $sgpr16_sgpr17
	s_cbranch_execnz .LBB290_14
	s_branch .LBB290_33
.LBB290_13:
	s_or_b64 exec, exec, s[20:21]
	s_and_b64 vcc, exec, s[18:19]
	s_cbranch_vccz .LBB290_33
.LBB290_14:
	s_load_dword s19, s[0:1], 0x0
	s_load_dword s4, s[0:1], 0x28
	;; [unrolled: 1-line block ×3, first 2 shown]
	v_mov_b32_e32 v3, 0
	s_waitcnt lgkmcnt(0)
	v_cmp_gt_i32_e32 vcc, s19, v0
	s_mul_i32 s0, s2, s4
	s_ashr_i32 s1, s0, 31
	s_lshl_b64 s[0:1], s[0:1], 3
	v_cndmask_b32_e32 v1, 0, v0, vcc
	s_add_u32 s0, s0, s14
	v_lshlrev_b32_e32 v2, 3, v1
	s_addc_u32 s1, s1, s15
	v_lshl_add_u64 v[4:5], s[0:1], 0, v[2:3]
	s_ashr_i32 s0, s19, 31
	s_lshr_b32 s0, s0, 22
	s_add_i32 s0, s19, s0
	s_and_b32 s0, s0, 0xfffffc00
	v_cmp_gt_i32_e32 vcc, s0, v0
	v_mov_b64_e32 v[2:3], 0
	s_and_saveexec_b64 s[4:5], vcc
	s_cbranch_execz .LBB290_18
; %bb.15:
	v_mul_lo_u32 v6, v0, s18
	s_lshl_b32 s1, s18, 10
	s_mov_b64 s[14:15], 0
	v_mov_b64_e32 v[2:3], 0
	s_mov_b64 s[16:17], 0x2000
	v_mov_b64_e32 v[8:9], v[4:5]
	v_mov_b32_e32 v1, v0
.LBB290_16:                             ; =>This Inner Loop Header: Depth=1
	v_ashrrev_i32_e32 v7, 31, v6
	v_lshl_add_u64 v[12:13], v[6:7], 3, s[12:13]
	flat_load_dwordx2 v[10:11], v[8:9]
	v_add_u32_e32 v1, 0x400, v1
	flat_load_dwordx2 v[12:13], v[12:13]
	v_cmp_le_i32_e32 vcc, s0, v1
	v_lshl_add_u64 v[8:9], v[8:9], 0, s[16:17]
	v_add_u32_e32 v6, s1, v6
	s_or_b64 s[14:15], vcc, s[14:15]
	s_waitcnt vmcnt(0) lgkmcnt(0)
	v_fmac_f64_e32 v[2:3], v[10:11], v[12:13]
	s_andn2_b64 exec, exec, s[14:15]
	s_cbranch_execnz .LBB290_16
; %bb.17:
	s_or_b64 exec, exec, s[14:15]
.LBB290_18:
	s_or_b64 exec, exec, s[4:5]
	v_or_b32_e32 v1, s0, v0
	v_cmp_gt_i32_e32 vcc, s19, v1
	s_and_saveexec_b64 s[4:5], vcc
	s_cbranch_execz .LBB290_20
; %bb.19:
	v_mul_lo_u32 v6, v1, s18
	s_ashr_i32 s1, s0, 31
	v_ashrrev_i32_e32 v7, 31, v6
	v_lshl_add_u64 v[4:5], s[0:1], 3, v[4:5]
	v_lshl_add_u64 v[6:7], v[6:7], 3, s[12:13]
	flat_load_dwordx2 v[4:5], v[4:5]
	s_nop 0
	flat_load_dwordx2 v[6:7], v[6:7]
	s_waitcnt vmcnt(0) lgkmcnt(0)
	v_fmac_f64_e32 v[2:3], v[4:5], v[6:7]
.LBB290_20:
	s_or_b64 exec, exec, s[4:5]
	v_and_b32_e32 v6, 63, v0
	v_cmp_gt_u32_e32 vcc, 64, v0
	v_lshlrev_b32_e32 v1, 3, v6
	s_and_saveexec_b64 s[0:1], vcc
	s_cbranch_execz .LBB290_22
; %bb.21:
	v_mov_b32_e32 v4, 0
	v_mov_b32_e32 v5, v4
	ds_write_b64 v1, v[4:5]
.LBB290_22:
	s_or_b64 exec, exec, s[0:1]
	v_mbcnt_lo_u32_b32 v4, -1, 0
	v_mbcnt_hi_u32_b32 v10, -1, v4
	v_and_b32_e32 v11, 63, v10
	v_cmp_gt_u32_e64 s[0:1], 32, v11
	s_waitcnt lgkmcnt(0)
	s_barrier
	v_cndmask_b32_e64 v4, 0, 1, s[0:1]
	v_lshlrev_b32_e32 v4, 5, v4
	v_add_lshl_u32 v5, v4, v10, 2
	ds_bpermute_b32 v4, v5, v2
	ds_bpermute_b32 v5, v5, v3
	v_cmp_gt_u32_e64 s[0:1], 48, v11
	s_waitcnt lgkmcnt(0)
	v_add_f64 v[2:3], v[2:3], v[4:5]
	v_cndmask_b32_e64 v7, 0, 1, s[0:1]
	v_lshlrev_b32_e32 v4, 4, v7
	v_add_lshl_u32 v5, v4, v10, 2
	ds_bpermute_b32 v4, v5, v2
	ds_bpermute_b32 v5, v5, v3
	v_cmp_gt_u32_e64 s[0:1], 56, v11
	s_waitcnt lgkmcnt(0)
	v_add_f64 v[2:3], v[2:3], v[4:5]
	;; [unrolled: 8-line block ×4, first 2 shown]
	v_cndmask_b32_e64 v4, 0, 1, s[0:1]
	v_lshlrev_b32_e32 v4, 1, v4
	v_add_lshl_u32 v9, v4, v10, 2
	ds_bpermute_b32 v4, v9, v2
	ds_bpermute_b32 v5, v9, v3
	v_cmp_ne_u32_e64 s[0:1], 63, v11
	s_waitcnt lgkmcnt(0)
	v_add_f64 v[2:3], v[2:3], v[4:5]
	v_addc_co_u32_e64 v4, s[0:1], 0, v10, s[0:1]
	v_lshlrev_b32_e32 v10, 2, v4
	ds_bpermute_b32 v4, v10, v2
	ds_bpermute_b32 v5, v10, v3
	v_cmp_eq_u32_e64 s[0:1], 0, v6
	s_and_saveexec_b64 s[4:5], s[0:1]
	s_cbranch_execz .LBB290_24
; %bb.23:
	v_lshrrev_b32_e32 v6, 3, v0
	v_and_b32_e32 v6, 0x78, v6
	s_waitcnt lgkmcnt(0)
	v_add_f64 v[2:3], v[2:3], v[4:5]
	ds_write_b64 v6, v[2:3]
.LBB290_24:
	s_or_b64 exec, exec, s[4:5]
	v_cmp_gt_u32_e64 s[0:1], 16, v0
	s_waitcnt lgkmcnt(0)
	v_mov_b64_e32 v[4:5], 0
	s_barrier
	s_and_saveexec_b64 s[4:5], s[0:1]
	s_cbranch_execz .LBB290_26
; %bb.25:
	ds_read_b64 v[4:5], v1
	s_or_b64 exec, exec, s[4:5]
	s_and_saveexec_b64 s[0:1], vcc
	s_cbranch_execz .LBB290_28
	s_branch .LBB290_27
.LBB290_26:
	s_or_b64 exec, exec, s[4:5]
	s_and_saveexec_b64 s[0:1], vcc
	s_cbranch_execz .LBB290_28
.LBB290_27:
	s_waitcnt lgkmcnt(0)
	ds_bpermute_b32 v2, v7, v4
	ds_bpermute_b32 v3, v7, v5
	s_waitcnt lgkmcnt(0)
	v_add_f64 v[2:3], v[4:5], v[2:3]
	ds_bpermute_b32 v4, v8, v2
	ds_bpermute_b32 v5, v8, v3
	s_waitcnt lgkmcnt(0)
	v_add_f64 v[2:3], v[2:3], v[4:5]
	;; [unrolled: 4-line block ×4, first 2 shown]
.LBB290_28:
	s_or_b64 exec, exec, s[0:1]
	v_cmp_eq_u32_e32 vcc, 0, v0
                                        ; implicit-def: $vgpr2_vgpr3
                                        ; implicit-def: $sgpr16_sgpr17
	s_and_saveexec_b64 s[0:1], vcc
	s_cbranch_execz .LBB290_32
; %bb.29:
	v_cmp_eq_f64_e64 s[4:5], s[6:7], 0
	s_mul_i32 s16, s2, s23
	s_waitcnt lgkmcnt(0)
	v_mul_f64 v[2:3], v[4:5], s[8:9]
	s_ashr_i32 s17, s16, 31
	s_and_b64 vcc, exec, s[4:5]
	s_cbranch_vccnz .LBB290_31
; %bb.30:
	s_lshl_b64 s[4:5], s[16:17], 3
	s_add_u32 s4, s3, s4
	s_addc_u32 s5, s22, s5
	s_load_dwordx2 s[4:5], s[4:5], 0x0
	v_mov_b64_e32 v[0:1], s[6:7]
	s_waitcnt lgkmcnt(0)
	v_fmac_f64_e32 v[2:3], s[4:5], v[0:1]
.LBB290_31:
	s_or_b64 s[10:11], s[10:11], exec
.LBB290_32:
	s_or_b64 exec, exec, s[0:1]
.LBB290_33:
	s_and_saveexec_b64 s[0:1], s[10:11]
	s_cbranch_execz .LBB290_35
; %bb.34:
	s_lshl_b64 s[0:1], s[16:17], 3
	s_add_u32 s0, s3, s0
	s_addc_u32 s1, s22, s1
	v_mov_b32_e32 v0, 0
	global_store_dwordx2 v0, v[2:3], s[0:1]
.LBB290_35:
	s_endpgm
	.section	.rodata,"a",@progbits
	.p2align	6, 0x0
	.amdhsa_kernel _ZL32rocblas_gemvt_warp_reduce_kernelILb1ELi1024EiPKddKPdEviiT3_lPKT2_lT1_lS7_lS8_lS4_lPT4_lS8_li
		.amdhsa_group_segment_fixed_size 512
		.amdhsa_private_segment_fixed_size 0
		.amdhsa_kernarg_size 140
		.amdhsa_user_sgpr_count 2
		.amdhsa_user_sgpr_dispatch_ptr 0
		.amdhsa_user_sgpr_queue_ptr 0
		.amdhsa_user_sgpr_kernarg_segment_ptr 1
		.amdhsa_user_sgpr_dispatch_id 0
		.amdhsa_user_sgpr_kernarg_preload_length 0
		.amdhsa_user_sgpr_kernarg_preload_offset 0
		.amdhsa_user_sgpr_private_segment_size 0
		.amdhsa_uses_dynamic_stack 0
		.amdhsa_enable_private_segment 0
		.amdhsa_system_sgpr_workgroup_id_x 1
		.amdhsa_system_sgpr_workgroup_id_y 0
		.amdhsa_system_sgpr_workgroup_id_z 1
		.amdhsa_system_sgpr_workgroup_info 0
		.amdhsa_system_vgpr_workitem_id 0
		.amdhsa_next_free_vgpr 14
		.amdhsa_next_free_sgpr 28
		.amdhsa_accum_offset 16
		.amdhsa_reserve_vcc 1
		.amdhsa_float_round_mode_32 0
		.amdhsa_float_round_mode_16_64 0
		.amdhsa_float_denorm_mode_32 3
		.amdhsa_float_denorm_mode_16_64 3
		.amdhsa_dx10_clamp 1
		.amdhsa_ieee_mode 1
		.amdhsa_fp16_overflow 0
		.amdhsa_tg_split 0
		.amdhsa_exception_fp_ieee_invalid_op 0
		.amdhsa_exception_fp_denorm_src 0
		.amdhsa_exception_fp_ieee_div_zero 0
		.amdhsa_exception_fp_ieee_overflow 0
		.amdhsa_exception_fp_ieee_underflow 0
		.amdhsa_exception_fp_ieee_inexact 0
		.amdhsa_exception_int_div_zero 0
	.end_amdhsa_kernel
	.section	.text._ZL32rocblas_gemvt_warp_reduce_kernelILb1ELi1024EiPKddKPdEviiT3_lPKT2_lT1_lS7_lS8_lS4_lPT4_lS8_li,"axG",@progbits,_ZL32rocblas_gemvt_warp_reduce_kernelILb1ELi1024EiPKddKPdEviiT3_lPKT2_lT1_lS7_lS8_lS4_lPT4_lS8_li,comdat
.Lfunc_end290:
	.size	_ZL32rocblas_gemvt_warp_reduce_kernelILb1ELi1024EiPKddKPdEviiT3_lPKT2_lT1_lS7_lS8_lS4_lPT4_lS8_li, .Lfunc_end290-_ZL32rocblas_gemvt_warp_reduce_kernelILb1ELi1024EiPKddKPdEviiT3_lPKT2_lT1_lS7_lS8_lS4_lPT4_lS8_li
                                        ; -- End function
	.section	.AMDGPU.csdata,"",@progbits
; Kernel info:
; codeLenInByte = 1444
; NumSgprs: 34
; NumVgprs: 14
; NumAgprs: 0
; TotalNumVgprs: 14
; ScratchSize: 0
; MemoryBound: 0
; FloatMode: 240
; IeeeMode: 1
; LDSByteSize: 512 bytes/workgroup (compile time only)
; SGPRBlocks: 4
; VGPRBlocks: 1
; NumSGPRsForWavesPerEU: 34
; NumVGPRsForWavesPerEU: 14
; AccumOffset: 16
; Occupancy: 8
; WaveLimiterHint : 1
; COMPUTE_PGM_RSRC2:SCRATCH_EN: 0
; COMPUTE_PGM_RSRC2:USER_SGPR: 2
; COMPUTE_PGM_RSRC2:TRAP_HANDLER: 0
; COMPUTE_PGM_RSRC2:TGID_X_EN: 1
; COMPUTE_PGM_RSRC2:TGID_Y_EN: 0
; COMPUTE_PGM_RSRC2:TGID_Z_EN: 1
; COMPUTE_PGM_RSRC2:TIDIG_COMP_CNT: 0
; COMPUTE_PGM_RSRC3_GFX90A:ACCUM_OFFSET: 3
; COMPUTE_PGM_RSRC3_GFX90A:TG_SPLIT: 0
	.section	.text._ZL32rocblas_gemvt_warp_reduce_kernelILb1ELi1024ElPKddKPdEviiT3_lPKT2_lT1_lS7_lS8_lS4_lPT4_lS8_li,"axG",@progbits,_ZL32rocblas_gemvt_warp_reduce_kernelILb1ELi1024ElPKddKPdEviiT3_lPKT2_lT1_lS7_lS8_lS4_lPT4_lS8_li,comdat
	.globl	_ZL32rocblas_gemvt_warp_reduce_kernelILb1ELi1024ElPKddKPdEviiT3_lPKT2_lT1_lS7_lS8_lS4_lPT4_lS8_li ; -- Begin function _ZL32rocblas_gemvt_warp_reduce_kernelILb1ELi1024ElPKddKPdEviiT3_lPKT2_lT1_lS7_lS8_lS4_lPT4_lS8_li
	.p2align	8
	.type	_ZL32rocblas_gemvt_warp_reduce_kernelILb1ELi1024ElPKddKPdEviiT3_lPKT2_lT1_lS7_lS8_lS4_lPT4_lS8_li,@function
_ZL32rocblas_gemvt_warp_reduce_kernelILb1ELi1024ElPKddKPdEviiT3_lPKT2_lT1_lS7_lS8_lS4_lPT4_lS8_li: ; @_ZL32rocblas_gemvt_warp_reduce_kernelILb1ELi1024ElPKddKPdEviiT3_lPKT2_lT1_lS7_lS8_lS4_lPT4_lS8_li
; %bb.0:
	s_load_dwordx2 s[10:11], s[0:1], 0x8
	s_load_dwordx2 s[8:9], s[0:1], 0x58
	s_waitcnt lgkmcnt(0)
	v_cmp_eq_f64_e64 s[22:23], s[10:11], 0
	v_cmp_eq_f64_e64 s[4:5], s[8:9], 1.0
	s_and_b64 s[4:5], s[22:23], s[4:5]
	s_and_b64 vcc, exec, s[4:5]
	s_cbranch_vccnz .LBB291_35
; %bb.1:
	s_load_dwordx4 s[4:7], s[0:1], 0x18
	s_load_dwordx2 s[18:19], s[0:1], 0x28
	v_cmp_neq_f64_e64 s[16:17], s[10:11], 0
	s_mov_b32 s24, s3
	s_mov_b64 s[12:13], 0
	s_and_b64 vcc, exec, s[16:17]
	s_cbranch_vccnz .LBB291_3
; %bb.2:
	s_mov_b32 s25, 0
	s_mov_b64 s[20:21], 0
	s_andn2_b64 vcc, exec, s[12:13]
	s_cbranch_vccz .LBB291_4
	s_branch .LBB291_5
.LBB291_3:
                                        ; implicit-def: $sgpr20_sgpr21
.LBB291_4:
	s_mov_b32 s25, 0
	s_lshl_b64 s[12:13], s[24:25], 3
	s_waitcnt lgkmcnt(0)
	s_add_u32 s4, s4, s12
	s_addc_u32 s5, s5, s13
	s_load_dwordx2 s[4:5], s[4:5], 0x0
	s_lshl_b64 s[6:7], s[6:7], 3
	s_waitcnt lgkmcnt(0)
	s_add_u32 s20, s4, s6
	s_addc_u32 s21, s5, s7
.LBB291_5:
	s_waitcnt lgkmcnt(0)
	s_load_dwordx4 s[4:7], s[0:1], 0x38
	s_load_dwordx2 s[14:15], s[0:1], 0x48
	s_mov_b64 s[12:13], 0
	s_andn2_b64 vcc, exec, s[16:17]
	s_mov_b64 s[16:17], 0
	s_cbranch_vccnz .LBB291_7
; %bb.6:
	s_lshl_b64 s[16:17], s[24:25], 3
	s_waitcnt lgkmcnt(0)
	s_add_u32 s4, s4, s16
	s_addc_u32 s5, s5, s17
	s_load_dwordx2 s[4:5], s[4:5], 0x0
	s_lshl_b64 s[6:7], s[6:7], 3
	s_waitcnt lgkmcnt(0)
	s_add_u32 s16, s4, s6
	s_addc_u32 s17, s5, s7
.LBB291_7:
	s_load_dwordx4 s[28:31], s[0:1], 0x68
	s_waitcnt lgkmcnt(0)
	s_load_dwordx2 s[6:7], s[0:1], 0x78
	s_lshl_b64 s[4:5], s[24:25], 3
	s_add_u32 s4, s28, s4
	s_addc_u32 s5, s29, s5
	s_load_dwordx2 s[4:5], s[4:5], 0x0
	s_lshl_b64 s[24:25], s[30:31], 3
	s_waitcnt lgkmcnt(0)
	s_add_u32 s3, s4, s24
	s_addc_u32 s28, s5, s25
	s_andn2_b64 vcc, exec, s[22:23]
	v_cmp_eq_u32_e64 s[4:5], 0, v0
	s_cbranch_vccnz .LBB291_12
; %bb.8:
	s_mov_b64 s[24:25], 0
                                        ; implicit-def: $vgpr2_vgpr3
                                        ; implicit-def: $sgpr22_sgpr23
	s_and_saveexec_b64 s[26:27], s[4:5]
	s_cbranch_execz .LBB291_13
; %bb.9:
	s_ashr_i32 s12, s2, 31
	s_mul_i32 s13, s2, s7
	s_mul_hi_u32 s22, s2, s6
	v_cmp_eq_f64_e64 s[4:5], s[8:9], 0
	s_add_i32 s13, s22, s13
	s_mul_i32 s12, s12, s6
	v_mov_b64_e32 v[2:3], 0
	s_add_i32 s23, s13, s12
	s_mul_i32 s22, s2, s6
	s_and_b64 vcc, exec, s[4:5]
	s_cbranch_vccnz .LBB291_11
; %bb.10:
	s_lshl_b64 s[4:5], s[22:23], 3
	s_add_u32 s4, s3, s4
	s_addc_u32 s5, s28, s5
	s_load_dwordx2 s[4:5], s[4:5], 0x0
	v_mov_b64_e32 v[2:3], s[8:9]
	s_waitcnt lgkmcnt(0)
	v_mul_f64 v[2:3], s[4:5], v[2:3]
.LBB291_11:
	s_mov_b64 s[12:13], exec
	s_or_b64 exec, exec, s[26:27]
	s_and_b64 vcc, exec, s[24:25]
	s_cbranch_vccnz .LBB291_14
	s_branch .LBB291_33
.LBB291_12:
                                        ; implicit-def: $vgpr2_vgpr3
                                        ; implicit-def: $sgpr22_sgpr23
	s_cbranch_execnz .LBB291_14
	s_branch .LBB291_33
.LBB291_13:
	s_or_b64 exec, exec, s[26:27]
	s_and_b64 vcc, exec, s[24:25]
	s_cbranch_vccz .LBB291_33
.LBB291_14:
	s_load_dword s1, s[0:1], 0x0
	s_ashr_i32 s24, s2, 31
	s_mul_i32 s0, s2, s19
	s_mul_hi_u32 s4, s2, s18
	s_add_i32 s0, s4, s0
	s_mul_i32 s4, s24, s18
	s_add_i32 s5, s0, s4
	s_mul_i32 s4, s2, s18
	s_lshl_b64 s[4:5], s[4:5], 3
	s_add_u32 s4, s4, s20
	s_addc_u32 s5, s5, s21
	s_waitcnt lgkmcnt(0)
	s_ashr_i32 s0, s1, 31
	v_cmp_gt_i32_e32 vcc, s1, v0
	s_lshr_b32 s0, s0, 22
	s_add_i32 s0, s1, s0
	v_cndmask_b32_e32 v1, 0, v0, vcc
	v_mov_b32_e32 v3, 0
	v_lshlrev_b32_e32 v2, 3, v1
	s_and_b32 s0, s0, 0xfffffc00
	v_lshl_add_u64 v[4:5], s[4:5], 0, v[2:3]
	v_cmp_gt_i32_e32 vcc, s0, v0
	v_mov_b64_e32 v[2:3], 0
	s_and_saveexec_b64 s[4:5], vcc
	s_cbranch_execz .LBB291_18
; %bb.15:
	v_mad_u64_u32 v[2:3], s[18:19], s14, v0, 0
	v_mov_b32_e32 v6, v3
	v_mad_u64_u32 v[6:7], s[18:19], s15, v0, v[6:7]
	v_mov_b32_e32 v3, v6
	v_lshl_add_u64 v[6:7], v[2:3], 3, s[16:17]
	s_lshl_b64 s[20:21], s[14:15], 13
	s_mov_b64 s[18:19], 0
	v_mov_b64_e32 v[2:3], 0
	s_mov_b64 s[22:23], 0x2000
	v_mov_b64_e32 v[8:9], v[4:5]
	v_mov_b32_e32 v1, v0
.LBB291_16:                             ; =>This Inner Loop Header: Depth=1
	flat_load_dwordx2 v[10:11], v[8:9]
	flat_load_dwordx2 v[12:13], v[6:7]
	v_add_u32_e32 v1, 0x400, v1
	v_cmp_le_i32_e32 vcc, s0, v1
	v_lshl_add_u64 v[8:9], v[8:9], 0, s[22:23]
	v_lshl_add_u64 v[6:7], v[6:7], 0, s[20:21]
	s_or_b64 s[18:19], vcc, s[18:19]
	s_waitcnt vmcnt(0) lgkmcnt(0)
	v_fmac_f64_e32 v[2:3], v[10:11], v[12:13]
	s_andn2_b64 exec, exec, s[18:19]
	s_cbranch_execnz .LBB291_16
; %bb.17:
	s_or_b64 exec, exec, s[18:19]
.LBB291_18:
	s_or_b64 exec, exec, s[4:5]
	v_or_b32_e32 v1, s0, v0
	v_cmp_gt_i32_e32 vcc, s1, v1
	s_and_saveexec_b64 s[4:5], vcc
	s_cbranch_execz .LBB291_20
; %bb.19:
	s_ashr_i32 s1, s0, 31
	v_ashrrev_i32_e32 v6, 31, v1
	v_lshl_add_u64 v[4:5], s[0:1], 3, v[4:5]
	v_mul_lo_u32 v8, v1, s15
	v_mul_lo_u32 v9, v6, s14
	v_mad_u64_u32 v[6:7], s[0:1], v1, s14, 0
	v_add3_u32 v7, v7, v8, v9
	v_lshl_add_u64 v[6:7], v[6:7], 3, s[16:17]
	flat_load_dwordx2 v[4:5], v[4:5]
	s_nop 0
	flat_load_dwordx2 v[6:7], v[6:7]
	s_waitcnt vmcnt(0) lgkmcnt(0)
	v_fmac_f64_e32 v[2:3], v[4:5], v[6:7]
.LBB291_20:
	s_or_b64 exec, exec, s[4:5]
	v_and_b32_e32 v6, 63, v0
	v_cmp_gt_u32_e32 vcc, 64, v0
	v_lshlrev_b32_e32 v1, 3, v6
	s_and_saveexec_b64 s[0:1], vcc
	s_cbranch_execz .LBB291_22
; %bb.21:
	v_mov_b32_e32 v4, 0
	v_mov_b32_e32 v5, v4
	ds_write_b64 v1, v[4:5]
.LBB291_22:
	s_or_b64 exec, exec, s[0:1]
	v_mbcnt_lo_u32_b32 v4, -1, 0
	v_mbcnt_hi_u32_b32 v10, -1, v4
	v_and_b32_e32 v11, 63, v10
	v_cmp_gt_u32_e64 s[0:1], 32, v11
	s_waitcnt lgkmcnt(0)
	s_barrier
	v_cndmask_b32_e64 v4, 0, 1, s[0:1]
	v_lshlrev_b32_e32 v4, 5, v4
	v_add_lshl_u32 v5, v4, v10, 2
	ds_bpermute_b32 v4, v5, v2
	ds_bpermute_b32 v5, v5, v3
	v_cmp_gt_u32_e64 s[0:1], 48, v11
	s_waitcnt lgkmcnt(0)
	v_add_f64 v[2:3], v[2:3], v[4:5]
	v_cndmask_b32_e64 v7, 0, 1, s[0:1]
	v_lshlrev_b32_e32 v4, 4, v7
	v_add_lshl_u32 v5, v4, v10, 2
	ds_bpermute_b32 v4, v5, v2
	ds_bpermute_b32 v5, v5, v3
	v_cmp_gt_u32_e64 s[0:1], 56, v11
	s_waitcnt lgkmcnt(0)
	v_add_f64 v[2:3], v[2:3], v[4:5]
	;; [unrolled: 8-line block ×4, first 2 shown]
	v_cndmask_b32_e64 v4, 0, 1, s[0:1]
	v_lshlrev_b32_e32 v4, 1, v4
	v_add_lshl_u32 v9, v4, v10, 2
	ds_bpermute_b32 v4, v9, v2
	ds_bpermute_b32 v5, v9, v3
	v_cmp_ne_u32_e64 s[0:1], 63, v11
	s_waitcnt lgkmcnt(0)
	v_add_f64 v[2:3], v[2:3], v[4:5]
	v_addc_co_u32_e64 v4, s[0:1], 0, v10, s[0:1]
	v_lshlrev_b32_e32 v10, 2, v4
	ds_bpermute_b32 v4, v10, v2
	ds_bpermute_b32 v5, v10, v3
	v_cmp_eq_u32_e64 s[0:1], 0, v6
	s_and_saveexec_b64 s[4:5], s[0:1]
	s_cbranch_execz .LBB291_24
; %bb.23:
	v_lshrrev_b32_e32 v6, 3, v0
	v_and_b32_e32 v6, 0x78, v6
	s_waitcnt lgkmcnt(0)
	v_add_f64 v[2:3], v[2:3], v[4:5]
	ds_write_b64 v6, v[2:3]
.LBB291_24:
	s_or_b64 exec, exec, s[4:5]
	v_cmp_gt_u32_e64 s[0:1], 16, v0
	s_waitcnt lgkmcnt(0)
	v_mov_b64_e32 v[4:5], 0
	s_barrier
	s_and_saveexec_b64 s[4:5], s[0:1]
	s_cbranch_execz .LBB291_26
; %bb.25:
	ds_read_b64 v[4:5], v1
	s_or_b64 exec, exec, s[4:5]
	s_and_saveexec_b64 s[0:1], vcc
	s_cbranch_execz .LBB291_28
	s_branch .LBB291_27
.LBB291_26:
	s_or_b64 exec, exec, s[4:5]
	s_and_saveexec_b64 s[0:1], vcc
	s_cbranch_execz .LBB291_28
.LBB291_27:
	s_waitcnt lgkmcnt(0)
	ds_bpermute_b32 v2, v7, v4
	ds_bpermute_b32 v3, v7, v5
	s_waitcnt lgkmcnt(0)
	v_add_f64 v[2:3], v[4:5], v[2:3]
	ds_bpermute_b32 v4, v8, v2
	ds_bpermute_b32 v5, v8, v3
	s_waitcnt lgkmcnt(0)
	v_add_f64 v[2:3], v[2:3], v[4:5]
	;; [unrolled: 4-line block ×4, first 2 shown]
.LBB291_28:
	s_or_b64 exec, exec, s[0:1]
	v_cmp_eq_u32_e32 vcc, 0, v0
                                        ; implicit-def: $vgpr2_vgpr3
                                        ; implicit-def: $sgpr22_sgpr23
	s_and_saveexec_b64 s[0:1], vcc
	s_cbranch_execz .LBB291_32
; %bb.29:
	s_waitcnt lgkmcnt(0)
	v_mul_f64 v[2:3], v[4:5], s[10:11]
	s_mul_i32 s7, s2, s7
	s_mul_hi_u32 s10, s2, s6
	v_cmp_eq_f64_e64 s[4:5], s[8:9], 0
	s_add_i32 s7, s10, s7
	s_mul_i32 s10, s24, s6
	s_add_i32 s23, s7, s10
	s_mul_i32 s22, s2, s6
	s_and_b64 vcc, exec, s[4:5]
	s_cbranch_vccnz .LBB291_31
; %bb.30:
	s_lshl_b64 s[4:5], s[22:23], 3
	s_add_u32 s4, s3, s4
	s_addc_u32 s5, s28, s5
	s_load_dwordx2 s[4:5], s[4:5], 0x0
	v_mov_b64_e32 v[0:1], s[8:9]
	s_waitcnt lgkmcnt(0)
	v_fmac_f64_e32 v[2:3], s[4:5], v[0:1]
.LBB291_31:
	s_or_b64 s[12:13], s[12:13], exec
.LBB291_32:
	s_or_b64 exec, exec, s[0:1]
.LBB291_33:
	s_and_saveexec_b64 s[0:1], s[12:13]
	s_cbranch_execz .LBB291_35
; %bb.34:
	s_lshl_b64 s[0:1], s[22:23], 3
	s_add_u32 s0, s3, s0
	s_addc_u32 s1, s28, s1
	v_mov_b32_e32 v0, 0
	global_store_dwordx2 v0, v[2:3], s[0:1]
.LBB291_35:
	s_endpgm
	.section	.rodata,"a",@progbits
	.p2align	6, 0x0
	.amdhsa_kernel _ZL32rocblas_gemvt_warp_reduce_kernelILb1ELi1024ElPKddKPdEviiT3_lPKT2_lT1_lS7_lS8_lS4_lPT4_lS8_li
		.amdhsa_group_segment_fixed_size 512
		.amdhsa_private_segment_fixed_size 0
		.amdhsa_kernarg_size 140
		.amdhsa_user_sgpr_count 2
		.amdhsa_user_sgpr_dispatch_ptr 0
		.amdhsa_user_sgpr_queue_ptr 0
		.amdhsa_user_sgpr_kernarg_segment_ptr 1
		.amdhsa_user_sgpr_dispatch_id 0
		.amdhsa_user_sgpr_kernarg_preload_length 0
		.amdhsa_user_sgpr_kernarg_preload_offset 0
		.amdhsa_user_sgpr_private_segment_size 0
		.amdhsa_uses_dynamic_stack 0
		.amdhsa_enable_private_segment 0
		.amdhsa_system_sgpr_workgroup_id_x 1
		.amdhsa_system_sgpr_workgroup_id_y 0
		.amdhsa_system_sgpr_workgroup_id_z 1
		.amdhsa_system_sgpr_workgroup_info 0
		.amdhsa_system_vgpr_workitem_id 0
		.amdhsa_next_free_vgpr 14
		.amdhsa_next_free_sgpr 32
		.amdhsa_accum_offset 16
		.amdhsa_reserve_vcc 1
		.amdhsa_float_round_mode_32 0
		.amdhsa_float_round_mode_16_64 0
		.amdhsa_float_denorm_mode_32 3
		.amdhsa_float_denorm_mode_16_64 3
		.amdhsa_dx10_clamp 1
		.amdhsa_ieee_mode 1
		.amdhsa_fp16_overflow 0
		.amdhsa_tg_split 0
		.amdhsa_exception_fp_ieee_invalid_op 0
		.amdhsa_exception_fp_denorm_src 0
		.amdhsa_exception_fp_ieee_div_zero 0
		.amdhsa_exception_fp_ieee_overflow 0
		.amdhsa_exception_fp_ieee_underflow 0
		.amdhsa_exception_fp_ieee_inexact 0
		.amdhsa_exception_int_div_zero 0
	.end_amdhsa_kernel
	.section	.text._ZL32rocblas_gemvt_warp_reduce_kernelILb1ELi1024ElPKddKPdEviiT3_lPKT2_lT1_lS7_lS8_lS4_lPT4_lS8_li,"axG",@progbits,_ZL32rocblas_gemvt_warp_reduce_kernelILb1ELi1024ElPKddKPdEviiT3_lPKT2_lT1_lS7_lS8_lS4_lPT4_lS8_li,comdat
.Lfunc_end291:
	.size	_ZL32rocblas_gemvt_warp_reduce_kernelILb1ELi1024ElPKddKPdEviiT3_lPKT2_lT1_lS7_lS8_lS4_lPT4_lS8_li, .Lfunc_end291-_ZL32rocblas_gemvt_warp_reduce_kernelILb1ELi1024ElPKddKPdEviiT3_lPKT2_lT1_lS7_lS8_lS4_lPT4_lS8_li
                                        ; -- End function
	.section	.AMDGPU.csdata,"",@progbits
; Kernel info:
; codeLenInByte = 1544
; NumSgprs: 38
; NumVgprs: 14
; NumAgprs: 0
; TotalNumVgprs: 14
; ScratchSize: 0
; MemoryBound: 0
; FloatMode: 240
; IeeeMode: 1
; LDSByteSize: 512 bytes/workgroup (compile time only)
; SGPRBlocks: 4
; VGPRBlocks: 1
; NumSGPRsForWavesPerEU: 38
; NumVGPRsForWavesPerEU: 14
; AccumOffset: 16
; Occupancy: 8
; WaveLimiterHint : 1
; COMPUTE_PGM_RSRC2:SCRATCH_EN: 0
; COMPUTE_PGM_RSRC2:USER_SGPR: 2
; COMPUTE_PGM_RSRC2:TRAP_HANDLER: 0
; COMPUTE_PGM_RSRC2:TGID_X_EN: 1
; COMPUTE_PGM_RSRC2:TGID_Y_EN: 0
; COMPUTE_PGM_RSRC2:TGID_Z_EN: 1
; COMPUTE_PGM_RSRC2:TIDIG_COMP_CNT: 0
; COMPUTE_PGM_RSRC3_GFX90A:ACCUM_OFFSET: 3
; COMPUTE_PGM_RSRC3_GFX90A:TG_SPLIT: 0
	.section	.text._ZL34rocblas_gemvn_sm_mn_batched_kernelILi32ELi24EPK19rocblas_complex_numIfES3_KPS1_EviiT2_lPKT1_lilS9_lilS6_lPT3_lili,"axG",@progbits,_ZL34rocblas_gemvn_sm_mn_batched_kernelILi32ELi24EPK19rocblas_complex_numIfES3_KPS1_EviiT2_lPKT1_lilS9_lilS6_lPT3_lili,comdat
	.globl	_ZL34rocblas_gemvn_sm_mn_batched_kernelILi32ELi24EPK19rocblas_complex_numIfES3_KPS1_EviiT2_lPKT1_lilS9_lilS6_lPT3_lili ; -- Begin function _ZL34rocblas_gemvn_sm_mn_batched_kernelILi32ELi24EPK19rocblas_complex_numIfES3_KPS1_EviiT2_lPKT1_lilS9_lilS6_lPT3_lili
	.p2align	8
	.type	_ZL34rocblas_gemvn_sm_mn_batched_kernelILi32ELi24EPK19rocblas_complex_numIfES3_KPS1_EviiT2_lPKT1_lilS9_lilS6_lPT3_lili,@function
_ZL34rocblas_gemvn_sm_mn_batched_kernelILi32ELi24EPK19rocblas_complex_numIfES3_KPS1_EviiT2_lPKT1_lilS9_lilS6_lPT3_lili: ; @_ZL34rocblas_gemvn_sm_mn_batched_kernelILi32ELi24EPK19rocblas_complex_numIfES3_KPS1_EviiT2_lPKT1_lilS9_lilS6_lPT3_lili
; %bb.0:
	s_load_dword s3, s[0:1], 0x9c
	s_load_dword s4, s[0:1], 0x88
	v_bfe_u32 v1, v0, 10, 10
	s_waitcnt lgkmcnt(0)
	s_lshr_b32 s3, s3, 16
	s_mul_i32 s2, s2, s3
	v_add_u32_e32 v2, s2, v1
	v_cmp_gt_i32_e32 vcc, s4, v2
	s_and_saveexec_b64 s[2:3], vcc
	s_cbranch_execz .LBB292_149
; %bb.1:
	s_load_dwordx8 s[12:19], s[0:1], 0x8
	s_load_dwordx8 s[4:11], s[0:1], 0x58
	s_waitcnt lgkmcnt(0)
	v_mad_u64_u32 v[8:9], s[2:3], v2, s14, 0
	v_mov_b32_e32 v10, v9
	v_mad_u64_u32 v[10:11], s[2:3], v2, s15, v[10:11]
	v_mov_b32_e32 v4, s12
	v_mov_b32_e32 v5, s13
	v_mov_b32_e32 v9, v10
	v_lshl_add_u64 v[4:5], v[8:9], 3, v[4:5]
	global_load_dwordx2 v[8:9], v[4:5], off
	v_mad_u64_u32 v[4:5], s[2:3], v2, s6, 0
	v_mov_b32_e32 v10, v5
	v_mad_u64_u32 v[10:11], s[2:3], v2, s7, v[10:11]
	v_mov_b32_e32 v6, s4
	v_mov_b32_e32 v7, s5
	;; [unrolled: 1-line block ×3, first 2 shown]
	v_lshl_add_u64 v[4:5], v[4:5], 3, v[6:7]
	global_load_dwordx2 v[4:5], v[4:5], off
	s_waitcnt vmcnt(1)
	v_cmp_eq_f32_e32 vcc, 0, v8
	v_cmp_eq_f32_e64 s[2:3], 0, v9
	s_and_b64 s[2:3], vcc, s[2:3]
	s_waitcnt vmcnt(0)
	v_cmp_eq_f32_e64 s[4:5], 1.0, v4
	v_cmp_eq_f32_e64 s[6:7], 0, v5
	s_and_b64 s[4:5], s[4:5], s[6:7]
	s_and_b64 s[2:3], s[2:3], s[4:5]
	s_xor_b64 s[2:3], s[2:3], -1
	s_and_b64 exec, exec, s[2:3]
	s_cbranch_execz .LBB292_149
; %bb.2:
	v_or_b32_e32 v6, v8, v9
	v_and_b32_e32 v6, 0x7fffffff, v6
	v_mov_b64_e32 v[10:11], 0
	v_mov_b32_e32 v3, 0
	v_cmp_eq_u32_e32 vcc, 0, v6
	v_cmp_ne_u32_e64 s[2:3], 0, v6
	v_mov_b64_e32 v[6:7], v[10:11]
	s_and_saveexec_b64 s[4:5], s[2:3]
	s_cbranch_execz .LBB292_4
; %bb.3:
	v_mov_b32_e32 v6, s16
	v_mov_b32_e32 v7, s17
	v_lshl_add_u64 v[6:7], v[2:3], 3, v[6:7]
	global_load_dwordx2 v[6:7], v[6:7], off
	s_waitcnt vmcnt(0)
	v_lshl_add_u64 v[6:7], s[18:19], 3, v[6:7]
.LBB292_4:
	s_or_b64 exec, exec, s[4:5]
	s_and_saveexec_b64 s[4:5], s[2:3]
	s_cbranch_execz .LBB292_6
; %bb.5:
	s_load_dwordx4 s[12:15], s[0:1], 0x38
	s_waitcnt lgkmcnt(0)
	v_mov_b32_e32 v10, s12
	v_mov_b32_e32 v11, s13
	v_lshl_add_u64 v[10:11], v[2:3], 3, v[10:11]
	global_load_dwordx2 v[10:11], v[10:11], off
	s_waitcnt vmcnt(0)
	v_lshl_add_u64 v[10:11], s[14:15], 3, v[10:11]
.LBB292_6:
	s_or_b64 exec, exec, s[4:5]
	v_mov_b32_e32 v12, s8
	v_mov_b32_e32 v13, s9
	v_lshl_add_u64 v[2:3], v[2:3], 3, v[12:13]
	global_load_dwordx2 v[2:3], v[2:3], off
	s_load_dwordx2 s[4:5], s[0:1], 0x0
	s_load_dword s33, s[0:1], 0x78
	v_and_b32_e32 v74, 0x3ff, v0
	s_waitcnt vmcnt(0)
	v_lshl_add_u64 v[2:3], s[10:11], 3, v[2:3]
	s_and_saveexec_b64 s[2:3], vcc
	s_xor_b64 s[6:7], exec, s[2:3]
	s_cbranch_execz .LBB292_16
; %bb.7:
	v_cmp_eq_f32_e32 vcc, 0, v4
	v_cmp_eq_f32_e64 s[2:3], 0, v5
	s_and_b64 s[2:3], vcc, s[2:3]
	s_waitcnt lgkmcnt(0)
	v_cmp_gt_i32_e32 vcc, s4, v74
	s_and_saveexec_b64 s[8:9], s[2:3]
	s_xor_b64 s[2:3], exec, s[8:9]
	s_cbranch_execz .LBB292_11
; %bb.8:
	s_and_saveexec_b64 s[8:9], vcc
	s_cbranch_execz .LBB292_10
; %bb.9:
	v_mad_i64_i32 v[0:1], s[10:11], s33, v74, 0
	v_lshl_add_u64 v[0:1], v[0:1], 3, v[2:3]
	v_mov_b32_e32 v2, 0
	v_mov_b32_e32 v3, v2
	global_store_dwordx2 v[0:1], v[2:3], off
.LBB292_10:
	s_or_b64 exec, exec, s[8:9]
                                        ; implicit-def: $vgpr74
                                        ; implicit-def: $vgpr2_vgpr3
                                        ; implicit-def: $vgpr4_vgpr5
.LBB292_11:
	s_andn2_saveexec_b64 s[2:3], s[2:3]
	s_cbranch_execz .LBB292_15
; %bb.12:
	s_and_saveexec_b64 s[8:9], vcc
	s_cbranch_execz .LBB292_14
; %bb.13:
	v_mad_i64_i32 v[0:1], s[10:11], s33, v74, 0
	v_lshl_add_u64 v[0:1], v[0:1], 3, v[2:3]
	global_load_dwordx2 v[2:3], v[0:1], off
	s_waitcnt vmcnt(0)
	v_mul_f32_e32 v6, v5, v3
	v_mul_f32_e32 v7, v4, v3
	v_fma_f32 v6, v4, v2, -v6
	v_fmac_f32_e32 v7, v5, v2
	global_store_dwordx2 v[0:1], v[6:7], off
.LBB292_14:
	s_or_b64 exec, exec, s[8:9]
.LBB292_15:
	s_or_b64 exec, exec, s[2:3]
                                        ; implicit-def: $vgpr74
                                        ; implicit-def: $vgpr2_vgpr3
                                        ; implicit-def: $vgpr1
                                        ; implicit-def: $vgpr10_vgpr11
                                        ; implicit-def: $vgpr8_vgpr9
                                        ; implicit-def: $vgpr6_vgpr7
                                        ; implicit-def: $vgpr4_vgpr5
.LBB292_16:
	s_andn2_saveexec_b64 s[2:3], s[6:7]
	s_cbranch_execz .LBB292_149
; %bb.17:
	v_lshlrev_b32_e32 v75, 8, v1
	s_waitcnt lgkmcnt(0)
	v_cmp_gt_i32_e32 vcc, s5, v74
	s_and_saveexec_b64 s[2:3], vcc
	s_cbranch_execz .LBB292_19
; %bb.18:
	s_load_dword s6, s[0:1], 0x48
	s_waitcnt lgkmcnt(0)
	v_mad_i64_i32 v[0:1], s[6:7], s6, v74, 0
	v_lshl_add_u64 v[0:1], v[0:1], 3, v[10:11]
	flat_load_dwordx2 v[0:1], v[0:1]
	s_waitcnt vmcnt(0) lgkmcnt(0)
	v_mul_f32_e32 v10, v1, v9
	v_mul_f32_e32 v11, v1, v8
	v_fma_f32 v10, v0, v8, -v10
	v_fmac_f32_e32 v11, v0, v9
	v_lshl_add_u32 v0, v74, 3, v75
	ds_write_b64 v0, v[10:11]
.LBB292_19:
	s_or_b64 exec, exec, s[2:3]
	v_cmp_gt_i32_e32 vcc, s4, v74
	s_waitcnt lgkmcnt(0)
	s_barrier
	s_and_saveexec_b64 s[2:3], vcc
	s_cbranch_execz .LBB292_149
; %bb.20:
	v_cmp_neq_f32_e32 vcc, 0, v4
	v_cmp_neq_f32_e64 s[2:3], 0, v5
	s_or_b64 s[6:7], vcc, s[2:3]
	v_mov_b32_e32 v29, 0
	v_mov_b32_e32 v0, 0
	;; [unrolled: 1-line block ×3, first 2 shown]
	s_and_saveexec_b64 s[2:3], s[6:7]
	s_cbranch_execz .LBB292_22
; %bb.21:
	v_mad_i64_i32 v[0:1], s[6:7], s33, v74, 0
	v_lshl_add_u64 v[0:1], v[0:1], 3, v[2:3]
	global_load_dwordx2 v[8:9], v[0:1], off
	s_waitcnt vmcnt(0)
	v_pk_mul_f32 v[0:1], v[4:5], v[8:9] op_sel:[1,0] op_sel_hi:[0,1]
	v_mov_b32_e32 v1, v0
	v_pk_fma_f32 v[0:1], v[4:5], v[8:9], v[0:1] op_sel:[1,0,0] op_sel_hi:[0,1,1]
	v_mul_f32_e32 v0, v4, v8
	v_fma_f32 v0, -v5, v9, v0
.LBB292_22:
	s_or_b64 exec, exec, s[2:3]
	v_lshlrev_b32_e32 v28, 3, v74
	s_cmp_gt_i32 s5, 0
	v_lshl_add_u64 v[72:73], v[6:7], 0, v[28:29]
	s_cselect_b64 s[64:65], -1, 0
	s_cmp_lt_i32 s5, 1
	v_mov_b32_e32 v33, 0
	s_cbranch_scc1 .LBB292_24
; %bb.23:
	flat_load_dwordx2 v[32:33], v[72:73]
	s_waitcnt vmcnt(0) lgkmcnt(0)
	v_mov_b32_e32 v29, v32
.LBB292_24:
	s_load_dword s68, s[0:1], 0x28
	v_mov_b32_e32 v54, 0
	v_mov_b32_e32 v58, 0
	v_mov_b32_e32 v59, 0
	s_waitcnt lgkmcnt(0)
	s_ashr_i32 s69, s68, 31
	s_cmp_gt_i32 s5, 1
	s_cselect_b64 s[66:67], -1, 0
	s_cmp_lt_i32 s5, 2
	s_cbranch_scc1 .LBB292_26
; %bb.25:
	v_lshl_add_u64 v[4:5], s[68:69], 3, v[72:73]
	flat_load_dwordx2 v[58:59], v[4:5]
.LBB292_26:
	s_cmp_gt_i32 s5, 2
	s_cselect_b64 s[62:63], -1, 0
	s_cmp_lt_i32 s5, 3
	v_mov_b32_e32 v55, 0
	s_cbranch_scc1 .LBB292_28
; %bb.27:
	v_lshl_add_u64 v[4:5], s[68:69], 4, v[72:73]
	flat_load_dwordx2 v[54:55], v[4:5]
.LBB292_28:
	s_cmp_gt_i32 s5, 3
	s_cselect_b64 s[60:61], -1, 0
	s_cmp_lt_i32 s5, 4
	v_mov_b32_e32 v62, 0
	v_mov_b32_e32 v70, 0
	v_mov_b32_e32 v71, 0
	s_cbranch_scc1 .LBB292_30
; %bb.29:
	v_mad_i64_i32 v[4:5], s[0:1], s68, 24, v[72:73]
	flat_load_dwordx2 v[70:71], v[4:5]
.LBB292_30:
	s_cmp_gt_i32 s5, 4
	s_cselect_b64 s[58:59], -1, 0
	s_cmp_lt_i32 s5, 5
	v_mov_b32_e32 v63, 0
	s_cbranch_scc1 .LBB292_32
; %bb.31:
	s_lshl_b64 s[0:1], s[68:69], 5
	v_lshl_add_u64 v[4:5], v[72:73], 0, s[0:1]
	flat_load_dwordx2 v[62:63], v[4:5]
.LBB292_32:
	s_cmp_gt_i32 s5, 5
	s_cselect_b64 s[56:57], -1, 0
	s_cmp_lt_i32 s5, 6
	v_mov_b32_e32 v60, 0
	v_mov_b32_e32 v68, 0
	v_mov_b32_e32 v69, 0
	s_cbranch_scc1 .LBB292_34
; %bb.33:
	v_mad_i64_i32 v[4:5], s[0:1], s68, 40, v[72:73]
	flat_load_dwordx2 v[68:69], v[4:5]
.LBB292_34:
	s_cmp_gt_i32 s5, 6
	s_cselect_b64 s[54:55], -1, 0
	s_cmp_lt_i32 s5, 7
	v_mov_b32_e32 v61, 0
	s_cbranch_scc1 .LBB292_36
; %bb.35:
	v_mad_i64_i32 v[4:5], s[0:1], s68, 48, v[72:73]
	flat_load_dwordx2 v[60:61], v[4:5]
.LBB292_36:
	s_cmp_gt_i32 s5, 7
	s_cselect_b64 s[52:53], -1, 0
	s_cmp_lt_i32 s5, 8
	v_mov_b32_e32 v52, 0
	v_mov_b32_e32 v66, 0
	v_mov_b32_e32 v67, 0
	s_cbranch_scc1 .LBB292_38
; %bb.37:
	v_mad_i64_i32 v[4:5], s[0:1], s68, 56, v[72:73]
	flat_load_dwordx2 v[66:67], v[4:5]
.LBB292_38:
	s_cmp_gt_i32 s5, 8
	s_cselect_b64 s[50:51], -1, 0
	s_cmp_lt_i32 s5, 9
	v_mov_b32_e32 v53, 0
	s_cbranch_scc1 .LBB292_40
; %bb.39:
	s_lshl_b64 s[0:1], s[68:69], 6
	v_lshl_add_u64 v[4:5], v[72:73], 0, s[0:1]
	flat_load_dwordx2 v[52:53], v[4:5]
.LBB292_40:
	s_cmp_gt_i32 s5, 9
	s_cselect_b64 s[48:49], -1, 0
	s_cmp_lt_i32 s5, 10
	v_mov_b32_e32 v48, 0
	v_mov_b32_e32 v64, 0
	v_mov_b32_e32 v65, 0
	s_cbranch_scc1 .LBB292_42
; %bb.41:
	v_mov_b32_e32 v4, 0x48
	v_mad_i64_i32 v[4:5], s[0:1], s68, v4, v[72:73]
	flat_load_dwordx2 v[64:65], v[4:5]
.LBB292_42:
	s_cmp_gt_i32 s5, 10
	s_cselect_b64 s[46:47], -1, 0
	s_cmp_lt_i32 s5, 11
	v_mov_b32_e32 v49, 0
	s_cbranch_scc1 .LBB292_44
; %bb.43:
	v_mov_b32_e32 v4, 0x50
	v_mad_i64_i32 v[4:5], s[0:1], s68, v4, v[72:73]
	flat_load_dwordx2 v[48:49], v[4:5]
.LBB292_44:
	s_cmp_gt_i32 s5, 11
	s_cselect_b64 s[44:45], -1, 0
	s_cmp_lt_i32 s5, 12
	v_mov_b32_e32 v42, 0
	v_mov_b32_e32 v56, 0
	v_mov_b32_e32 v57, 0
	s_cbranch_scc1 .LBB292_46
; %bb.45:
	v_mov_b32_e32 v4, 0x58
	v_mad_i64_i32 v[4:5], s[0:1], s68, v4, v[72:73]
	flat_load_dwordx2 v[56:57], v[4:5]
.LBB292_46:
	s_cmp_gt_i32 s5, 12
	s_cselect_b64 s[42:43], -1, 0
	s_cmp_lt_i32 s5, 13
	v_mov_b32_e32 v43, 0
	s_cbranch_scc1 .LBB292_48
; %bb.47:
	v_mov_b32_e32 v4, 0x60
	v_mad_i64_i32 v[4:5], s[0:1], s68, v4, v[72:73]
	flat_load_dwordx2 v[42:43], v[4:5]
.LBB292_48:
	s_cmp_gt_i32 s5, 13
	s_cselect_b64 s[40:41], -1, 0
	s_cmp_lt_i32 s5, 14
	v_mov_b32_e32 v38, 0
	v_mov_b32_e32 v50, 0
	v_mov_b32_e32 v51, 0
	s_cbranch_scc1 .LBB292_50
; %bb.49:
	v_mov_b32_e32 v4, 0x68
	v_mad_i64_i32 v[4:5], s[0:1], s68, v4, v[72:73]
	flat_load_dwordx2 v[50:51], v[4:5]
.LBB292_50:
	s_cmp_gt_i32 s5, 14
	s_cselect_b64 s[38:39], -1, 0
	s_cmp_lt_i32 s5, 15
	v_mov_b32_e32 v39, 0
	s_cbranch_scc1 .LBB292_52
; %bb.51:
	v_mov_b32_e32 v4, 0x70
	v_mad_i64_i32 v[4:5], s[0:1], s68, v4, v[72:73]
	flat_load_dwordx2 v[38:39], v[4:5]
.LBB292_52:
	s_cmp_gt_i32 s5, 15
	s_cselect_b64 s[36:37], -1, 0
	s_cmp_lt_i32 s5, 16
	v_mov_b32_e32 v34, 0
	v_mov_b32_e32 v46, 0
	;; [unrolled: 1-line block ×3, first 2 shown]
	s_cbranch_scc1 .LBB292_54
; %bb.53:
	v_mov_b32_e32 v4, 0x78
	v_mad_i64_i32 v[4:5], s[0:1], s68, v4, v[72:73]
	flat_load_dwordx2 v[46:47], v[4:5]
.LBB292_54:
	s_cmp_gt_i32 s5, 16
	s_cselect_b64 s[34:35], -1, 0
	s_cmp_lt_i32 s5, 17
	v_mov_b32_e32 v35, 0
	s_cbranch_scc1 .LBB292_56
; %bb.55:
	s_lshl_b64 s[0:1], s[68:69], 7
	v_lshl_add_u64 v[4:5], v[72:73], 0, s[0:1]
	flat_load_dwordx2 v[34:35], v[4:5]
.LBB292_56:
	s_cmp_gt_i32 s5, 17
	s_cselect_b64 s[30:31], -1, 0
	s_cmp_lt_i32 s5, 18
	v_mov_b32_e32 v30, 0
	v_mov_b32_e32 v44, 0
	v_mov_b32_e32 v45, 0
	s_cbranch_scc1 .LBB292_58
; %bb.57:
	v_mov_b32_e32 v4, 0x88
	v_mad_i64_i32 v[4:5], s[0:1], s68, v4, v[72:73]
	flat_load_dwordx2 v[44:45], v[4:5]
.LBB292_58:
	s_cmp_gt_i32 s5, 18
	s_cselect_b64 s[28:29], -1, 0
	s_cmp_lt_i32 s5, 19
	v_mov_b32_e32 v31, 0
	s_cbranch_scc1 .LBB292_60
; %bb.59:
	v_mov_b32_e32 v4, 0x90
	v_mad_i64_i32 v[4:5], s[0:1], s68, v4, v[72:73]
	flat_load_dwordx2 v[30:31], v[4:5]
.LBB292_60:
	s_cmp_gt_i32 s5, 19
	s_cselect_b64 s[26:27], -1, 0
	s_cmp_lt_i32 s5, 20
	v_mov_b32_e32 v24, 0
	v_mov_b32_e32 v40, 0
	v_mov_b32_e32 v41, 0
	s_cbranch_scc1 .LBB292_62
; %bb.61:
	v_mov_b32_e32 v4, 0x98
	v_mad_i64_i32 v[4:5], s[0:1], s68, v4, v[72:73]
	flat_load_dwordx2 v[40:41], v[4:5]
.LBB292_62:
	s_cmp_gt_i32 s5, 20
	s_cselect_b64 s[24:25], -1, 0
	s_cmp_lt_i32 s5, 21
	v_mov_b32_e32 v25, 0
	s_cbranch_scc1 .LBB292_64
; %bb.63:
	v_mov_b32_e32 v4, 0xa0
	v_mad_i64_i32 v[4:5], s[0:1], s68, v4, v[72:73]
	flat_load_dwordx2 v[24:25], v[4:5]
.LBB292_64:
	;; [unrolled: 22-line block ×7, first 2 shown]
	s_cmp_gt_i32 s5, 31
	s_cselect_b64 s[0:1], -1, 0
	s_cmp_lt_i32 s5, 32
	v_mov_b32_e32 v8, 0
	v_mov_b32_e32 v12, 0
	;; [unrolled: 1-line block ×3, first 2 shown]
	s_cbranch_scc1 .LBB292_86
; %bb.85:
	v_mov_b32_e32 v9, 0xf8
	v_mad_i64_i32 v[12:13], s[4:5], s68, v9, v[72:73]
	flat_load_dwordx2 v[12:13], v[12:13]
.LBB292_86:
	s_andn2_b64 vcc, exec, s[64:65]
	v_mov_b32_e32 v9, 0
	s_cbranch_vccnz .LBB292_88
; %bb.87:
	ds_read_b64 v[72:73], v75
	v_mov_b32_e32 v28, v33
	s_waitcnt lgkmcnt(0)
	v_pk_mul_f32 v[8:9], v[28:29], v[72:73]
	s_nop 0
	v_mov_b32_e32 v9, v8
	v_pk_fma_f32 v[8:9], v[28:29], v[72:73], v[8:9]
	s_nop 0
	v_mul_f32_e32 v8, v29, v72
	v_fma_f32 v8, -v33, v73, v8
.LBB292_88:
	s_andn2_b64 vcc, exec, s[66:67]
	v_mov_b32_e32 v28, 0
	v_mov_b32_e32 v32, 0
	v_mov_b32_e32 v33, 0
	s_cbranch_vccnz .LBB292_90
; %bb.89:
	ds_read_b64 v[72:73], v75 offset:8
	s_waitcnt vmcnt(0) lgkmcnt(0)
	v_mov_b32_e32 v32, v59
	v_mov_b32_e32 v33, v58
	v_pk_mul_f32 v[76:77], v[32:33], v[72:73]
	s_nop 0
	v_mov_b32_e32 v29, v76
	v_pk_fma_f32 v[32:33], v[32:33], v[72:73], v[28:29]
	v_mul_f32_e32 v29, v58, v72
	v_fma_f32 v32, -v59, v73, v29
.LBB292_90:
	s_andn2_b64 vcc, exec, s[62:63]
	v_mov_b32_e32 v29, 0
	s_cbranch_vccnz .LBB292_92
; %bb.91:
	ds_read_b64 v[28:29], v75 offset:16
	s_waitcnt vmcnt(0) lgkmcnt(0)
	v_mov_b32_e32 v58, v55
	v_pk_mul_f32 v[58:59], v[58:59], v[28:29] op_sel:[0,1] op_sel_hi:[0,0]
	v_pk_mul_f32 v[72:73], v[54:55], v[28:29] op_sel_hi:[0,1]
	v_pk_fma_f32 v[28:29], v[54:55], v[28:29], v[58:59] op_sel_hi:[0,1,1]
	v_sub_f32_e32 v28, v72, v58
.LBB292_92:
	s_andn2_b64 vcc, exec, s[60:61]
	s_waitcnt vmcnt(0) lgkmcnt(0)
	v_mov_b32_e32 v54, 0
	v_mov_b32_e32 v58, 0
	v_mov_b32_e32 v59, 0
	s_cbranch_vccnz .LBB292_94
; %bb.93:
	ds_read_b64 v[58:59], v75 offset:24
	v_mov_b32_e32 v72, v71
	s_waitcnt lgkmcnt(0)
	v_pk_mul_f32 v[72:73], v[72:73], v[58:59] op_sel_hi:[0,1]
	v_pk_mul_f32 v[76:77], v[70:71], v[58:59] op_sel_hi:[0,1]
	v_pk_fma_f32 v[58:59], v[70:71], v[58:59], v[72:73] op_sel:[0,0,1] op_sel_hi:[0,1,0]
	v_sub_f32_e32 v58, v76, v73
.LBB292_94:
	s_andn2_b64 vcc, exec, s[58:59]
	v_mov_b32_e32 v55, 0
	s_cbranch_vccnz .LBB292_96
; %bb.95:
	ds_read_b64 v[54:55], v75 offset:32
	v_mov_b32_e32 v70, v63
	s_waitcnt lgkmcnt(0)
	v_pk_mul_f32 v[70:71], v[70:71], v[54:55] op_sel_hi:[0,1]
	v_pk_mul_f32 v[72:73], v[62:63], v[54:55] op_sel_hi:[0,1]
	v_pk_fma_f32 v[54:55], v[62:63], v[54:55], v[70:71] op_sel:[0,0,1] op_sel_hi:[0,1,0]
	v_sub_f32_e32 v54, v72, v71
.LBB292_96:
	s_andn2_b64 vcc, exec, s[56:57]
	v_mov_b32_e32 v62, 0
	v_mov_b32_e32 v70, 0
	v_mov_b32_e32 v71, 0
	s_cbranch_vccnz .LBB292_98
; %bb.97:
	ds_read_b64 v[70:71], v75 offset:40
	v_mov_b32_e32 v72, v69
	s_waitcnt lgkmcnt(0)
	v_pk_mul_f32 v[72:73], v[72:73], v[70:71] op_sel_hi:[0,1]
	v_pk_mul_f32 v[76:77], v[68:69], v[70:71] op_sel_hi:[0,1]
	v_pk_fma_f32 v[70:71], v[68:69], v[70:71], v[72:73] op_sel:[0,0,1] op_sel_hi:[0,1,0]
	v_sub_f32_e32 v70, v76, v73
.LBB292_98:
	s_andn2_b64 vcc, exec, s[54:55]
	v_mov_b32_e32 v63, 0
	s_cbranch_vccnz .LBB292_100
; %bb.99:
	ds_read_b64 v[62:63], v75 offset:48
	v_mov_b32_e32 v68, v61
	s_waitcnt lgkmcnt(0)
	v_pk_mul_f32 v[68:69], v[68:69], v[62:63] op_sel_hi:[0,1]
	v_pk_mul_f32 v[72:73], v[60:61], v[62:63] op_sel_hi:[0,1]
	v_pk_fma_f32 v[62:63], v[60:61], v[62:63], v[68:69] op_sel:[0,0,1] op_sel_hi:[0,1,0]
	v_sub_f32_e32 v62, v72, v69
.LBB292_100:
	s_andn2_b64 vcc, exec, s[52:53]
	;; [unrolled: 26-line block ×3, first 2 shown]
	v_mov_b32_e32 v53, 0
	v_mov_b32_e32 v66, 0
	;; [unrolled: 1-line block ×3, first 2 shown]
	s_cbranch_vccnz .LBB292_106
; %bb.105:
	ds_read_b64 v[66:67], v75 offset:72
	v_mov_b32_e32 v52, v65
	s_waitcnt lgkmcnt(0)
	v_pk_mul_f32 v[72:73], v[52:53], v[66:67] op_sel_hi:[0,1]
	v_pk_mul_f32 v[76:77], v[64:65], v[66:67] op_sel_hi:[0,1]
	v_pk_fma_f32 v[66:67], v[64:65], v[66:67], v[72:73] op_sel:[0,0,1] op_sel_hi:[0,1,0]
	v_sub_f32_e32 v66, v76, v73
.LBB292_106:
	s_andn2_b64 vcc, exec, s[46:47]
	v_mov_b32_e32 v52, 0
	s_cbranch_vccnz .LBB292_108
; %bb.107:
	ds_read_b64 v[52:53], v75 offset:80
	v_mov_b32_e32 v64, v49
	v_mov_b32_e32 v65, v48
	s_waitcnt lgkmcnt(0)
	v_mul_f32_e32 v48, v48, v52
	v_pk_mul_f32 v[64:65], v[64:65], v[52:53]
	v_fma_f32 v52, -v49, v53, v48
	v_add_f32_e32 v53, v64, v65
.LBB292_108:
	s_andn2_b64 vcc, exec, s[44:45]
	v_mov_b32_e32 v48, 0
	v_mov_b32_e32 v64, 0
	;; [unrolled: 1-line block ×3, first 2 shown]
	s_cbranch_vccnz .LBB292_110
; %bb.109:
	ds_read_b64 v[72:73], v75 offset:88
	v_mov_b32_e32 v64, v57
	v_mov_b32_e32 v65, v56
	s_waitcnt lgkmcnt(0)
	v_pk_mul_f32 v[76:77], v[64:65], v[72:73]
	s_nop 0
	v_mov_b32_e32 v49, v76
	v_pk_fma_f32 v[64:65], v[64:65], v[72:73], v[48:49]
	v_mul_f32_e32 v49, v56, v72
	v_fma_f32 v64, -v57, v73, v49
.LBB292_110:
	s_andn2_b64 vcc, exec, s[42:43]
	v_mov_b32_e32 v49, 0
	s_cbranch_vccnz .LBB292_112
; %bb.111:
	ds_read_b64 v[56:57], v75 offset:96
	v_mov_b32_e32 v48, v43
	v_mov_b32_e32 v49, v42
	s_waitcnt lgkmcnt(0)
	v_pk_mul_f32 v[72:73], v[48:49], v[56:57]
	s_nop 0
	v_mov_b32_e32 v73, v72
	v_pk_fma_f32 v[48:49], v[48:49], v[56:57], v[72:73]
	v_mul_f32_e32 v42, v42, v56
	v_fma_f32 v48, -v43, v57, v42
.LBB292_112:
	s_andn2_b64 vcc, exec, s[40:41]
	v_mov_b32_e32 v42, 0
	v_mov_b32_e32 v56, 0
	;; [unrolled: 1-line block ×3, first 2 shown]
	s_cbranch_vccnz .LBB292_114
; %bb.113:
	ds_read_b64 v[56:57], v75 offset:104
	v_mov_b32_e32 v72, v51
	s_waitcnt lgkmcnt(0)
	v_pk_mul_f32 v[72:73], v[72:73], v[56:57] op_sel:[0,1] op_sel_hi:[0,0]
	v_pk_mul_f32 v[76:77], v[50:51], v[56:57] op_sel_hi:[0,1]
	v_pk_fma_f32 v[56:57], v[50:51], v[56:57], v[72:73] op_sel_hi:[0,1,1]
	v_sub_f32_e32 v56, v76, v72
.LBB292_114:
	s_andn2_b64 vcc, exec, s[38:39]
	v_mov_b32_e32 v43, 0
	s_cbranch_vccnz .LBB292_116
; %bb.115:
	ds_read_b64 v[42:43], v75 offset:112
	v_mov_b32_e32 v50, v39
	s_waitcnt lgkmcnt(0)
	v_pk_mul_f32 v[50:51], v[50:51], v[42:43] op_sel_hi:[0,1]
	v_pk_mul_f32 v[72:73], v[38:39], v[42:43] op_sel_hi:[0,1]
	v_pk_fma_f32 v[42:43], v[38:39], v[42:43], v[50:51] op_sel:[0,0,1] op_sel_hi:[0,1,0]
	v_sub_f32_e32 v42, v72, v51
.LBB292_116:
	s_andn2_b64 vcc, exec, s[36:37]
	v_mov_b32_e32 v38, 0
	v_mov_b32_e32 v50, 0
	v_mov_b32_e32 v51, 0
	s_cbranch_vccnz .LBB292_118
; %bb.117:
	ds_read_b64 v[50:51], v75 offset:120
	v_mov_b32_e32 v72, v47
	s_waitcnt lgkmcnt(0)
	v_pk_mul_f32 v[72:73], v[72:73], v[50:51] op_sel_hi:[0,1]
	v_pk_mul_f32 v[76:77], v[46:47], v[50:51] op_sel_hi:[0,1]
	v_pk_fma_f32 v[50:51], v[46:47], v[50:51], v[72:73] op_sel:[0,0,1] op_sel_hi:[0,1,0]
	v_sub_f32_e32 v50, v76, v73
.LBB292_118:
	s_andn2_b64 vcc, exec, s[34:35]
	v_mov_b32_e32 v39, 0
	s_cbranch_vccnz .LBB292_120
; %bb.119:
	ds_read_b64 v[38:39], v75 offset:128
	v_mov_b32_e32 v46, v35
	s_waitcnt lgkmcnt(0)
	v_pk_mul_f32 v[46:47], v[46:47], v[38:39] op_sel_hi:[0,1]
	v_pk_mul_f32 v[72:73], v[34:35], v[38:39] op_sel_hi:[0,1]
	v_pk_fma_f32 v[38:39], v[34:35], v[38:39], v[46:47] op_sel:[0,0,1] op_sel_hi:[0,1,0]
	v_sub_f32_e32 v38, v72, v47
.LBB292_120:
	s_andn2_b64 vcc, exec, s[30:31]
	v_mov_b32_e32 v34, 0
	v_mov_b32_e32 v46, 0
	v_mov_b32_e32 v47, 0
	s_cbranch_vccnz .LBB292_122
; %bb.121:
	ds_read_b64 v[46:47], v75 offset:136
	v_mov_b32_e32 v72, v45
	s_waitcnt lgkmcnt(0)
	v_pk_mul_f32 v[72:73], v[72:73], v[46:47] op_sel_hi:[0,1]
	v_pk_mul_f32 v[76:77], v[44:45], v[46:47] op_sel_hi:[0,1]
	v_pk_fma_f32 v[46:47], v[44:45], v[46:47], v[72:73] op_sel:[0,0,1] op_sel_hi:[0,1,0]
	v_sub_f32_e32 v46, v76, v73
.LBB292_122:
	;; [unrolled: 26-line block ×3, first 2 shown]
	s_andn2_b64 vcc, exec, s[24:25]
	v_mov_b32_e32 v31, 0
	s_cbranch_vccnz .LBB292_128
; %bb.127:
	ds_read_b64 v[30:31], v75 offset:160
	v_mov_b32_e32 v40, v25
	s_waitcnt lgkmcnt(0)
	v_pk_mul_f32 v[40:41], v[40:41], v[30:31] op_sel_hi:[0,1]
	v_pk_mul_f32 v[72:73], v[24:25], v[30:31] op_sel_hi:[0,1]
	v_pk_fma_f32 v[30:31], v[24:25], v[30:31], v[40:41] op_sel:[0,0,1] op_sel_hi:[0,1,0]
	v_sub_f32_e32 v30, v72, v41
.LBB292_128:
	s_andn2_b64 vcc, exec, s[22:23]
	v_mov_b32_e32 v24, 0
	v_mov_b32_e32 v41, 0
	;; [unrolled: 1-line block ×3, first 2 shown]
	s_cbranch_vccnz .LBB292_130
; %bb.129:
	ds_read_b64 v[40:41], v75 offset:168
	v_mov_b32_e32 v72, v37
	v_mov_b32_e32 v73, v36
	s_waitcnt lgkmcnt(0)
	v_mul_f32_e32 v25, v36, v40
	v_pk_mul_f32 v[72:73], v[72:73], v[40:41]
	v_fma_f32 v40, -v37, v41, v25
	v_add_f32_e32 v41, v72, v73
.LBB292_130:
	s_andn2_b64 vcc, exec, s[20:21]
	v_mov_b32_e32 v25, 0
	s_cbranch_vccnz .LBB292_132
; %bb.131:
	ds_read_b64 v[36:37], v75 offset:176
	v_mov_b32_e32 v24, v19
	v_mov_b32_e32 v25, v18
	s_waitcnt lgkmcnt(0)
	v_pk_mul_f32 v[72:73], v[24:25], v[36:37]
	s_nop 0
	v_mov_b32_e32 v73, v72
	v_pk_fma_f32 v[24:25], v[24:25], v[36:37], v[72:73]
	v_mul_f32_e32 v18, v18, v36
	v_fma_f32 v24, -v19, v37, v18
.LBB292_132:
	s_andn2_b64 vcc, exec, s[18:19]
	v_mov_b32_e32 v18, 0
	v_mov_b32_e32 v36, 0
	v_mov_b32_e32 v37, 0
	s_cbranch_vccnz .LBB292_134
; %bb.133:
	ds_read_b64 v[72:73], v75 offset:184
	v_mov_b32_e32 v36, v27
	v_mov_b32_e32 v37, v26
	s_waitcnt lgkmcnt(0)
	v_pk_mul_f32 v[76:77], v[36:37], v[72:73]
	s_nop 0
	v_mov_b32_e32 v19, v76
	v_pk_fma_f32 v[36:37], v[36:37], v[72:73], v[18:19]
	v_mul_f32_e32 v19, v26, v72
	v_fma_f32 v36, -v27, v73, v19
.LBB292_134:
	s_andn2_b64 vcc, exec, s[16:17]
	v_mov_b32_e32 v19, 0
	s_cbranch_vccnz .LBB292_136
; %bb.135:
	ds_read_b64 v[18:19], v75 offset:192
	v_mov_b32_e32 v26, v15
	s_waitcnt lgkmcnt(0)
	v_pk_mul_f32 v[26:27], v[26:27], v[18:19] op_sel:[0,1] op_sel_hi:[0,0]
	v_pk_mul_f32 v[72:73], v[14:15], v[18:19] op_sel_hi:[0,1]
	v_pk_fma_f32 v[18:19], v[14:15], v[18:19], v[26:27] op_sel_hi:[0,1,1]
	v_sub_f32_e32 v18, v72, v26
.LBB292_136:
	s_andn2_b64 vcc, exec, s[14:15]
	v_mov_b32_e32 v14, 0
	v_mov_b32_e32 v26, 0
	;; [unrolled: 1-line block ×3, first 2 shown]
	s_cbranch_vccnz .LBB292_138
; %bb.137:
	ds_read_b64 v[26:27], v75 offset:200
	v_mov_b32_e32 v72, v23
	s_waitcnt lgkmcnt(0)
	v_pk_mul_f32 v[72:73], v[72:73], v[26:27] op_sel_hi:[0,1]
	v_pk_mul_f32 v[76:77], v[22:23], v[26:27] op_sel_hi:[0,1]
	v_pk_fma_f32 v[26:27], v[22:23], v[26:27], v[72:73] op_sel:[0,0,1] op_sel_hi:[0,1,0]
	v_sub_f32_e32 v26, v76, v73
.LBB292_138:
	s_andn2_b64 vcc, exec, s[12:13]
	v_mov_b32_e32 v15, 0
	s_cbranch_vccnz .LBB292_140
; %bb.139:
	ds_read_b64 v[14:15], v75 offset:208
	v_mov_b32_e32 v22, v11
	s_waitcnt lgkmcnt(0)
	v_pk_mul_f32 v[22:23], v[22:23], v[14:15] op_sel_hi:[0,1]
	v_pk_mul_f32 v[72:73], v[10:11], v[14:15] op_sel_hi:[0,1]
	v_pk_fma_f32 v[14:15], v[10:11], v[14:15], v[22:23] op_sel:[0,0,1] op_sel_hi:[0,1,0]
	v_sub_f32_e32 v14, v72, v23
.LBB292_140:
	s_andn2_b64 vcc, exec, s[10:11]
	v_mov_b32_e32 v10, 0
	v_mov_b32_e32 v22, 0
	v_mov_b32_e32 v23, 0
	s_cbranch_vccnz .LBB292_142
; %bb.141:
	ds_read_b64 v[22:23], v75 offset:216
	v_mov_b32_e32 v72, v21
	s_waitcnt lgkmcnt(0)
	v_pk_mul_f32 v[72:73], v[72:73], v[22:23] op_sel_hi:[0,1]
	v_pk_mul_f32 v[76:77], v[20:21], v[22:23] op_sel_hi:[0,1]
	v_pk_fma_f32 v[22:23], v[20:21], v[22:23], v[72:73] op_sel:[0,0,1] op_sel_hi:[0,1,0]
	v_sub_f32_e32 v22, v76, v73
.LBB292_142:
	s_andn2_b64 vcc, exec, s[8:9]
	v_mov_b32_e32 v11, 0
	s_cbranch_vccnz .LBB292_144
; %bb.143:
	ds_read_b64 v[10:11], v75 offset:224
	v_mov_b32_e32 v20, v7
	s_waitcnt lgkmcnt(0)
	v_pk_mul_f32 v[20:21], v[20:21], v[10:11] op_sel_hi:[0,1]
	v_pk_mul_f32 v[72:73], v[6:7], v[10:11] op_sel_hi:[0,1]
	v_pk_fma_f32 v[10:11], v[6:7], v[10:11], v[20:21] op_sel:[0,0,1] op_sel_hi:[0,1,0]
	v_sub_f32_e32 v10, v72, v21
.LBB292_144:
	s_andn2_b64 vcc, exec, s[6:7]
	v_mov_b32_e32 v6, 0
	v_mov_b32_e32 v20, 0
	;; [unrolled: 1-line block ×3, first 2 shown]
	s_cbranch_vccz .LBB292_150
; %bb.145:
	s_andn2_b64 vcc, exec, s[2:3]
	v_mov_b32_e32 v7, 0
	s_cbranch_vccz .LBB292_151
.LBB292_146:
	s_andn2_b64 vcc, exec, s[0:1]
	v_mov_b32_e32 v4, 0
	v_mov_b32_e32 v5, 0
	s_cbranch_vccnz .LBB292_148
.LBB292_147:
	ds_read_b64 v[4:5], v75 offset:248
	v_mov_b32_e32 v16, v13
	s_waitcnt lgkmcnt(0)
	v_pk_mul_f32 v[16:17], v[16:17], v[4:5] op_sel_hi:[0,1]
	v_pk_mul_f32 v[72:73], v[12:13], v[4:5] op_sel_hi:[0,1]
	v_pk_fma_f32 v[4:5], v[12:13], v[4:5], v[16:17] op_sel:[0,0,1] op_sel_hi:[0,1,0]
	v_sub_f32_e32 v4, v72, v17
.LBB292_148:
	v_pk_add_f32 v[0:1], v[0:1], v[8:9]
	s_nop 0
	v_pk_add_f32 v[0:1], v[0:1], v[32:33]
	s_nop 0
	;; [unrolled: 2-line block ×31, first 2 shown]
	v_pk_add_f32 v[0:1], v[0:1], v[4:5]
	v_mad_i64_i32 v[4:5], s[0:1], s33, v74, 0
	v_lshl_add_u64 v[2:3], v[4:5], 3, v[2:3]
	global_store_dwordx2 v[2:3], v[0:1], off
.LBB292_149:
	s_endpgm
.LBB292_150:
	ds_read_b64 v[20:21], v75 offset:232
	v_mov_b32_e32 v72, v17
	s_waitcnt lgkmcnt(0)
	v_pk_mul_f32 v[72:73], v[72:73], v[20:21] op_sel_hi:[0,1]
	v_pk_mul_f32 v[76:77], v[16:17], v[20:21] op_sel_hi:[0,1]
	v_pk_fma_f32 v[20:21], v[16:17], v[20:21], v[72:73] op_sel:[0,0,1] op_sel_hi:[0,1,0]
	v_sub_f32_e32 v20, v76, v73
	s_andn2_b64 vcc, exec, s[2:3]
	v_mov_b32_e32 v7, 0
	s_cbranch_vccnz .LBB292_146
.LBB292_151:
	ds_read_b64 v[6:7], v75 offset:240
	v_mov_b32_e32 v16, v5
	s_waitcnt lgkmcnt(0)
	v_pk_mul_f32 v[16:17], v[16:17], v[6:7] op_sel_hi:[0,1]
	v_pk_mul_f32 v[72:73], v[4:5], v[6:7] op_sel_hi:[0,1]
	v_pk_fma_f32 v[6:7], v[4:5], v[6:7], v[16:17] op_sel:[0,0,1] op_sel_hi:[0,1,0]
	v_sub_f32_e32 v6, v72, v17
	s_andn2_b64 vcc, exec, s[0:1]
	v_mov_b32_e32 v4, 0
	v_mov_b32_e32 v5, 0
	s_cbranch_vccz .LBB292_147
	s_branch .LBB292_148
	.section	.rodata,"a",@progbits
	.p2align	6, 0x0
	.amdhsa_kernel _ZL34rocblas_gemvn_sm_mn_batched_kernelILi32ELi24EPK19rocblas_complex_numIfES3_KPS1_EviiT2_lPKT1_lilS9_lilS6_lPT3_lili
		.amdhsa_group_segment_fixed_size 6144
		.amdhsa_private_segment_fixed_size 0
		.amdhsa_kernarg_size 400
		.amdhsa_user_sgpr_count 2
		.amdhsa_user_sgpr_dispatch_ptr 0
		.amdhsa_user_sgpr_queue_ptr 0
		.amdhsa_user_sgpr_kernarg_segment_ptr 1
		.amdhsa_user_sgpr_dispatch_id 0
		.amdhsa_user_sgpr_kernarg_preload_length 0
		.amdhsa_user_sgpr_kernarg_preload_offset 0
		.amdhsa_user_sgpr_private_segment_size 0
		.amdhsa_uses_dynamic_stack 0
		.amdhsa_enable_private_segment 0
		.amdhsa_system_sgpr_workgroup_id_x 1
		.amdhsa_system_sgpr_workgroup_id_y 0
		.amdhsa_system_sgpr_workgroup_id_z 0
		.amdhsa_system_sgpr_workgroup_info 0
		.amdhsa_system_vgpr_workitem_id 1
		.amdhsa_next_free_vgpr 78
		.amdhsa_next_free_sgpr 70
		.amdhsa_accum_offset 80
		.amdhsa_reserve_vcc 1
		.amdhsa_float_round_mode_32 0
		.amdhsa_float_round_mode_16_64 0
		.amdhsa_float_denorm_mode_32 3
		.amdhsa_float_denorm_mode_16_64 3
		.amdhsa_dx10_clamp 1
		.amdhsa_ieee_mode 1
		.amdhsa_fp16_overflow 0
		.amdhsa_tg_split 0
		.amdhsa_exception_fp_ieee_invalid_op 0
		.amdhsa_exception_fp_denorm_src 0
		.amdhsa_exception_fp_ieee_div_zero 0
		.amdhsa_exception_fp_ieee_overflow 0
		.amdhsa_exception_fp_ieee_underflow 0
		.amdhsa_exception_fp_ieee_inexact 0
		.amdhsa_exception_int_div_zero 0
	.end_amdhsa_kernel
	.section	.text._ZL34rocblas_gemvn_sm_mn_batched_kernelILi32ELi24EPK19rocblas_complex_numIfES3_KPS1_EviiT2_lPKT1_lilS9_lilS6_lPT3_lili,"axG",@progbits,_ZL34rocblas_gemvn_sm_mn_batched_kernelILi32ELi24EPK19rocblas_complex_numIfES3_KPS1_EviiT2_lPKT1_lilS9_lilS6_lPT3_lili,comdat
.Lfunc_end292:
	.size	_ZL34rocblas_gemvn_sm_mn_batched_kernelILi32ELi24EPK19rocblas_complex_numIfES3_KPS1_EviiT2_lPKT1_lilS9_lilS6_lPT3_lili, .Lfunc_end292-_ZL34rocblas_gemvn_sm_mn_batched_kernelILi32ELi24EPK19rocblas_complex_numIfES3_KPS1_EviiT2_lPKT1_lilS9_lilS6_lPT3_lili
                                        ; -- End function
	.section	.AMDGPU.csdata,"",@progbits
; Kernel info:
; codeLenInByte = 4760
; NumSgprs: 76
; NumVgprs: 78
; NumAgprs: 0
; TotalNumVgprs: 78
; ScratchSize: 0
; MemoryBound: 0
; FloatMode: 240
; IeeeMode: 1
; LDSByteSize: 6144 bytes/workgroup (compile time only)
; SGPRBlocks: 9
; VGPRBlocks: 9
; NumSGPRsForWavesPerEU: 76
; NumVGPRsForWavesPerEU: 78
; AccumOffset: 80
; Occupancy: 6
; WaveLimiterHint : 1
; COMPUTE_PGM_RSRC2:SCRATCH_EN: 0
; COMPUTE_PGM_RSRC2:USER_SGPR: 2
; COMPUTE_PGM_RSRC2:TRAP_HANDLER: 0
; COMPUTE_PGM_RSRC2:TGID_X_EN: 1
; COMPUTE_PGM_RSRC2:TGID_Y_EN: 0
; COMPUTE_PGM_RSRC2:TGID_Z_EN: 0
; COMPUTE_PGM_RSRC2:TIDIG_COMP_CNT: 1
; COMPUTE_PGM_RSRC3_GFX90A:ACCUM_OFFSET: 19
; COMPUTE_PGM_RSRC3_GFX90A:TG_SPLIT: 0
	.section	.text._ZL34rocblas_gemvn_sm_mn_batched_kernelILi32ELi24EPK19rocblas_complex_numIfES1_KPS1_EviiT2_lPKT1_lilS9_lilS6_lPT3_lili,"axG",@progbits,_ZL34rocblas_gemvn_sm_mn_batched_kernelILi32ELi24EPK19rocblas_complex_numIfES1_KPS1_EviiT2_lPKT1_lilS9_lilS6_lPT3_lili,comdat
	.globl	_ZL34rocblas_gemvn_sm_mn_batched_kernelILi32ELi24EPK19rocblas_complex_numIfES1_KPS1_EviiT2_lPKT1_lilS9_lilS6_lPT3_lili ; -- Begin function _ZL34rocblas_gemvn_sm_mn_batched_kernelILi32ELi24EPK19rocblas_complex_numIfES1_KPS1_EviiT2_lPKT1_lilS9_lilS6_lPT3_lili
	.p2align	8
	.type	_ZL34rocblas_gemvn_sm_mn_batched_kernelILi32ELi24EPK19rocblas_complex_numIfES1_KPS1_EviiT2_lPKT1_lilS9_lilS6_lPT3_lili,@function
_ZL34rocblas_gemvn_sm_mn_batched_kernelILi32ELi24EPK19rocblas_complex_numIfES1_KPS1_EviiT2_lPKT1_lilS9_lilS6_lPT3_lili: ; @_ZL34rocblas_gemvn_sm_mn_batched_kernelILi32ELi24EPK19rocblas_complex_numIfES1_KPS1_EviiT2_lPKT1_lilS9_lilS6_lPT3_lili
; %bb.0:
	s_load_dword s3, s[0:1], 0x9c
	s_load_dword s4, s[0:1], 0x88
	v_bfe_u32 v8, v0, 10, 10
	s_waitcnt lgkmcnt(0)
	s_lshr_b32 s3, s3, 16
	s_mul_i32 s2, s2, s3
	v_add_u32_e32 v6, s2, v8
	v_cmp_gt_i32_e32 vcc, s4, v6
	s_and_saveexec_b64 s[2:3], vcc
	s_cbranch_execz .LBB293_151
; %bb.1:
	s_load_dwordx4 s[4:7], s[0:1], 0x0
	s_load_dwordx2 s[8:9], s[0:1], 0x58
	s_waitcnt lgkmcnt(0)
	v_cmp_eq_f32_e64 s[2:3], s6, 0
	v_cmp_eq_f32_e64 s[10:11], s7, 0
	v_cmp_eq_f32_e64 s[12:13], s8, 1.0
	v_cmp_eq_f32_e64 s[14:15], s9, 0
	s_and_b64 s[2:3], s[2:3], s[10:11]
	s_and_b64 s[10:11], s[12:13], s[14:15]
	;; [unrolled: 1-line block ×3, first 2 shown]
	s_and_b64 vcc, exec, s[2:3]
	s_cbranch_vccnz .LBB293_151
; %bb.2:
	s_or_b32 s2, s6, s7
	s_bitset0_b32 s2, 31
	s_cmp_lg_u32 s2, 0
	s_cselect_b64 s[10:11], -1, 0
	s_cmp_eq_u32 s2, 0
	s_cselect_b64 s[2:3], -1, 0
	s_and_b64 vcc, exec, s[10:11]
	s_cbranch_vccnz .LBB293_4
; %bb.3:
	v_mov_b32_e32 v7, 0
	s_mov_b64 s[14:15], 0
	v_mov_b64_e32 v[4:5], s[14:15]
	s_cbranch_execz .LBB293_5
	s_branch .LBB293_6
.LBB293_4:
                                        ; implicit-def: $sgpr14_sgpr15
	v_mov_b64_e32 v[4:5], s[14:15]
.LBB293_5:
	s_load_dwordx4 s[12:15], s[0:1], 0x18
	v_mov_b32_e32 v7, 0
	s_waitcnt lgkmcnt(0)
	v_mov_b32_e32 v2, s12
	v_mov_b32_e32 v3, s13
	v_lshl_add_u64 v[2:3], v[6:7], 3, v[2:3]
	global_load_dwordx2 v[2:3], v[2:3], off
	s_waitcnt vmcnt(0)
	v_lshl_add_u64 v[4:5], s[14:15], 3, v[2:3]
.LBB293_6:
	s_andn2_b64 vcc, exec, s[10:11]
	v_mov_b64_e32 v[2:3], 0
	s_cbranch_vccnz .LBB293_8
; %bb.7:
	s_load_dwordx4 s[12:15], s[0:1], 0x38
	s_waitcnt lgkmcnt(0)
	v_mov_b32_e32 v2, s12
	v_mov_b32_e32 v3, s13
	v_lshl_add_u64 v[2:3], v[6:7], 3, v[2:3]
	global_load_dwordx2 v[2:3], v[2:3], off
	s_waitcnt vmcnt(0)
	v_lshl_add_u64 v[2:3], s[14:15], 3, v[2:3]
.LBB293_8:
	s_load_dwordx4 s[12:15], s[0:1], 0x68
	s_load_dword s33, s[0:1], 0x78
	v_and_b32_e32 v74, 0x3ff, v0
	s_mov_b64 s[10:11], -1
	s_andn2_b64 vcc, exec, s[2:3]
	s_waitcnt lgkmcnt(0)
	v_mov_b32_e32 v10, s12
	v_mov_b32_e32 v11, s13
	v_lshl_add_u64 v[6:7], v[6:7], 3, v[10:11]
	global_load_dwordx2 v[6:7], v[6:7], off
	v_cmp_gt_i32_e64 s[2:3], s4, v74
	s_waitcnt vmcnt(0)
	v_lshl_add_u64 v[0:1], s[14:15], 3, v[6:7]
	s_cbranch_vccnz .LBB293_18
; %bb.9:
	v_cmp_neq_f32_e64 s[10:11], s8, 0
	v_cmp_neq_f32_e64 s[12:13], s9, 0
	s_or_b64 s[10:11], s[10:11], s[12:13]
	s_andn2_b64 vcc, exec, s[10:11]
	s_mov_b64 s[10:11], -1
	s_cbranch_vccz .LBB293_13
; %bb.10:
	s_and_saveexec_b64 s[10:11], s[2:3]
	s_cbranch_execz .LBB293_12
; %bb.11:
	v_mad_i64_i32 v[6:7], s[12:13], s33, v74, 0
	v_mov_b32_e32 v10, 0
	v_lshl_add_u64 v[6:7], v[6:7], 3, v[0:1]
	v_mov_b32_e32 v11, v10
	global_store_dwordx2 v[6:7], v[10:11], off
.LBB293_12:
	s_or_b64 exec, exec, s[10:11]
	s_mov_b64 s[10:11], 0
.LBB293_13:
	s_andn2_b64 vcc, exec, s[10:11]
	s_cbranch_vccnz .LBB293_17
; %bb.14:
	s_and_saveexec_b64 s[10:11], s[2:3]
	s_cbranch_execz .LBB293_16
; %bb.15:
	v_mad_i64_i32 v[6:7], s[2:3], s33, v74, 0
	v_lshl_add_u64 v[6:7], v[6:7], 3, v[0:1]
	global_load_dwordx2 v[10:11], v[6:7], off
	s_waitcnt vmcnt(0)
	v_mul_f32_e32 v9, s9, v11
	v_mul_f32_e32 v13, s8, v11
	v_fma_f32 v12, s8, v10, -v9
	v_fmac_f32_e32 v13, s9, v10
	global_store_dwordx2 v[6:7], v[12:13], off
.LBB293_16:
	s_or_b64 exec, exec, s[10:11]
.LBB293_17:
	s_mov_b64 s[10:11], 0
.LBB293_18:
	s_andn2_b64 vcc, exec, s[10:11]
	s_cbranch_vccnz .LBB293_151
; %bb.19:
	v_lshlrev_b32_e32 v75, 8, v8
	v_cmp_gt_i32_e32 vcc, s5, v74
	s_and_saveexec_b64 s[2:3], vcc
	s_cbranch_execz .LBB293_21
; %bb.20:
	s_load_dword s10, s[0:1], 0x48
	s_waitcnt lgkmcnt(0)
	v_mad_i64_i32 v[6:7], s[10:11], s10, v74, 0
	v_lshl_add_u64 v[2:3], v[6:7], 3, v[2:3]
	flat_load_dwordx2 v[2:3], v[2:3]
	s_waitcnt vmcnt(0) lgkmcnt(0)
	v_mul_f32_e32 v6, s7, v3
	v_mul_f32_e32 v7, s6, v3
	v_fma_f32 v6, v2, s6, -v6
	v_fmac_f32_e32 v7, s7, v2
	v_lshl_add_u32 v2, v74, 3, v75
	ds_write_b64 v2, v[6:7]
.LBB293_21:
	s_or_b64 exec, exec, s[2:3]
	v_cmp_gt_i32_e32 vcc, s4, v74
	s_waitcnt lgkmcnt(0)
	s_barrier
	s_and_b64 exec, exec, vcc
	s_cbranch_execz .LBB293_151
; %bb.22:
	v_cmp_neq_f32_e64 s[2:3], s8, 0
	v_cmp_neq_f32_e64 s[6:7], s9, 0
	s_or_b64 s[2:3], s[2:3], s[6:7]
	v_mov_b32_e32 v2, 0
	v_mov_b32_e32 v29, 0
	s_andn2_b64 vcc, exec, s[2:3]
	v_mov_b32_e32 v3, 0
	s_cbranch_vccnz .LBB293_24
; %bb.23:
	v_mad_i64_i32 v[2:3], s[2:3], s33, v74, 0
	v_lshl_add_u64 v[2:3], v[2:3], 3, v[0:1]
	global_load_dwordx2 v[6:7], v[2:3], off
	s_waitcnt vmcnt(0)
	v_pk_mul_f32 v[2:3], s[8:9], v[6:7] op_sel:[1,0] op_sel_hi:[0,1]
	v_mov_b32_e32 v3, v2
	v_pk_fma_f32 v[2:3], s[8:9], v[6:7], v[2:3] op_sel:[1,0,0] op_sel_hi:[0,1,1]
	v_mul_f32_e32 v2, s8, v6
	v_fma_f32 v2, -s9, v7, v2
.LBB293_24:
	v_lshlrev_b32_e32 v28, 3, v74
	s_cmp_gt_i32 s5, 0
	v_lshl_add_u64 v[72:73], v[4:5], 0, v[28:29]
	s_cselect_b64 s[64:65], -1, 0
	s_cmp_lt_i32 s5, 1
	v_mov_b32_e32 v33, 0
	s_cbranch_scc1 .LBB293_26
; %bb.25:
	flat_load_dwordx2 v[32:33], v[72:73]
	s_waitcnt vmcnt(0) lgkmcnt(0)
	v_mov_b32_e32 v29, v32
.LBB293_26:
	s_load_dword s68, s[0:1], 0x28
	v_mov_b32_e32 v54, 0
	v_mov_b32_e32 v58, 0
	;; [unrolled: 1-line block ×3, first 2 shown]
	s_waitcnt lgkmcnt(0)
	s_ashr_i32 s69, s68, 31
	s_cmp_gt_i32 s5, 1
	s_cselect_b64 s[66:67], -1, 0
	s_cmp_lt_i32 s5, 2
	s_cbranch_scc1 .LBB293_28
; %bb.27:
	v_lshl_add_u64 v[4:5], s[68:69], 3, v[72:73]
	flat_load_dwordx2 v[58:59], v[4:5]
.LBB293_28:
	s_cmp_gt_i32 s5, 2
	s_cselect_b64 s[62:63], -1, 0
	s_cmp_lt_i32 s5, 3
	v_mov_b32_e32 v55, 0
	s_cbranch_scc1 .LBB293_30
; %bb.29:
	v_lshl_add_u64 v[4:5], s[68:69], 4, v[72:73]
	flat_load_dwordx2 v[54:55], v[4:5]
.LBB293_30:
	s_cmp_gt_i32 s5, 3
	s_cselect_b64 s[60:61], -1, 0
	s_cmp_lt_i32 s5, 4
	v_mov_b32_e32 v62, 0
	v_mov_b32_e32 v70, 0
	;; [unrolled: 1-line block ×3, first 2 shown]
	s_cbranch_scc1 .LBB293_32
; %bb.31:
	v_mad_i64_i32 v[4:5], s[0:1], s68, 24, v[72:73]
	flat_load_dwordx2 v[70:71], v[4:5]
.LBB293_32:
	s_cmp_gt_i32 s5, 4
	s_cselect_b64 s[58:59], -1, 0
	s_cmp_lt_i32 s5, 5
	v_mov_b32_e32 v63, 0
	s_cbranch_scc1 .LBB293_34
; %bb.33:
	s_lshl_b64 s[0:1], s[68:69], 5
	v_lshl_add_u64 v[4:5], v[72:73], 0, s[0:1]
	flat_load_dwordx2 v[62:63], v[4:5]
.LBB293_34:
	s_cmp_gt_i32 s5, 5
	s_cselect_b64 s[56:57], -1, 0
	s_cmp_lt_i32 s5, 6
	v_mov_b32_e32 v60, 0
	v_mov_b32_e32 v68, 0
	;; [unrolled: 1-line block ×3, first 2 shown]
	s_cbranch_scc1 .LBB293_36
; %bb.35:
	v_mad_i64_i32 v[4:5], s[0:1], s68, 40, v[72:73]
	flat_load_dwordx2 v[68:69], v[4:5]
.LBB293_36:
	s_cmp_gt_i32 s5, 6
	s_cselect_b64 s[54:55], -1, 0
	s_cmp_lt_i32 s5, 7
	v_mov_b32_e32 v61, 0
	s_cbranch_scc1 .LBB293_38
; %bb.37:
	v_mad_i64_i32 v[4:5], s[0:1], s68, 48, v[72:73]
	flat_load_dwordx2 v[60:61], v[4:5]
.LBB293_38:
	s_cmp_gt_i32 s5, 7
	s_cselect_b64 s[52:53], -1, 0
	s_cmp_lt_i32 s5, 8
	v_mov_b32_e32 v52, 0
	v_mov_b32_e32 v66, 0
	;; [unrolled: 1-line block ×3, first 2 shown]
	s_cbranch_scc1 .LBB293_40
; %bb.39:
	v_mad_i64_i32 v[4:5], s[0:1], s68, 56, v[72:73]
	flat_load_dwordx2 v[66:67], v[4:5]
.LBB293_40:
	s_cmp_gt_i32 s5, 8
	s_cselect_b64 s[50:51], -1, 0
	s_cmp_lt_i32 s5, 9
	v_mov_b32_e32 v53, 0
	s_cbranch_scc1 .LBB293_42
; %bb.41:
	s_lshl_b64 s[0:1], s[68:69], 6
	v_lshl_add_u64 v[4:5], v[72:73], 0, s[0:1]
	flat_load_dwordx2 v[52:53], v[4:5]
.LBB293_42:
	s_cmp_gt_i32 s5, 9
	s_cselect_b64 s[48:49], -1, 0
	s_cmp_lt_i32 s5, 10
	v_mov_b32_e32 v48, 0
	v_mov_b32_e32 v64, 0
	v_mov_b32_e32 v65, 0
	s_cbranch_scc1 .LBB293_44
; %bb.43:
	v_mov_b32_e32 v4, 0x48
	v_mad_i64_i32 v[4:5], s[0:1], s68, v4, v[72:73]
	flat_load_dwordx2 v[64:65], v[4:5]
.LBB293_44:
	s_cmp_gt_i32 s5, 10
	s_cselect_b64 s[46:47], -1, 0
	s_cmp_lt_i32 s5, 11
	v_mov_b32_e32 v49, 0
	s_cbranch_scc1 .LBB293_46
; %bb.45:
	v_mov_b32_e32 v4, 0x50
	v_mad_i64_i32 v[4:5], s[0:1], s68, v4, v[72:73]
	flat_load_dwordx2 v[48:49], v[4:5]
.LBB293_46:
	s_cmp_gt_i32 s5, 11
	s_cselect_b64 s[44:45], -1, 0
	s_cmp_lt_i32 s5, 12
	v_mov_b32_e32 v42, 0
	v_mov_b32_e32 v56, 0
	v_mov_b32_e32 v57, 0
	s_cbranch_scc1 .LBB293_48
; %bb.47:
	v_mov_b32_e32 v4, 0x58
	v_mad_i64_i32 v[4:5], s[0:1], s68, v4, v[72:73]
	flat_load_dwordx2 v[56:57], v[4:5]
.LBB293_48:
	s_cmp_gt_i32 s5, 12
	s_cselect_b64 s[42:43], -1, 0
	s_cmp_lt_i32 s5, 13
	v_mov_b32_e32 v43, 0
	s_cbranch_scc1 .LBB293_50
; %bb.49:
	v_mov_b32_e32 v4, 0x60
	v_mad_i64_i32 v[4:5], s[0:1], s68, v4, v[72:73]
	flat_load_dwordx2 v[42:43], v[4:5]
.LBB293_50:
	;; [unrolled: 22-line block ×3, first 2 shown]
	s_cmp_gt_i32 s5, 15
	s_cselect_b64 s[36:37], -1, 0
	s_cmp_lt_i32 s5, 16
	v_mov_b32_e32 v34, 0
	v_mov_b32_e32 v46, 0
	;; [unrolled: 1-line block ×3, first 2 shown]
	s_cbranch_scc1 .LBB293_56
; %bb.55:
	v_mov_b32_e32 v4, 0x78
	v_mad_i64_i32 v[4:5], s[0:1], s68, v4, v[72:73]
	flat_load_dwordx2 v[46:47], v[4:5]
.LBB293_56:
	s_cmp_gt_i32 s5, 16
	s_cselect_b64 s[34:35], -1, 0
	s_cmp_lt_i32 s5, 17
	v_mov_b32_e32 v35, 0
	s_cbranch_scc1 .LBB293_58
; %bb.57:
	s_lshl_b64 s[0:1], s[68:69], 7
	v_lshl_add_u64 v[4:5], v[72:73], 0, s[0:1]
	flat_load_dwordx2 v[34:35], v[4:5]
.LBB293_58:
	s_cmp_gt_i32 s5, 17
	s_cselect_b64 s[30:31], -1, 0
	s_cmp_lt_i32 s5, 18
	v_mov_b32_e32 v30, 0
	v_mov_b32_e32 v44, 0
	v_mov_b32_e32 v45, 0
	s_cbranch_scc1 .LBB293_60
; %bb.59:
	v_mov_b32_e32 v4, 0x88
	v_mad_i64_i32 v[4:5], s[0:1], s68, v4, v[72:73]
	flat_load_dwordx2 v[44:45], v[4:5]
.LBB293_60:
	s_cmp_gt_i32 s5, 18
	s_cselect_b64 s[28:29], -1, 0
	s_cmp_lt_i32 s5, 19
	v_mov_b32_e32 v31, 0
	s_cbranch_scc1 .LBB293_62
; %bb.61:
	v_mov_b32_e32 v4, 0x90
	v_mad_i64_i32 v[4:5], s[0:1], s68, v4, v[72:73]
	flat_load_dwordx2 v[30:31], v[4:5]
.LBB293_62:
	s_cmp_gt_i32 s5, 19
	s_cselect_b64 s[26:27], -1, 0
	s_cmp_lt_i32 s5, 20
	v_mov_b32_e32 v24, 0
	v_mov_b32_e32 v40, 0
	v_mov_b32_e32 v41, 0
	s_cbranch_scc1 .LBB293_64
; %bb.63:
	v_mov_b32_e32 v4, 0x98
	v_mad_i64_i32 v[4:5], s[0:1], s68, v4, v[72:73]
	flat_load_dwordx2 v[40:41], v[4:5]
.LBB293_64:
	s_cmp_gt_i32 s5, 20
	s_cselect_b64 s[24:25], -1, 0
	s_cmp_lt_i32 s5, 21
	v_mov_b32_e32 v25, 0
	s_cbranch_scc1 .LBB293_66
; %bb.65:
	v_mov_b32_e32 v4, 0xa0
	v_mad_i64_i32 v[4:5], s[0:1], s68, v4, v[72:73]
	flat_load_dwordx2 v[24:25], v[4:5]
.LBB293_66:
	;; [unrolled: 22-line block ×7, first 2 shown]
	s_cmp_gt_i32 s5, 31
	s_cselect_b64 s[0:1], -1, 0
	s_cmp_lt_i32 s5, 32
	v_mov_b32_e32 v8, 0
	v_mov_b32_e32 v12, 0
	;; [unrolled: 1-line block ×3, first 2 shown]
	s_cbranch_scc1 .LBB293_88
; %bb.87:
	v_mov_b32_e32 v9, 0xf8
	v_mad_i64_i32 v[12:13], s[4:5], s68, v9, v[72:73]
	flat_load_dwordx2 v[12:13], v[12:13]
.LBB293_88:
	s_andn2_b64 vcc, exec, s[64:65]
	v_mov_b32_e32 v9, 0
	s_cbranch_vccnz .LBB293_90
; %bb.89:
	ds_read_b64 v[72:73], v75
	v_mov_b32_e32 v28, v33
	s_waitcnt lgkmcnt(0)
	v_pk_mul_f32 v[8:9], v[28:29], v[72:73]
	s_nop 0
	v_mov_b32_e32 v9, v8
	v_pk_fma_f32 v[8:9], v[28:29], v[72:73], v[8:9]
	s_nop 0
	v_mul_f32_e32 v8, v29, v72
	v_fma_f32 v8, -v33, v73, v8
.LBB293_90:
	s_andn2_b64 vcc, exec, s[66:67]
	v_mov_b32_e32 v28, 0
	v_mov_b32_e32 v32, 0
	;; [unrolled: 1-line block ×3, first 2 shown]
	s_cbranch_vccnz .LBB293_92
; %bb.91:
	ds_read_b64 v[72:73], v75 offset:8
	s_waitcnt vmcnt(0) lgkmcnt(0)
	v_mov_b32_e32 v32, v59
	v_mov_b32_e32 v33, v58
	v_pk_mul_f32 v[76:77], v[32:33], v[72:73]
	s_nop 0
	v_mov_b32_e32 v29, v76
	v_pk_fma_f32 v[32:33], v[32:33], v[72:73], v[28:29]
	v_mul_f32_e32 v29, v58, v72
	v_fma_f32 v32, -v59, v73, v29
.LBB293_92:
	s_andn2_b64 vcc, exec, s[62:63]
	v_mov_b32_e32 v29, 0
	s_cbranch_vccnz .LBB293_94
; %bb.93:
	ds_read_b64 v[28:29], v75 offset:16
	s_waitcnt vmcnt(0) lgkmcnt(0)
	v_mov_b32_e32 v58, v55
	v_pk_mul_f32 v[58:59], v[58:59], v[28:29] op_sel:[0,1] op_sel_hi:[0,0]
	v_pk_mul_f32 v[72:73], v[54:55], v[28:29] op_sel_hi:[0,1]
	v_pk_fma_f32 v[28:29], v[54:55], v[28:29], v[58:59] op_sel_hi:[0,1,1]
	v_sub_f32_e32 v28, v72, v58
.LBB293_94:
	s_andn2_b64 vcc, exec, s[60:61]
	s_waitcnt vmcnt(0) lgkmcnt(0)
	v_mov_b32_e32 v54, 0
	v_mov_b32_e32 v58, 0
	v_mov_b32_e32 v59, 0
	s_cbranch_vccnz .LBB293_96
; %bb.95:
	ds_read_b64 v[58:59], v75 offset:24
	v_mov_b32_e32 v72, v71
	s_waitcnt lgkmcnt(0)
	v_pk_mul_f32 v[72:73], v[72:73], v[58:59] op_sel_hi:[0,1]
	v_pk_mul_f32 v[76:77], v[70:71], v[58:59] op_sel_hi:[0,1]
	v_pk_fma_f32 v[58:59], v[70:71], v[58:59], v[72:73] op_sel:[0,0,1] op_sel_hi:[0,1,0]
	v_sub_f32_e32 v58, v76, v73
.LBB293_96:
	s_andn2_b64 vcc, exec, s[58:59]
	v_mov_b32_e32 v55, 0
	s_cbranch_vccnz .LBB293_98
; %bb.97:
	ds_read_b64 v[54:55], v75 offset:32
	v_mov_b32_e32 v70, v63
	s_waitcnt lgkmcnt(0)
	v_pk_mul_f32 v[70:71], v[70:71], v[54:55] op_sel_hi:[0,1]
	v_pk_mul_f32 v[72:73], v[62:63], v[54:55] op_sel_hi:[0,1]
	v_pk_fma_f32 v[54:55], v[62:63], v[54:55], v[70:71] op_sel:[0,0,1] op_sel_hi:[0,1,0]
	v_sub_f32_e32 v54, v72, v71
.LBB293_98:
	s_andn2_b64 vcc, exec, s[56:57]
	v_mov_b32_e32 v62, 0
	v_mov_b32_e32 v70, 0
	v_mov_b32_e32 v71, 0
	s_cbranch_vccnz .LBB293_100
; %bb.99:
	ds_read_b64 v[70:71], v75 offset:40
	v_mov_b32_e32 v72, v69
	s_waitcnt lgkmcnt(0)
	v_pk_mul_f32 v[72:73], v[72:73], v[70:71] op_sel_hi:[0,1]
	v_pk_mul_f32 v[76:77], v[68:69], v[70:71] op_sel_hi:[0,1]
	v_pk_fma_f32 v[70:71], v[68:69], v[70:71], v[72:73] op_sel:[0,0,1] op_sel_hi:[0,1,0]
	v_sub_f32_e32 v70, v76, v73
.LBB293_100:
	s_andn2_b64 vcc, exec, s[54:55]
	v_mov_b32_e32 v63, 0
	s_cbranch_vccnz .LBB293_102
; %bb.101:
	ds_read_b64 v[62:63], v75 offset:48
	v_mov_b32_e32 v68, v61
	s_waitcnt lgkmcnt(0)
	v_pk_mul_f32 v[68:69], v[68:69], v[62:63] op_sel_hi:[0,1]
	v_pk_mul_f32 v[72:73], v[60:61], v[62:63] op_sel_hi:[0,1]
	v_pk_fma_f32 v[62:63], v[60:61], v[62:63], v[68:69] op_sel:[0,0,1] op_sel_hi:[0,1,0]
	v_sub_f32_e32 v62, v72, v69
.LBB293_102:
	s_andn2_b64 vcc, exec, s[52:53]
	;; [unrolled: 26-line block ×3, first 2 shown]
	v_mov_b32_e32 v53, 0
	v_mov_b32_e32 v66, 0
	;; [unrolled: 1-line block ×3, first 2 shown]
	s_cbranch_vccnz .LBB293_108
; %bb.107:
	ds_read_b64 v[66:67], v75 offset:72
	v_mov_b32_e32 v52, v65
	s_waitcnt lgkmcnt(0)
	v_pk_mul_f32 v[72:73], v[52:53], v[66:67] op_sel_hi:[0,1]
	v_pk_mul_f32 v[76:77], v[64:65], v[66:67] op_sel_hi:[0,1]
	v_pk_fma_f32 v[66:67], v[64:65], v[66:67], v[72:73] op_sel:[0,0,1] op_sel_hi:[0,1,0]
	v_sub_f32_e32 v66, v76, v73
.LBB293_108:
	s_andn2_b64 vcc, exec, s[46:47]
	v_mov_b32_e32 v52, 0
	s_cbranch_vccnz .LBB293_110
; %bb.109:
	ds_read_b64 v[52:53], v75 offset:80
	v_mov_b32_e32 v64, v49
	v_mov_b32_e32 v65, v48
	s_waitcnt lgkmcnt(0)
	v_mul_f32_e32 v48, v48, v52
	v_pk_mul_f32 v[64:65], v[64:65], v[52:53]
	v_fma_f32 v52, -v49, v53, v48
	v_add_f32_e32 v53, v64, v65
.LBB293_110:
	s_andn2_b64 vcc, exec, s[44:45]
	v_mov_b32_e32 v48, 0
	v_mov_b32_e32 v64, 0
	;; [unrolled: 1-line block ×3, first 2 shown]
	s_cbranch_vccnz .LBB293_112
; %bb.111:
	ds_read_b64 v[72:73], v75 offset:88
	v_mov_b32_e32 v64, v57
	v_mov_b32_e32 v65, v56
	s_waitcnt lgkmcnt(0)
	v_pk_mul_f32 v[76:77], v[64:65], v[72:73]
	s_nop 0
	v_mov_b32_e32 v49, v76
	v_pk_fma_f32 v[64:65], v[64:65], v[72:73], v[48:49]
	v_mul_f32_e32 v49, v56, v72
	v_fma_f32 v64, -v57, v73, v49
.LBB293_112:
	s_andn2_b64 vcc, exec, s[42:43]
	v_mov_b32_e32 v49, 0
	s_cbranch_vccnz .LBB293_114
; %bb.113:
	ds_read_b64 v[56:57], v75 offset:96
	v_mov_b32_e32 v48, v43
	v_mov_b32_e32 v49, v42
	s_waitcnt lgkmcnt(0)
	v_pk_mul_f32 v[72:73], v[48:49], v[56:57]
	s_nop 0
	v_mov_b32_e32 v73, v72
	v_pk_fma_f32 v[48:49], v[48:49], v[56:57], v[72:73]
	v_mul_f32_e32 v42, v42, v56
	v_fma_f32 v48, -v43, v57, v42
.LBB293_114:
	s_andn2_b64 vcc, exec, s[40:41]
	v_mov_b32_e32 v42, 0
	v_mov_b32_e32 v56, 0
	;; [unrolled: 1-line block ×3, first 2 shown]
	s_cbranch_vccnz .LBB293_116
; %bb.115:
	ds_read_b64 v[56:57], v75 offset:104
	v_mov_b32_e32 v72, v51
	s_waitcnt lgkmcnt(0)
	v_pk_mul_f32 v[72:73], v[72:73], v[56:57] op_sel:[0,1] op_sel_hi:[0,0]
	v_pk_mul_f32 v[76:77], v[50:51], v[56:57] op_sel_hi:[0,1]
	v_pk_fma_f32 v[56:57], v[50:51], v[56:57], v[72:73] op_sel_hi:[0,1,1]
	v_sub_f32_e32 v56, v76, v72
.LBB293_116:
	s_andn2_b64 vcc, exec, s[38:39]
	v_mov_b32_e32 v43, 0
	s_cbranch_vccnz .LBB293_118
; %bb.117:
	ds_read_b64 v[42:43], v75 offset:112
	v_mov_b32_e32 v50, v39
	s_waitcnt lgkmcnt(0)
	v_pk_mul_f32 v[50:51], v[50:51], v[42:43] op_sel_hi:[0,1]
	v_pk_mul_f32 v[72:73], v[38:39], v[42:43] op_sel_hi:[0,1]
	v_pk_fma_f32 v[42:43], v[38:39], v[42:43], v[50:51] op_sel:[0,0,1] op_sel_hi:[0,1,0]
	v_sub_f32_e32 v42, v72, v51
.LBB293_118:
	s_andn2_b64 vcc, exec, s[36:37]
	v_mov_b32_e32 v38, 0
	v_mov_b32_e32 v50, 0
	v_mov_b32_e32 v51, 0
	s_cbranch_vccnz .LBB293_120
; %bb.119:
	ds_read_b64 v[50:51], v75 offset:120
	v_mov_b32_e32 v72, v47
	s_waitcnt lgkmcnt(0)
	v_pk_mul_f32 v[72:73], v[72:73], v[50:51] op_sel_hi:[0,1]
	v_pk_mul_f32 v[76:77], v[46:47], v[50:51] op_sel_hi:[0,1]
	v_pk_fma_f32 v[50:51], v[46:47], v[50:51], v[72:73] op_sel:[0,0,1] op_sel_hi:[0,1,0]
	v_sub_f32_e32 v50, v76, v73
.LBB293_120:
	s_andn2_b64 vcc, exec, s[34:35]
	v_mov_b32_e32 v39, 0
	s_cbranch_vccnz .LBB293_122
; %bb.121:
	ds_read_b64 v[38:39], v75 offset:128
	v_mov_b32_e32 v46, v35
	s_waitcnt lgkmcnt(0)
	v_pk_mul_f32 v[46:47], v[46:47], v[38:39] op_sel_hi:[0,1]
	v_pk_mul_f32 v[72:73], v[34:35], v[38:39] op_sel_hi:[0,1]
	v_pk_fma_f32 v[38:39], v[34:35], v[38:39], v[46:47] op_sel:[0,0,1] op_sel_hi:[0,1,0]
	v_sub_f32_e32 v38, v72, v47
.LBB293_122:
	s_andn2_b64 vcc, exec, s[30:31]
	v_mov_b32_e32 v34, 0
	v_mov_b32_e32 v46, 0
	v_mov_b32_e32 v47, 0
	s_cbranch_vccnz .LBB293_124
; %bb.123:
	ds_read_b64 v[46:47], v75 offset:136
	v_mov_b32_e32 v72, v45
	s_waitcnt lgkmcnt(0)
	v_pk_mul_f32 v[72:73], v[72:73], v[46:47] op_sel_hi:[0,1]
	v_pk_mul_f32 v[76:77], v[44:45], v[46:47] op_sel_hi:[0,1]
	v_pk_fma_f32 v[46:47], v[44:45], v[46:47], v[72:73] op_sel:[0,0,1] op_sel_hi:[0,1,0]
	v_sub_f32_e32 v46, v76, v73
.LBB293_124:
	;; [unrolled: 26-line block ×3, first 2 shown]
	s_andn2_b64 vcc, exec, s[24:25]
	v_mov_b32_e32 v31, 0
	s_cbranch_vccnz .LBB293_130
; %bb.129:
	ds_read_b64 v[30:31], v75 offset:160
	v_mov_b32_e32 v40, v25
	s_waitcnt lgkmcnt(0)
	v_pk_mul_f32 v[40:41], v[40:41], v[30:31] op_sel_hi:[0,1]
	v_pk_mul_f32 v[72:73], v[24:25], v[30:31] op_sel_hi:[0,1]
	v_pk_fma_f32 v[30:31], v[24:25], v[30:31], v[40:41] op_sel:[0,0,1] op_sel_hi:[0,1,0]
	v_sub_f32_e32 v30, v72, v41
.LBB293_130:
	s_andn2_b64 vcc, exec, s[22:23]
	v_mov_b32_e32 v24, 0
	v_mov_b32_e32 v41, 0
	;; [unrolled: 1-line block ×3, first 2 shown]
	s_cbranch_vccnz .LBB293_132
; %bb.131:
	ds_read_b64 v[40:41], v75 offset:168
	v_mov_b32_e32 v72, v37
	v_mov_b32_e32 v73, v36
	s_waitcnt lgkmcnt(0)
	v_mul_f32_e32 v25, v36, v40
	v_pk_mul_f32 v[72:73], v[72:73], v[40:41]
	v_fma_f32 v40, -v37, v41, v25
	v_add_f32_e32 v41, v72, v73
.LBB293_132:
	s_andn2_b64 vcc, exec, s[20:21]
	v_mov_b32_e32 v25, 0
	s_cbranch_vccnz .LBB293_134
; %bb.133:
	ds_read_b64 v[36:37], v75 offset:176
	v_mov_b32_e32 v24, v19
	v_mov_b32_e32 v25, v18
	s_waitcnt lgkmcnt(0)
	v_pk_mul_f32 v[72:73], v[24:25], v[36:37]
	s_nop 0
	v_mov_b32_e32 v73, v72
	v_pk_fma_f32 v[24:25], v[24:25], v[36:37], v[72:73]
	v_mul_f32_e32 v18, v18, v36
	v_fma_f32 v24, -v19, v37, v18
.LBB293_134:
	s_andn2_b64 vcc, exec, s[18:19]
	v_mov_b32_e32 v18, 0
	v_mov_b32_e32 v36, 0
	v_mov_b32_e32 v37, 0
	s_cbranch_vccnz .LBB293_136
; %bb.135:
	ds_read_b64 v[72:73], v75 offset:184
	v_mov_b32_e32 v36, v27
	v_mov_b32_e32 v37, v26
	s_waitcnt lgkmcnt(0)
	v_pk_mul_f32 v[76:77], v[36:37], v[72:73]
	s_nop 0
	v_mov_b32_e32 v19, v76
	v_pk_fma_f32 v[36:37], v[36:37], v[72:73], v[18:19]
	v_mul_f32_e32 v19, v26, v72
	v_fma_f32 v36, -v27, v73, v19
.LBB293_136:
	s_andn2_b64 vcc, exec, s[16:17]
	v_mov_b32_e32 v19, 0
	s_cbranch_vccnz .LBB293_138
; %bb.137:
	ds_read_b64 v[18:19], v75 offset:192
	v_mov_b32_e32 v26, v15
	s_waitcnt lgkmcnt(0)
	v_pk_mul_f32 v[26:27], v[26:27], v[18:19] op_sel:[0,1] op_sel_hi:[0,0]
	v_pk_mul_f32 v[72:73], v[14:15], v[18:19] op_sel_hi:[0,1]
	v_pk_fma_f32 v[18:19], v[14:15], v[18:19], v[26:27] op_sel_hi:[0,1,1]
	v_sub_f32_e32 v18, v72, v26
.LBB293_138:
	s_andn2_b64 vcc, exec, s[14:15]
	v_mov_b32_e32 v14, 0
	v_mov_b32_e32 v26, 0
	;; [unrolled: 1-line block ×3, first 2 shown]
	s_cbranch_vccnz .LBB293_140
; %bb.139:
	ds_read_b64 v[26:27], v75 offset:200
	v_mov_b32_e32 v72, v23
	s_waitcnt lgkmcnt(0)
	v_pk_mul_f32 v[72:73], v[72:73], v[26:27] op_sel_hi:[0,1]
	v_pk_mul_f32 v[76:77], v[22:23], v[26:27] op_sel_hi:[0,1]
	v_pk_fma_f32 v[26:27], v[22:23], v[26:27], v[72:73] op_sel:[0,0,1] op_sel_hi:[0,1,0]
	v_sub_f32_e32 v26, v76, v73
.LBB293_140:
	s_andn2_b64 vcc, exec, s[12:13]
	v_mov_b32_e32 v15, 0
	s_cbranch_vccnz .LBB293_142
; %bb.141:
	ds_read_b64 v[14:15], v75 offset:208
	v_mov_b32_e32 v22, v11
	s_waitcnt lgkmcnt(0)
	v_pk_mul_f32 v[22:23], v[22:23], v[14:15] op_sel_hi:[0,1]
	v_pk_mul_f32 v[72:73], v[10:11], v[14:15] op_sel_hi:[0,1]
	v_pk_fma_f32 v[14:15], v[10:11], v[14:15], v[22:23] op_sel:[0,0,1] op_sel_hi:[0,1,0]
	v_sub_f32_e32 v14, v72, v23
.LBB293_142:
	s_andn2_b64 vcc, exec, s[10:11]
	v_mov_b32_e32 v10, 0
	v_mov_b32_e32 v22, 0
	;; [unrolled: 1-line block ×3, first 2 shown]
	s_cbranch_vccnz .LBB293_144
; %bb.143:
	ds_read_b64 v[22:23], v75 offset:216
	v_mov_b32_e32 v72, v21
	s_waitcnt lgkmcnt(0)
	v_pk_mul_f32 v[72:73], v[72:73], v[22:23] op_sel_hi:[0,1]
	v_pk_mul_f32 v[76:77], v[20:21], v[22:23] op_sel_hi:[0,1]
	v_pk_fma_f32 v[22:23], v[20:21], v[22:23], v[72:73] op_sel:[0,0,1] op_sel_hi:[0,1,0]
	v_sub_f32_e32 v22, v76, v73
.LBB293_144:
	s_andn2_b64 vcc, exec, s[8:9]
	v_mov_b32_e32 v11, 0
	s_cbranch_vccnz .LBB293_146
; %bb.145:
	ds_read_b64 v[10:11], v75 offset:224
	v_mov_b32_e32 v20, v7
	s_waitcnt lgkmcnt(0)
	v_pk_mul_f32 v[20:21], v[20:21], v[10:11] op_sel_hi:[0,1]
	v_pk_mul_f32 v[72:73], v[6:7], v[10:11] op_sel_hi:[0,1]
	v_pk_fma_f32 v[10:11], v[6:7], v[10:11], v[20:21] op_sel:[0,0,1] op_sel_hi:[0,1,0]
	v_sub_f32_e32 v10, v72, v21
.LBB293_146:
	s_andn2_b64 vcc, exec, s[6:7]
	v_mov_b32_e32 v6, 0
	v_mov_b32_e32 v20, 0
	;; [unrolled: 1-line block ×3, first 2 shown]
	s_cbranch_vccz .LBB293_152
; %bb.147:
	s_andn2_b64 vcc, exec, s[2:3]
	v_mov_b32_e32 v7, 0
	s_cbranch_vccz .LBB293_153
.LBB293_148:
	s_andn2_b64 vcc, exec, s[0:1]
	v_mov_b32_e32 v4, 0
	v_mov_b32_e32 v5, 0
	s_cbranch_vccnz .LBB293_150
.LBB293_149:
	ds_read_b64 v[4:5], v75 offset:248
	v_mov_b32_e32 v16, v13
	s_waitcnt lgkmcnt(0)
	v_pk_mul_f32 v[16:17], v[16:17], v[4:5] op_sel_hi:[0,1]
	v_pk_mul_f32 v[72:73], v[12:13], v[4:5] op_sel_hi:[0,1]
	v_pk_fma_f32 v[4:5], v[12:13], v[4:5], v[16:17] op_sel:[0,0,1] op_sel_hi:[0,1,0]
	v_sub_f32_e32 v4, v72, v17
.LBB293_150:
	v_pk_add_f32 v[2:3], v[2:3], v[8:9]
	s_nop 0
	v_pk_add_f32 v[2:3], v[2:3], v[32:33]
	s_nop 0
	;; [unrolled: 2-line block ×31, first 2 shown]
	v_pk_add_f32 v[2:3], v[2:3], v[4:5]
	v_mad_i64_i32 v[4:5], s[0:1], s33, v74, 0
	v_lshl_add_u64 v[0:1], v[4:5], 3, v[0:1]
	global_store_dwordx2 v[0:1], v[2:3], off
.LBB293_151:
	s_endpgm
.LBB293_152:
	ds_read_b64 v[20:21], v75 offset:232
	v_mov_b32_e32 v72, v17
	s_waitcnt lgkmcnt(0)
	v_pk_mul_f32 v[72:73], v[72:73], v[20:21] op_sel_hi:[0,1]
	v_pk_mul_f32 v[76:77], v[16:17], v[20:21] op_sel_hi:[0,1]
	v_pk_fma_f32 v[20:21], v[16:17], v[20:21], v[72:73] op_sel:[0,0,1] op_sel_hi:[0,1,0]
	v_sub_f32_e32 v20, v76, v73
	s_andn2_b64 vcc, exec, s[2:3]
	v_mov_b32_e32 v7, 0
	s_cbranch_vccnz .LBB293_148
.LBB293_153:
	ds_read_b64 v[6:7], v75 offset:240
	v_mov_b32_e32 v16, v5
	s_waitcnt lgkmcnt(0)
	v_pk_mul_f32 v[16:17], v[16:17], v[6:7] op_sel_hi:[0,1]
	v_pk_mul_f32 v[72:73], v[4:5], v[6:7] op_sel_hi:[0,1]
	v_pk_fma_f32 v[6:7], v[4:5], v[6:7], v[16:17] op_sel:[0,0,1] op_sel_hi:[0,1,0]
	v_sub_f32_e32 v6, v72, v17
	s_andn2_b64 vcc, exec, s[0:1]
	v_mov_b32_e32 v4, 0
	v_mov_b32_e32 v5, 0
	s_cbranch_vccz .LBB293_149
	s_branch .LBB293_150
	.section	.rodata,"a",@progbits
	.p2align	6, 0x0
	.amdhsa_kernel _ZL34rocblas_gemvn_sm_mn_batched_kernelILi32ELi24EPK19rocblas_complex_numIfES1_KPS1_EviiT2_lPKT1_lilS9_lilS6_lPT3_lili
		.amdhsa_group_segment_fixed_size 6144
		.amdhsa_private_segment_fixed_size 0
		.amdhsa_kernarg_size 400
		.amdhsa_user_sgpr_count 2
		.amdhsa_user_sgpr_dispatch_ptr 0
		.amdhsa_user_sgpr_queue_ptr 0
		.amdhsa_user_sgpr_kernarg_segment_ptr 1
		.amdhsa_user_sgpr_dispatch_id 0
		.amdhsa_user_sgpr_kernarg_preload_length 0
		.amdhsa_user_sgpr_kernarg_preload_offset 0
		.amdhsa_user_sgpr_private_segment_size 0
		.amdhsa_uses_dynamic_stack 0
		.amdhsa_enable_private_segment 0
		.amdhsa_system_sgpr_workgroup_id_x 1
		.amdhsa_system_sgpr_workgroup_id_y 0
		.amdhsa_system_sgpr_workgroup_id_z 0
		.amdhsa_system_sgpr_workgroup_info 0
		.amdhsa_system_vgpr_workitem_id 1
		.amdhsa_next_free_vgpr 78
		.amdhsa_next_free_sgpr 70
		.amdhsa_accum_offset 80
		.amdhsa_reserve_vcc 1
		.amdhsa_float_round_mode_32 0
		.amdhsa_float_round_mode_16_64 0
		.amdhsa_float_denorm_mode_32 3
		.amdhsa_float_denorm_mode_16_64 3
		.amdhsa_dx10_clamp 1
		.amdhsa_ieee_mode 1
		.amdhsa_fp16_overflow 0
		.amdhsa_tg_split 0
		.amdhsa_exception_fp_ieee_invalid_op 0
		.amdhsa_exception_fp_denorm_src 0
		.amdhsa_exception_fp_ieee_div_zero 0
		.amdhsa_exception_fp_ieee_overflow 0
		.amdhsa_exception_fp_ieee_underflow 0
		.amdhsa_exception_fp_ieee_inexact 0
		.amdhsa_exception_int_div_zero 0
	.end_amdhsa_kernel
	.section	.text._ZL34rocblas_gemvn_sm_mn_batched_kernelILi32ELi24EPK19rocblas_complex_numIfES1_KPS1_EviiT2_lPKT1_lilS9_lilS6_lPT3_lili,"axG",@progbits,_ZL34rocblas_gemvn_sm_mn_batched_kernelILi32ELi24EPK19rocblas_complex_numIfES1_KPS1_EviiT2_lPKT1_lilS9_lilS6_lPT3_lili,comdat
.Lfunc_end293:
	.size	_ZL34rocblas_gemvn_sm_mn_batched_kernelILi32ELi24EPK19rocblas_complex_numIfES1_KPS1_EviiT2_lPKT1_lilS9_lilS6_lPT3_lili, .Lfunc_end293-_ZL34rocblas_gemvn_sm_mn_batched_kernelILi32ELi24EPK19rocblas_complex_numIfES1_KPS1_EviiT2_lPKT1_lilS9_lilS6_lPT3_lili
                                        ; -- End function
	.section	.AMDGPU.csdata,"",@progbits
; Kernel info:
; codeLenInByte = 4688
; NumSgprs: 76
; NumVgprs: 78
; NumAgprs: 0
; TotalNumVgprs: 78
; ScratchSize: 0
; MemoryBound: 0
; FloatMode: 240
; IeeeMode: 1
; LDSByteSize: 6144 bytes/workgroup (compile time only)
; SGPRBlocks: 9
; VGPRBlocks: 9
; NumSGPRsForWavesPerEU: 76
; NumVGPRsForWavesPerEU: 78
; AccumOffset: 80
; Occupancy: 6
; WaveLimiterHint : 1
; COMPUTE_PGM_RSRC2:SCRATCH_EN: 0
; COMPUTE_PGM_RSRC2:USER_SGPR: 2
; COMPUTE_PGM_RSRC2:TRAP_HANDLER: 0
; COMPUTE_PGM_RSRC2:TGID_X_EN: 1
; COMPUTE_PGM_RSRC2:TGID_Y_EN: 0
; COMPUTE_PGM_RSRC2:TGID_Z_EN: 0
; COMPUTE_PGM_RSRC2:TIDIG_COMP_CNT: 1
; COMPUTE_PGM_RSRC3_GFX90A:ACCUM_OFFSET: 19
; COMPUTE_PGM_RSRC3_GFX90A:TG_SPLIT: 0
	.section	.text._ZL20rocblas_gemvn_kernelILi64ELi4EiPK19rocblas_complex_numIfES3_KPS1_EviiT3_lPKT2_lT1_lS9_lSA_lS6_lPT4_lSA_li,"axG",@progbits,_ZL20rocblas_gemvn_kernelILi64ELi4EiPK19rocblas_complex_numIfES3_KPS1_EviiT3_lPKT2_lT1_lS9_lSA_lS6_lPT4_lSA_li,comdat
	.globl	_ZL20rocblas_gemvn_kernelILi64ELi4EiPK19rocblas_complex_numIfES3_KPS1_EviiT3_lPKT2_lT1_lS9_lSA_lS6_lPT4_lSA_li ; -- Begin function _ZL20rocblas_gemvn_kernelILi64ELi4EiPK19rocblas_complex_numIfES3_KPS1_EviiT3_lPKT2_lT1_lS9_lSA_lS6_lPT4_lSA_li
	.p2align	8
	.type	_ZL20rocblas_gemvn_kernelILi64ELi4EiPK19rocblas_complex_numIfES3_KPS1_EviiT3_lPKT2_lT1_lS9_lSA_lS6_lPT4_lSA_li,@function
_ZL20rocblas_gemvn_kernelILi64ELi4EiPK19rocblas_complex_numIfES3_KPS1_EviiT3_lPKT2_lT1_lS9_lSA_lS6_lPT4_lSA_li: ; @_ZL20rocblas_gemvn_kernelILi64ELi4EiPK19rocblas_complex_numIfES3_KPS1_EviiT3_lPKT2_lT1_lS9_lSA_lS6_lPT4_lSA_li
; %bb.0:
	s_load_dwordx2 s[4:5], s[0:1], 0x9c
	s_mov_b32 s24, s3
	s_waitcnt lgkmcnt(0)
	s_and_b32 s3, s5, 0xffff
	s_lshr_b32 s5, s4, 16
	s_and_b32 s4, s4, 0xffff
	s_mul_i32 s4, s5, s4
	s_mul_i32 s4, s4, s3
	s_cmpk_lg_i32 s4, 0x100
	s_cbranch_scc1 .LBB294_49
; %bb.1:
	s_load_dwordx8 s[12:19], s[0:1], 0x8
	s_load_dwordx8 s[4:11], s[0:1], 0x58
	s_waitcnt lgkmcnt(0)
	s_mul_i32 s3, s24, s15
	s_mul_hi_u32 s15, s24, s14
	s_mul_i32 s14, s24, s14
	s_add_i32 s15, s15, s3
	s_lshl_b64 s[14:15], s[14:15], 3
	s_mul_i32 s7, s24, s7
	s_add_u32 s12, s12, s14
	s_mul_hi_u32 s3, s24, s6
	s_addc_u32 s13, s13, s15
	s_add_i32 s7, s3, s7
	s_mul_i32 s6, s24, s6
	s_lshl_b64 s[6:7], s[6:7], 3
	s_add_u32 s4, s4, s6
	s_load_dwordx2 s[14:15], s[12:13], 0x0
	s_addc_u32 s5, s5, s7
	s_load_dwordx2 s[12:13], s[4:5], 0x0
	s_waitcnt lgkmcnt(0)
	v_cmp_eq_f32_e64 s[4:5], s14, 0
	v_cmp_eq_f32_e64 s[6:7], s15, 0
	s_and_b64 s[4:5], s[4:5], s[6:7]
	v_cmp_eq_f32_e64 s[6:7], s12, 1.0
	v_cmp_eq_f32_e64 s[20:21], s13, 0
	s_and_b64 s[6:7], s[6:7], s[20:21]
	s_and_b64 s[4:5], s[4:5], s[6:7]
	s_and_b64 vcc, exec, s[4:5]
	s_cbranch_vccnz .LBB294_49
; %bb.2:
	s_or_b32 s3, s14, s15
	s_bitset0_b32 s3, 31
	s_cmp_lg_u32 s3, 0
	s_cselect_b64 s[6:7], -1, 0
	s_cmp_eq_u32 s3, 0
	s_cselect_b64 s[4:5], -1, 0
	s_mov_b32 s25, 0
	s_mov_b64 s[22:23], 0
	s_and_b64 vcc, exec, s[4:5]
	s_mov_b64 s[20:21], 0
	s_cbranch_vccnz .LBB294_4
; %bb.3:
	s_lshl_b64 s[20:21], s[24:25], 3
	s_add_u32 s16, s16, s20
	s_addc_u32 s17, s17, s21
	s_load_dwordx2 s[16:17], s[16:17], 0x0
	s_lshl_b64 s[18:19], s[18:19], 3
	s_waitcnt lgkmcnt(0)
	s_add_u32 s20, s16, s18
	s_addc_u32 s21, s17, s19
.LBB294_4:
	s_andn2_b64 vcc, exec, s[6:7]
	s_cbranch_vccnz .LBB294_6
; %bb.5:
	s_load_dwordx4 s[16:19], s[0:1], 0x38
	s_lshl_b64 s[6:7], s[24:25], 3
	s_waitcnt lgkmcnt(0)
	s_add_u32 s6, s16, s6
	s_addc_u32 s7, s17, s7
	s_load_dwordx2 s[6:7], s[6:7], 0x0
	s_lshl_b64 s[16:17], s[18:19], 3
	s_waitcnt lgkmcnt(0)
	s_add_u32 s22, s6, s16
	s_addc_u32 s23, s7, s17
.LBB294_6:
	s_lshl_b64 s[6:7], s[24:25], 3
	s_add_u32 s6, s8, s6
	s_addc_u32 s7, s9, s7
	s_load_dwordx2 s[8:9], s[6:7], 0x0
	s_load_dwordx2 s[16:17], s[0:1], 0x0
	s_load_dword s33, s[0:1], 0x78
	s_lshl_b64 s[6:7], s[10:11], 3
	v_and_b32_e32 v2, 0x3ff, v0
	s_waitcnt lgkmcnt(0)
	s_add_u32 s8, s8, s6
	v_bfe_u32 v54, v0, 10, 10
	s_addc_u32 s9, s9, s7
	v_lshl_add_u32 v3, v54, 6, v2
	s_andn2_b64 vcc, exec, s[4:5]
	s_mov_b64 s[4:5], -1
	s_cbranch_vccnz .LBB294_13
; %bb.7:
	s_movk_i32 s3, 0x100
	v_cmp_gt_u32_e32 vcc, s3, v3
	s_and_saveexec_b64 s[4:5], vcc
	s_cbranch_execz .LBB294_12
; %bb.8:
	v_lshl_or_b32 v0, s2, 8, v3
	v_mov_b32_e32 v1, 0
	s_ashr_i32 s7, s16, 31
	s_mov_b32 s6, s16
	v_cmp_gt_i64_e32 vcc, s[6:7], v[0:1]
	s_and_b64 exec, exec, vcc
	s_cbranch_execz .LBB294_12
; %bb.9:
	v_mad_u64_u32 v[4:5], s[18:19], s33, v0, 0
	s_ashr_i32 s3, s33, 31
	v_mov_b32_e32 v6, v5
	v_cmp_neq_f32_e64 s[6:7], s12, 0
	v_cmp_neq_f32_e64 s[10:11], s13, 0
	v_mad_u64_u32 v[6:7], s[18:19], s3, v0, v[6:7]
	v_mov_b32_e32 v5, v6
	s_or_b64 s[6:7], s[6:7], s[10:11]
	s_andn2_b64 vcc, exec, s[6:7]
	v_lshl_add_u64 v[4:5], v[4:5], 3, s[8:9]
	v_mov_b32_e32 v7, v1
	s_cbranch_vccnz .LBB294_11
; %bb.10:
	global_load_dwordx2 v[0:1], v[4:5], off
	s_waitcnt vmcnt(0)
	v_pk_mul_f32 v[6:7], s[12:13], v[0:1] op_sel:[0,1]
	s_nop 0
	v_pk_fma_f32 v[8:9], s[12:13], v[0:1], v[6:7] op_sel:[0,0,1] op_sel_hi:[1,1,0] neg_lo:[0,0,1] neg_hi:[0,0,1]
	v_pk_fma_f32 v[6:7], s[12:13], v[0:1], v[6:7] op_sel:[0,0,1] op_sel_hi:[1,0,0]
	v_mov_b32_e32 v1, v8
.LBB294_11:
	v_mov_b32_e32 v6, v1
	global_store_dwordx2 v[4:5], v[6:7], off
.LBB294_12:
	s_or_b64 exec, exec, s[4:5]
	s_mov_b64 s[4:5], 0
.LBB294_13:
	s_andn2_b64 vcc, exec, s[4:5]
	s_cbranch_vccnz .LBB294_49
; %bb.14:
	s_load_dword s35, s[0:1], 0x28
	s_load_dword s36, s[0:1], 0x48
	s_ashr_i32 s0, s17, 31
	s_lshr_b32 s0, s0, 28
	s_add_i32 s0, s17, s0
	s_mov_b32 s10, 0
	s_lshl_b32 s34, s2, 8
	s_and_b32 s37, s0, -16
	v_lshlrev_b32_e32 v56, 2, v54
	s_mov_b32 s11, s10
	v_add_u32_e32 v55, s34, v2
	v_cmp_gt_i32_e32 vcc, s37, v56
	v_mov_b64_e32 v[8:9], s[10:11]
	v_mov_b32_e32 v1, 0
	v_mov_b32_e32 v0, 0
	v_mov_b32_e32 v5, 0
	v_mov_b32_e32 v4, 0
	v_mov_b32_e32 v7, 0
	v_mov_b32_e32 v6, 0
	s_and_saveexec_b64 s[18:19], vcc
	s_cbranch_execz .LBB294_26
; %bb.15:
	v_add_u32_e32 v0, 64, v55
	v_cmp_gt_i32_e64 s[0:1], s16, v0
	v_add_u32_e32 v0, 0x80, v55
	v_cmp_gt_i32_e64 s[2:3], s16, v0
	;; [unrolled: 2-line block ×3, first 2 shown]
	s_waitcnt lgkmcnt(0)
	v_mul_lo_u32 v0, s35, v56
	v_add3_u32 v57, v0, s35, v2
	v_add_u32_e32 v0, 2, v56
	v_mad_u64_u32 v[10:11], s[6:7], s35, v0, v[2:3]
	v_add_u32_e32 v1, 3, v56
	v_mul_lo_u32 v4, v54, s35
	v_mad_u64_u32 v[12:13], s[6:7], s35, v1, v[2:3]
	v_lshl_add_u32 v11, v4, 2, v2
	v_mul_lo_u32 v4, s36, v56
	v_mul_lo_u32 v58, s36, v0
	;; [unrolled: 1-line block ×4, first 2 shown]
	v_mov_b32_e32 v1, 0
	v_cmp_gt_i32_e32 vcc, s16, v55
	s_lshl_b32 s38, s35, 4
	v_add_u32_e32 v13, s36, v4
	s_lshl_b32 s39, s36, 4
	v_lshlrev_b32_e32 v60, 2, v0
	s_mov_b64 s[24:25], 0
	v_mov_b64_e32 v[8:9], s[10:11]
	v_mov_b32_e32 v0, v1
	v_mov_b32_e32 v5, v1
	;; [unrolled: 1-line block ×5, first 2 shown]
	s_branch .LBB294_20
.LBB294_16:                             ;   in Loop: Header=BB294_20 Depth=1
	s_or_b64 exec, exec, s[30:31]
	s_waitcnt vmcnt(0) lgkmcnt(0)
	v_mul_f32_e32 v42, v21, v49
	v_fma_f32 v42, v20, v48, -v42
	v_mul_f32_e32 v43, v20, v49
	v_fmac_f32_e32 v43, v21, v48
	v_add_f32_e32 v4, v4, v42
	v_mul_f32_e32 v42, v19, v47
	v_add_f32_e32 v5, v5, v43
	v_fma_f32 v42, v18, v46, -v42
	v_mul_f32_e32 v43, v18, v47
	v_fmac_f32_e32 v43, v19, v46
	v_add_f32_e32 v4, v4, v42
	v_mul_f32_e32 v42, v17, v41
	v_mul_f32_e32 v41, v16, v41
	v_add_f32_e32 v5, v5, v43
	v_fma_f32 v42, v16, v40, -v42
	v_fmac_f32_e32 v41, v17, v40
	v_mul_f32_e32 v40, v15, v39
	v_mul_f32_e32 v39, v14, v39
	v_add_f32_e32 v4, v4, v42
	v_add_f32_e32 v5, v5, v41
	v_fma_f32 v40, v14, v38, -v40
	v_fmac_f32_e32 v39, v15, v38
	v_add_f32_e32 v4, v4, v40
	v_add_f32_e32 v5, v5, v39
.LBB294_17:                             ;   in Loop: Header=BB294_20 Depth=1
	s_or_b64 exec, exec, s[28:29]
	s_waitcnt vmcnt(0) lgkmcnt(0)
	v_mul_f32_e32 v38, v21, v37
	v_mul_f32_e32 v37, v20, v37
	v_fma_f32 v38, v20, v36, -v38
	v_fmac_f32_e32 v37, v21, v36
	v_mul_f32_e32 v36, v19, v35
	v_mul_f32_e32 v35, v18, v35
	v_add_f32_e32 v6, v6, v38
	v_add_f32_e32 v7, v7, v37
	v_fma_f32 v36, v18, v34, -v36
	v_fmac_f32_e32 v35, v19, v34
	v_mul_f32_e32 v34, v17, v33
	v_mul_f32_e32 v33, v16, v33
	v_add_f32_e32 v6, v6, v36
	v_add_f32_e32 v7, v7, v35
	;; [unrolled: 6-line block ×3, first 2 shown]
	v_fma_f32 v32, v14, v30, -v32
	v_fmac_f32_e32 v31, v15, v30
	v_add_f32_e32 v6, v6, v32
	v_add_f32_e32 v7, v7, v31
.LBB294_18:                             ;   in Loop: Header=BB294_20 Depth=1
	s_or_b64 exec, exec, s[26:27]
	s_waitcnt vmcnt(0) lgkmcnt(0)
	v_mul_f32_e32 v30, v21, v29
	v_mul_f32_e32 v31, v20, v29
	v_fma_f32 v30, v20, v28, -v30
	v_fmac_f32_e32 v31, v21, v28
	v_mul_f32_e32 v20, v19, v27
	v_mul_f32_e32 v21, v18, v27
	v_fma_f32 v20, v18, v26, -v20
	v_fmac_f32_e32 v21, v19, v26
	v_pk_add_f32 v[8:9], v[8:9], v[30:31]
	v_mov_b32_e32 v18, v17
	v_mov_b32_e32 v19, v16
	v_pk_add_f32 v[8:9], v[8:9], v[20:21]
	v_mov_b32_e32 v16, v25
	v_pk_mul_f32 v[20:21], v[18:19], v[24:25] op_sel_hi:[1,0]
	s_nop 0
	v_pk_fma_f32 v[16:17], v[18:19], v[16:17], v[20:21] op_sel:[0,0,1] op_sel_hi:[1,1,0] neg_lo:[1,0,0] neg_hi:[1,0,0]
	v_pk_fma_f32 v[18:19], v[18:19], v[24:25], v[20:21] op_sel:[0,1,1] op_sel_hi:[1,1,0]
	s_nop 0
	v_mov_b32_e32 v17, v19
	v_pk_add_f32 v[8:9], v[8:9], v[16:17]
	v_pk_mul_f32 v[16:17], v[14:15], v[22:23] op_sel:[0,1]
	s_nop 0
	v_pk_fma_f32 v[18:19], v[14:15], v[22:23], v[16:17] op_sel:[0,0,1] op_sel_hi:[1,1,0] neg_lo:[0,0,1] neg_hi:[0,0,1]
	v_pk_fma_f32 v[14:15], v[14:15], v[22:23], v[16:17] op_sel:[0,0,1] op_sel_hi:[1,0,0]
	s_nop 0
	v_mov_b32_e32 v19, v15
	v_pk_add_f32 v[8:9], v[8:9], v[18:19]
.LBB294_19:                             ;   in Loop: Header=BB294_20 Depth=1
	s_or_b64 exec, exec, s[6:7]
	v_add_u32_e32 v56, 16, v56
	s_add_i32 s10, s10, s39
	v_cmp_le_i32_e64 s[6:7], s37, v56
	v_add_u32_e32 v57, s38, v57
	v_add_u32_e32 v10, s38, v10
	;; [unrolled: 1-line block ×3, first 2 shown]
	s_or_b64 s[24:25], s[6:7], s[24:25]
	v_add_u32_e32 v11, s38, v11
	s_andn2_b64 exec, exec, s[24:25]
	s_cbranch_execz .LBB294_25
.LBB294_20:                             ; =>This Inner Loop Header: Depth=1
	s_and_saveexec_b64 s[6:7], vcc
	s_cbranch_execz .LBB294_19
; %bb.21:                               ;   in Loop: Header=BB294_20 Depth=1
	v_add_u32_e32 v14, s10, v60
	v_ashrrev_i32_e32 v15, 31, v14
	v_lshl_add_u64 v[22:23], v[14:15], 3, s[22:23]
	v_add_u32_e32 v14, s10, v13
	v_ashrrev_i32_e32 v15, 31, v14
	v_lshl_add_u64 v[24:25], v[14:15], 3, s[22:23]
	;; [unrolled: 3-line block ×4, first 2 shown]
	flat_load_dwordx2 v[20:21], v[22:23]
	flat_load_dwordx2 v[18:19], v[24:25]
	;; [unrolled: 1-line block ×4, first 2 shown]
	v_add_u32_e32 v22, s34, v11
	v_ashrrev_i32_e32 v23, 31, v22
	v_lshl_add_u64 v[42:43], v[22:23], 3, s[20:21]
	v_add_u32_e32 v22, s34, v57
	v_ashrrev_i32_e32 v23, 31, v22
	v_lshl_add_u64 v[44:45], v[22:23], 3, s[20:21]
	;; [unrolled: 3-line block ×4, first 2 shown]
	flat_load_dwordx2 v[28:29], v[42:43]
	flat_load_dwordx2 v[26:27], v[44:45]
	;; [unrolled: 1-line block ×4, first 2 shown]
	s_and_saveexec_b64 s[26:27], s[0:1]
	s_cbranch_execz .LBB294_18
; %bb.22:                               ;   in Loop: Header=BB294_20 Depth=1
	flat_load_dwordx2 v[36:37], v[42:43] offset:512
	flat_load_dwordx2 v[34:35], v[44:45] offset:512
	flat_load_dwordx2 v[32:33], v[50:51] offset:512
	flat_load_dwordx2 v[30:31], v[52:53] offset:512
	s_and_saveexec_b64 s[28:29], s[2:3]
	s_cbranch_execz .LBB294_17
; %bb.23:                               ;   in Loop: Header=BB294_20 Depth=1
	flat_load_dwordx2 v[48:49], v[42:43] offset:1024
	flat_load_dwordx2 v[46:47], v[44:45] offset:1024
	flat_load_dwordx2 v[40:41], v[50:51] offset:1024
	flat_load_dwordx2 v[38:39], v[52:53] offset:1024
	;; [unrolled: 7-line block ×3, first 2 shown]
	s_waitcnt vmcnt(0) lgkmcnt(0)
	v_mul_f32_e32 v42, v21, v63
	v_mul_f32_e32 v43, v20, v63
	;; [unrolled: 1-line block ×4, first 2 shown]
	v_fma_f32 v42, v20, v62, -v42
	v_fmac_f32_e32 v43, v21, v62
	v_mul_f32_e32 v50, v17, v67
	v_mul_f32_e32 v51, v16, v67
	v_fma_f32 v44, v18, v64, -v44
	v_fmac_f32_e32 v45, v19, v64
	v_add_f32_e32 v0, v0, v42
	v_add_f32_e32 v1, v1, v43
	v_mul_f32_e32 v52, v15, v69
	v_mul_f32_e32 v53, v14, v69
	v_fma_f32 v50, v16, v66, -v50
	v_fmac_f32_e32 v51, v17, v66
	v_add_f32_e32 v0, v0, v44
	v_add_f32_e32 v1, v1, v45
	v_fma_f32 v52, v14, v68, -v52
	v_fmac_f32_e32 v53, v15, v68
	v_add_f32_e32 v0, v0, v50
	v_add_f32_e32 v1, v1, v51
	;; [unrolled: 1-line block ×4, first 2 shown]
	s_branch .LBB294_16
.LBB294_25:
	s_or_b64 exec, exec, s[24:25]
.LBB294_26:
	s_or_b64 exec, exec, s[18:19]
	s_sub_i32 s0, s17, s37
	s_cmp_lt_i32 s0, 1
	s_cbranch_scc1 .LBB294_44
; %bb.27:
	v_cmp_gt_i32_e32 vcc, s17, v56
	v_mov_b32_e32 v10, 0
	v_or_b32_e32 v20, 1, v56
	v_mov_b32_e32 v11, 0
	v_mov_b32_e32 v12, 0
	;; [unrolled: 1-line block ×7, first 2 shown]
	s_and_saveexec_b64 s[2:3], vcc
	s_cbranch_execz .LBB294_35
; %bb.28:
	s_waitcnt lgkmcnt(0)
	v_mul_lo_u32 v10, v56, s36
	v_ashrrev_i32_e32 v11, 31, v10
	v_lshl_add_u64 v[10:11], v[10:11], 3, s[22:23]
	flat_load_dwordx2 v[10:11], v[10:11]
	v_cmp_gt_i32_e64 s[0:1], s17, v20
	v_mov_b32_e32 v17, 0
	v_mov_b32_e32 v16, 0
	;; [unrolled: 1-line block ×6, first 2 shown]
	s_and_saveexec_b64 s[4:5], s[0:1]
	s_cbranch_execz .LBB294_34
; %bb.29:
	v_mul_lo_u32 v12, v20, s36
	v_ashrrev_i32_e32 v13, 31, v12
	v_lshl_add_u64 v[12:13], v[12:13], 3, s[22:23]
	flat_load_dwordx2 v[12:13], v[12:13]
	v_or_b32_e32 v18, 2, v56
	v_cmp_gt_i32_e64 s[0:1], s17, v18
	v_mov_b32_e32 v17, 0
	v_mov_b32_e32 v16, 0
	;; [unrolled: 1-line block ×4, first 2 shown]
	s_and_saveexec_b64 s[6:7], s[0:1]
	s_cbranch_execz .LBB294_33
; %bb.30:
	v_mul_lo_u32 v14, v18, s36
	v_ashrrev_i32_e32 v15, 31, v14
	v_lshl_add_u64 v[14:15], v[14:15], 3, s[22:23]
	flat_load_dwordx2 v[14:15], v[14:15]
	v_or_b32_e32 v18, 3, v56
	v_cmp_gt_i32_e64 s[0:1], s17, v18
	v_mov_b32_e32 v17, 0
	v_mov_b32_e32 v16, 0
	s_and_saveexec_b64 s[10:11], s[0:1]
	s_cbranch_execz .LBB294_32
; %bb.31:
	v_mul_lo_u32 v16, v18, s36
	v_ashrrev_i32_e32 v17, 31, v16
	v_lshl_add_u64 v[16:17], v[16:17], 3, s[22:23]
	flat_load_dwordx2 v[16:17], v[16:17]
.LBB294_32:
	s_or_b64 exec, exec, s[10:11]
.LBB294_33:
	s_or_b64 exec, exec, s[6:7]
.LBB294_34:
	s_or_b64 exec, exec, s[4:5]
.LBB294_35:
	s_or_b64 exec, exec, s[2:3]
	v_cmp_gt_i32_e64 s[0:1], s16, v55
	s_and_saveexec_b64 s[2:3], s[0:1]
	s_cbranch_execz .LBB294_43
; %bb.36:
	s_waitcnt lgkmcnt(0)
	v_mul_lo_u32 v18, v56, s35
	v_cndmask_b32_e32 v18, 0, v18, vcc
	v_mul_lo_u32 v21, v20, s35
	v_cmp_gt_i32_e32 vcc, s17, v20
	v_or_b32_e32 v24, 2, v56
	v_add_u32_e32 v18, v18, v55
	v_cndmask_b32_e32 v20, 0, v21, vcc
	v_mul_lo_u32 v25, v24, s35
	v_cmp_gt_i32_e32 vcc, s17, v24
	v_or_b32_e32 v26, 3, v56
	v_ashrrev_i32_e32 v19, 31, v18
	v_add_u32_e32 v20, v20, v55
	v_cndmask_b32_e32 v24, 0, v25, vcc
	v_mul_lo_u32 v27, v26, s35
	v_cmp_gt_i32_e32 vcc, s17, v26
	v_lshl_add_u64 v[18:19], v[18:19], 3, s[20:21]
	v_ashrrev_i32_e32 v21, 31, v20
	v_add_u32_e32 v24, v24, v55
	v_cndmask_b32_e32 v26, 0, v27, vcc
	v_lshl_add_u64 v[22:23], v[20:21], 3, s[20:21]
	flat_load_dwordx2 v[20:21], v[18:19]
	flat_load_dwordx2 v[28:29], v[22:23]
	v_ashrrev_i32_e32 v25, 31, v24
	v_add_u32_e32 v26, v26, v55
	v_lshl_add_u64 v[24:25], v[24:25], 3, s[20:21]
	v_ashrrev_i32_e32 v27, 31, v26
	v_lshl_add_u64 v[26:27], v[26:27], 3, s[20:21]
	flat_load_dwordx2 v[30:31], v[24:25]
	flat_load_dwordx2 v[32:33], v[26:27]
	v_add_u32_e32 v42, 64, v55
	v_cmp_gt_i32_e32 vcc, s16, v42
	s_waitcnt vmcnt(0) lgkmcnt(0)
	v_pk_mul_f32 v[34:35], v[10:11], v[20:21] op_sel:[0,1]
	v_pk_mul_f32 v[36:37], v[12:13], v[28:29] op_sel:[0,1]
	v_pk_fma_f32 v[38:39], v[10:11], v[20:21], v[34:35] op_sel:[0,0,1] op_sel_hi:[1,1,0] neg_lo:[0,0,1] neg_hi:[0,0,1]
	v_pk_fma_f32 v[20:21], v[10:11], v[20:21], v[34:35] op_sel:[0,0,1] op_sel_hi:[1,0,0]
	v_pk_fma_f32 v[34:35], v[12:13], v[28:29], v[36:37] op_sel:[0,0,1] op_sel_hi:[1,1,0] neg_lo:[0,0,1] neg_hi:[0,0,1]
	v_pk_fma_f32 v[28:29], v[12:13], v[28:29], v[36:37] op_sel:[0,0,1] op_sel_hi:[1,0,0]
	v_pk_mul_f32 v[36:37], v[14:15], v[30:31] op_sel:[0,1]
	v_mov_b32_e32 v39, v21
	v_pk_mul_f32 v[40:41], v[16:17], v[32:33] op_sel:[0,1]
	v_mov_b32_e32 v35, v29
	v_pk_fma_f32 v[28:29], v[14:15], v[30:31], v[36:37] op_sel:[0,0,1] op_sel_hi:[1,1,0] neg_lo:[0,0,1] neg_hi:[0,0,1]
	v_pk_fma_f32 v[30:31], v[14:15], v[30:31], v[36:37] op_sel:[0,0,1] op_sel_hi:[1,0,0]
	v_pk_add_f32 v[8:9], v[8:9], v[38:39]
	v_pk_fma_f32 v[20:21], v[16:17], v[32:33], v[40:41] op_sel:[0,0,1] op_sel_hi:[1,1,0] neg_lo:[0,0,1] neg_hi:[0,0,1]
	v_pk_fma_f32 v[32:33], v[16:17], v[32:33], v[40:41] op_sel:[0,0,1] op_sel_hi:[1,0,0]
	v_mov_b32_e32 v29, v31
	v_pk_add_f32 v[8:9], v[8:9], v[34:35]
	v_mov_b32_e32 v21, v33
	v_pk_add_f32 v[8:9], v[8:9], v[28:29]
	s_and_saveexec_b64 s[0:1], vcc
	s_cbranch_execz .LBB294_42
; %bb.37:
	flat_load_dwordx2 v[30:31], v[18:19] offset:512
	flat_load_dwordx2 v[32:33], v[22:23] offset:512
	;; [unrolled: 1-line block ×4, first 2 shown]
	v_add_u32_e32 v38, 0x80, v55
	v_cmp_gt_i32_e32 vcc, s16, v38
	s_waitcnt vmcnt(0) lgkmcnt(0)
	v_mul_f32_e32 v29, v11, v31
	v_mul_f32_e32 v31, v10, v31
	;; [unrolled: 1-line block ×6, first 2 shown]
	v_fma_f32 v37, v10, v30, -v29
	v_fmac_f32_e32 v31, v11, v30
	v_mul_f32_e32 v40, v15, v35
	v_mul_f32_e32 v35, v14, v35
	v_fma_f32 v30, v12, v32, -v39
	v_fmac_f32_e32 v33, v13, v32
	v_add_f32_e32 v6, v6, v37
	v_add_f32_e32 v7, v7, v31
	v_fma_f32 v32, v14, v34, -v40
	v_fmac_f32_e32 v35, v15, v34
	v_add_f32_e32 v6, v6, v30
	v_add_f32_e32 v7, v7, v33
	;; [unrolled: 4-line block ×3, first 2 shown]
	s_and_saveexec_b64 s[4:5], vcc
	s_cbranch_execz .LBB294_41
; %bb.38:
	flat_load_dwordx2 v[32:33], v[18:19] offset:1024
	flat_load_dwordx2 v[34:35], v[22:23] offset:1024
	;; [unrolled: 1-line block ×4, first 2 shown]
	v_add_u32_e32 v40, 0xc0, v55
	v_cmp_gt_i32_e32 vcc, s16, v40
	s_waitcnt vmcnt(0) lgkmcnt(0)
	v_mul_f32_e32 v31, v11, v33
	v_mul_f32_e32 v33, v10, v33
	;; [unrolled: 1-line block ×6, first 2 shown]
	v_fma_f32 v39, v10, v32, -v31
	v_fmac_f32_e32 v33, v11, v32
	v_mul_f32_e32 v42, v15, v37
	v_mul_f32_e32 v37, v14, v37
	v_fma_f32 v32, v12, v34, -v41
	v_fmac_f32_e32 v35, v13, v34
	v_add_f32_e32 v4, v4, v39
	v_add_f32_e32 v5, v5, v33
	v_fma_f32 v34, v14, v36, -v42
	v_fmac_f32_e32 v37, v15, v36
	v_add_f32_e32 v4, v4, v32
	v_add_f32_e32 v5, v5, v35
	;; [unrolled: 4-line block ×3, first 2 shown]
	s_and_saveexec_b64 s[6:7], vcc
	s_cbranch_execz .LBB294_40
; %bb.39:
	flat_load_dwordx2 v[32:33], v[18:19] offset:1536
	flat_load_dwordx2 v[34:35], v[22:23] offset:1536
	flat_load_dwordx2 v[36:37], v[24:25] offset:1536
	flat_load_dwordx2 v[38:39], v[26:27] offset:1536
	s_waitcnt vmcnt(0) lgkmcnt(0)
	v_mul_f32_e32 v18, v11, v33
	v_mul_f32_e32 v19, v10, v33
	;; [unrolled: 1-line block ×4, first 2 shown]
	v_fma_f32 v10, v10, v32, -v18
	v_fmac_f32_e32 v19, v11, v32
	v_mul_f32_e32 v24, v15, v37
	v_mul_f32_e32 v25, v14, v37
	v_fma_f32 v11, v12, v34, -v22
	v_fmac_f32_e32 v23, v13, v34
	v_add_f32_e32 v0, v0, v10
	v_add_f32_e32 v1, v1, v19
	v_mul_f32_e32 v26, v17, v39
	v_mul_f32_e32 v27, v16, v39
	v_fma_f32 v12, v14, v36, -v24
	v_fmac_f32_e32 v25, v15, v36
	v_add_f32_e32 v0, v0, v11
	v_add_f32_e32 v1, v1, v23
	v_fma_f32 v13, v16, v38, -v26
	v_fmac_f32_e32 v27, v17, v38
	v_add_f32_e32 v0, v0, v12
	v_add_f32_e32 v1, v1, v25
	;; [unrolled: 1-line block ×4, first 2 shown]
.LBB294_40:
	s_or_b64 exec, exec, s[6:7]
	v_add_f32_e32 v4, v4, v31
	v_add_f32_e32 v5, v5, v30
.LBB294_41:
	s_or_b64 exec, exec, s[4:5]
	v_add_f32_e32 v6, v6, v29
	v_add_f32_e32 v7, v7, v28
.LBB294_42:
	s_or_b64 exec, exec, s[0:1]
	v_pk_add_f32 v[8:9], v[8:9], v[20:21]
.LBB294_43:
	s_or_b64 exec, exec, s[2:3]
.LBB294_44:
	s_waitcnt vmcnt(0) lgkmcnt(0)
	v_lshlrev_b32_e32 v10, 8, v54
	s_movk_i32 s0, 0x100
	v_add_lshl_u32 v2, v10, v2, 3
	v_cmp_gt_u32_e32 vcc, s0, v3
	ds_write2st64_b64 v2, v[8:9], v[6:7] offset1:1
	ds_write2st64_b64 v2, v[4:5], v[0:1] offset0:2 offset1:3
	s_waitcnt lgkmcnt(0)
	s_barrier
	s_and_saveexec_b64 s[0:1], vcc
	s_cbranch_execz .LBB294_49
; %bb.45:
	v_lshlrev_b32_e32 v5, 3, v3
	ds_read2st64_b64 v[6:9], v5 offset1:4
	ds_read2st64_b64 v[10:13], v5 offset0:8 offset1:12
	v_or_b32_e32 v4, s34, v3
	v_cmp_gt_i32_e32 vcc, s16, v4
	s_waitcnt lgkmcnt(1)
	v_pk_add_f32 v[0:1], v[6:7], v[8:9]
	s_waitcnt lgkmcnt(0)
	v_pk_add_f32 v[0:1], v[0:1], v[10:11]
	s_nop 0
	v_pk_add_f32 v[2:3], v[0:1], v[12:13]
	ds_write_b64 v5, v[2:3]
	s_and_b64 exec, exec, vcc
	s_cbranch_execz .LBB294_49
; %bb.46:
	v_cmp_neq_f32_e64 s[0:1], s12, 0
	v_cmp_neq_f32_e64 s[2:3], s13, 0
	v_mul_lo_u32 v4, v4, s33
	v_pk_mul_f32 v[6:7], v[2:3], s[14:15] op_sel:[1,0]
	v_ashrrev_i32_e32 v5, 31, v4
	s_or_b64 s[0:1], s[0:1], s[2:3]
	v_pk_fma_f32 v[0:1], v[2:3], s[14:15], v[6:7] op_sel:[0,0,1] op_sel_hi:[0,1,0] neg_lo:[0,0,1] neg_hi:[0,0,1]
	v_pk_fma_f32 v[2:3], v[2:3], s[14:15], v[6:7] op_sel:[0,0,1] op_sel_hi:[0,1,0]
	s_andn2_b64 vcc, exec, s[0:1]
	v_lshl_add_u64 v[4:5], v[4:5], 3, s[8:9]
	s_cbranch_vccnz .LBB294_48
; %bb.47:
	global_load_dwordx2 v[6:7], v[4:5], off
	v_mov_b32_e32 v1, v3
	s_waitcnt vmcnt(0)
	v_pk_mul_f32 v[2:3], s[12:13], v[6:7] op_sel:[0,1]
	s_nop 0
	v_pk_fma_f32 v[8:9], s[12:13], v[6:7], v[2:3] op_sel:[0,0,1] op_sel_hi:[1,1,0] neg_lo:[0,0,1] neg_hi:[0,0,1]
	v_pk_fma_f32 v[2:3], s[12:13], v[6:7], v[2:3] op_sel:[0,0,1] op_sel_hi:[1,0,0]
	s_nop 0
	v_mov_b32_e32 v9, v3
	v_pk_add_f32 v[0:1], v[0:1], v[8:9]
	s_nop 0
	v_mov_b32_e32 v3, v1
.LBB294_48:
	v_mov_b32_e32 v1, v3
	global_store_dwordx2 v[4:5], v[0:1], off
.LBB294_49:
	s_endpgm
	.section	.rodata,"a",@progbits
	.p2align	6, 0x0
	.amdhsa_kernel _ZL20rocblas_gemvn_kernelILi64ELi4EiPK19rocblas_complex_numIfES3_KPS1_EviiT3_lPKT2_lT1_lS9_lSA_lS6_lPT4_lSA_li
		.amdhsa_group_segment_fixed_size 8192
		.amdhsa_private_segment_fixed_size 0
		.amdhsa_kernarg_size 400
		.amdhsa_user_sgpr_count 2
		.amdhsa_user_sgpr_dispatch_ptr 0
		.amdhsa_user_sgpr_queue_ptr 0
		.amdhsa_user_sgpr_kernarg_segment_ptr 1
		.amdhsa_user_sgpr_dispatch_id 0
		.amdhsa_user_sgpr_kernarg_preload_length 0
		.amdhsa_user_sgpr_kernarg_preload_offset 0
		.amdhsa_user_sgpr_private_segment_size 0
		.amdhsa_uses_dynamic_stack 0
		.amdhsa_enable_private_segment 0
		.amdhsa_system_sgpr_workgroup_id_x 1
		.amdhsa_system_sgpr_workgroup_id_y 0
		.amdhsa_system_sgpr_workgroup_id_z 1
		.amdhsa_system_sgpr_workgroup_info 0
		.amdhsa_system_vgpr_workitem_id 1
		.amdhsa_next_free_vgpr 70
		.amdhsa_next_free_sgpr 40
		.amdhsa_accum_offset 72
		.amdhsa_reserve_vcc 1
		.amdhsa_float_round_mode_32 0
		.amdhsa_float_round_mode_16_64 0
		.amdhsa_float_denorm_mode_32 3
		.amdhsa_float_denorm_mode_16_64 3
		.amdhsa_dx10_clamp 1
		.amdhsa_ieee_mode 1
		.amdhsa_fp16_overflow 0
		.amdhsa_tg_split 0
		.amdhsa_exception_fp_ieee_invalid_op 0
		.amdhsa_exception_fp_denorm_src 0
		.amdhsa_exception_fp_ieee_div_zero 0
		.amdhsa_exception_fp_ieee_overflow 0
		.amdhsa_exception_fp_ieee_underflow 0
		.amdhsa_exception_fp_ieee_inexact 0
		.amdhsa_exception_int_div_zero 0
	.end_amdhsa_kernel
	.section	.text._ZL20rocblas_gemvn_kernelILi64ELi4EiPK19rocblas_complex_numIfES3_KPS1_EviiT3_lPKT2_lT1_lS9_lSA_lS6_lPT4_lSA_li,"axG",@progbits,_ZL20rocblas_gemvn_kernelILi64ELi4EiPK19rocblas_complex_numIfES3_KPS1_EviiT3_lPKT2_lT1_lS9_lSA_lS6_lPT4_lSA_li,comdat
.Lfunc_end294:
	.size	_ZL20rocblas_gemvn_kernelILi64ELi4EiPK19rocblas_complex_numIfES3_KPS1_EviiT3_lPKT2_lT1_lS9_lSA_lS6_lPT4_lSA_li, .Lfunc_end294-_ZL20rocblas_gemvn_kernelILi64ELi4EiPK19rocblas_complex_numIfES3_KPS1_EviiT3_lPKT2_lT1_lS9_lSA_lS6_lPT4_lSA_li
                                        ; -- End function
	.section	.AMDGPU.csdata,"",@progbits
; Kernel info:
; codeLenInByte = 3232
; NumSgprs: 46
; NumVgprs: 70
; NumAgprs: 0
; TotalNumVgprs: 70
; ScratchSize: 0
; MemoryBound: 0
; FloatMode: 240
; IeeeMode: 1
; LDSByteSize: 8192 bytes/workgroup (compile time only)
; SGPRBlocks: 5
; VGPRBlocks: 8
; NumSGPRsForWavesPerEU: 46
; NumVGPRsForWavesPerEU: 70
; AccumOffset: 72
; Occupancy: 7
; WaveLimiterHint : 1
; COMPUTE_PGM_RSRC2:SCRATCH_EN: 0
; COMPUTE_PGM_RSRC2:USER_SGPR: 2
; COMPUTE_PGM_RSRC2:TRAP_HANDLER: 0
; COMPUTE_PGM_RSRC2:TGID_X_EN: 1
; COMPUTE_PGM_RSRC2:TGID_Y_EN: 0
; COMPUTE_PGM_RSRC2:TGID_Z_EN: 1
; COMPUTE_PGM_RSRC2:TIDIG_COMP_CNT: 1
; COMPUTE_PGM_RSRC3_GFX90A:ACCUM_OFFSET: 17
; COMPUTE_PGM_RSRC3_GFX90A:TG_SPLIT: 0
	.section	.text._ZL20rocblas_gemvn_kernelILi64ELi4ElPK19rocblas_complex_numIfES3_KPS1_EviiT3_lPKT2_lT1_lS9_lSA_lS6_lPT4_lSA_li,"axG",@progbits,_ZL20rocblas_gemvn_kernelILi64ELi4ElPK19rocblas_complex_numIfES3_KPS1_EviiT3_lPKT2_lT1_lS9_lSA_lS6_lPT4_lSA_li,comdat
	.globl	_ZL20rocblas_gemvn_kernelILi64ELi4ElPK19rocblas_complex_numIfES3_KPS1_EviiT3_lPKT2_lT1_lS9_lSA_lS6_lPT4_lSA_li ; -- Begin function _ZL20rocblas_gemvn_kernelILi64ELi4ElPK19rocblas_complex_numIfES3_KPS1_EviiT3_lPKT2_lT1_lS9_lSA_lS6_lPT4_lSA_li
	.p2align	8
	.type	_ZL20rocblas_gemvn_kernelILi64ELi4ElPK19rocblas_complex_numIfES3_KPS1_EviiT3_lPKT2_lT1_lS9_lSA_lS6_lPT4_lSA_li,@function
_ZL20rocblas_gemvn_kernelILi64ELi4ElPK19rocblas_complex_numIfES3_KPS1_EviiT3_lPKT2_lT1_lS9_lSA_lS6_lPT4_lSA_li: ; @_ZL20rocblas_gemvn_kernelILi64ELi4ElPK19rocblas_complex_numIfES3_KPS1_EviiT3_lPKT2_lT1_lS9_lSA_lS6_lPT4_lSA_li
; %bb.0:
	s_load_dwordx2 s[4:5], s[0:1], 0x9c
	s_mov_b32 s28, s3
	s_waitcnt lgkmcnt(0)
	s_and_b32 s3, s5, 0xffff
	s_lshr_b32 s5, s4, 16
	s_and_b32 s4, s4, 0xffff
	s_mul_i32 s4, s5, s4
	s_mul_i32 s4, s4, s3
	s_cmpk_lg_i32 s4, 0x100
	s_cbranch_scc1 .LBB295_49
; %bb.1:
	s_load_dwordx8 s[12:19], s[0:1], 0x8
	s_load_dwordx8 s[4:11], s[0:1], 0x58
	s_waitcnt lgkmcnt(0)
	s_mul_i32 s3, s28, s15
	s_mul_hi_u32 s15, s28, s14
	s_mul_i32 s14, s28, s14
	s_add_i32 s15, s15, s3
	s_lshl_b64 s[14:15], s[14:15], 3
	s_mul_i32 s7, s28, s7
	s_add_u32 s12, s12, s14
	s_mul_hi_u32 s3, s28, s6
	s_addc_u32 s13, s13, s15
	s_add_i32 s7, s3, s7
	s_mul_i32 s6, s28, s6
	s_lshl_b64 s[6:7], s[6:7], 3
	s_add_u32 s4, s4, s6
	s_load_dwordx2 s[14:15], s[12:13], 0x0
	s_addc_u32 s5, s5, s7
	s_load_dwordx2 s[12:13], s[4:5], 0x0
	s_waitcnt lgkmcnt(0)
	v_cmp_eq_f32_e64 s[4:5], s14, 0
	v_cmp_eq_f32_e64 s[6:7], s15, 0
	s_and_b64 s[4:5], s[4:5], s[6:7]
	v_cmp_eq_f32_e64 s[6:7], s12, 1.0
	v_cmp_eq_f32_e64 s[20:21], s13, 0
	s_and_b64 s[6:7], s[6:7], s[20:21]
	s_and_b64 s[4:5], s[4:5], s[6:7]
	s_and_b64 vcc, exec, s[4:5]
	s_cbranch_vccnz .LBB295_49
; %bb.2:
	s_or_b32 s3, s14, s15
	s_load_dwordx2 s[22:23], s[0:1], 0x28
	s_load_dwordx2 s[20:21], s[0:1], 0x78
	s_bitset0_b32 s3, 31
	s_cmp_lg_u32 s3, 0
	s_cselect_b64 s[34:35], -1, 0
	s_cmp_eq_u32 s3, 0
	s_cselect_b64 s[30:31], -1, 0
	s_mov_b32 s29, 0
	s_mov_b64 s[26:27], 0
	s_and_b64 vcc, exec, s[30:31]
	s_mov_b64 s[24:25], 0
	s_cbranch_vccnz .LBB295_4
; %bb.3:
	s_lshl_b64 s[4:5], s[28:29], 3
	s_add_u32 s4, s16, s4
	s_addc_u32 s5, s17, s5
	s_load_dwordx2 s[4:5], s[4:5], 0x0
	s_lshl_b64 s[6:7], s[18:19], 3
	s_waitcnt lgkmcnt(0)
	s_add_u32 s24, s4, s6
	s_addc_u32 s25, s5, s7
.LBB295_4:
	s_load_dwordx4 s[4:7], s[0:1], 0x38
	s_load_dwordx2 s[18:19], s[0:1], 0x48
	s_andn2_b64 vcc, exec, s[34:35]
	s_cbranch_vccnz .LBB295_6
; %bb.5:
	s_lshl_b64 s[16:17], s[28:29], 3
	s_waitcnt lgkmcnt(0)
	s_add_u32 s4, s4, s16
	s_addc_u32 s5, s5, s17
	s_load_dwordx2 s[4:5], s[4:5], 0x0
	s_lshl_b64 s[6:7], s[6:7], 3
	s_waitcnt lgkmcnt(0)
	s_add_u32 s26, s4, s6
	s_addc_u32 s27, s5, s7
.LBB295_6:
	s_waitcnt lgkmcnt(0)
	s_lshl_b64 s[4:5], s[28:29], 3
	s_add_u32 s4, s8, s4
	s_addc_u32 s5, s9, s5
	s_load_dwordx2 s[6:7], s[4:5], 0x0
	s_load_dwordx2 s[16:17], s[0:1], 0x0
	s_lshl_b64 s[0:1], s[10:11], 3
	v_and_b32_e32 v63, 0x3ff, v0
	v_bfe_u32 v64, v0, 10, 10
	s_waitcnt lgkmcnt(0)
	s_add_u32 s8, s6, s0
	s_addc_u32 s9, s7, s1
	v_lshl_add_u32 v62, v64, 6, v63
	s_andn2_b64 vcc, exec, s[30:31]
	s_mov_b64 s[0:1], -1
	s_cbranch_vccnz .LBB295_13
; %bb.7:
	s_movk_i32 s0, 0x100
	v_cmp_gt_u32_e32 vcc, s0, v62
	s_and_saveexec_b64 s[0:1], vcc
	s_cbranch_execz .LBB295_12
; %bb.8:
	v_lshl_or_b32 v0, s2, 8, v62
	v_mov_b32_e32 v1, 0
	s_ashr_i32 s5, s16, 31
	s_mov_b32 s4, s16
	v_cmp_gt_i64_e32 vcc, s[4:5], v[0:1]
	s_and_b64 exec, exec, vcc
	s_cbranch_execz .LBB295_12
; %bb.9:
	v_mad_u64_u32 v[2:3], s[10:11], v0, s20, 0
	v_mov_b32_e32 v4, v3
	v_cmp_neq_f32_e64 s[4:5], s12, 0
	v_cmp_neq_f32_e64 s[6:7], s13, 0
	v_mad_u64_u32 v[4:5], s[10:11], v0, s21, v[4:5]
	v_mov_b32_e32 v3, v4
	s_or_b64 s[4:5], s[4:5], s[6:7]
	s_andn2_b64 vcc, exec, s[4:5]
	v_lshl_add_u64 v[2:3], v[2:3], 3, s[8:9]
	v_mov_b32_e32 v5, v1
	s_cbranch_vccnz .LBB295_11
; %bb.10:
	global_load_dwordx2 v[0:1], v[2:3], off
	s_waitcnt vmcnt(0)
	v_pk_mul_f32 v[4:5], s[12:13], v[0:1] op_sel:[0,1]
	s_nop 0
	v_pk_fma_f32 v[6:7], s[12:13], v[0:1], v[4:5] op_sel:[0,0,1] op_sel_hi:[1,1,0] neg_lo:[0,0,1] neg_hi:[0,0,1]
	v_pk_fma_f32 v[4:5], s[12:13], v[0:1], v[4:5] op_sel:[0,0,1] op_sel_hi:[1,0,0]
	v_mov_b32_e32 v1, v6
.LBB295_11:
	v_mov_b32_e32 v4, v1
	global_store_dwordx2 v[2:3], v[4:5], off
.LBB295_12:
	s_or_b64 exec, exec, s[0:1]
	s_mov_b64 s[0:1], 0
.LBB295_13:
	s_andn2_b64 vcc, exec, s[0:1]
	s_cbranch_vccnz .LBB295_49
; %bb.14:
	s_ashr_i32 s0, s17, 31
	s_lshr_b32 s0, s0, 28
	s_add_i32 s0, s17, s0
	s_mov_b32 s6, 0
	s_lshl_b32 s33, s2, 8
	s_and_b32 s44, s0, -16
	v_lshlrev_b32_e32 v65, 2, v64
	s_mov_b32 s7, s6
	v_add_u32_e32 v4, s33, v63
	v_cmp_gt_i32_e32 vcc, s44, v65
	v_mov_b64_e32 v[8:9], s[6:7]
	v_mov_b32_e32 v1, 0
	v_mov_b32_e32 v0, 0
	;; [unrolled: 1-line block ×6, first 2 shown]
	s_and_saveexec_b64 s[10:11], vcc
	s_cbranch_execz .LBB295_26
; %bb.15:
	v_ashrrev_i32_e32 v5, 31, v4
	v_add_u32_e32 v0, 64, v4
	v_cmp_gt_i32_e64 s[0:1], s16, v0
	v_add_u32_e32 v0, 0x80, v4
	v_lshl_add_u64 v[10:11], v[4:5], 3, s[24:25]
	v_lshlrev_b32_e32 v5, 2, v64
	v_cmp_gt_i32_e64 s[2:3], s16, v0
	v_add_u32_e32 v0, 0xc0, v4
	v_or_b32_e32 v3, 3, v5
	v_cmp_gt_i32_e64 s[4:5], s16, v0
	v_mad_u64_u32 v[0:1], s[28:29], s22, v3, 0
	v_mov_b32_e32 v2, v1
	v_mad_u64_u32 v[2:3], s[28:29], s23, v3, v[2:3]
	v_mov_b32_e32 v1, v2
	v_lshlrev_b64 v[12:13], 3, v[0:1]
	v_mad_u64_u32 v[0:1], s[30:31], s18, v64, 0
	v_mov_b32_e32 v2, v1
	v_mad_u64_u32 v[2:3], s[30:31], s19, v64, v[2:3]
	v_mov_b32_e32 v1, v2
	v_lshlrev_b64 v[0:1], 5, v[0:1]
	v_lshl_add_u64 v[14:15], s[26:27], 0, v[0:1]
	v_mad_u64_u32 v[0:1], s[34:35], s22, v64, 0
	v_mov_b32_e32 v2, v1
	v_mad_u64_u32 v[2:3], s[34:35], s23, v64, v[2:3]
	v_mov_b32_e32 v1, v2
	v_lshlrev_b64 v[16:17], 5, v[0:1]
	v_mov_b64_e32 v[0:1], s[22:23]
	v_mad_u64_u32 v[0:1], s[34:35], s22, v5, v[0:1]
	v_mov_b32_e32 v2, v1
	v_mad_u64_u32 v[2:3], s[34:35], s23, v5, v[2:3]
	v_mov_b32_e32 v1, v2
	v_or_b32_e32 v3, 2, v5
	v_lshlrev_b64 v[18:19], 3, v[0:1]
	v_mad_u64_u32 v[0:1], s[34:35], s22, v3, 0
	v_mov_b32_e32 v2, v1
	v_mad_u64_u32 v[2:3], s[34:35], s23, v3, v[2:3]
	v_mov_b32_e32 v1, v2
	v_lshlrev_b64 v[20:21], 3, v[0:1]
	v_mov_b32_e32 v1, 0
	v_cmp_gt_i32_e32 vcc, s16, v4
	s_lshl_b64 s[28:29], s[22:23], 7
	s_lshl_b64 s[30:31], s[18:19], 7
	;; [unrolled: 1-line block ×3, first 2 shown]
	s_mov_b64 s[34:35], 0
	v_mov_b64_e32 v[8:9], s[6:7]
	v_mov_b32_e32 v0, v1
	v_mov_b32_e32 v3, v1
	;; [unrolled: 1-line block ×5, first 2 shown]
	s_branch .LBB295_20
.LBB295_16:                             ;   in Loop: Header=BB295_20 Depth=1
	s_or_b64 exec, exec, s[42:43]
	s_waitcnt vmcnt(0) lgkmcnt(0)
	v_mul_f32_e32 v5, v33, v53
	v_fma_f32 v5, v32, v52, -v5
	v_add_f32_e32 v2, v2, v5
	v_mul_f32_e32 v5, v29, v51
	v_mul_f32_e32 v53, v32, v53
	v_fma_f32 v5, v28, v50, -v5
	v_fmac_f32_e32 v53, v33, v52
	v_mul_f32_e32 v51, v28, v51
	v_add_f32_e32 v2, v2, v5
	v_mul_f32_e32 v5, v25, v49
	v_add_f32_e32 v3, v3, v53
	v_fmac_f32_e32 v51, v29, v50
	v_fma_f32 v5, v24, v48, -v5
	v_mul_f32_e32 v49, v24, v49
	v_add_f32_e32 v3, v3, v51
	v_fmac_f32_e32 v49, v25, v48
	v_add_f32_e32 v2, v2, v5
	v_mul_f32_e32 v5, v23, v47
	v_mul_f32_e32 v47, v22, v47
	v_add_f32_e32 v3, v3, v49
	v_fma_f32 v5, v22, v46, -v5
	v_fmac_f32_e32 v47, v23, v46
	v_add_f32_e32 v2, v2, v5
	v_add_f32_e32 v3, v3, v47
.LBB295_17:                             ;   in Loop: Header=BB295_20 Depth=1
	s_or_b64 exec, exec, s[40:41]
	s_waitcnt vmcnt(0) lgkmcnt(0)
	v_mul_f32_e32 v5, v33, v45
	v_mul_f32_e32 v45, v32, v45
	v_fma_f32 v5, v32, v44, -v5
	v_fmac_f32_e32 v45, v33, v44
	v_add_f32_e32 v5, v6, v5
	v_add_f32_e32 v6, v7, v45
	v_mul_f32_e32 v7, v29, v43
	v_fma_f32 v7, v28, v42, -v7
	v_mul_f32_e32 v43, v28, v43
	v_fmac_f32_e32 v43, v29, v42
	v_add_f32_e32 v5, v5, v7
	v_mul_f32_e32 v7, v25, v41
	v_mul_f32_e32 v41, v24, v41
	v_add_f32_e32 v6, v6, v43
	v_fma_f32 v7, v24, v40, -v7
	v_fmac_f32_e32 v41, v25, v40
	v_add_f32_e32 v5, v5, v7
	v_add_f32_e32 v7, v6, v41
	v_mul_f32_e32 v6, v23, v39
	v_mul_f32_e32 v39, v22, v39
	v_fma_f32 v6, v22, v38, -v6
	v_fmac_f32_e32 v39, v23, v38
	v_add_f32_e32 v6, v5, v6
	v_add_f32_e32 v7, v7, v39
.LBB295_18:                             ;   in Loop: Header=BB295_20 Depth=1
	s_or_b64 exec, exec, s[38:39]
	s_waitcnt vmcnt(0) lgkmcnt(0)
	v_mul_f32_e32 v5, v33, v37
	v_mul_f32_e32 v39, v32, v37
	v_fma_f32 v38, v32, v36, -v5
	v_fmac_f32_e32 v39, v33, v36
	v_mul_f32_e32 v5, v29, v35
	v_mul_f32_e32 v33, v28, v35
	v_fma_f32 v32, v28, v34, -v5
	v_fmac_f32_e32 v33, v29, v34
	v_pk_add_f32 v[8:9], v[8:9], v[38:39]
	v_mov_b32_e32 v28, v25
	v_mov_b32_e32 v29, v24
	v_pk_add_f32 v[8:9], v[8:9], v[32:33]
	v_mov_b32_e32 v24, v31
	v_pk_mul_f32 v[32:33], v[28:29], v[30:31] op_sel_hi:[1,0]
	s_nop 0
	v_pk_fma_f32 v[24:25], v[28:29], v[24:25], v[32:33] op_sel:[0,0,1] op_sel_hi:[1,1,0] neg_lo:[1,0,0] neg_hi:[1,0,0]
	v_pk_fma_f32 v[28:29], v[28:29], v[30:31], v[32:33] op_sel:[0,1,1] op_sel_hi:[1,1,0]
	s_nop 0
	v_mov_b32_e32 v25, v29
	v_pk_add_f32 v[8:9], v[8:9], v[24:25]
	v_pk_mul_f32 v[24:25], v[22:23], v[26:27] op_sel:[0,1]
	s_nop 0
	v_pk_fma_f32 v[28:29], v[22:23], v[26:27], v[24:25] op_sel:[0,0,1] op_sel_hi:[1,1,0] neg_lo:[0,0,1] neg_hi:[0,0,1]
	v_pk_fma_f32 v[22:23], v[22:23], v[26:27], v[24:25] op_sel:[0,0,1] op_sel_hi:[1,0,0]
	s_nop 0
	v_mov_b32_e32 v29, v23
	v_pk_add_f32 v[8:9], v[8:9], v[28:29]
.LBB295_19:                             ;   in Loop: Header=BB295_20 Depth=1
	s_or_b64 exec, exec, s[6:7]
	v_add_u32_e32 v65, 16, v65
	v_cmp_le_i32_e64 s[6:7], s44, v65
	v_lshl_add_u64 v[10:11], v[10:11], 0, s[28:29]
	s_or_b64 s[34:35], s[6:7], s[34:35]
	v_lshl_add_u64 v[14:15], v[14:15], 0, s[30:31]
	s_andn2_b64 exec, exec, s[34:35]
	s_cbranch_execz .LBB295_25
.LBB295_20:                             ; =>This Inner Loop Header: Depth=1
	s_and_saveexec_b64 s[6:7], vcc
	s_cbranch_execz .LBB295_19
; %bb.21:                               ;   in Loop: Header=BB295_20 Depth=1
	v_lshl_add_u64 v[22:23], v[14:15], 0, s[36:37]
	v_lshl_add_u64 v[26:27], v[22:23], 0, s[36:37]
	flat_load_dwordx2 v[28:29], v[22:23]
	flat_load_dwordx2 v[24:25], v[26:27]
	v_lshl_add_u64 v[26:27], v[26:27], 0, s[36:37]
	v_lshl_add_u64 v[54:55], v[10:11], 0, v[16:17]
	flat_load_dwordx2 v[32:33], v[14:15]
	flat_load_dwordx2 v[22:23], v[26:27]
	v_lshl_add_u64 v[56:57], v[10:11], 0, v[18:19]
	v_lshl_add_u64 v[58:59], v[10:11], 0, v[20:21]
	;; [unrolled: 1-line block ×3, first 2 shown]
	flat_load_dwordx2 v[36:37], v[54:55]
	flat_load_dwordx2 v[34:35], v[56:57]
	;; [unrolled: 1-line block ×4, first 2 shown]
	s_and_saveexec_b64 s[38:39], s[0:1]
	s_cbranch_execz .LBB295_18
; %bb.22:                               ;   in Loop: Header=BB295_20 Depth=1
	flat_load_dwordx2 v[44:45], v[54:55] offset:512
	flat_load_dwordx2 v[42:43], v[56:57] offset:512
	flat_load_dwordx2 v[40:41], v[58:59] offset:512
	flat_load_dwordx2 v[38:39], v[60:61] offset:512
	s_and_saveexec_b64 s[40:41], s[2:3]
	s_cbranch_execz .LBB295_17
; %bb.23:                               ;   in Loop: Header=BB295_20 Depth=1
	flat_load_dwordx2 v[52:53], v[54:55] offset:1024
	flat_load_dwordx2 v[50:51], v[56:57] offset:1024
	flat_load_dwordx2 v[48:49], v[58:59] offset:1024
	flat_load_dwordx2 v[46:47], v[60:61] offset:1024
	;; [unrolled: 7-line block ×3, first 2 shown]
	s_waitcnt vmcnt(0) lgkmcnt(0)
	v_mul_f32_e32 v5, v33, v67
	v_mul_f32_e32 v54, v32, v67
	;; [unrolled: 1-line block ×4, first 2 shown]
	v_fma_f32 v5, v32, v66, -v5
	v_fmac_f32_e32 v54, v33, v66
	v_mul_f32_e32 v57, v25, v71
	v_mul_f32_e32 v58, v24, v71
	v_fma_f32 v55, v28, v68, -v55
	v_fmac_f32_e32 v56, v29, v68
	v_add_f32_e32 v0, v0, v5
	v_add_f32_e32 v1, v1, v54
	v_mul_f32_e32 v59, v23, v73
	v_mul_f32_e32 v60, v22, v73
	v_fma_f32 v57, v24, v70, -v57
	v_fmac_f32_e32 v58, v25, v70
	v_add_f32_e32 v0, v0, v55
	v_add_f32_e32 v1, v1, v56
	v_fma_f32 v59, v22, v72, -v59
	v_fmac_f32_e32 v60, v23, v72
	v_add_f32_e32 v0, v0, v57
	v_add_f32_e32 v1, v1, v58
	v_add_f32_e32 v0, v0, v59
	v_add_f32_e32 v1, v1, v60
	s_branch .LBB295_16
.LBB295_25:
	s_or_b64 exec, exec, s[34:35]
.LBB295_26:
	s_or_b64 exec, exec, s[10:11]
	s_sub_i32 s0, s17, s44
	s_cmp_lt_i32 s0, 1
	s_cbranch_scc1 .LBB295_44
; %bb.27:
	v_cmp_gt_i32_e32 vcc, s17, v65
	v_mov_b32_e32 v10, 0
	v_or_b32_e32 v20, 1, v65
	v_mov_b32_e32 v11, 0
	v_mov_b32_e32 v12, 0
	;; [unrolled: 1-line block ×7, first 2 shown]
	s_and_saveexec_b64 s[2:3], vcc
	s_cbranch_execz .LBB295_35
; %bb.28:
	v_mad_u64_u32 v[10:11], s[0:1], v65, s18, 0
	v_mov_b32_e32 v12, v11
	v_mad_u64_u32 v[12:13], s[0:1], v65, s19, v[12:13]
	v_mov_b32_e32 v11, v12
	v_lshl_add_u64 v[10:11], v[10:11], 3, s[26:27]
	flat_load_dwordx2 v[10:11], v[10:11]
	v_cmp_gt_i32_e64 s[0:1], s17, v20
	v_mov_b32_e32 v17, 0
	v_mov_b32_e32 v16, 0
	;; [unrolled: 1-line block ×6, first 2 shown]
	s_and_saveexec_b64 s[4:5], s[0:1]
	s_cbranch_execz .LBB295_34
; %bb.29:
	v_mad_u64_u32 v[12:13], s[0:1], v20, s18, 0
	v_mov_b32_e32 v14, v13
	v_mad_u64_u32 v[14:15], s[0:1], v20, s19, v[14:15]
	v_mov_b32_e32 v13, v14
	v_lshl_add_u64 v[12:13], v[12:13], 3, s[26:27]
	flat_load_dwordx2 v[12:13], v[12:13]
	v_or_b32_e32 v5, 2, v65
	v_cmp_gt_i32_e64 s[0:1], s17, v5
	v_mov_b32_e32 v17, 0
	v_mov_b32_e32 v16, 0
	v_mov_b32_e32 v15, 0
	v_mov_b32_e32 v14, 0
	s_and_saveexec_b64 s[6:7], s[0:1]
	s_cbranch_execz .LBB295_33
; %bb.30:
	v_mad_u64_u32 v[14:15], s[0:1], v5, s18, 0
	v_mov_b32_e32 v16, v15
	v_mad_u64_u32 v[16:17], s[0:1], v5, s19, v[16:17]
	v_mov_b32_e32 v15, v16
	v_lshl_add_u64 v[14:15], v[14:15], 3, s[26:27]
	flat_load_dwordx2 v[14:15], v[14:15]
	v_or_b32_e32 v5, 3, v65
	v_cmp_gt_i32_e64 s[0:1], s17, v5
	v_mov_b32_e32 v17, 0
	v_mov_b32_e32 v16, 0
	s_and_saveexec_b64 s[10:11], s[0:1]
	s_cbranch_execz .LBB295_32
; %bb.31:
	v_mad_u64_u32 v[16:17], s[0:1], v5, s18, 0
	v_mov_b32_e32 v18, v17
	v_mad_u64_u32 v[18:19], s[0:1], v5, s19, v[18:19]
	v_mov_b32_e32 v17, v18
	v_lshl_add_u64 v[16:17], v[16:17], 3, s[26:27]
	flat_load_dwordx2 v[16:17], v[16:17]
.LBB295_32:
	s_or_b64 exec, exec, s[10:11]
.LBB295_33:
	s_or_b64 exec, exec, s[6:7]
.LBB295_34:
	s_or_b64 exec, exec, s[4:5]
.LBB295_35:
	s_or_b64 exec, exec, s[2:3]
	v_cmp_gt_i32_e64 s[0:1], s16, v4
	s_and_saveexec_b64 s[2:3], s[0:1]
	s_cbranch_execz .LBB295_43
; %bb.36:
	v_mad_u64_u32 v[18:19], s[0:1], v65, s22, 0
	v_mov_b32_e32 v22, v19
	v_ashrrev_i32_e32 v5, 31, v4
	v_mad_u64_u32 v[22:23], s[0:1], v65, s23, v[22:23]
	v_mad_u64_u32 v[24:25], s[0:1], v20, s22, 0
	v_cndmask_b32_e32 v18, 0, v18, vcc
	v_cndmask_b32_e32 v19, 0, v22, vcc
	v_lshlrev_b64 v[22:23], 3, v[4:5]
	v_mov_b32_e32 v26, v25
	v_cmp_gt_i32_e32 vcc, s17, v20
	v_or_b32_e32 v5, 2, v65
	v_mad_u64_u32 v[26:27], s[0:1], v20, s23, v[26:27]
	v_cndmask_b32_e32 v20, 0, v24, vcc
	v_mad_u64_u32 v[24:25], s[0:1], v5, s22, 0
	v_cndmask_b32_e32 v21, 0, v26, vcc
	v_mov_b32_e32 v26, v25
	v_mad_u64_u32 v[26:27], s[0:1], v5, s23, v[26:27]
	v_cmp_gt_i32_e32 vcc, s17, v5
	v_or_b32_e32 v5, 3, v65
	v_lshl_add_u64 v[18:19], v[18:19], 3, s[24:25]
	v_cndmask_b32_e32 v25, 0, v26, vcc
	v_mad_u64_u32 v[26:27], s[0:1], v5, s22, 0
	v_mov_b32_e32 v32, v27
	v_lshl_add_u64 v[18:19], v[18:19], 0, v[22:23]
	v_lshl_add_u64 v[20:21], v[20:21], 3, s[24:25]
	v_cndmask_b32_e32 v24, 0, v24, vcc
	v_mad_u64_u32 v[32:33], s[0:1], v5, s23, v[32:33]
	v_cmp_gt_i32_e32 vcc, s17, v5
	v_lshl_add_u64 v[20:21], v[20:21], 0, v[22:23]
	flat_load_dwordx2 v[28:29], v[18:19]
	flat_load_dwordx2 v[30:31], v[20:21]
	v_lshl_add_u64 v[24:25], v[24:25], 3, s[24:25]
	v_cndmask_b32_e32 v26, 0, v26, vcc
	v_cndmask_b32_e32 v27, 0, v32, vcc
	v_lshl_add_u64 v[24:25], v[24:25], 0, v[22:23]
	v_lshl_add_u64 v[26:27], v[26:27], 3, s[24:25]
	;; [unrolled: 1-line block ×3, first 2 shown]
	flat_load_dwordx2 v[22:23], v[24:25]
	flat_load_dwordx2 v[32:33], v[26:27]
	v_add_u32_e32 v5, 64, v4
	v_cmp_gt_i32_e32 vcc, s16, v5
	s_waitcnt vmcnt(0) lgkmcnt(0)
	v_pk_mul_f32 v[34:35], v[10:11], v[28:29] op_sel:[0,1]
	v_pk_mul_f32 v[36:37], v[12:13], v[30:31] op_sel:[0,1]
	v_pk_fma_f32 v[38:39], v[10:11], v[28:29], v[34:35] op_sel:[0,0,1] op_sel_hi:[1,1,0] neg_lo:[0,0,1] neg_hi:[0,0,1]
	v_pk_fma_f32 v[28:29], v[10:11], v[28:29], v[34:35] op_sel:[0,0,1] op_sel_hi:[1,0,0]
	v_pk_fma_f32 v[34:35], v[12:13], v[30:31], v[36:37] op_sel:[0,0,1] op_sel_hi:[1,1,0] neg_lo:[0,0,1] neg_hi:[0,0,1]
	v_pk_fma_f32 v[30:31], v[12:13], v[30:31], v[36:37] op_sel:[0,0,1] op_sel_hi:[1,0,0]
	v_mov_b32_e32 v39, v29
	v_pk_mul_f32 v[36:37], v[14:15], v[22:23] op_sel:[0,1]
	v_pk_mul_f32 v[40:41], v[16:17], v[32:33] op_sel:[0,1]
	v_mov_b32_e32 v35, v31
	v_pk_fma_f32 v[28:29], v[14:15], v[22:23], v[36:37] op_sel:[0,0,1] op_sel_hi:[1,1,0] neg_lo:[0,0,1] neg_hi:[0,0,1]
	v_pk_fma_f32 v[30:31], v[14:15], v[22:23], v[36:37] op_sel:[0,0,1] op_sel_hi:[1,0,0]
	v_pk_add_f32 v[8:9], v[8:9], v[38:39]
	v_pk_fma_f32 v[22:23], v[16:17], v[32:33], v[40:41] op_sel:[0,0,1] op_sel_hi:[1,1,0] neg_lo:[0,0,1] neg_hi:[0,0,1]
	v_pk_fma_f32 v[32:33], v[16:17], v[32:33], v[40:41] op_sel:[0,0,1] op_sel_hi:[1,0,0]
	v_mov_b32_e32 v29, v31
	v_pk_add_f32 v[8:9], v[8:9], v[34:35]
	v_mov_b32_e32 v23, v33
	v_pk_add_f32 v[8:9], v[8:9], v[28:29]
	s_and_saveexec_b64 s[0:1], vcc
	s_cbranch_execz .LBB295_42
; %bb.37:
	flat_load_dwordx2 v[28:29], v[18:19] offset:512
	flat_load_dwordx2 v[30:31], v[20:21] offset:512
	;; [unrolled: 1-line block ×4, first 2 shown]
	v_add_u32_e32 v36, 0x80, v4
	v_cmp_gt_i32_e32 vcc, s16, v36
	s_waitcnt vmcnt(0) lgkmcnt(0)
	v_mul_f32_e32 v37, v11, v29
	v_mul_f32_e32 v29, v10, v29
	;; [unrolled: 1-line block ×6, first 2 shown]
	v_fma_f32 v35, v10, v28, -v37
	v_fmac_f32_e32 v29, v11, v28
	v_mul_f32_e32 v39, v15, v33
	v_mul_f32_e32 v33, v14, v33
	v_fma_f32 v37, v12, v30, -v38
	v_fmac_f32_e32 v31, v13, v30
	v_add_f32_e32 v6, v6, v35
	v_add_f32_e32 v7, v7, v29
	v_fma_f32 v30, v14, v32, -v39
	v_fmac_f32_e32 v33, v15, v32
	v_add_f32_e32 v6, v6, v37
	v_add_f32_e32 v7, v7, v31
	;; [unrolled: 4-line block ×3, first 2 shown]
	s_and_saveexec_b64 s[4:5], vcc
	s_cbranch_execz .LBB295_41
; %bb.38:
	flat_load_dwordx2 v[30:31], v[18:19] offset:1024
	flat_load_dwordx2 v[32:33], v[20:21] offset:1024
	;; [unrolled: 1-line block ×4, first 2 shown]
	v_add_u32_e32 v38, 0xc0, v4
	v_cmp_gt_i32_e32 vcc, s16, v38
	s_waitcnt vmcnt(0) lgkmcnt(0)
	v_mul_f32_e32 v29, v11, v31
	v_mul_f32_e32 v31, v10, v31
	;; [unrolled: 1-line block ×6, first 2 shown]
	v_fma_f32 v37, v10, v30, -v29
	v_fmac_f32_e32 v31, v11, v30
	v_mul_f32_e32 v40, v15, v35
	v_mul_f32_e32 v35, v14, v35
	v_fma_f32 v30, v12, v32, -v39
	v_fmac_f32_e32 v33, v13, v32
	v_add_f32_e32 v2, v2, v37
	v_add_f32_e32 v3, v3, v31
	v_fma_f32 v32, v14, v34, -v40
	v_fmac_f32_e32 v35, v15, v34
	v_add_f32_e32 v2, v2, v30
	v_add_f32_e32 v3, v3, v33
	;; [unrolled: 4-line block ×3, first 2 shown]
	s_and_saveexec_b64 s[6:7], vcc
	s_cbranch_execz .LBB295_40
; %bb.39:
	flat_load_dwordx2 v[30:31], v[18:19] offset:1536
	flat_load_dwordx2 v[32:33], v[20:21] offset:1536
	;; [unrolled: 1-line block ×4, first 2 shown]
	s_waitcnt vmcnt(0) lgkmcnt(0)
	v_mul_f32_e32 v18, v11, v31
	v_mul_f32_e32 v19, v10, v31
	;; [unrolled: 1-line block ×4, first 2 shown]
	v_fma_f32 v10, v10, v30, -v18
	v_fmac_f32_e32 v19, v11, v30
	v_mul_f32_e32 v24, v15, v35
	v_mul_f32_e32 v25, v14, v35
	v_fma_f32 v11, v12, v32, -v20
	v_fmac_f32_e32 v21, v13, v32
	v_add_f32_e32 v0, v0, v10
	v_add_f32_e32 v1, v1, v19
	v_mul_f32_e32 v26, v17, v37
	v_mul_f32_e32 v27, v16, v37
	v_fma_f32 v12, v14, v34, -v24
	v_fmac_f32_e32 v25, v15, v34
	v_add_f32_e32 v0, v0, v11
	v_add_f32_e32 v1, v1, v21
	v_fma_f32 v13, v16, v36, -v26
	v_fmac_f32_e32 v27, v17, v36
	v_add_f32_e32 v0, v0, v12
	v_add_f32_e32 v1, v1, v25
	;; [unrolled: 1-line block ×4, first 2 shown]
.LBB295_40:
	s_or_b64 exec, exec, s[6:7]
	v_add_f32_e32 v2, v2, v29
	v_add_f32_e32 v3, v3, v4
.LBB295_41:
	s_or_b64 exec, exec, s[4:5]
	v_add_f32_e32 v6, v6, v28
	v_add_f32_e32 v7, v7, v5
.LBB295_42:
	s_or_b64 exec, exec, s[0:1]
	v_pk_add_f32 v[8:9], v[8:9], v[22:23]
.LBB295_43:
	s_or_b64 exec, exec, s[2:3]
.LBB295_44:
	v_lshlrev_b32_e32 v4, 8, v64
	s_movk_i32 s0, 0x100
	v_add_lshl_u32 v4, v4, v63, 3
	v_cmp_gt_u32_e32 vcc, s0, v62
	ds_write2st64_b64 v4, v[8:9], v[6:7] offset1:1
	ds_write2st64_b64 v4, v[2:3], v[0:1] offset0:2 offset1:3
	s_waitcnt lgkmcnt(0)
	s_barrier
	s_and_saveexec_b64 s[0:1], vcc
	s_cbranch_execz .LBB295_49
; %bb.45:
	v_lshlrev_b32_e32 v5, 3, v62
	ds_read2st64_b64 v[0:3], v5 offset1:4
	ds_read2st64_b64 v[6:9], v5 offset0:8 offset1:12
	v_or_b32_e32 v4, s33, v62
	v_cmp_gt_i32_e32 vcc, s16, v4
	s_waitcnt lgkmcnt(0)
	v_pk_add_f32 v[0:1], v[0:1], v[2:3]
	s_nop 0
	v_pk_add_f32 v[0:1], v[0:1], v[6:7]
	s_nop 0
	v_pk_add_f32 v[2:3], v[0:1], v[8:9]
	ds_write_b64 v5, v[2:3]
	s_and_b64 exec, exec, vcc
	s_cbranch_execz .LBB295_49
; %bb.46:
	v_pk_mul_f32 v[6:7], v[2:3], s[14:15] op_sel:[1,0]
	v_cmp_neq_f32_e64 s[0:1], s12, 0
	v_pk_fma_f32 v[0:1], v[2:3], s[14:15], v[6:7] op_sel:[0,0,1] op_sel_hi:[0,1,0] neg_lo:[0,0,1] neg_hi:[0,0,1]
	v_pk_fma_f32 v[2:3], v[2:3], s[14:15], v[6:7] op_sel:[0,0,1] op_sel_hi:[0,1,0]
	v_ashrrev_i32_e32 v1, 31, v4
	v_cmp_neq_f32_e64 s[2:3], s13, 0
	v_mul_lo_u32 v2, v4, s21
	v_mul_lo_u32 v1, v1, s20
	v_mad_u64_u32 v[4:5], s[4:5], v4, s20, 0
	v_add3_u32 v5, v5, v2, v1
	s_or_b64 s[0:1], s[0:1], s[2:3]
	s_andn2_b64 vcc, exec, s[0:1]
	v_lshl_add_u64 v[4:5], v[4:5], 3, s[8:9]
	s_cbranch_vccnz .LBB295_48
; %bb.47:
	global_load_dwordx2 v[6:7], v[4:5], off
	v_mov_b32_e32 v1, v3
	s_waitcnt vmcnt(0)
	v_pk_mul_f32 v[2:3], s[12:13], v[6:7] op_sel:[0,1]
	s_nop 0
	v_pk_fma_f32 v[8:9], s[12:13], v[6:7], v[2:3] op_sel:[0,0,1] op_sel_hi:[1,1,0] neg_lo:[0,0,1] neg_hi:[0,0,1]
	v_pk_fma_f32 v[2:3], s[12:13], v[6:7], v[2:3] op_sel:[0,0,1] op_sel_hi:[1,0,0]
	s_nop 0
	v_mov_b32_e32 v9, v3
	v_pk_add_f32 v[0:1], v[0:1], v[8:9]
	s_nop 0
	v_mov_b32_e32 v3, v1
.LBB295_48:
	v_mov_b32_e32 v1, v3
	global_store_dwordx2 v[4:5], v[0:1], off
.LBB295_49:
	s_endpgm
	.section	.rodata,"a",@progbits
	.p2align	6, 0x0
	.amdhsa_kernel _ZL20rocblas_gemvn_kernelILi64ELi4ElPK19rocblas_complex_numIfES3_KPS1_EviiT3_lPKT2_lT1_lS9_lSA_lS6_lPT4_lSA_li
		.amdhsa_group_segment_fixed_size 8192
		.amdhsa_private_segment_fixed_size 0
		.amdhsa_kernarg_size 400
		.amdhsa_user_sgpr_count 2
		.amdhsa_user_sgpr_dispatch_ptr 0
		.amdhsa_user_sgpr_queue_ptr 0
		.amdhsa_user_sgpr_kernarg_segment_ptr 1
		.amdhsa_user_sgpr_dispatch_id 0
		.amdhsa_user_sgpr_kernarg_preload_length 0
		.amdhsa_user_sgpr_kernarg_preload_offset 0
		.amdhsa_user_sgpr_private_segment_size 0
		.amdhsa_uses_dynamic_stack 0
		.amdhsa_enable_private_segment 0
		.amdhsa_system_sgpr_workgroup_id_x 1
		.amdhsa_system_sgpr_workgroup_id_y 0
		.amdhsa_system_sgpr_workgroup_id_z 1
		.amdhsa_system_sgpr_workgroup_info 0
		.amdhsa_system_vgpr_workitem_id 1
		.amdhsa_next_free_vgpr 74
		.amdhsa_next_free_sgpr 45
		.amdhsa_accum_offset 76
		.amdhsa_reserve_vcc 1
		.amdhsa_float_round_mode_32 0
		.amdhsa_float_round_mode_16_64 0
		.amdhsa_float_denorm_mode_32 3
		.amdhsa_float_denorm_mode_16_64 3
		.amdhsa_dx10_clamp 1
		.amdhsa_ieee_mode 1
		.amdhsa_fp16_overflow 0
		.amdhsa_tg_split 0
		.amdhsa_exception_fp_ieee_invalid_op 0
		.amdhsa_exception_fp_denorm_src 0
		.amdhsa_exception_fp_ieee_div_zero 0
		.amdhsa_exception_fp_ieee_overflow 0
		.amdhsa_exception_fp_ieee_underflow 0
		.amdhsa_exception_fp_ieee_inexact 0
		.amdhsa_exception_int_div_zero 0
	.end_amdhsa_kernel
	.section	.text._ZL20rocblas_gemvn_kernelILi64ELi4ElPK19rocblas_complex_numIfES3_KPS1_EviiT3_lPKT2_lT1_lS9_lSA_lS6_lPT4_lSA_li,"axG",@progbits,_ZL20rocblas_gemvn_kernelILi64ELi4ElPK19rocblas_complex_numIfES3_KPS1_EviiT3_lPKT2_lT1_lS9_lSA_lS6_lPT4_lSA_li,comdat
.Lfunc_end295:
	.size	_ZL20rocblas_gemvn_kernelILi64ELi4ElPK19rocblas_complex_numIfES3_KPS1_EviiT3_lPKT2_lT1_lS9_lSA_lS6_lPT4_lSA_li, .Lfunc_end295-_ZL20rocblas_gemvn_kernelILi64ELi4ElPK19rocblas_complex_numIfES3_KPS1_EviiT3_lPKT2_lT1_lS9_lSA_lS6_lPT4_lSA_li
                                        ; -- End function
	.section	.AMDGPU.csdata,"",@progbits
; Kernel info:
; codeLenInByte = 3392
; NumSgprs: 51
; NumVgprs: 74
; NumAgprs: 0
; TotalNumVgprs: 74
; ScratchSize: 0
; MemoryBound: 0
; FloatMode: 240
; IeeeMode: 1
; LDSByteSize: 8192 bytes/workgroup (compile time only)
; SGPRBlocks: 6
; VGPRBlocks: 9
; NumSGPRsForWavesPerEU: 51
; NumVGPRsForWavesPerEU: 74
; AccumOffset: 76
; Occupancy: 6
; WaveLimiterHint : 1
; COMPUTE_PGM_RSRC2:SCRATCH_EN: 0
; COMPUTE_PGM_RSRC2:USER_SGPR: 2
; COMPUTE_PGM_RSRC2:TRAP_HANDLER: 0
; COMPUTE_PGM_RSRC2:TGID_X_EN: 1
; COMPUTE_PGM_RSRC2:TGID_Y_EN: 0
; COMPUTE_PGM_RSRC2:TGID_Z_EN: 1
; COMPUTE_PGM_RSRC2:TIDIG_COMP_CNT: 1
; COMPUTE_PGM_RSRC3_GFX90A:ACCUM_OFFSET: 18
; COMPUTE_PGM_RSRC3_GFX90A:TG_SPLIT: 0
	.section	.text._ZL20rocblas_gemvn_kernelILi64ELi4EiPK19rocblas_complex_numIfES1_KPS1_EviiT3_lPKT2_lT1_lS9_lSA_lS6_lPT4_lSA_li,"axG",@progbits,_ZL20rocblas_gemvn_kernelILi64ELi4EiPK19rocblas_complex_numIfES1_KPS1_EviiT3_lPKT2_lT1_lS9_lSA_lS6_lPT4_lSA_li,comdat
	.globl	_ZL20rocblas_gemvn_kernelILi64ELi4EiPK19rocblas_complex_numIfES1_KPS1_EviiT3_lPKT2_lT1_lS9_lSA_lS6_lPT4_lSA_li ; -- Begin function _ZL20rocblas_gemvn_kernelILi64ELi4EiPK19rocblas_complex_numIfES1_KPS1_EviiT3_lPKT2_lT1_lS9_lSA_lS6_lPT4_lSA_li
	.p2align	8
	.type	_ZL20rocblas_gemvn_kernelILi64ELi4EiPK19rocblas_complex_numIfES1_KPS1_EviiT3_lPKT2_lT1_lS9_lSA_lS6_lPT4_lSA_li,@function
_ZL20rocblas_gemvn_kernelILi64ELi4EiPK19rocblas_complex_numIfES1_KPS1_EviiT3_lPKT2_lT1_lS9_lSA_lS6_lPT4_lSA_li: ; @_ZL20rocblas_gemvn_kernelILi64ELi4EiPK19rocblas_complex_numIfES1_KPS1_EviiT3_lPKT2_lT1_lS9_lSA_lS6_lPT4_lSA_li
; %bb.0:
	s_load_dwordx2 s[6:7], s[0:1], 0x9c
	s_mov_b32 s4, s3
	s_waitcnt lgkmcnt(0)
	s_lshr_b32 s5, s6, 16
	s_and_b32 s6, s6, 0xffff
	s_and_b32 s3, s7, 0xffff
	s_mul_i32 s5, s5, s6
	s_mul_i32 s5, s5, s3
	s_cmpk_lg_i32 s5, 0x100
	s_cbranch_scc1 .LBB296_51
; %bb.1:
	s_load_dwordx4 s[8:11], s[0:1], 0x0
	s_load_dwordx2 s[12:13], s[0:1], 0x58
	s_waitcnt lgkmcnt(0)
	v_cmp_eq_f32_e64 s[6:7], s10, 0
	v_cmp_eq_f32_e64 s[14:15], s11, 0
	v_cmp_eq_f32_e64 s[16:17], s12, 1.0
	v_cmp_eq_f32_e64 s[18:19], s13, 0
	s_and_b64 s[6:7], s[6:7], s[14:15]
	s_and_b64 s[14:15], s[16:17], s[18:19]
	;; [unrolled: 1-line block ×3, first 2 shown]
	s_and_b64 vcc, exec, s[6:7]
	s_cbranch_vccnz .LBB296_51
; %bb.2:
	s_or_b32 s3, s10, s11
	s_bitset0_b32 s3, 31
	s_cmp_lg_u32 s3, 0
	s_cselect_b64 s[14:15], -1, 0
	s_cmp_eq_u32 s3, 0
	s_cselect_b64 s[6:7], -1, 0
	s_and_b64 vcc, exec, s[14:15]
	s_cbranch_vccnz .LBB296_4
; %bb.3:
	s_mov_b32 s5, 0
	s_mov_b64 s[16:17], 0
	s_cbranch_execz .LBB296_5
	s_branch .LBB296_6
.LBB296_4:
                                        ; implicit-def: $sgpr16_sgpr17
.LBB296_5:
	s_load_dwordx4 s[16:19], s[0:1], 0x18
	s_mov_b32 s5, 0
	s_lshl_b64 s[20:21], s[4:5], 3
	s_waitcnt lgkmcnt(0)
	s_add_u32 s16, s16, s20
	s_addc_u32 s17, s17, s21
	s_load_dwordx2 s[16:17], s[16:17], 0x0
	s_lshl_b64 s[18:19], s[18:19], 3
	s_waitcnt lgkmcnt(0)
	s_add_u32 s16, s16, s18
	s_addc_u32 s17, s17, s19
.LBB296_6:
	s_andn2_b64 vcc, exec, s[14:15]
	s_mov_b64 s[18:19], 0
	s_cbranch_vccnz .LBB296_8
; %bb.7:
	s_load_dwordx4 s[20:23], s[0:1], 0x38
	s_lshl_b64 s[14:15], s[4:5], 3
	s_waitcnt lgkmcnt(0)
	s_add_u32 s14, s20, s14
	s_addc_u32 s15, s21, s15
	s_load_dwordx2 s[14:15], s[14:15], 0x0
	s_lshl_b64 s[18:19], s[22:23], 3
	s_waitcnt lgkmcnt(0)
	s_add_u32 s18, s14, s18
	s_addc_u32 s19, s15, s19
.LBB296_8:
	s_load_dwordx4 s[20:23], s[0:1], 0x68
	s_load_dword s33, s[0:1], 0x78
	s_lshl_b64 s[4:5], s[4:5], 3
	v_and_b32_e32 v2, 0x3ff, v0
	v_bfe_u32 v54, v0, 10, 10
	s_waitcnt lgkmcnt(0)
	s_add_u32 s4, s20, s4
	s_addc_u32 s5, s21, s5
	s_load_dwordx2 s[4:5], s[4:5], 0x0
	s_lshl_b64 s[14:15], s[22:23], 3
	v_lshl_add_u32 v3, v54, 6, v2
	s_waitcnt lgkmcnt(0)
	s_add_u32 s14, s4, s14
	s_addc_u32 s15, s5, s15
	s_andn2_b64 vcc, exec, s[6:7]
	s_mov_b64 s[4:5], -1
	s_cbranch_vccnz .LBB296_15
; %bb.9:
	s_movk_i32 s3, 0x100
	v_cmp_gt_u32_e32 vcc, s3, v3
	s_and_saveexec_b64 s[4:5], vcc
	s_cbranch_execz .LBB296_14
; %bb.10:
	v_lshl_or_b32 v0, s2, 8, v3
	v_mov_b32_e32 v1, 0
	s_ashr_i32 s7, s8, 31
	s_mov_b32 s6, s8
	v_cmp_gt_i64_e32 vcc, s[6:7], v[0:1]
	s_and_b64 exec, exec, vcc
	s_cbranch_execz .LBB296_14
; %bb.11:
	v_mad_u64_u32 v[4:5], s[22:23], s33, v0, 0
	s_ashr_i32 s3, s33, 31
	v_mov_b32_e32 v6, v5
	v_cmp_neq_f32_e64 s[6:7], s12, 0
	v_cmp_neq_f32_e64 s[20:21], s13, 0
	v_mad_u64_u32 v[6:7], s[22:23], s3, v0, v[6:7]
	v_mov_b32_e32 v5, v6
	s_or_b64 s[6:7], s[6:7], s[20:21]
	s_andn2_b64 vcc, exec, s[6:7]
	v_lshl_add_u64 v[4:5], v[4:5], 3, s[14:15]
	v_mov_b32_e32 v7, v1
	s_cbranch_vccnz .LBB296_13
; %bb.12:
	global_load_dwordx2 v[0:1], v[4:5], off
	s_waitcnt vmcnt(0)
	v_pk_mul_f32 v[6:7], s[12:13], v[0:1] op_sel:[0,1]
	s_nop 0
	v_pk_fma_f32 v[8:9], s[12:13], v[0:1], v[6:7] op_sel:[0,0,1] op_sel_hi:[1,1,0] neg_lo:[0,0,1] neg_hi:[0,0,1]
	v_pk_fma_f32 v[6:7], s[12:13], v[0:1], v[6:7] op_sel:[0,0,1] op_sel_hi:[1,0,0]
	v_mov_b32_e32 v1, v8
.LBB296_13:
	v_mov_b32_e32 v6, v1
	global_store_dwordx2 v[4:5], v[6:7], off
.LBB296_14:
	s_or_b64 exec, exec, s[4:5]
	s_mov_b64 s[4:5], 0
.LBB296_15:
	s_andn2_b64 vcc, exec, s[4:5]
	s_cbranch_vccnz .LBB296_51
; %bb.16:
	s_load_dword s35, s[0:1], 0x28
	s_load_dword s36, s[0:1], 0x48
	s_ashr_i32 s0, s9, 31
	s_lshr_b32 s0, s0, 28
	s_add_i32 s0, s9, s0
	s_mov_b32 s20, 0
	s_lshl_b32 s34, s2, 8
	s_and_b32 s37, s0, -16
	v_lshlrev_b32_e32 v56, 2, v54
	s_mov_b32 s21, s20
	v_add_u32_e32 v55, s34, v2
	v_cmp_gt_i32_e32 vcc, s37, v56
	v_mov_b64_e32 v[8:9], s[20:21]
	v_mov_b32_e32 v1, 0
	v_mov_b32_e32 v0, 0
	;; [unrolled: 1-line block ×6, first 2 shown]
	s_and_saveexec_b64 s[22:23], vcc
	s_cbranch_execz .LBB296_28
; %bb.17:
	v_add_u32_e32 v0, 64, v55
	v_cmp_gt_i32_e64 s[0:1], s8, v0
	v_add_u32_e32 v0, 0x80, v55
	v_cmp_gt_i32_e64 s[2:3], s8, v0
	;; [unrolled: 2-line block ×3, first 2 shown]
	s_waitcnt lgkmcnt(0)
	v_mul_lo_u32 v0, s35, v56
	v_add3_u32 v57, v0, s35, v2
	v_add_u32_e32 v0, 2, v56
	v_mad_u64_u32 v[10:11], s[6:7], s35, v0, v[2:3]
	v_add_u32_e32 v1, 3, v56
	v_mul_lo_u32 v4, v54, s35
	v_mad_u64_u32 v[12:13], s[6:7], s35, v1, v[2:3]
	v_lshl_add_u32 v11, v4, 2, v2
	v_mul_lo_u32 v4, s36, v56
	v_mul_lo_u32 v58, s36, v0
	;; [unrolled: 1-line block ×4, first 2 shown]
	v_mov_b32_e32 v1, 0
	v_cmp_gt_i32_e32 vcc, s8, v55
	s_lshl_b32 s38, s35, 4
	v_add_u32_e32 v13, s36, v4
	s_lshl_b32 s39, s36, 4
	v_lshlrev_b32_e32 v60, 2, v0
	s_mov_b64 s[24:25], 0
	v_mov_b64_e32 v[8:9], s[20:21]
	v_mov_b32_e32 v0, v1
	v_mov_b32_e32 v5, v1
	;; [unrolled: 1-line block ×5, first 2 shown]
	s_branch .LBB296_22
.LBB296_18:                             ;   in Loop: Header=BB296_22 Depth=1
	s_or_b64 exec, exec, s[30:31]
	s_waitcnt vmcnt(0) lgkmcnt(0)
	v_mul_f32_e32 v42, v21, v51
	v_fma_f32 v42, v20, v50, -v42
	v_mul_f32_e32 v43, v20, v51
	v_fmac_f32_e32 v43, v21, v50
	v_add_f32_e32 v4, v4, v42
	v_mul_f32_e32 v42, v19, v45
	v_add_f32_e32 v5, v5, v43
	v_fma_f32 v42, v18, v44, -v42
	v_mul_f32_e32 v43, v18, v45
	v_fmac_f32_e32 v43, v19, v44
	v_add_f32_e32 v4, v4, v42
	v_mul_f32_e32 v42, v17, v41
	v_mul_f32_e32 v41, v16, v41
	v_add_f32_e32 v5, v5, v43
	v_fma_f32 v42, v16, v40, -v42
	v_fmac_f32_e32 v41, v17, v40
	v_mul_f32_e32 v40, v15, v39
	v_mul_f32_e32 v39, v14, v39
	v_add_f32_e32 v4, v4, v42
	v_add_f32_e32 v5, v5, v41
	v_fma_f32 v40, v14, v38, -v40
	v_fmac_f32_e32 v39, v15, v38
	v_add_f32_e32 v4, v4, v40
	v_add_f32_e32 v5, v5, v39
.LBB296_19:                             ;   in Loop: Header=BB296_22 Depth=1
	s_or_b64 exec, exec, s[28:29]
	s_waitcnt vmcnt(0) lgkmcnt(0)
	v_mul_f32_e32 v38, v21, v37
	v_mul_f32_e32 v37, v20, v37
	v_fma_f32 v38, v20, v36, -v38
	v_fmac_f32_e32 v37, v21, v36
	v_mul_f32_e32 v36, v19, v35
	v_mul_f32_e32 v35, v18, v35
	v_add_f32_e32 v6, v6, v38
	v_add_f32_e32 v7, v7, v37
	v_fma_f32 v36, v18, v34, -v36
	v_fmac_f32_e32 v35, v19, v34
	v_mul_f32_e32 v34, v17, v33
	v_mul_f32_e32 v33, v16, v33
	v_add_f32_e32 v6, v6, v36
	v_add_f32_e32 v7, v7, v35
	;; [unrolled: 6-line block ×3, first 2 shown]
	v_fma_f32 v32, v14, v30, -v32
	v_fmac_f32_e32 v31, v15, v30
	v_add_f32_e32 v6, v6, v32
	v_add_f32_e32 v7, v7, v31
.LBB296_20:                             ;   in Loop: Header=BB296_22 Depth=1
	s_or_b64 exec, exec, s[26:27]
	s_waitcnt vmcnt(0) lgkmcnt(0)
	v_mul_f32_e32 v30, v21, v29
	v_mul_f32_e32 v31, v20, v29
	v_fma_f32 v30, v20, v28, -v30
	v_fmac_f32_e32 v31, v21, v28
	v_mul_f32_e32 v20, v19, v27
	v_mul_f32_e32 v21, v18, v27
	v_fma_f32 v20, v18, v26, -v20
	v_fmac_f32_e32 v21, v19, v26
	v_pk_add_f32 v[8:9], v[8:9], v[30:31]
	v_mov_b32_e32 v18, v17
	v_mov_b32_e32 v19, v16
	v_pk_add_f32 v[8:9], v[8:9], v[20:21]
	v_mov_b32_e32 v16, v25
	v_pk_mul_f32 v[20:21], v[18:19], v[24:25] op_sel_hi:[1,0]
	s_nop 0
	v_pk_fma_f32 v[16:17], v[18:19], v[16:17], v[20:21] op_sel:[0,0,1] op_sel_hi:[1,1,0] neg_lo:[1,0,0] neg_hi:[1,0,0]
	v_pk_fma_f32 v[18:19], v[18:19], v[24:25], v[20:21] op_sel:[0,1,1] op_sel_hi:[1,1,0]
	s_nop 0
	v_mov_b32_e32 v17, v19
	v_pk_add_f32 v[8:9], v[8:9], v[16:17]
	v_pk_mul_f32 v[16:17], v[14:15], v[22:23] op_sel:[0,1]
	s_nop 0
	v_pk_fma_f32 v[18:19], v[14:15], v[22:23], v[16:17] op_sel:[0,0,1] op_sel_hi:[1,1,0] neg_lo:[0,0,1] neg_hi:[0,0,1]
	v_pk_fma_f32 v[14:15], v[14:15], v[22:23], v[16:17] op_sel:[0,0,1] op_sel_hi:[1,0,0]
	s_nop 0
	v_mov_b32_e32 v19, v15
	v_pk_add_f32 v[8:9], v[8:9], v[18:19]
.LBB296_21:                             ;   in Loop: Header=BB296_22 Depth=1
	s_or_b64 exec, exec, s[6:7]
	v_add_u32_e32 v56, 16, v56
	s_add_i32 s20, s20, s39
	v_cmp_le_i32_e64 s[6:7], s37, v56
	v_add_u32_e32 v57, s38, v57
	v_add_u32_e32 v10, s38, v10
	;; [unrolled: 1-line block ×3, first 2 shown]
	s_or_b64 s[24:25], s[6:7], s[24:25]
	v_add_u32_e32 v11, s38, v11
	s_andn2_b64 exec, exec, s[24:25]
	s_cbranch_execz .LBB296_27
.LBB296_22:                             ; =>This Inner Loop Header: Depth=1
	s_and_saveexec_b64 s[6:7], vcc
	s_cbranch_execz .LBB296_21
; %bb.23:                               ;   in Loop: Header=BB296_22 Depth=1
	v_add_u32_e32 v14, s20, v60
	v_ashrrev_i32_e32 v15, 31, v14
	v_lshl_add_u64 v[22:23], v[14:15], 3, s[18:19]
	v_add_u32_e32 v14, s20, v13
	v_ashrrev_i32_e32 v15, 31, v14
	v_lshl_add_u64 v[24:25], v[14:15], 3, s[18:19]
	;; [unrolled: 3-line block ×4, first 2 shown]
	flat_load_dwordx2 v[20:21], v[22:23]
	flat_load_dwordx2 v[18:19], v[24:25]
	;; [unrolled: 1-line block ×4, first 2 shown]
	v_add_u32_e32 v22, s34, v11
	v_ashrrev_i32_e32 v23, 31, v22
	v_lshl_add_u64 v[42:43], v[22:23], 3, s[16:17]
	v_add_u32_e32 v22, s34, v57
	v_ashrrev_i32_e32 v23, 31, v22
	v_lshl_add_u64 v[46:47], v[22:23], 3, s[16:17]
	;; [unrolled: 3-line block ×4, first 2 shown]
	flat_load_dwordx2 v[28:29], v[42:43]
	flat_load_dwordx2 v[26:27], v[46:47]
	;; [unrolled: 1-line block ×4, first 2 shown]
	s_and_saveexec_b64 s[26:27], s[0:1]
	s_cbranch_execz .LBB296_20
; %bb.24:                               ;   in Loop: Header=BB296_22 Depth=1
	flat_load_dwordx2 v[36:37], v[42:43] offset:512
	flat_load_dwordx2 v[34:35], v[46:47] offset:512
	flat_load_dwordx2 v[32:33], v[48:49] offset:512
	flat_load_dwordx2 v[30:31], v[52:53] offset:512
	s_and_saveexec_b64 s[28:29], s[2:3]
	s_cbranch_execz .LBB296_19
; %bb.25:                               ;   in Loop: Header=BB296_22 Depth=1
	flat_load_dwordx2 v[50:51], v[42:43] offset:1024
	flat_load_dwordx2 v[44:45], v[46:47] offset:1024
	flat_load_dwordx2 v[40:41], v[48:49] offset:1024
	flat_load_dwordx2 v[38:39], v[52:53] offset:1024
	;; [unrolled: 7-line block ×3, first 2 shown]
	s_waitcnt vmcnt(0) lgkmcnt(0)
	v_mul_f32_e32 v42, v21, v63
	v_mul_f32_e32 v43, v20, v63
	;; [unrolled: 1-line block ×4, first 2 shown]
	v_fma_f32 v42, v20, v62, -v42
	v_fmac_f32_e32 v43, v21, v62
	v_mul_f32_e32 v48, v17, v67
	v_mul_f32_e32 v49, v16, v67
	v_fma_f32 v46, v18, v64, -v46
	v_fmac_f32_e32 v47, v19, v64
	v_add_f32_e32 v0, v0, v42
	v_add_f32_e32 v1, v1, v43
	v_mul_f32_e32 v52, v15, v69
	v_mul_f32_e32 v53, v14, v69
	v_fma_f32 v48, v16, v66, -v48
	v_fmac_f32_e32 v49, v17, v66
	v_add_f32_e32 v0, v0, v46
	v_add_f32_e32 v1, v1, v47
	v_fma_f32 v52, v14, v68, -v52
	v_fmac_f32_e32 v53, v15, v68
	v_add_f32_e32 v0, v0, v48
	v_add_f32_e32 v1, v1, v49
	;; [unrolled: 1-line block ×4, first 2 shown]
	s_branch .LBB296_18
.LBB296_27:
	s_or_b64 exec, exec, s[24:25]
.LBB296_28:
	s_or_b64 exec, exec, s[22:23]
	s_sub_i32 s0, s9, s37
	s_cmp_lt_i32 s0, 1
	s_cbranch_scc1 .LBB296_46
; %bb.29:
	v_cmp_gt_i32_e32 vcc, s9, v56
	v_mov_b32_e32 v10, 0
	v_or_b32_e32 v20, 1, v56
	v_mov_b32_e32 v11, 0
	v_mov_b32_e32 v12, 0
	;; [unrolled: 1-line block ×7, first 2 shown]
	s_and_saveexec_b64 s[2:3], vcc
	s_cbranch_execz .LBB296_37
; %bb.30:
	s_waitcnt lgkmcnt(0)
	v_mul_lo_u32 v10, v56, s36
	v_ashrrev_i32_e32 v11, 31, v10
	v_lshl_add_u64 v[10:11], v[10:11], 3, s[18:19]
	flat_load_dwordx2 v[10:11], v[10:11]
	v_cmp_gt_i32_e64 s[0:1], s9, v20
	v_mov_b32_e32 v17, 0
	v_mov_b32_e32 v16, 0
	;; [unrolled: 1-line block ×6, first 2 shown]
	s_and_saveexec_b64 s[4:5], s[0:1]
	s_cbranch_execz .LBB296_36
; %bb.31:
	v_mul_lo_u32 v12, v20, s36
	v_ashrrev_i32_e32 v13, 31, v12
	v_lshl_add_u64 v[12:13], v[12:13], 3, s[18:19]
	flat_load_dwordx2 v[12:13], v[12:13]
	v_or_b32_e32 v18, 2, v56
	v_cmp_gt_i32_e64 s[0:1], s9, v18
	v_mov_b32_e32 v17, 0
	v_mov_b32_e32 v16, 0
	;; [unrolled: 1-line block ×4, first 2 shown]
	s_and_saveexec_b64 s[6:7], s[0:1]
	s_cbranch_execz .LBB296_35
; %bb.32:
	v_mul_lo_u32 v14, v18, s36
	v_ashrrev_i32_e32 v15, 31, v14
	v_lshl_add_u64 v[14:15], v[14:15], 3, s[18:19]
	flat_load_dwordx2 v[14:15], v[14:15]
	v_or_b32_e32 v18, 3, v56
	v_cmp_gt_i32_e64 s[0:1], s9, v18
	v_mov_b32_e32 v17, 0
	v_mov_b32_e32 v16, 0
	s_and_saveexec_b64 s[20:21], s[0:1]
	s_cbranch_execz .LBB296_34
; %bb.33:
	v_mul_lo_u32 v16, v18, s36
	v_ashrrev_i32_e32 v17, 31, v16
	v_lshl_add_u64 v[16:17], v[16:17], 3, s[18:19]
	flat_load_dwordx2 v[16:17], v[16:17]
.LBB296_34:
	s_or_b64 exec, exec, s[20:21]
.LBB296_35:
	s_or_b64 exec, exec, s[6:7]
.LBB296_36:
	s_or_b64 exec, exec, s[4:5]
.LBB296_37:
	s_or_b64 exec, exec, s[2:3]
	v_cmp_gt_i32_e64 s[0:1], s8, v55
	s_and_saveexec_b64 s[2:3], s[0:1]
	s_cbranch_execz .LBB296_45
; %bb.38:
	s_waitcnt lgkmcnt(0)
	v_mul_lo_u32 v18, v56, s35
	v_cndmask_b32_e32 v18, 0, v18, vcc
	v_mul_lo_u32 v21, v20, s35
	v_cmp_gt_i32_e32 vcc, s9, v20
	v_or_b32_e32 v24, 2, v56
	v_add_u32_e32 v18, v18, v55
	v_cndmask_b32_e32 v20, 0, v21, vcc
	v_mul_lo_u32 v25, v24, s35
	v_cmp_gt_i32_e32 vcc, s9, v24
	v_or_b32_e32 v26, 3, v56
	v_ashrrev_i32_e32 v19, 31, v18
	v_add_u32_e32 v20, v20, v55
	v_cndmask_b32_e32 v24, 0, v25, vcc
	v_mul_lo_u32 v27, v26, s35
	v_cmp_gt_i32_e32 vcc, s9, v26
	v_lshl_add_u64 v[18:19], v[18:19], 3, s[16:17]
	v_ashrrev_i32_e32 v21, 31, v20
	v_add_u32_e32 v24, v24, v55
	v_cndmask_b32_e32 v26, 0, v27, vcc
	v_lshl_add_u64 v[22:23], v[20:21], 3, s[16:17]
	flat_load_dwordx2 v[20:21], v[18:19]
	flat_load_dwordx2 v[28:29], v[22:23]
	v_ashrrev_i32_e32 v25, 31, v24
	v_add_u32_e32 v26, v26, v55
	v_lshl_add_u64 v[24:25], v[24:25], 3, s[16:17]
	v_ashrrev_i32_e32 v27, 31, v26
	v_lshl_add_u64 v[26:27], v[26:27], 3, s[16:17]
	flat_load_dwordx2 v[30:31], v[24:25]
	flat_load_dwordx2 v[32:33], v[26:27]
	v_add_u32_e32 v42, 64, v55
	v_cmp_gt_i32_e32 vcc, s8, v42
	s_waitcnt vmcnt(0) lgkmcnt(0)
	v_pk_mul_f32 v[34:35], v[10:11], v[20:21] op_sel:[0,1]
	v_pk_mul_f32 v[36:37], v[12:13], v[28:29] op_sel:[0,1]
	v_pk_fma_f32 v[38:39], v[10:11], v[20:21], v[34:35] op_sel:[0,0,1] op_sel_hi:[1,1,0] neg_lo:[0,0,1] neg_hi:[0,0,1]
	v_pk_fma_f32 v[20:21], v[10:11], v[20:21], v[34:35] op_sel:[0,0,1] op_sel_hi:[1,0,0]
	v_pk_fma_f32 v[34:35], v[12:13], v[28:29], v[36:37] op_sel:[0,0,1] op_sel_hi:[1,1,0] neg_lo:[0,0,1] neg_hi:[0,0,1]
	v_pk_fma_f32 v[28:29], v[12:13], v[28:29], v[36:37] op_sel:[0,0,1] op_sel_hi:[1,0,0]
	v_pk_mul_f32 v[36:37], v[14:15], v[30:31] op_sel:[0,1]
	v_mov_b32_e32 v39, v21
	v_pk_mul_f32 v[40:41], v[16:17], v[32:33] op_sel:[0,1]
	v_mov_b32_e32 v35, v29
	v_pk_fma_f32 v[28:29], v[14:15], v[30:31], v[36:37] op_sel:[0,0,1] op_sel_hi:[1,1,0] neg_lo:[0,0,1] neg_hi:[0,0,1]
	v_pk_fma_f32 v[30:31], v[14:15], v[30:31], v[36:37] op_sel:[0,0,1] op_sel_hi:[1,0,0]
	v_pk_add_f32 v[8:9], v[8:9], v[38:39]
	v_pk_fma_f32 v[20:21], v[16:17], v[32:33], v[40:41] op_sel:[0,0,1] op_sel_hi:[1,1,0] neg_lo:[0,0,1] neg_hi:[0,0,1]
	v_pk_fma_f32 v[32:33], v[16:17], v[32:33], v[40:41] op_sel:[0,0,1] op_sel_hi:[1,0,0]
	v_mov_b32_e32 v29, v31
	v_pk_add_f32 v[8:9], v[8:9], v[34:35]
	v_mov_b32_e32 v21, v33
	v_pk_add_f32 v[8:9], v[8:9], v[28:29]
	s_and_saveexec_b64 s[0:1], vcc
	s_cbranch_execz .LBB296_44
; %bb.39:
	flat_load_dwordx2 v[30:31], v[18:19] offset:512
	flat_load_dwordx2 v[32:33], v[22:23] offset:512
	;; [unrolled: 1-line block ×4, first 2 shown]
	v_add_u32_e32 v38, 0x80, v55
	v_cmp_gt_i32_e32 vcc, s8, v38
	s_waitcnt vmcnt(0) lgkmcnt(0)
	v_mul_f32_e32 v29, v11, v31
	v_mul_f32_e32 v31, v10, v31
	;; [unrolled: 1-line block ×6, first 2 shown]
	v_fma_f32 v37, v10, v30, -v29
	v_fmac_f32_e32 v31, v11, v30
	v_mul_f32_e32 v40, v15, v35
	v_mul_f32_e32 v35, v14, v35
	v_fma_f32 v30, v12, v32, -v39
	v_fmac_f32_e32 v33, v13, v32
	v_add_f32_e32 v6, v6, v37
	v_add_f32_e32 v7, v7, v31
	v_fma_f32 v32, v14, v34, -v40
	v_fmac_f32_e32 v35, v15, v34
	v_add_f32_e32 v6, v6, v30
	v_add_f32_e32 v7, v7, v33
	;; [unrolled: 4-line block ×3, first 2 shown]
	s_and_saveexec_b64 s[4:5], vcc
	s_cbranch_execz .LBB296_43
; %bb.40:
	flat_load_dwordx2 v[32:33], v[18:19] offset:1024
	flat_load_dwordx2 v[34:35], v[22:23] offset:1024
	;; [unrolled: 1-line block ×4, first 2 shown]
	v_add_u32_e32 v40, 0xc0, v55
	v_cmp_gt_i32_e32 vcc, s8, v40
	s_waitcnt vmcnt(0) lgkmcnt(0)
	v_mul_f32_e32 v31, v11, v33
	v_mul_f32_e32 v33, v10, v33
	;; [unrolled: 1-line block ×6, first 2 shown]
	v_fma_f32 v39, v10, v32, -v31
	v_fmac_f32_e32 v33, v11, v32
	v_mul_f32_e32 v42, v15, v37
	v_mul_f32_e32 v37, v14, v37
	v_fma_f32 v32, v12, v34, -v41
	v_fmac_f32_e32 v35, v13, v34
	v_add_f32_e32 v4, v4, v39
	v_add_f32_e32 v5, v5, v33
	v_fma_f32 v34, v14, v36, -v42
	v_fmac_f32_e32 v37, v15, v36
	v_add_f32_e32 v4, v4, v32
	v_add_f32_e32 v5, v5, v35
	;; [unrolled: 4-line block ×3, first 2 shown]
	s_and_saveexec_b64 s[6:7], vcc
	s_cbranch_execz .LBB296_42
; %bb.41:
	flat_load_dwordx2 v[32:33], v[18:19] offset:1536
	flat_load_dwordx2 v[34:35], v[22:23] offset:1536
	;; [unrolled: 1-line block ×4, first 2 shown]
	s_waitcnt vmcnt(0) lgkmcnt(0)
	v_mul_f32_e32 v18, v11, v33
	v_mul_f32_e32 v19, v10, v33
	;; [unrolled: 1-line block ×4, first 2 shown]
	v_fma_f32 v10, v10, v32, -v18
	v_fmac_f32_e32 v19, v11, v32
	v_mul_f32_e32 v24, v15, v37
	v_mul_f32_e32 v25, v14, v37
	v_fma_f32 v11, v12, v34, -v22
	v_fmac_f32_e32 v23, v13, v34
	v_add_f32_e32 v0, v0, v10
	v_add_f32_e32 v1, v1, v19
	v_mul_f32_e32 v26, v17, v39
	v_mul_f32_e32 v27, v16, v39
	v_fma_f32 v12, v14, v36, -v24
	v_fmac_f32_e32 v25, v15, v36
	v_add_f32_e32 v0, v0, v11
	v_add_f32_e32 v1, v1, v23
	v_fma_f32 v13, v16, v38, -v26
	v_fmac_f32_e32 v27, v17, v38
	v_add_f32_e32 v0, v0, v12
	v_add_f32_e32 v1, v1, v25
	;; [unrolled: 1-line block ×4, first 2 shown]
.LBB296_42:
	s_or_b64 exec, exec, s[6:7]
	v_add_f32_e32 v4, v4, v31
	v_add_f32_e32 v5, v5, v30
.LBB296_43:
	s_or_b64 exec, exec, s[4:5]
	v_add_f32_e32 v6, v6, v29
	v_add_f32_e32 v7, v7, v28
.LBB296_44:
	s_or_b64 exec, exec, s[0:1]
	v_pk_add_f32 v[8:9], v[8:9], v[20:21]
.LBB296_45:
	s_or_b64 exec, exec, s[2:3]
.LBB296_46:
	s_waitcnt vmcnt(0) lgkmcnt(0)
	v_lshlrev_b32_e32 v10, 8, v54
	s_movk_i32 s0, 0x100
	v_add_lshl_u32 v2, v10, v2, 3
	v_cmp_gt_u32_e32 vcc, s0, v3
	ds_write2st64_b64 v2, v[8:9], v[6:7] offset1:1
	ds_write2st64_b64 v2, v[4:5], v[0:1] offset0:2 offset1:3
	s_waitcnt lgkmcnt(0)
	s_barrier
	s_and_saveexec_b64 s[0:1], vcc
	s_cbranch_execz .LBB296_51
; %bb.47:
	v_lshlrev_b32_e32 v5, 3, v3
	ds_read2st64_b64 v[6:9], v5 offset1:4
	ds_read2st64_b64 v[10:13], v5 offset0:8 offset1:12
	v_or_b32_e32 v4, s34, v3
	v_cmp_gt_i32_e32 vcc, s8, v4
	s_waitcnt lgkmcnt(1)
	v_pk_add_f32 v[0:1], v[6:7], v[8:9]
	s_waitcnt lgkmcnt(0)
	v_pk_add_f32 v[0:1], v[0:1], v[10:11]
	s_nop 0
	v_pk_add_f32 v[2:3], v[0:1], v[12:13]
	ds_write_b64 v5, v[2:3]
	s_and_b64 exec, exec, vcc
	s_cbranch_execz .LBB296_51
; %bb.48:
	v_cmp_neq_f32_e64 s[0:1], s12, 0
	v_cmp_neq_f32_e64 s[2:3], s13, 0
	v_mul_lo_u32 v4, v4, s33
	v_pk_mul_f32 v[6:7], v[2:3], s[10:11] op_sel:[1,0]
	v_ashrrev_i32_e32 v5, 31, v4
	s_or_b64 s[0:1], s[0:1], s[2:3]
	v_pk_fma_f32 v[0:1], v[2:3], s[10:11], v[6:7] op_sel:[0,0,1] op_sel_hi:[0,1,0] neg_lo:[0,0,1] neg_hi:[0,0,1]
	v_pk_fma_f32 v[2:3], v[2:3], s[10:11], v[6:7] op_sel:[0,0,1] op_sel_hi:[0,1,0]
	s_andn2_b64 vcc, exec, s[0:1]
	v_lshl_add_u64 v[4:5], v[4:5], 3, s[14:15]
	s_cbranch_vccnz .LBB296_50
; %bb.49:
	global_load_dwordx2 v[6:7], v[4:5], off
	v_mov_b32_e32 v1, v3
	s_waitcnt vmcnt(0)
	v_pk_mul_f32 v[2:3], s[12:13], v[6:7] op_sel:[0,1]
	s_nop 0
	v_pk_fma_f32 v[8:9], s[12:13], v[6:7], v[2:3] op_sel:[0,0,1] op_sel_hi:[1,1,0] neg_lo:[0,0,1] neg_hi:[0,0,1]
	v_pk_fma_f32 v[2:3], s[12:13], v[6:7], v[2:3] op_sel:[0,0,1] op_sel_hi:[1,0,0]
	s_nop 0
	v_mov_b32_e32 v9, v3
	v_pk_add_f32 v[0:1], v[0:1], v[8:9]
	s_nop 0
	v_mov_b32_e32 v3, v1
.LBB296_50:
	v_mov_b32_e32 v1, v3
	global_store_dwordx2 v[4:5], v[0:1], off
.LBB296_51:
	s_endpgm
	.section	.rodata,"a",@progbits
	.p2align	6, 0x0
	.amdhsa_kernel _ZL20rocblas_gemvn_kernelILi64ELi4EiPK19rocblas_complex_numIfES1_KPS1_EviiT3_lPKT2_lT1_lS9_lSA_lS6_lPT4_lSA_li
		.amdhsa_group_segment_fixed_size 8192
		.amdhsa_private_segment_fixed_size 0
		.amdhsa_kernarg_size 400
		.amdhsa_user_sgpr_count 2
		.amdhsa_user_sgpr_dispatch_ptr 0
		.amdhsa_user_sgpr_queue_ptr 0
		.amdhsa_user_sgpr_kernarg_segment_ptr 1
		.amdhsa_user_sgpr_dispatch_id 0
		.amdhsa_user_sgpr_kernarg_preload_length 0
		.amdhsa_user_sgpr_kernarg_preload_offset 0
		.amdhsa_user_sgpr_private_segment_size 0
		.amdhsa_uses_dynamic_stack 0
		.amdhsa_enable_private_segment 0
		.amdhsa_system_sgpr_workgroup_id_x 1
		.amdhsa_system_sgpr_workgroup_id_y 0
		.amdhsa_system_sgpr_workgroup_id_z 1
		.amdhsa_system_sgpr_workgroup_info 0
		.amdhsa_system_vgpr_workitem_id 1
		.amdhsa_next_free_vgpr 70
		.amdhsa_next_free_sgpr 40
		.amdhsa_accum_offset 72
		.amdhsa_reserve_vcc 1
		.amdhsa_float_round_mode_32 0
		.amdhsa_float_round_mode_16_64 0
		.amdhsa_float_denorm_mode_32 3
		.amdhsa_float_denorm_mode_16_64 3
		.amdhsa_dx10_clamp 1
		.amdhsa_ieee_mode 1
		.amdhsa_fp16_overflow 0
		.amdhsa_tg_split 0
		.amdhsa_exception_fp_ieee_invalid_op 0
		.amdhsa_exception_fp_denorm_src 0
		.amdhsa_exception_fp_ieee_div_zero 0
		.amdhsa_exception_fp_ieee_overflow 0
		.amdhsa_exception_fp_ieee_underflow 0
		.amdhsa_exception_fp_ieee_inexact 0
		.amdhsa_exception_int_div_zero 0
	.end_amdhsa_kernel
	.section	.text._ZL20rocblas_gemvn_kernelILi64ELi4EiPK19rocblas_complex_numIfES1_KPS1_EviiT3_lPKT2_lT1_lS9_lSA_lS6_lPT4_lSA_li,"axG",@progbits,_ZL20rocblas_gemvn_kernelILi64ELi4EiPK19rocblas_complex_numIfES1_KPS1_EviiT3_lPKT2_lT1_lS9_lSA_lS6_lPT4_lSA_li,comdat
.Lfunc_end296:
	.size	_ZL20rocblas_gemvn_kernelILi64ELi4EiPK19rocblas_complex_numIfES1_KPS1_EviiT3_lPKT2_lT1_lS9_lSA_lS6_lPT4_lSA_li, .Lfunc_end296-_ZL20rocblas_gemvn_kernelILi64ELi4EiPK19rocblas_complex_numIfES1_KPS1_EviiT3_lPKT2_lT1_lS9_lSA_lS6_lPT4_lSA_li
                                        ; -- End function
	.section	.AMDGPU.csdata,"",@progbits
; Kernel info:
; codeLenInByte = 3184
; NumSgprs: 46
; NumVgprs: 70
; NumAgprs: 0
; TotalNumVgprs: 70
; ScratchSize: 0
; MemoryBound: 0
; FloatMode: 240
; IeeeMode: 1
; LDSByteSize: 8192 bytes/workgroup (compile time only)
; SGPRBlocks: 5
; VGPRBlocks: 8
; NumSGPRsForWavesPerEU: 46
; NumVGPRsForWavesPerEU: 70
; AccumOffset: 72
; Occupancy: 7
; WaveLimiterHint : 1
; COMPUTE_PGM_RSRC2:SCRATCH_EN: 0
; COMPUTE_PGM_RSRC2:USER_SGPR: 2
; COMPUTE_PGM_RSRC2:TRAP_HANDLER: 0
; COMPUTE_PGM_RSRC2:TGID_X_EN: 1
; COMPUTE_PGM_RSRC2:TGID_Y_EN: 0
; COMPUTE_PGM_RSRC2:TGID_Z_EN: 1
; COMPUTE_PGM_RSRC2:TIDIG_COMP_CNT: 1
; COMPUTE_PGM_RSRC3_GFX90A:ACCUM_OFFSET: 17
; COMPUTE_PGM_RSRC3_GFX90A:TG_SPLIT: 0
	.section	.text._ZL20rocblas_gemvn_kernelILi64ELi4ElPK19rocblas_complex_numIfES1_KPS1_EviiT3_lPKT2_lT1_lS9_lSA_lS6_lPT4_lSA_li,"axG",@progbits,_ZL20rocblas_gemvn_kernelILi64ELi4ElPK19rocblas_complex_numIfES1_KPS1_EviiT3_lPKT2_lT1_lS9_lSA_lS6_lPT4_lSA_li,comdat
	.globl	_ZL20rocblas_gemvn_kernelILi64ELi4ElPK19rocblas_complex_numIfES1_KPS1_EviiT3_lPKT2_lT1_lS9_lSA_lS6_lPT4_lSA_li ; -- Begin function _ZL20rocblas_gemvn_kernelILi64ELi4ElPK19rocblas_complex_numIfES1_KPS1_EviiT3_lPKT2_lT1_lS9_lSA_lS6_lPT4_lSA_li
	.p2align	8
	.type	_ZL20rocblas_gemvn_kernelILi64ELi4ElPK19rocblas_complex_numIfES1_KPS1_EviiT3_lPKT2_lT1_lS9_lSA_lS6_lPT4_lSA_li,@function
_ZL20rocblas_gemvn_kernelILi64ELi4ElPK19rocblas_complex_numIfES1_KPS1_EviiT3_lPKT2_lT1_lS9_lSA_lS6_lPT4_lSA_li: ; @_ZL20rocblas_gemvn_kernelILi64ELi4ElPK19rocblas_complex_numIfES1_KPS1_EviiT3_lPKT2_lT1_lS9_lSA_lS6_lPT4_lSA_li
; %bb.0:
	s_load_dwordx2 s[4:5], s[0:1], 0x9c
	s_mov_b32 s16, s3
	s_waitcnt lgkmcnt(0)
	s_and_b32 s3, s5, 0xffff
	s_lshr_b32 s5, s4, 16
	s_and_b32 s4, s4, 0xffff
	s_mul_i32 s4, s5, s4
	s_mul_i32 s4, s4, s3
	s_cmpk_lg_i32 s4, 0x100
	s_cbranch_scc1 .LBB297_51
; %bb.1:
	s_load_dwordx4 s[8:11], s[0:1], 0x0
	s_load_dwordx2 s[12:13], s[0:1], 0x58
	s_waitcnt lgkmcnt(0)
	v_cmp_eq_f32_e64 s[4:5], s10, 0
	v_cmp_eq_f32_e64 s[6:7], s11, 0
	v_cmp_eq_f32_e64 s[14:15], s12, 1.0
	v_cmp_eq_f32_e64 s[18:19], s13, 0
	s_and_b64 s[4:5], s[4:5], s[6:7]
	s_and_b64 s[6:7], s[14:15], s[18:19]
	s_and_b64 s[4:5], s[4:5], s[6:7]
	s_and_b64 vcc, exec, s[4:5]
	s_cbranch_vccnz .LBB297_51
; %bb.2:
	s_load_dwordx4 s[4:7], s[0:1], 0x18
	s_load_dwordx2 s[18:19], s[0:1], 0x28
	s_or_b32 s3, s10, s11
	s_bitset0_b32 s3, 31
	s_cmp_lg_u32 s3, 0
	s_cselect_b64 s[14:15], -1, 0
	s_cmp_eq_u32 s3, 0
	s_cselect_b64 s[26:27], -1, 0
	s_and_b64 vcc, exec, s[14:15]
	s_cbranch_vccnz .LBB297_4
; %bb.3:
	s_mov_b32 s17, 0
	s_mov_b64 s[20:21], 0
	s_cbranch_execz .LBB297_5
	s_branch .LBB297_6
.LBB297_4:
                                        ; implicit-def: $sgpr20_sgpr21
.LBB297_5:
	s_mov_b32 s17, 0
	s_lshl_b64 s[20:21], s[16:17], 3
	s_waitcnt lgkmcnt(0)
	s_add_u32 s4, s4, s20
	s_addc_u32 s5, s5, s21
	s_load_dwordx2 s[4:5], s[4:5], 0x0
	s_lshl_b64 s[6:7], s[6:7], 3
	s_waitcnt lgkmcnt(0)
	s_add_u32 s20, s4, s6
	s_addc_u32 s21, s5, s7
.LBB297_6:
	s_waitcnt lgkmcnt(0)
	s_load_dwordx4 s[4:7], s[0:1], 0x38
	s_load_dwordx2 s[22:23], s[0:1], 0x48
	s_andn2_b64 vcc, exec, s[14:15]
	s_mov_b64 s[24:25], 0
	s_cbranch_vccnz .LBB297_8
; %bb.7:
	s_lshl_b64 s[14:15], s[16:17], 3
	s_waitcnt lgkmcnt(0)
	s_add_u32 s4, s4, s14
	s_addc_u32 s5, s5, s15
	s_load_dwordx2 s[4:5], s[4:5], 0x0
	s_lshl_b64 s[6:7], s[6:7], 3
	s_waitcnt lgkmcnt(0)
	s_add_u32 s24, s4, s6
	s_addc_u32 s25, s5, s7
.LBB297_8:
	s_waitcnt lgkmcnt(0)
	s_load_dwordx4 s[4:7], s[0:1], 0x68
	s_load_dwordx2 s[14:15], s[0:1], 0x78
	s_lshl_b64 s[0:1], s[16:17], 3
	v_and_b32_e32 v63, 0x3ff, v0
	v_bfe_u32 v64, v0, 10, 10
	s_waitcnt lgkmcnt(0)
	s_add_u32 s0, s4, s0
	s_addc_u32 s1, s5, s1
	s_load_dwordx2 s[0:1], s[0:1], 0x0
	s_lshl_b64 s[4:5], s[6:7], 3
	v_lshl_add_u32 v62, v64, 6, v63
	s_waitcnt lgkmcnt(0)
	s_add_u32 s16, s0, s4
	s_addc_u32 s17, s1, s5
	s_andn2_b64 vcc, exec, s[26:27]
	s_mov_b64 s[0:1], -1
	s_cbranch_vccnz .LBB297_15
; %bb.9:
	s_movk_i32 s0, 0x100
	v_cmp_gt_u32_e32 vcc, s0, v62
	s_and_saveexec_b64 s[0:1], vcc
	s_cbranch_execz .LBB297_14
; %bb.10:
	v_lshl_or_b32 v0, s2, 8, v62
	v_mov_b32_e32 v1, 0
	s_ashr_i32 s5, s8, 31
	s_mov_b32 s4, s8
	v_cmp_gt_i64_e32 vcc, s[4:5], v[0:1]
	s_and_b64 exec, exec, vcc
	s_cbranch_execz .LBB297_14
; %bb.11:
	v_mad_u64_u32 v[2:3], s[26:27], v0, s14, 0
	v_mov_b32_e32 v4, v3
	v_cmp_neq_f32_e64 s[4:5], s12, 0
	v_cmp_neq_f32_e64 s[6:7], s13, 0
	v_mad_u64_u32 v[4:5], s[26:27], v0, s15, v[4:5]
	v_mov_b32_e32 v3, v4
	s_or_b64 s[4:5], s[4:5], s[6:7]
	s_andn2_b64 vcc, exec, s[4:5]
	v_lshl_add_u64 v[2:3], v[2:3], 3, s[16:17]
	v_mov_b32_e32 v5, v1
	s_cbranch_vccnz .LBB297_13
; %bb.12:
	global_load_dwordx2 v[0:1], v[2:3], off
	s_waitcnt vmcnt(0)
	v_pk_mul_f32 v[4:5], s[12:13], v[0:1] op_sel:[0,1]
	s_nop 0
	v_pk_fma_f32 v[6:7], s[12:13], v[0:1], v[4:5] op_sel:[0,0,1] op_sel_hi:[1,1,0] neg_lo:[0,0,1] neg_hi:[0,0,1]
	v_pk_fma_f32 v[4:5], s[12:13], v[0:1], v[4:5] op_sel:[0,0,1] op_sel_hi:[1,0,0]
	v_mov_b32_e32 v1, v6
.LBB297_13:
	v_mov_b32_e32 v4, v1
	global_store_dwordx2 v[2:3], v[4:5], off
.LBB297_14:
	s_or_b64 exec, exec, s[0:1]
	s_mov_b64 s[0:1], 0
.LBB297_15:
	s_andn2_b64 vcc, exec, s[0:1]
	s_cbranch_vccnz .LBB297_51
; %bb.16:
	s_ashr_i32 s0, s9, 31
	s_lshr_b32 s0, s0, 28
	s_add_i32 s0, s9, s0
	s_mov_b32 s6, 0
	s_lshl_b32 s33, s2, 8
	s_and_b32 s44, s0, -16
	v_lshlrev_b32_e32 v65, 2, v64
	s_mov_b32 s7, s6
	v_add_u32_e32 v4, s33, v63
	v_cmp_gt_i32_e32 vcc, s44, v65
	v_mov_b64_e32 v[8:9], s[6:7]
	v_mov_b32_e32 v1, 0
	v_mov_b32_e32 v0, 0
	;; [unrolled: 1-line block ×6, first 2 shown]
	s_and_saveexec_b64 s[26:27], vcc
	s_cbranch_execz .LBB297_28
; %bb.17:
	v_ashrrev_i32_e32 v5, 31, v4
	v_add_u32_e32 v0, 64, v4
	v_cmp_gt_i32_e64 s[0:1], s8, v0
	v_add_u32_e32 v0, 0x80, v4
	v_lshl_add_u64 v[10:11], v[4:5], 3, s[20:21]
	v_lshlrev_b32_e32 v5, 2, v64
	v_cmp_gt_i32_e64 s[2:3], s8, v0
	v_add_u32_e32 v0, 0xc0, v4
	v_or_b32_e32 v3, 3, v5
	v_cmp_gt_i32_e64 s[4:5], s8, v0
	v_mad_u64_u32 v[0:1], s[28:29], s18, v3, 0
	v_mov_b32_e32 v2, v1
	v_mad_u64_u32 v[2:3], s[28:29], s19, v3, v[2:3]
	v_mov_b32_e32 v1, v2
	v_lshlrev_b64 v[12:13], 3, v[0:1]
	v_mad_u64_u32 v[0:1], s[30:31], s22, v64, 0
	v_mov_b32_e32 v2, v1
	v_mad_u64_u32 v[2:3], s[30:31], s23, v64, v[2:3]
	v_mov_b32_e32 v1, v2
	v_lshlrev_b64 v[0:1], 5, v[0:1]
	v_lshl_add_u64 v[14:15], s[24:25], 0, v[0:1]
	v_mad_u64_u32 v[0:1], s[34:35], s18, v64, 0
	v_mov_b32_e32 v2, v1
	v_mad_u64_u32 v[2:3], s[34:35], s19, v64, v[2:3]
	v_mov_b32_e32 v1, v2
	v_lshlrev_b64 v[16:17], 5, v[0:1]
	v_mov_b64_e32 v[0:1], s[18:19]
	v_mad_u64_u32 v[0:1], s[34:35], s18, v5, v[0:1]
	v_mov_b32_e32 v2, v1
	v_mad_u64_u32 v[2:3], s[34:35], s19, v5, v[2:3]
	v_mov_b32_e32 v1, v2
	v_or_b32_e32 v3, 2, v5
	v_lshlrev_b64 v[18:19], 3, v[0:1]
	v_mad_u64_u32 v[0:1], s[34:35], s18, v3, 0
	v_mov_b32_e32 v2, v1
	v_mad_u64_u32 v[2:3], s[34:35], s19, v3, v[2:3]
	v_mov_b32_e32 v1, v2
	v_lshlrev_b64 v[20:21], 3, v[0:1]
	v_mov_b32_e32 v1, 0
	v_cmp_gt_i32_e32 vcc, s8, v4
	s_lshl_b64 s[28:29], s[18:19], 7
	s_lshl_b64 s[30:31], s[22:23], 7
	;; [unrolled: 1-line block ×3, first 2 shown]
	s_mov_b64 s[34:35], 0
	v_mov_b64_e32 v[8:9], s[6:7]
	v_mov_b32_e32 v0, v1
	v_mov_b32_e32 v3, v1
	;; [unrolled: 1-line block ×5, first 2 shown]
	s_branch .LBB297_22
.LBB297_18:                             ;   in Loop: Header=BB297_22 Depth=1
	s_or_b64 exec, exec, s[42:43]
	s_waitcnt vmcnt(0) lgkmcnt(0)
	v_mul_f32_e32 v5, v33, v53
	v_fma_f32 v5, v32, v52, -v5
	v_add_f32_e32 v2, v2, v5
	v_mul_f32_e32 v5, v29, v51
	v_mul_f32_e32 v53, v32, v53
	v_fma_f32 v5, v28, v50, -v5
	v_fmac_f32_e32 v53, v33, v52
	v_mul_f32_e32 v51, v28, v51
	v_add_f32_e32 v2, v2, v5
	v_mul_f32_e32 v5, v25, v49
	v_add_f32_e32 v3, v3, v53
	v_fmac_f32_e32 v51, v29, v50
	v_fma_f32 v5, v24, v48, -v5
	v_mul_f32_e32 v49, v24, v49
	v_add_f32_e32 v3, v3, v51
	v_fmac_f32_e32 v49, v25, v48
	v_add_f32_e32 v2, v2, v5
	v_mul_f32_e32 v5, v23, v47
	v_mul_f32_e32 v47, v22, v47
	v_add_f32_e32 v3, v3, v49
	v_fma_f32 v5, v22, v46, -v5
	v_fmac_f32_e32 v47, v23, v46
	v_add_f32_e32 v2, v2, v5
	v_add_f32_e32 v3, v3, v47
.LBB297_19:                             ;   in Loop: Header=BB297_22 Depth=1
	s_or_b64 exec, exec, s[40:41]
	s_waitcnt vmcnt(0) lgkmcnt(0)
	v_mul_f32_e32 v5, v33, v45
	v_mul_f32_e32 v45, v32, v45
	v_fma_f32 v5, v32, v44, -v5
	v_fmac_f32_e32 v45, v33, v44
	v_add_f32_e32 v5, v6, v5
	v_add_f32_e32 v6, v7, v45
	v_mul_f32_e32 v7, v29, v43
	v_fma_f32 v7, v28, v42, -v7
	v_mul_f32_e32 v43, v28, v43
	v_fmac_f32_e32 v43, v29, v42
	v_add_f32_e32 v5, v5, v7
	v_mul_f32_e32 v7, v25, v41
	v_mul_f32_e32 v41, v24, v41
	v_add_f32_e32 v6, v6, v43
	v_fma_f32 v7, v24, v40, -v7
	v_fmac_f32_e32 v41, v25, v40
	v_add_f32_e32 v5, v5, v7
	v_add_f32_e32 v7, v6, v41
	v_mul_f32_e32 v6, v23, v39
	v_mul_f32_e32 v39, v22, v39
	v_fma_f32 v6, v22, v38, -v6
	v_fmac_f32_e32 v39, v23, v38
	v_add_f32_e32 v6, v5, v6
	v_add_f32_e32 v7, v7, v39
.LBB297_20:                             ;   in Loop: Header=BB297_22 Depth=1
	s_or_b64 exec, exec, s[38:39]
	s_waitcnt vmcnt(0) lgkmcnt(0)
	v_mul_f32_e32 v5, v33, v37
	v_mul_f32_e32 v39, v32, v37
	v_fma_f32 v38, v32, v36, -v5
	v_fmac_f32_e32 v39, v33, v36
	v_mul_f32_e32 v5, v29, v35
	v_mul_f32_e32 v33, v28, v35
	v_fma_f32 v32, v28, v34, -v5
	v_fmac_f32_e32 v33, v29, v34
	v_pk_add_f32 v[8:9], v[8:9], v[38:39]
	v_mov_b32_e32 v28, v25
	v_mov_b32_e32 v29, v24
	v_pk_add_f32 v[8:9], v[8:9], v[32:33]
	v_mov_b32_e32 v24, v31
	v_pk_mul_f32 v[32:33], v[28:29], v[30:31] op_sel_hi:[1,0]
	s_nop 0
	v_pk_fma_f32 v[24:25], v[28:29], v[24:25], v[32:33] op_sel:[0,0,1] op_sel_hi:[1,1,0] neg_lo:[1,0,0] neg_hi:[1,0,0]
	v_pk_fma_f32 v[28:29], v[28:29], v[30:31], v[32:33] op_sel:[0,1,1] op_sel_hi:[1,1,0]
	s_nop 0
	v_mov_b32_e32 v25, v29
	v_pk_add_f32 v[8:9], v[8:9], v[24:25]
	v_pk_mul_f32 v[24:25], v[22:23], v[26:27] op_sel:[0,1]
	s_nop 0
	v_pk_fma_f32 v[28:29], v[22:23], v[26:27], v[24:25] op_sel:[0,0,1] op_sel_hi:[1,1,0] neg_lo:[0,0,1] neg_hi:[0,0,1]
	v_pk_fma_f32 v[22:23], v[22:23], v[26:27], v[24:25] op_sel:[0,0,1] op_sel_hi:[1,0,0]
	s_nop 0
	v_mov_b32_e32 v29, v23
	v_pk_add_f32 v[8:9], v[8:9], v[28:29]
.LBB297_21:                             ;   in Loop: Header=BB297_22 Depth=1
	s_or_b64 exec, exec, s[6:7]
	v_add_u32_e32 v65, 16, v65
	v_cmp_le_i32_e64 s[6:7], s44, v65
	v_lshl_add_u64 v[10:11], v[10:11], 0, s[28:29]
	s_or_b64 s[34:35], s[6:7], s[34:35]
	v_lshl_add_u64 v[14:15], v[14:15], 0, s[30:31]
	s_andn2_b64 exec, exec, s[34:35]
	s_cbranch_execz .LBB297_27
.LBB297_22:                             ; =>This Inner Loop Header: Depth=1
	s_and_saveexec_b64 s[6:7], vcc
	s_cbranch_execz .LBB297_21
; %bb.23:                               ;   in Loop: Header=BB297_22 Depth=1
	v_lshl_add_u64 v[22:23], v[14:15], 0, s[36:37]
	v_lshl_add_u64 v[26:27], v[22:23], 0, s[36:37]
	flat_load_dwordx2 v[28:29], v[22:23]
	flat_load_dwordx2 v[24:25], v[26:27]
	v_lshl_add_u64 v[26:27], v[26:27], 0, s[36:37]
	v_lshl_add_u64 v[54:55], v[10:11], 0, v[16:17]
	flat_load_dwordx2 v[32:33], v[14:15]
	flat_load_dwordx2 v[22:23], v[26:27]
	v_lshl_add_u64 v[56:57], v[10:11], 0, v[18:19]
	v_lshl_add_u64 v[58:59], v[10:11], 0, v[20:21]
	;; [unrolled: 1-line block ×3, first 2 shown]
	flat_load_dwordx2 v[36:37], v[54:55]
	flat_load_dwordx2 v[34:35], v[56:57]
	;; [unrolled: 1-line block ×4, first 2 shown]
	s_and_saveexec_b64 s[38:39], s[0:1]
	s_cbranch_execz .LBB297_20
; %bb.24:                               ;   in Loop: Header=BB297_22 Depth=1
	flat_load_dwordx2 v[44:45], v[54:55] offset:512
	flat_load_dwordx2 v[42:43], v[56:57] offset:512
	flat_load_dwordx2 v[40:41], v[58:59] offset:512
	flat_load_dwordx2 v[38:39], v[60:61] offset:512
	s_and_saveexec_b64 s[40:41], s[2:3]
	s_cbranch_execz .LBB297_19
; %bb.25:                               ;   in Loop: Header=BB297_22 Depth=1
	flat_load_dwordx2 v[52:53], v[54:55] offset:1024
	flat_load_dwordx2 v[50:51], v[56:57] offset:1024
	flat_load_dwordx2 v[48:49], v[58:59] offset:1024
	flat_load_dwordx2 v[46:47], v[60:61] offset:1024
	;; [unrolled: 7-line block ×3, first 2 shown]
	s_waitcnt vmcnt(0) lgkmcnt(0)
	v_mul_f32_e32 v5, v33, v67
	v_mul_f32_e32 v54, v32, v67
	;; [unrolled: 1-line block ×4, first 2 shown]
	v_fma_f32 v5, v32, v66, -v5
	v_fmac_f32_e32 v54, v33, v66
	v_mul_f32_e32 v57, v25, v71
	v_mul_f32_e32 v58, v24, v71
	v_fma_f32 v55, v28, v68, -v55
	v_fmac_f32_e32 v56, v29, v68
	v_add_f32_e32 v0, v0, v5
	v_add_f32_e32 v1, v1, v54
	v_mul_f32_e32 v59, v23, v73
	v_mul_f32_e32 v60, v22, v73
	v_fma_f32 v57, v24, v70, -v57
	v_fmac_f32_e32 v58, v25, v70
	v_add_f32_e32 v0, v0, v55
	v_add_f32_e32 v1, v1, v56
	v_fma_f32 v59, v22, v72, -v59
	v_fmac_f32_e32 v60, v23, v72
	v_add_f32_e32 v0, v0, v57
	v_add_f32_e32 v1, v1, v58
	v_add_f32_e32 v0, v0, v59
	v_add_f32_e32 v1, v1, v60
	s_branch .LBB297_18
.LBB297_27:
	s_or_b64 exec, exec, s[34:35]
.LBB297_28:
	s_or_b64 exec, exec, s[26:27]
	s_sub_i32 s0, s9, s44
	s_cmp_lt_i32 s0, 1
	s_cbranch_scc1 .LBB297_46
; %bb.29:
	v_cmp_gt_i32_e32 vcc, s9, v65
	v_mov_b32_e32 v10, 0
	v_or_b32_e32 v20, 1, v65
	v_mov_b32_e32 v11, 0
	v_mov_b32_e32 v12, 0
	;; [unrolled: 1-line block ×7, first 2 shown]
	s_and_saveexec_b64 s[2:3], vcc
	s_cbranch_execz .LBB297_37
; %bb.30:
	v_mad_u64_u32 v[10:11], s[0:1], v65, s22, 0
	v_mov_b32_e32 v12, v11
	v_mad_u64_u32 v[12:13], s[0:1], v65, s23, v[12:13]
	v_mov_b32_e32 v11, v12
	v_lshl_add_u64 v[10:11], v[10:11], 3, s[24:25]
	flat_load_dwordx2 v[10:11], v[10:11]
	v_cmp_gt_i32_e64 s[0:1], s9, v20
	v_mov_b32_e32 v17, 0
	v_mov_b32_e32 v16, 0
	;; [unrolled: 1-line block ×6, first 2 shown]
	s_and_saveexec_b64 s[4:5], s[0:1]
	s_cbranch_execz .LBB297_36
; %bb.31:
	v_mad_u64_u32 v[12:13], s[0:1], v20, s22, 0
	v_mov_b32_e32 v14, v13
	v_mad_u64_u32 v[14:15], s[0:1], v20, s23, v[14:15]
	v_mov_b32_e32 v13, v14
	v_lshl_add_u64 v[12:13], v[12:13], 3, s[24:25]
	flat_load_dwordx2 v[12:13], v[12:13]
	v_or_b32_e32 v5, 2, v65
	v_cmp_gt_i32_e64 s[0:1], s9, v5
	v_mov_b32_e32 v17, 0
	v_mov_b32_e32 v16, 0
	;; [unrolled: 1-line block ×4, first 2 shown]
	s_and_saveexec_b64 s[6:7], s[0:1]
	s_cbranch_execz .LBB297_35
; %bb.32:
	v_mad_u64_u32 v[14:15], s[0:1], v5, s22, 0
	v_mov_b32_e32 v16, v15
	v_mad_u64_u32 v[16:17], s[0:1], v5, s23, v[16:17]
	v_mov_b32_e32 v15, v16
	v_lshl_add_u64 v[14:15], v[14:15], 3, s[24:25]
	flat_load_dwordx2 v[14:15], v[14:15]
	v_or_b32_e32 v5, 3, v65
	v_cmp_gt_i32_e64 s[0:1], s9, v5
	v_mov_b32_e32 v17, 0
	v_mov_b32_e32 v16, 0
	s_and_saveexec_b64 s[26:27], s[0:1]
	s_cbranch_execz .LBB297_34
; %bb.33:
	v_mad_u64_u32 v[16:17], s[0:1], v5, s22, 0
	v_mov_b32_e32 v18, v17
	v_mad_u64_u32 v[18:19], s[0:1], v5, s23, v[18:19]
	v_mov_b32_e32 v17, v18
	v_lshl_add_u64 v[16:17], v[16:17], 3, s[24:25]
	flat_load_dwordx2 v[16:17], v[16:17]
.LBB297_34:
	s_or_b64 exec, exec, s[26:27]
.LBB297_35:
	s_or_b64 exec, exec, s[6:7]
.LBB297_36:
	s_or_b64 exec, exec, s[4:5]
.LBB297_37:
	s_or_b64 exec, exec, s[2:3]
	v_cmp_gt_i32_e64 s[0:1], s8, v4
	s_and_saveexec_b64 s[2:3], s[0:1]
	s_cbranch_execz .LBB297_45
; %bb.38:
	v_mad_u64_u32 v[18:19], s[0:1], v65, s18, 0
	v_mov_b32_e32 v22, v19
	v_ashrrev_i32_e32 v5, 31, v4
	v_mad_u64_u32 v[22:23], s[0:1], v65, s19, v[22:23]
	v_mad_u64_u32 v[24:25], s[0:1], v20, s18, 0
	v_cndmask_b32_e32 v18, 0, v18, vcc
	v_cndmask_b32_e32 v19, 0, v22, vcc
	v_lshlrev_b64 v[22:23], 3, v[4:5]
	v_mov_b32_e32 v26, v25
	v_cmp_gt_i32_e32 vcc, s9, v20
	v_or_b32_e32 v5, 2, v65
	v_mad_u64_u32 v[26:27], s[0:1], v20, s19, v[26:27]
	v_cndmask_b32_e32 v20, 0, v24, vcc
	v_mad_u64_u32 v[24:25], s[0:1], v5, s18, 0
	v_cndmask_b32_e32 v21, 0, v26, vcc
	v_mov_b32_e32 v26, v25
	v_mad_u64_u32 v[26:27], s[0:1], v5, s19, v[26:27]
	v_cmp_gt_i32_e32 vcc, s9, v5
	v_or_b32_e32 v5, 3, v65
	v_lshl_add_u64 v[18:19], v[18:19], 3, s[20:21]
	v_cndmask_b32_e32 v25, 0, v26, vcc
	v_mad_u64_u32 v[26:27], s[0:1], v5, s18, 0
	v_mov_b32_e32 v32, v27
	v_lshl_add_u64 v[18:19], v[18:19], 0, v[22:23]
	v_lshl_add_u64 v[20:21], v[20:21], 3, s[20:21]
	v_cndmask_b32_e32 v24, 0, v24, vcc
	v_mad_u64_u32 v[32:33], s[0:1], v5, s19, v[32:33]
	v_cmp_gt_i32_e32 vcc, s9, v5
	v_lshl_add_u64 v[20:21], v[20:21], 0, v[22:23]
	flat_load_dwordx2 v[28:29], v[18:19]
	flat_load_dwordx2 v[30:31], v[20:21]
	v_lshl_add_u64 v[24:25], v[24:25], 3, s[20:21]
	v_cndmask_b32_e32 v26, 0, v26, vcc
	v_cndmask_b32_e32 v27, 0, v32, vcc
	v_lshl_add_u64 v[24:25], v[24:25], 0, v[22:23]
	v_lshl_add_u64 v[26:27], v[26:27], 3, s[20:21]
	;; [unrolled: 1-line block ×3, first 2 shown]
	flat_load_dwordx2 v[22:23], v[24:25]
	flat_load_dwordx2 v[32:33], v[26:27]
	v_add_u32_e32 v5, 64, v4
	v_cmp_gt_i32_e32 vcc, s8, v5
	s_waitcnt vmcnt(0) lgkmcnt(0)
	v_pk_mul_f32 v[34:35], v[10:11], v[28:29] op_sel:[0,1]
	v_pk_mul_f32 v[36:37], v[12:13], v[30:31] op_sel:[0,1]
	v_pk_fma_f32 v[38:39], v[10:11], v[28:29], v[34:35] op_sel:[0,0,1] op_sel_hi:[1,1,0] neg_lo:[0,0,1] neg_hi:[0,0,1]
	v_pk_fma_f32 v[28:29], v[10:11], v[28:29], v[34:35] op_sel:[0,0,1] op_sel_hi:[1,0,0]
	v_pk_fma_f32 v[34:35], v[12:13], v[30:31], v[36:37] op_sel:[0,0,1] op_sel_hi:[1,1,0] neg_lo:[0,0,1] neg_hi:[0,0,1]
	v_pk_fma_f32 v[30:31], v[12:13], v[30:31], v[36:37] op_sel:[0,0,1] op_sel_hi:[1,0,0]
	v_mov_b32_e32 v39, v29
	v_pk_mul_f32 v[36:37], v[14:15], v[22:23] op_sel:[0,1]
	v_pk_mul_f32 v[40:41], v[16:17], v[32:33] op_sel:[0,1]
	v_mov_b32_e32 v35, v31
	v_pk_fma_f32 v[28:29], v[14:15], v[22:23], v[36:37] op_sel:[0,0,1] op_sel_hi:[1,1,0] neg_lo:[0,0,1] neg_hi:[0,0,1]
	v_pk_fma_f32 v[30:31], v[14:15], v[22:23], v[36:37] op_sel:[0,0,1] op_sel_hi:[1,0,0]
	v_pk_add_f32 v[8:9], v[8:9], v[38:39]
	v_pk_fma_f32 v[22:23], v[16:17], v[32:33], v[40:41] op_sel:[0,0,1] op_sel_hi:[1,1,0] neg_lo:[0,0,1] neg_hi:[0,0,1]
	v_pk_fma_f32 v[32:33], v[16:17], v[32:33], v[40:41] op_sel:[0,0,1] op_sel_hi:[1,0,0]
	v_mov_b32_e32 v29, v31
	v_pk_add_f32 v[8:9], v[8:9], v[34:35]
	v_mov_b32_e32 v23, v33
	v_pk_add_f32 v[8:9], v[8:9], v[28:29]
	s_and_saveexec_b64 s[0:1], vcc
	s_cbranch_execz .LBB297_44
; %bb.39:
	flat_load_dwordx2 v[28:29], v[18:19] offset:512
	flat_load_dwordx2 v[30:31], v[20:21] offset:512
	flat_load_dwordx2 v[32:33], v[24:25] offset:512
	flat_load_dwordx2 v[34:35], v[26:27] offset:512
	v_add_u32_e32 v36, 0x80, v4
	v_cmp_gt_i32_e32 vcc, s8, v36
	s_waitcnt vmcnt(0) lgkmcnt(0)
	v_mul_f32_e32 v37, v11, v29
	v_mul_f32_e32 v29, v10, v29
	;; [unrolled: 1-line block ×6, first 2 shown]
	v_fma_f32 v35, v10, v28, -v37
	v_fmac_f32_e32 v29, v11, v28
	v_mul_f32_e32 v39, v15, v33
	v_mul_f32_e32 v33, v14, v33
	v_fma_f32 v37, v12, v30, -v38
	v_fmac_f32_e32 v31, v13, v30
	v_add_f32_e32 v6, v6, v35
	v_add_f32_e32 v7, v7, v29
	v_fma_f32 v30, v14, v32, -v39
	v_fmac_f32_e32 v33, v15, v32
	v_add_f32_e32 v6, v6, v37
	v_add_f32_e32 v7, v7, v31
	;; [unrolled: 4-line block ×3, first 2 shown]
	s_and_saveexec_b64 s[4:5], vcc
	s_cbranch_execz .LBB297_43
; %bb.40:
	flat_load_dwordx2 v[30:31], v[18:19] offset:1024
	flat_load_dwordx2 v[32:33], v[20:21] offset:1024
	;; [unrolled: 1-line block ×4, first 2 shown]
	v_add_u32_e32 v38, 0xc0, v4
	v_cmp_gt_i32_e32 vcc, s8, v38
	s_waitcnt vmcnt(0) lgkmcnt(0)
	v_mul_f32_e32 v29, v11, v31
	v_mul_f32_e32 v31, v10, v31
	;; [unrolled: 1-line block ×6, first 2 shown]
	v_fma_f32 v37, v10, v30, -v29
	v_fmac_f32_e32 v31, v11, v30
	v_mul_f32_e32 v40, v15, v35
	v_mul_f32_e32 v35, v14, v35
	v_fma_f32 v30, v12, v32, -v39
	v_fmac_f32_e32 v33, v13, v32
	v_add_f32_e32 v2, v2, v37
	v_add_f32_e32 v3, v3, v31
	v_fma_f32 v32, v14, v34, -v40
	v_fmac_f32_e32 v35, v15, v34
	v_add_f32_e32 v2, v2, v30
	v_add_f32_e32 v3, v3, v33
	;; [unrolled: 4-line block ×3, first 2 shown]
	s_and_saveexec_b64 s[6:7], vcc
	s_cbranch_execz .LBB297_42
; %bb.41:
	flat_load_dwordx2 v[30:31], v[18:19] offset:1536
	flat_load_dwordx2 v[32:33], v[20:21] offset:1536
	flat_load_dwordx2 v[34:35], v[24:25] offset:1536
	flat_load_dwordx2 v[36:37], v[26:27] offset:1536
	s_waitcnt vmcnt(0) lgkmcnt(0)
	v_mul_f32_e32 v18, v11, v31
	v_mul_f32_e32 v19, v10, v31
	;; [unrolled: 1-line block ×4, first 2 shown]
	v_fma_f32 v10, v10, v30, -v18
	v_fmac_f32_e32 v19, v11, v30
	v_mul_f32_e32 v24, v15, v35
	v_mul_f32_e32 v25, v14, v35
	v_fma_f32 v11, v12, v32, -v20
	v_fmac_f32_e32 v21, v13, v32
	v_add_f32_e32 v0, v0, v10
	v_add_f32_e32 v1, v1, v19
	v_mul_f32_e32 v26, v17, v37
	v_mul_f32_e32 v27, v16, v37
	v_fma_f32 v12, v14, v34, -v24
	v_fmac_f32_e32 v25, v15, v34
	v_add_f32_e32 v0, v0, v11
	v_add_f32_e32 v1, v1, v21
	v_fma_f32 v13, v16, v36, -v26
	v_fmac_f32_e32 v27, v17, v36
	v_add_f32_e32 v0, v0, v12
	v_add_f32_e32 v1, v1, v25
	;; [unrolled: 1-line block ×4, first 2 shown]
.LBB297_42:
	s_or_b64 exec, exec, s[6:7]
	v_add_f32_e32 v2, v2, v29
	v_add_f32_e32 v3, v3, v4
.LBB297_43:
	s_or_b64 exec, exec, s[4:5]
	v_add_f32_e32 v6, v6, v28
	v_add_f32_e32 v7, v7, v5
.LBB297_44:
	s_or_b64 exec, exec, s[0:1]
	v_pk_add_f32 v[8:9], v[8:9], v[22:23]
.LBB297_45:
	s_or_b64 exec, exec, s[2:3]
.LBB297_46:
	v_lshlrev_b32_e32 v4, 8, v64
	s_movk_i32 s0, 0x100
	v_add_lshl_u32 v4, v4, v63, 3
	v_cmp_gt_u32_e32 vcc, s0, v62
	ds_write2st64_b64 v4, v[8:9], v[6:7] offset1:1
	ds_write2st64_b64 v4, v[2:3], v[0:1] offset0:2 offset1:3
	s_waitcnt lgkmcnt(0)
	s_barrier
	s_and_saveexec_b64 s[0:1], vcc
	s_cbranch_execz .LBB297_51
; %bb.47:
	v_lshlrev_b32_e32 v5, 3, v62
	ds_read2st64_b64 v[0:3], v5 offset1:4
	ds_read2st64_b64 v[6:9], v5 offset0:8 offset1:12
	v_or_b32_e32 v4, s33, v62
	v_cmp_gt_i32_e32 vcc, s8, v4
	s_waitcnt lgkmcnt(0)
	v_pk_add_f32 v[0:1], v[0:1], v[2:3]
	s_nop 0
	v_pk_add_f32 v[0:1], v[0:1], v[6:7]
	s_nop 0
	v_pk_add_f32 v[2:3], v[0:1], v[8:9]
	ds_write_b64 v5, v[2:3]
	s_and_b64 exec, exec, vcc
	s_cbranch_execz .LBB297_51
; %bb.48:
	v_pk_mul_f32 v[6:7], v[2:3], s[10:11] op_sel:[1,0]
	v_cmp_neq_f32_e64 s[0:1], s12, 0
	v_pk_fma_f32 v[0:1], v[2:3], s[10:11], v[6:7] op_sel:[0,0,1] op_sel_hi:[0,1,0] neg_lo:[0,0,1] neg_hi:[0,0,1]
	v_pk_fma_f32 v[2:3], v[2:3], s[10:11], v[6:7] op_sel:[0,0,1] op_sel_hi:[0,1,0]
	v_ashrrev_i32_e32 v1, 31, v4
	v_cmp_neq_f32_e64 s[2:3], s13, 0
	v_mul_lo_u32 v2, v4, s15
	v_mul_lo_u32 v1, v1, s14
	v_mad_u64_u32 v[4:5], s[4:5], v4, s14, 0
	v_add3_u32 v5, v5, v2, v1
	s_or_b64 s[0:1], s[0:1], s[2:3]
	s_andn2_b64 vcc, exec, s[0:1]
	v_lshl_add_u64 v[4:5], v[4:5], 3, s[16:17]
	s_cbranch_vccnz .LBB297_50
; %bb.49:
	global_load_dwordx2 v[6:7], v[4:5], off
	v_mov_b32_e32 v1, v3
	s_waitcnt vmcnt(0)
	v_pk_mul_f32 v[2:3], s[12:13], v[6:7] op_sel:[0,1]
	s_nop 0
	v_pk_fma_f32 v[8:9], s[12:13], v[6:7], v[2:3] op_sel:[0,0,1] op_sel_hi:[1,1,0] neg_lo:[0,0,1] neg_hi:[0,0,1]
	v_pk_fma_f32 v[2:3], s[12:13], v[6:7], v[2:3] op_sel:[0,0,1] op_sel_hi:[1,0,0]
	s_nop 0
	v_mov_b32_e32 v9, v3
	v_pk_add_f32 v[0:1], v[0:1], v[8:9]
	s_nop 0
	v_mov_b32_e32 v3, v1
.LBB297_50:
	v_mov_b32_e32 v1, v3
	global_store_dwordx2 v[4:5], v[0:1], off
.LBB297_51:
	s_endpgm
	.section	.rodata,"a",@progbits
	.p2align	6, 0x0
	.amdhsa_kernel _ZL20rocblas_gemvn_kernelILi64ELi4ElPK19rocblas_complex_numIfES1_KPS1_EviiT3_lPKT2_lT1_lS9_lSA_lS6_lPT4_lSA_li
		.amdhsa_group_segment_fixed_size 8192
		.amdhsa_private_segment_fixed_size 0
		.amdhsa_kernarg_size 400
		.amdhsa_user_sgpr_count 2
		.amdhsa_user_sgpr_dispatch_ptr 0
		.amdhsa_user_sgpr_queue_ptr 0
		.amdhsa_user_sgpr_kernarg_segment_ptr 1
		.amdhsa_user_sgpr_dispatch_id 0
		.amdhsa_user_sgpr_kernarg_preload_length 0
		.amdhsa_user_sgpr_kernarg_preload_offset 0
		.amdhsa_user_sgpr_private_segment_size 0
		.amdhsa_uses_dynamic_stack 0
		.amdhsa_enable_private_segment 0
		.amdhsa_system_sgpr_workgroup_id_x 1
		.amdhsa_system_sgpr_workgroup_id_y 0
		.amdhsa_system_sgpr_workgroup_id_z 1
		.amdhsa_system_sgpr_workgroup_info 0
		.amdhsa_system_vgpr_workitem_id 1
		.amdhsa_next_free_vgpr 74
		.amdhsa_next_free_sgpr 45
		.amdhsa_accum_offset 76
		.amdhsa_reserve_vcc 1
		.amdhsa_float_round_mode_32 0
		.amdhsa_float_round_mode_16_64 0
		.amdhsa_float_denorm_mode_32 3
		.amdhsa_float_denorm_mode_16_64 3
		.amdhsa_dx10_clamp 1
		.amdhsa_ieee_mode 1
		.amdhsa_fp16_overflow 0
		.amdhsa_tg_split 0
		.amdhsa_exception_fp_ieee_invalid_op 0
		.amdhsa_exception_fp_denorm_src 0
		.amdhsa_exception_fp_ieee_div_zero 0
		.amdhsa_exception_fp_ieee_overflow 0
		.amdhsa_exception_fp_ieee_underflow 0
		.amdhsa_exception_fp_ieee_inexact 0
		.amdhsa_exception_int_div_zero 0
	.end_amdhsa_kernel
	.section	.text._ZL20rocblas_gemvn_kernelILi64ELi4ElPK19rocblas_complex_numIfES1_KPS1_EviiT3_lPKT2_lT1_lS9_lSA_lS6_lPT4_lSA_li,"axG",@progbits,_ZL20rocblas_gemvn_kernelILi64ELi4ElPK19rocblas_complex_numIfES1_KPS1_EviiT3_lPKT2_lT1_lS9_lSA_lS6_lPT4_lSA_li,comdat
.Lfunc_end297:
	.size	_ZL20rocblas_gemvn_kernelILi64ELi4ElPK19rocblas_complex_numIfES1_KPS1_EviiT3_lPKT2_lT1_lS9_lSA_lS6_lPT4_lSA_li, .Lfunc_end297-_ZL20rocblas_gemvn_kernelILi64ELi4ElPK19rocblas_complex_numIfES1_KPS1_EviiT3_lPKT2_lT1_lS9_lSA_lS6_lPT4_lSA_li
                                        ; -- End function
	.section	.AMDGPU.csdata,"",@progbits
; Kernel info:
; codeLenInByte = 3348
; NumSgprs: 51
; NumVgprs: 74
; NumAgprs: 0
; TotalNumVgprs: 74
; ScratchSize: 0
; MemoryBound: 0
; FloatMode: 240
; IeeeMode: 1
; LDSByteSize: 8192 bytes/workgroup (compile time only)
; SGPRBlocks: 6
; VGPRBlocks: 9
; NumSGPRsForWavesPerEU: 51
; NumVGPRsForWavesPerEU: 74
; AccumOffset: 76
; Occupancy: 6
; WaveLimiterHint : 1
; COMPUTE_PGM_RSRC2:SCRATCH_EN: 0
; COMPUTE_PGM_RSRC2:USER_SGPR: 2
; COMPUTE_PGM_RSRC2:TRAP_HANDLER: 0
; COMPUTE_PGM_RSRC2:TGID_X_EN: 1
; COMPUTE_PGM_RSRC2:TGID_Y_EN: 0
; COMPUTE_PGM_RSRC2:TGID_Z_EN: 1
; COMPUTE_PGM_RSRC2:TIDIG_COMP_CNT: 1
; COMPUTE_PGM_RSRC3_GFX90A:ACCUM_OFFSET: 18
; COMPUTE_PGM_RSRC3_GFX90A:TG_SPLIT: 0
	.section	.text._ZL20rocblas_gemvn_kernelILi32ELi16EiPK19rocblas_complex_numIfES3_KPS1_EviiT3_lPKT2_lT1_lS9_lSA_lS6_lPT4_lSA_li,"axG",@progbits,_ZL20rocblas_gemvn_kernelILi32ELi16EiPK19rocblas_complex_numIfES3_KPS1_EviiT3_lPKT2_lT1_lS9_lSA_lS6_lPT4_lSA_li,comdat
	.globl	_ZL20rocblas_gemvn_kernelILi32ELi16EiPK19rocblas_complex_numIfES3_KPS1_EviiT3_lPKT2_lT1_lS9_lSA_lS6_lPT4_lSA_li ; -- Begin function _ZL20rocblas_gemvn_kernelILi32ELi16EiPK19rocblas_complex_numIfES3_KPS1_EviiT3_lPKT2_lT1_lS9_lSA_lS6_lPT4_lSA_li
	.p2align	8
	.type	_ZL20rocblas_gemvn_kernelILi32ELi16EiPK19rocblas_complex_numIfES3_KPS1_EviiT3_lPKT2_lT1_lS9_lSA_lS6_lPT4_lSA_li,@function
_ZL20rocblas_gemvn_kernelILi32ELi16EiPK19rocblas_complex_numIfES3_KPS1_EviiT3_lPKT2_lT1_lS9_lSA_lS6_lPT4_lSA_li: ; @_ZL20rocblas_gemvn_kernelILi32ELi16EiPK19rocblas_complex_numIfES3_KPS1_EviiT3_lPKT2_lT1_lS9_lSA_lS6_lPT4_lSA_li
; %bb.0:
	s_load_dwordx2 s[4:5], s[0:1], 0x9c
	s_mov_b32 s24, s3
	s_waitcnt lgkmcnt(0)
	s_and_b32 s3, s5, 0xffff
	s_lshr_b32 s5, s4, 16
	s_and_b32 s4, s4, 0xffff
	s_mul_i32 s4, s5, s4
	s_mul_i32 s4, s4, s3
	s_cmpk_lg_i32 s4, 0x200
	s_cbranch_scc1 .LBB298_49
; %bb.1:
	s_load_dwordx8 s[12:19], s[0:1], 0x8
	s_load_dwordx8 s[4:11], s[0:1], 0x58
	s_waitcnt lgkmcnt(0)
	s_mul_i32 s3, s24, s15
	s_mul_hi_u32 s15, s24, s14
	s_mul_i32 s14, s24, s14
	s_add_i32 s15, s15, s3
	s_lshl_b64 s[14:15], s[14:15], 3
	s_mul_i32 s7, s24, s7
	s_add_u32 s12, s12, s14
	s_mul_hi_u32 s3, s24, s6
	s_addc_u32 s13, s13, s15
	s_add_i32 s7, s3, s7
	s_mul_i32 s6, s24, s6
	s_lshl_b64 s[6:7], s[6:7], 3
	s_add_u32 s4, s4, s6
	s_load_dwordx2 s[14:15], s[12:13], 0x0
	s_addc_u32 s5, s5, s7
	s_load_dwordx2 s[12:13], s[4:5], 0x0
	s_waitcnt lgkmcnt(0)
	v_cmp_eq_f32_e64 s[4:5], s14, 0
	v_cmp_eq_f32_e64 s[6:7], s15, 0
	s_and_b64 s[4:5], s[4:5], s[6:7]
	v_cmp_eq_f32_e64 s[6:7], s12, 1.0
	v_cmp_eq_f32_e64 s[20:21], s13, 0
	s_and_b64 s[6:7], s[6:7], s[20:21]
	s_and_b64 s[4:5], s[4:5], s[6:7]
	s_and_b64 vcc, exec, s[4:5]
	s_cbranch_vccnz .LBB298_49
; %bb.2:
	s_or_b32 s3, s14, s15
	s_bitset0_b32 s3, 31
	s_cmp_lg_u32 s3, 0
	s_cselect_b64 s[6:7], -1, 0
	s_cmp_eq_u32 s3, 0
	s_cselect_b64 s[4:5], -1, 0
	s_mov_b32 s25, 0
	s_mov_b64 s[22:23], 0
	s_and_b64 vcc, exec, s[4:5]
	s_mov_b64 s[20:21], 0
	s_cbranch_vccnz .LBB298_4
; %bb.3:
	s_lshl_b64 s[20:21], s[24:25], 3
	s_add_u32 s16, s16, s20
	s_addc_u32 s17, s17, s21
	s_load_dwordx2 s[16:17], s[16:17], 0x0
	s_lshl_b64 s[18:19], s[18:19], 3
	s_waitcnt lgkmcnt(0)
	s_add_u32 s20, s16, s18
	s_addc_u32 s21, s17, s19
.LBB298_4:
	s_andn2_b64 vcc, exec, s[6:7]
	s_cbranch_vccnz .LBB298_6
; %bb.5:
	s_load_dwordx4 s[16:19], s[0:1], 0x38
	s_lshl_b64 s[6:7], s[24:25], 3
	s_waitcnt lgkmcnt(0)
	s_add_u32 s6, s16, s6
	s_addc_u32 s7, s17, s7
	s_load_dwordx2 s[6:7], s[6:7], 0x0
	s_lshl_b64 s[16:17], s[18:19], 3
	s_waitcnt lgkmcnt(0)
	s_add_u32 s22, s6, s16
	s_addc_u32 s23, s7, s17
.LBB298_6:
	s_lshl_b64 s[6:7], s[24:25], 3
	s_add_u32 s6, s8, s6
	s_addc_u32 s7, s9, s7
	s_load_dwordx2 s[8:9], s[6:7], 0x0
	s_load_dwordx2 s[16:17], s[0:1], 0x0
	s_load_dword s33, s[0:1], 0x78
	s_lshl_b64 s[6:7], s[10:11], 3
	v_and_b32_e32 v2, 0x3ff, v0
	s_waitcnt lgkmcnt(0)
	s_add_u32 s8, s8, s6
	v_bfe_u32 v3, v0, 10, 10
	s_addc_u32 s9, s9, s7
	v_lshl_add_u32 v54, v3, 5, v2
	s_andn2_b64 vcc, exec, s[4:5]
	s_mov_b64 s[4:5], -1
	s_cbranch_vccnz .LBB298_13
; %bb.7:
	s_movk_i32 s3, 0x80
	v_cmp_gt_u32_e32 vcc, s3, v54
	s_and_saveexec_b64 s[4:5], vcc
	s_cbranch_execz .LBB298_12
; %bb.8:
	v_lshl_or_b32 v0, s2, 7, v54
	v_mov_b32_e32 v1, 0
	s_ashr_i32 s7, s16, 31
	s_mov_b32 s6, s16
	v_cmp_gt_i64_e32 vcc, s[6:7], v[0:1]
	s_and_b64 exec, exec, vcc
	s_cbranch_execz .LBB298_12
; %bb.9:
	v_mad_u64_u32 v[4:5], s[18:19], s33, v0, 0
	s_ashr_i32 s3, s33, 31
	v_mov_b32_e32 v6, v5
	v_cmp_neq_f32_e64 s[6:7], s12, 0
	v_cmp_neq_f32_e64 s[10:11], s13, 0
	v_mad_u64_u32 v[6:7], s[18:19], s3, v0, v[6:7]
	v_mov_b32_e32 v5, v6
	s_or_b64 s[6:7], s[6:7], s[10:11]
	s_andn2_b64 vcc, exec, s[6:7]
	v_lshl_add_u64 v[4:5], v[4:5], 3, s[8:9]
	v_mov_b32_e32 v7, v1
	s_cbranch_vccnz .LBB298_11
; %bb.10:
	global_load_dwordx2 v[0:1], v[4:5], off
	s_waitcnt vmcnt(0)
	v_pk_mul_f32 v[6:7], s[12:13], v[0:1] op_sel:[0,1]
	s_nop 0
	v_pk_fma_f32 v[8:9], s[12:13], v[0:1], v[6:7] op_sel:[0,0,1] op_sel_hi:[1,1,0] neg_lo:[0,0,1] neg_hi:[0,0,1]
	v_pk_fma_f32 v[6:7], s[12:13], v[0:1], v[6:7] op_sel:[0,0,1] op_sel_hi:[1,0,0]
	v_mov_b32_e32 v1, v8
.LBB298_11:
	v_mov_b32_e32 v6, v1
	global_store_dwordx2 v[4:5], v[6:7], off
.LBB298_12:
	s_or_b64 exec, exec, s[4:5]
	s_mov_b64 s[4:5], 0
.LBB298_13:
	s_andn2_b64 vcc, exec, s[4:5]
	s_cbranch_vccnz .LBB298_49
; %bb.14:
	s_load_dword s35, s[0:1], 0x28
	s_load_dword s36, s[0:1], 0x48
	s_ashr_i32 s0, s17, 31
	s_lshr_b32 s0, s0, 26
	s_add_i32 s37, s17, s0
	s_mov_b32 s10, 0
	s_lshl_b32 s34, s2, 7
	s_andn2_b32 s37, s37, 63
	v_lshlrev_b32_e32 v56, 2, v3
	s_mov_b32 s11, s10
	v_add_u32_e32 v55, s34, v2
	v_cmp_gt_i32_e32 vcc, s37, v56
	v_mov_b64_e32 v[8:9], s[10:11]
	v_mov_b32_e32 v1, 0
	v_mov_b32_e32 v0, 0
	;; [unrolled: 1-line block ×6, first 2 shown]
	s_and_saveexec_b64 s[18:19], vcc
	s_cbranch_execz .LBB298_26
; %bb.15:
	v_add_u32_e32 v0, 32, v55
	v_cmp_gt_i32_e64 s[0:1], s16, v0
	v_add_u32_e32 v0, 64, v55
	v_cmp_gt_i32_e64 s[2:3], s16, v0
	;; [unrolled: 2-line block ×3, first 2 shown]
	s_waitcnt lgkmcnt(0)
	v_mul_lo_u32 v0, s35, v56
	v_add3_u32 v57, v0, s35, v2
	v_add_u32_e32 v0, 2, v56
	v_mad_u64_u32 v[10:11], s[6:7], s35, v0, v[2:3]
	v_add_u32_e32 v1, 3, v56
	v_mul_lo_u32 v4, v3, s35
	v_mad_u64_u32 v[12:13], s[6:7], s35, v1, v[2:3]
	v_lshl_add_u32 v11, v4, 2, v2
	v_mul_lo_u32 v4, s36, v56
	v_mul_lo_u32 v58, s36, v0
	;; [unrolled: 1-line block ×4, first 2 shown]
	v_mov_b32_e32 v1, 0
	v_cmp_gt_i32_e32 vcc, s16, v55
	s_lshl_b32 s38, s35, 6
	v_add_u32_e32 v13, s36, v4
	s_lshl_b32 s39, s36, 6
	v_lshlrev_b32_e32 v60, 2, v0
	s_mov_b64 s[24:25], 0
	v_mov_b64_e32 v[8:9], s[10:11]
	v_mov_b32_e32 v0, v1
	v_mov_b32_e32 v5, v1
	;; [unrolled: 1-line block ×5, first 2 shown]
	s_branch .LBB298_20
.LBB298_16:                             ;   in Loop: Header=BB298_20 Depth=1
	s_or_b64 exec, exec, s[30:31]
	s_waitcnt vmcnt(0) lgkmcnt(0)
	v_mul_f32_e32 v42, v21, v49
	v_fma_f32 v42, v20, v48, -v42
	v_mul_f32_e32 v43, v20, v49
	v_fmac_f32_e32 v43, v21, v48
	v_add_f32_e32 v4, v4, v42
	v_mul_f32_e32 v42, v19, v47
	v_add_f32_e32 v5, v5, v43
	v_fma_f32 v42, v18, v46, -v42
	v_mul_f32_e32 v43, v18, v47
	v_fmac_f32_e32 v43, v19, v46
	v_add_f32_e32 v4, v4, v42
	v_mul_f32_e32 v42, v17, v41
	v_mul_f32_e32 v41, v16, v41
	v_add_f32_e32 v5, v5, v43
	v_fma_f32 v42, v16, v40, -v42
	v_fmac_f32_e32 v41, v17, v40
	v_mul_f32_e32 v40, v15, v39
	v_mul_f32_e32 v39, v14, v39
	v_add_f32_e32 v4, v4, v42
	v_add_f32_e32 v5, v5, v41
	v_fma_f32 v40, v14, v38, -v40
	v_fmac_f32_e32 v39, v15, v38
	v_add_f32_e32 v4, v4, v40
	v_add_f32_e32 v5, v5, v39
.LBB298_17:                             ;   in Loop: Header=BB298_20 Depth=1
	s_or_b64 exec, exec, s[28:29]
	s_waitcnt vmcnt(0) lgkmcnt(0)
	v_mul_f32_e32 v38, v21, v37
	v_mul_f32_e32 v37, v20, v37
	v_fma_f32 v38, v20, v36, -v38
	v_fmac_f32_e32 v37, v21, v36
	v_mul_f32_e32 v36, v19, v35
	v_mul_f32_e32 v35, v18, v35
	v_add_f32_e32 v6, v6, v38
	v_add_f32_e32 v7, v7, v37
	v_fma_f32 v36, v18, v34, -v36
	v_fmac_f32_e32 v35, v19, v34
	v_mul_f32_e32 v34, v17, v33
	v_mul_f32_e32 v33, v16, v33
	v_add_f32_e32 v6, v6, v36
	v_add_f32_e32 v7, v7, v35
	;; [unrolled: 6-line block ×3, first 2 shown]
	v_fma_f32 v32, v14, v30, -v32
	v_fmac_f32_e32 v31, v15, v30
	v_add_f32_e32 v6, v6, v32
	v_add_f32_e32 v7, v7, v31
.LBB298_18:                             ;   in Loop: Header=BB298_20 Depth=1
	s_or_b64 exec, exec, s[26:27]
	s_waitcnt vmcnt(0) lgkmcnt(0)
	v_mul_f32_e32 v30, v21, v29
	v_mul_f32_e32 v31, v20, v29
	v_fma_f32 v30, v20, v28, -v30
	v_fmac_f32_e32 v31, v21, v28
	v_mul_f32_e32 v20, v19, v27
	v_mul_f32_e32 v21, v18, v27
	v_fma_f32 v20, v18, v26, -v20
	v_fmac_f32_e32 v21, v19, v26
	v_pk_add_f32 v[8:9], v[8:9], v[30:31]
	v_mov_b32_e32 v18, v17
	v_mov_b32_e32 v19, v16
	v_pk_add_f32 v[8:9], v[8:9], v[20:21]
	v_mov_b32_e32 v16, v25
	v_pk_mul_f32 v[20:21], v[18:19], v[24:25] op_sel_hi:[1,0]
	s_nop 0
	v_pk_fma_f32 v[16:17], v[18:19], v[16:17], v[20:21] op_sel:[0,0,1] op_sel_hi:[1,1,0] neg_lo:[1,0,0] neg_hi:[1,0,0]
	v_pk_fma_f32 v[18:19], v[18:19], v[24:25], v[20:21] op_sel:[0,1,1] op_sel_hi:[1,1,0]
	s_nop 0
	v_mov_b32_e32 v17, v19
	v_pk_add_f32 v[8:9], v[8:9], v[16:17]
	v_pk_mul_f32 v[16:17], v[14:15], v[22:23] op_sel:[0,1]
	s_nop 0
	v_pk_fma_f32 v[18:19], v[14:15], v[22:23], v[16:17] op_sel:[0,0,1] op_sel_hi:[1,1,0] neg_lo:[0,0,1] neg_hi:[0,0,1]
	v_pk_fma_f32 v[14:15], v[14:15], v[22:23], v[16:17] op_sel:[0,0,1] op_sel_hi:[1,0,0]
	s_nop 0
	v_mov_b32_e32 v19, v15
	v_pk_add_f32 v[8:9], v[8:9], v[18:19]
.LBB298_19:                             ;   in Loop: Header=BB298_20 Depth=1
	s_or_b64 exec, exec, s[6:7]
	v_add_u32_e32 v56, 64, v56
	s_add_i32 s10, s10, s39
	v_cmp_le_i32_e64 s[6:7], s37, v56
	v_add_u32_e32 v57, s38, v57
	v_add_u32_e32 v10, s38, v10
	;; [unrolled: 1-line block ×3, first 2 shown]
	s_or_b64 s[24:25], s[6:7], s[24:25]
	v_add_u32_e32 v11, s38, v11
	s_andn2_b64 exec, exec, s[24:25]
	s_cbranch_execz .LBB298_25
.LBB298_20:                             ; =>This Inner Loop Header: Depth=1
	s_and_saveexec_b64 s[6:7], vcc
	s_cbranch_execz .LBB298_19
; %bb.21:                               ;   in Loop: Header=BB298_20 Depth=1
	v_add_u32_e32 v14, s10, v60
	v_ashrrev_i32_e32 v15, 31, v14
	v_lshl_add_u64 v[22:23], v[14:15], 3, s[22:23]
	v_add_u32_e32 v14, s10, v13
	v_ashrrev_i32_e32 v15, 31, v14
	v_lshl_add_u64 v[24:25], v[14:15], 3, s[22:23]
	;; [unrolled: 3-line block ×4, first 2 shown]
	flat_load_dwordx2 v[20:21], v[22:23]
	flat_load_dwordx2 v[18:19], v[24:25]
	;; [unrolled: 1-line block ×4, first 2 shown]
	v_add_u32_e32 v22, s34, v11
	v_ashrrev_i32_e32 v23, 31, v22
	v_lshl_add_u64 v[42:43], v[22:23], 3, s[20:21]
	v_add_u32_e32 v22, s34, v57
	v_ashrrev_i32_e32 v23, 31, v22
	v_lshl_add_u64 v[44:45], v[22:23], 3, s[20:21]
	;; [unrolled: 3-line block ×4, first 2 shown]
	flat_load_dwordx2 v[28:29], v[42:43]
	flat_load_dwordx2 v[26:27], v[44:45]
	;; [unrolled: 1-line block ×4, first 2 shown]
	s_and_saveexec_b64 s[26:27], s[0:1]
	s_cbranch_execz .LBB298_18
; %bb.22:                               ;   in Loop: Header=BB298_20 Depth=1
	flat_load_dwordx2 v[36:37], v[42:43] offset:256
	flat_load_dwordx2 v[34:35], v[44:45] offset:256
	flat_load_dwordx2 v[32:33], v[50:51] offset:256
	flat_load_dwordx2 v[30:31], v[52:53] offset:256
	s_and_saveexec_b64 s[28:29], s[2:3]
	s_cbranch_execz .LBB298_17
; %bb.23:                               ;   in Loop: Header=BB298_20 Depth=1
	flat_load_dwordx2 v[48:49], v[42:43] offset:512
	flat_load_dwordx2 v[46:47], v[44:45] offset:512
	flat_load_dwordx2 v[40:41], v[50:51] offset:512
	flat_load_dwordx2 v[38:39], v[52:53] offset:512
	;; [unrolled: 7-line block ×3, first 2 shown]
	s_waitcnt vmcnt(0) lgkmcnt(0)
	v_mul_f32_e32 v42, v21, v63
	v_mul_f32_e32 v43, v20, v63
	;; [unrolled: 1-line block ×4, first 2 shown]
	v_fma_f32 v42, v20, v62, -v42
	v_fmac_f32_e32 v43, v21, v62
	v_mul_f32_e32 v50, v17, v67
	v_mul_f32_e32 v51, v16, v67
	v_fma_f32 v44, v18, v64, -v44
	v_fmac_f32_e32 v45, v19, v64
	v_add_f32_e32 v0, v0, v42
	v_add_f32_e32 v1, v1, v43
	v_mul_f32_e32 v52, v15, v69
	v_mul_f32_e32 v53, v14, v69
	v_fma_f32 v50, v16, v66, -v50
	v_fmac_f32_e32 v51, v17, v66
	v_add_f32_e32 v0, v0, v44
	v_add_f32_e32 v1, v1, v45
	v_fma_f32 v52, v14, v68, -v52
	v_fmac_f32_e32 v53, v15, v68
	v_add_f32_e32 v0, v0, v50
	v_add_f32_e32 v1, v1, v51
	;; [unrolled: 1-line block ×4, first 2 shown]
	s_branch .LBB298_16
.LBB298_25:
	s_or_b64 exec, exec, s[24:25]
.LBB298_26:
	s_or_b64 exec, exec, s[18:19]
	s_sub_i32 s0, s17, s37
	s_cmp_lt_i32 s0, 1
	s_cbranch_scc1 .LBB298_44
; %bb.27:
	v_cmp_gt_i32_e32 vcc, s17, v56
	v_mov_b32_e32 v10, 0
	v_or_b32_e32 v20, 1, v56
	v_mov_b32_e32 v11, 0
	v_mov_b32_e32 v12, 0
	;; [unrolled: 1-line block ×7, first 2 shown]
	s_and_saveexec_b64 s[2:3], vcc
	s_cbranch_execz .LBB298_35
; %bb.28:
	s_waitcnt lgkmcnt(0)
	v_mul_lo_u32 v10, v56, s36
	v_ashrrev_i32_e32 v11, 31, v10
	v_lshl_add_u64 v[10:11], v[10:11], 3, s[22:23]
	flat_load_dwordx2 v[10:11], v[10:11]
	v_cmp_gt_i32_e64 s[0:1], s17, v20
	v_mov_b32_e32 v17, 0
	v_mov_b32_e32 v16, 0
	;; [unrolled: 1-line block ×6, first 2 shown]
	s_and_saveexec_b64 s[4:5], s[0:1]
	s_cbranch_execz .LBB298_34
; %bb.29:
	v_mul_lo_u32 v12, v20, s36
	v_ashrrev_i32_e32 v13, 31, v12
	v_lshl_add_u64 v[12:13], v[12:13], 3, s[22:23]
	flat_load_dwordx2 v[12:13], v[12:13]
	v_or_b32_e32 v18, 2, v56
	v_cmp_gt_i32_e64 s[0:1], s17, v18
	v_mov_b32_e32 v17, 0
	v_mov_b32_e32 v16, 0
	;; [unrolled: 1-line block ×4, first 2 shown]
	s_and_saveexec_b64 s[6:7], s[0:1]
	s_cbranch_execz .LBB298_33
; %bb.30:
	v_mul_lo_u32 v14, v18, s36
	v_ashrrev_i32_e32 v15, 31, v14
	v_lshl_add_u64 v[14:15], v[14:15], 3, s[22:23]
	flat_load_dwordx2 v[14:15], v[14:15]
	v_or_b32_e32 v18, 3, v56
	v_cmp_gt_i32_e64 s[0:1], s17, v18
	v_mov_b32_e32 v17, 0
	v_mov_b32_e32 v16, 0
	s_and_saveexec_b64 s[10:11], s[0:1]
	s_cbranch_execz .LBB298_32
; %bb.31:
	v_mul_lo_u32 v16, v18, s36
	v_ashrrev_i32_e32 v17, 31, v16
	v_lshl_add_u64 v[16:17], v[16:17], 3, s[22:23]
	flat_load_dwordx2 v[16:17], v[16:17]
.LBB298_32:
	s_or_b64 exec, exec, s[10:11]
.LBB298_33:
	s_or_b64 exec, exec, s[6:7]
.LBB298_34:
	s_or_b64 exec, exec, s[4:5]
.LBB298_35:
	s_or_b64 exec, exec, s[2:3]
	v_cmp_gt_i32_e64 s[0:1], s16, v55
	s_and_saveexec_b64 s[2:3], s[0:1]
	s_cbranch_execz .LBB298_43
; %bb.36:
	s_waitcnt lgkmcnt(0)
	v_mul_lo_u32 v18, v56, s35
	v_cndmask_b32_e32 v18, 0, v18, vcc
	v_mul_lo_u32 v21, v20, s35
	v_cmp_gt_i32_e32 vcc, s17, v20
	v_or_b32_e32 v24, 2, v56
	v_add_u32_e32 v18, v18, v55
	v_cndmask_b32_e32 v20, 0, v21, vcc
	v_mul_lo_u32 v25, v24, s35
	v_cmp_gt_i32_e32 vcc, s17, v24
	v_or_b32_e32 v26, 3, v56
	v_ashrrev_i32_e32 v19, 31, v18
	v_add_u32_e32 v20, v20, v55
	v_cndmask_b32_e32 v24, 0, v25, vcc
	v_mul_lo_u32 v27, v26, s35
	v_cmp_gt_i32_e32 vcc, s17, v26
	v_lshl_add_u64 v[18:19], v[18:19], 3, s[20:21]
	v_ashrrev_i32_e32 v21, 31, v20
	v_add_u32_e32 v24, v24, v55
	v_cndmask_b32_e32 v26, 0, v27, vcc
	v_lshl_add_u64 v[22:23], v[20:21], 3, s[20:21]
	flat_load_dwordx2 v[20:21], v[18:19]
	flat_load_dwordx2 v[28:29], v[22:23]
	v_ashrrev_i32_e32 v25, 31, v24
	v_add_u32_e32 v26, v26, v55
	v_lshl_add_u64 v[24:25], v[24:25], 3, s[20:21]
	v_ashrrev_i32_e32 v27, 31, v26
	v_lshl_add_u64 v[26:27], v[26:27], 3, s[20:21]
	flat_load_dwordx2 v[30:31], v[24:25]
	flat_load_dwordx2 v[32:33], v[26:27]
	v_add_u32_e32 v42, 32, v55
	v_cmp_gt_i32_e32 vcc, s16, v42
	s_waitcnt vmcnt(0) lgkmcnt(0)
	v_pk_mul_f32 v[34:35], v[10:11], v[20:21] op_sel:[0,1]
	v_pk_mul_f32 v[36:37], v[12:13], v[28:29] op_sel:[0,1]
	v_pk_fma_f32 v[38:39], v[10:11], v[20:21], v[34:35] op_sel:[0,0,1] op_sel_hi:[1,1,0] neg_lo:[0,0,1] neg_hi:[0,0,1]
	v_pk_fma_f32 v[20:21], v[10:11], v[20:21], v[34:35] op_sel:[0,0,1] op_sel_hi:[1,0,0]
	v_pk_fma_f32 v[34:35], v[12:13], v[28:29], v[36:37] op_sel:[0,0,1] op_sel_hi:[1,1,0] neg_lo:[0,0,1] neg_hi:[0,0,1]
	v_pk_fma_f32 v[28:29], v[12:13], v[28:29], v[36:37] op_sel:[0,0,1] op_sel_hi:[1,0,0]
	v_pk_mul_f32 v[36:37], v[14:15], v[30:31] op_sel:[0,1]
	v_mov_b32_e32 v39, v21
	v_pk_mul_f32 v[40:41], v[16:17], v[32:33] op_sel:[0,1]
	v_mov_b32_e32 v35, v29
	v_pk_fma_f32 v[28:29], v[14:15], v[30:31], v[36:37] op_sel:[0,0,1] op_sel_hi:[1,1,0] neg_lo:[0,0,1] neg_hi:[0,0,1]
	v_pk_fma_f32 v[30:31], v[14:15], v[30:31], v[36:37] op_sel:[0,0,1] op_sel_hi:[1,0,0]
	v_pk_add_f32 v[8:9], v[8:9], v[38:39]
	v_pk_fma_f32 v[20:21], v[16:17], v[32:33], v[40:41] op_sel:[0,0,1] op_sel_hi:[1,1,0] neg_lo:[0,0,1] neg_hi:[0,0,1]
	v_pk_fma_f32 v[32:33], v[16:17], v[32:33], v[40:41] op_sel:[0,0,1] op_sel_hi:[1,0,0]
	v_mov_b32_e32 v29, v31
	v_pk_add_f32 v[8:9], v[8:9], v[34:35]
	v_mov_b32_e32 v21, v33
	v_pk_add_f32 v[8:9], v[8:9], v[28:29]
	s_and_saveexec_b64 s[0:1], vcc
	s_cbranch_execz .LBB298_42
; %bb.37:
	flat_load_dwordx2 v[30:31], v[18:19] offset:256
	flat_load_dwordx2 v[32:33], v[22:23] offset:256
	;; [unrolled: 1-line block ×4, first 2 shown]
	v_add_u32_e32 v38, 64, v55
	v_cmp_gt_i32_e32 vcc, s16, v38
	s_waitcnt vmcnt(0) lgkmcnt(0)
	v_mul_f32_e32 v29, v11, v31
	v_mul_f32_e32 v31, v10, v31
	;; [unrolled: 1-line block ×6, first 2 shown]
	v_fma_f32 v37, v10, v30, -v29
	v_fmac_f32_e32 v31, v11, v30
	v_mul_f32_e32 v40, v15, v35
	v_mul_f32_e32 v35, v14, v35
	v_fma_f32 v30, v12, v32, -v39
	v_fmac_f32_e32 v33, v13, v32
	v_add_f32_e32 v6, v6, v37
	v_add_f32_e32 v7, v7, v31
	v_fma_f32 v32, v14, v34, -v40
	v_fmac_f32_e32 v35, v15, v34
	v_add_f32_e32 v6, v6, v30
	v_add_f32_e32 v7, v7, v33
	;; [unrolled: 4-line block ×3, first 2 shown]
	s_and_saveexec_b64 s[4:5], vcc
	s_cbranch_execz .LBB298_41
; %bb.38:
	flat_load_dwordx2 v[32:33], v[18:19] offset:512
	flat_load_dwordx2 v[34:35], v[22:23] offset:512
	;; [unrolled: 1-line block ×4, first 2 shown]
	v_add_u32_e32 v40, 0x60, v55
	v_cmp_gt_i32_e32 vcc, s16, v40
	s_waitcnt vmcnt(0) lgkmcnt(0)
	v_mul_f32_e32 v31, v11, v33
	v_mul_f32_e32 v33, v10, v33
	;; [unrolled: 1-line block ×6, first 2 shown]
	v_fma_f32 v39, v10, v32, -v31
	v_fmac_f32_e32 v33, v11, v32
	v_mul_f32_e32 v42, v15, v37
	v_mul_f32_e32 v37, v14, v37
	v_fma_f32 v32, v12, v34, -v41
	v_fmac_f32_e32 v35, v13, v34
	v_add_f32_e32 v4, v4, v39
	v_add_f32_e32 v5, v5, v33
	v_fma_f32 v34, v14, v36, -v42
	v_fmac_f32_e32 v37, v15, v36
	v_add_f32_e32 v4, v4, v32
	v_add_f32_e32 v5, v5, v35
	;; [unrolled: 4-line block ×3, first 2 shown]
	s_and_saveexec_b64 s[6:7], vcc
	s_cbranch_execz .LBB298_40
; %bb.39:
	flat_load_dwordx2 v[32:33], v[18:19] offset:768
	flat_load_dwordx2 v[34:35], v[22:23] offset:768
	;; [unrolled: 1-line block ×4, first 2 shown]
	s_waitcnt vmcnt(0) lgkmcnt(0)
	v_mul_f32_e32 v18, v11, v33
	v_mul_f32_e32 v19, v10, v33
	;; [unrolled: 1-line block ×4, first 2 shown]
	v_fma_f32 v10, v10, v32, -v18
	v_fmac_f32_e32 v19, v11, v32
	v_mul_f32_e32 v24, v15, v37
	v_mul_f32_e32 v25, v14, v37
	v_fma_f32 v11, v12, v34, -v22
	v_fmac_f32_e32 v23, v13, v34
	v_add_f32_e32 v0, v0, v10
	v_add_f32_e32 v1, v1, v19
	v_mul_f32_e32 v26, v17, v39
	v_mul_f32_e32 v27, v16, v39
	v_fma_f32 v12, v14, v36, -v24
	v_fmac_f32_e32 v25, v15, v36
	v_add_f32_e32 v0, v0, v11
	v_add_f32_e32 v1, v1, v23
	v_fma_f32 v13, v16, v38, -v26
	v_fmac_f32_e32 v27, v17, v38
	v_add_f32_e32 v0, v0, v12
	v_add_f32_e32 v1, v1, v25
	;; [unrolled: 1-line block ×4, first 2 shown]
.LBB298_40:
	s_or_b64 exec, exec, s[6:7]
	v_add_f32_e32 v4, v4, v31
	v_add_f32_e32 v5, v5, v30
.LBB298_41:
	s_or_b64 exec, exec, s[4:5]
	v_add_f32_e32 v6, v6, v29
	v_add_f32_e32 v7, v7, v28
.LBB298_42:
	s_or_b64 exec, exec, s[0:1]
	v_pk_add_f32 v[8:9], v[8:9], v[20:21]
.LBB298_43:
	s_or_b64 exec, exec, s[2:3]
.LBB298_44:
	v_lshlrev_b32_e32 v3, 7, v3
	s_movk_i32 s0, 0x80
	v_add_lshl_u32 v2, v3, v2, 3
	v_cmp_gt_u32_e32 vcc, s0, v54
	ds_write2_b64 v2, v[8:9], v[6:7] offset1:32
	ds_write2_b64 v2, v[4:5], v[0:1] offset0:64 offset1:96
	s_waitcnt lgkmcnt(0)
	s_barrier
	s_and_saveexec_b64 s[0:1], vcc
	s_cbranch_execz .LBB298_49
; %bb.45:
	v_lshlrev_b32_e32 v20, 3, v54
	ds_read2st64_b64 v[0:3], v20 offset1:2
	ds_read2st64_b64 v[4:7], v20 offset0:4 offset1:6
	s_waitcnt vmcnt(0)
	ds_read2st64_b64 v[8:11], v20 offset0:8 offset1:10
	ds_read2st64_b64 v[12:15], v20 offset0:12 offset1:14
	;; [unrolled: 1-line block ×3, first 2 shown]
	s_waitcnt lgkmcnt(4)
	v_pk_add_f32 v[0:1], v[0:1], v[2:3]
	s_waitcnt lgkmcnt(3)
	v_pk_add_f32 v[0:1], v[0:1], v[4:5]
	s_nop 0
	v_pk_add_f32 v[0:1], v[0:1], v[6:7]
	s_waitcnt lgkmcnt(2)
	v_pk_add_f32 v[0:1], v[0:1], v[8:9]
	s_nop 0
	;; [unrolled: 4-line block ×3, first 2 shown]
	v_pk_add_f32 v[4:5], v[0:1], v[14:15]
	ds_read2st64_b64 v[0:3], v20 offset0:20 offset1:22
	s_waitcnt lgkmcnt(1)
	v_pk_add_f32 v[8:9], v[4:5], v[16:17]
	ds_read2st64_b64 v[4:7], v20 offset0:24 offset1:26
	v_pk_add_f32 v[12:13], v[8:9], v[18:19]
	ds_read2st64_b64 v[8:11], v20 offset0:28 offset1:30
	s_waitcnt lgkmcnt(2)
	v_pk_add_f32 v[0:1], v[12:13], v[0:1]
	s_nop 0
	v_pk_add_f32 v[0:1], v[0:1], v[2:3]
	s_waitcnt lgkmcnt(1)
	v_pk_add_f32 v[0:1], v[0:1], v[4:5]
	v_or_b32_e32 v4, s34, v54
	v_pk_add_f32 v[0:1], v[0:1], v[6:7]
	v_cmp_gt_i32_e32 vcc, s16, v4
	s_waitcnt lgkmcnt(0)
	v_pk_add_f32 v[0:1], v[0:1], v[8:9]
	s_nop 0
	v_pk_add_f32 v[2:3], v[0:1], v[10:11]
	ds_write_b64 v20, v[2:3]
	s_and_b64 exec, exec, vcc
	s_cbranch_execz .LBB298_49
; %bb.46:
	v_cmp_neq_f32_e64 s[0:1], s12, 0
	v_cmp_neq_f32_e64 s[2:3], s13, 0
	v_mul_lo_u32 v4, v4, s33
	v_pk_mul_f32 v[6:7], v[2:3], s[14:15] op_sel:[1,0]
	v_ashrrev_i32_e32 v5, 31, v4
	s_or_b64 s[0:1], s[0:1], s[2:3]
	v_pk_fma_f32 v[0:1], v[2:3], s[14:15], v[6:7] op_sel:[0,0,1] op_sel_hi:[0,1,0] neg_lo:[0,0,1] neg_hi:[0,0,1]
	v_pk_fma_f32 v[2:3], v[2:3], s[14:15], v[6:7] op_sel:[0,0,1] op_sel_hi:[0,1,0]
	s_andn2_b64 vcc, exec, s[0:1]
	v_lshl_add_u64 v[4:5], v[4:5], 3, s[8:9]
	s_cbranch_vccnz .LBB298_48
; %bb.47:
	global_load_dwordx2 v[6:7], v[4:5], off
	v_mov_b32_e32 v1, v3
	s_waitcnt vmcnt(0)
	v_pk_mul_f32 v[2:3], s[12:13], v[6:7] op_sel:[0,1]
	s_nop 0
	v_pk_fma_f32 v[8:9], s[12:13], v[6:7], v[2:3] op_sel:[0,0,1] op_sel_hi:[1,1,0] neg_lo:[0,0,1] neg_hi:[0,0,1]
	v_pk_fma_f32 v[2:3], s[12:13], v[6:7], v[2:3] op_sel:[0,0,1] op_sel_hi:[1,0,0]
	s_nop 0
	v_mov_b32_e32 v9, v3
	v_pk_add_f32 v[0:1], v[0:1], v[8:9]
	s_nop 0
	v_mov_b32_e32 v3, v1
.LBB298_48:
	v_mov_b32_e32 v1, v3
	global_store_dwordx2 v[4:5], v[0:1], off
.LBB298_49:
	s_endpgm
	.section	.rodata,"a",@progbits
	.p2align	6, 0x0
	.amdhsa_kernel _ZL20rocblas_gemvn_kernelILi32ELi16EiPK19rocblas_complex_numIfES3_KPS1_EviiT3_lPKT2_lT1_lS9_lSA_lS6_lPT4_lSA_li
		.amdhsa_group_segment_fixed_size 16384
		.amdhsa_private_segment_fixed_size 0
		.amdhsa_kernarg_size 400
		.amdhsa_user_sgpr_count 2
		.amdhsa_user_sgpr_dispatch_ptr 0
		.amdhsa_user_sgpr_queue_ptr 0
		.amdhsa_user_sgpr_kernarg_segment_ptr 1
		.amdhsa_user_sgpr_dispatch_id 0
		.amdhsa_user_sgpr_kernarg_preload_length 0
		.amdhsa_user_sgpr_kernarg_preload_offset 0
		.amdhsa_user_sgpr_private_segment_size 0
		.amdhsa_uses_dynamic_stack 0
		.amdhsa_enable_private_segment 0
		.amdhsa_system_sgpr_workgroup_id_x 1
		.amdhsa_system_sgpr_workgroup_id_y 0
		.amdhsa_system_sgpr_workgroup_id_z 1
		.amdhsa_system_sgpr_workgroup_info 0
		.amdhsa_system_vgpr_workitem_id 1
		.amdhsa_next_free_vgpr 70
		.amdhsa_next_free_sgpr 40
		.amdhsa_accum_offset 72
		.amdhsa_reserve_vcc 1
		.amdhsa_float_round_mode_32 0
		.amdhsa_float_round_mode_16_64 0
		.amdhsa_float_denorm_mode_32 3
		.amdhsa_float_denorm_mode_16_64 3
		.amdhsa_dx10_clamp 1
		.amdhsa_ieee_mode 1
		.amdhsa_fp16_overflow 0
		.amdhsa_tg_split 0
		.amdhsa_exception_fp_ieee_invalid_op 0
		.amdhsa_exception_fp_denorm_src 0
		.amdhsa_exception_fp_ieee_div_zero 0
		.amdhsa_exception_fp_ieee_overflow 0
		.amdhsa_exception_fp_ieee_underflow 0
		.amdhsa_exception_fp_ieee_inexact 0
		.amdhsa_exception_int_div_zero 0
	.end_amdhsa_kernel
	.section	.text._ZL20rocblas_gemvn_kernelILi32ELi16EiPK19rocblas_complex_numIfES3_KPS1_EviiT3_lPKT2_lT1_lS9_lSA_lS6_lPT4_lSA_li,"axG",@progbits,_ZL20rocblas_gemvn_kernelILi32ELi16EiPK19rocblas_complex_numIfES3_KPS1_EviiT3_lPKT2_lT1_lS9_lSA_lS6_lPT4_lSA_li,comdat
.Lfunc_end298:
	.size	_ZL20rocblas_gemvn_kernelILi32ELi16EiPK19rocblas_complex_numIfES3_KPS1_EviiT3_lPKT2_lT1_lS9_lSA_lS6_lPT4_lSA_li, .Lfunc_end298-_ZL20rocblas_gemvn_kernelILi32ELi16EiPK19rocblas_complex_numIfES3_KPS1_EviiT3_lPKT2_lT1_lS9_lSA_lS6_lPT4_lSA_li
                                        ; -- End function
	.section	.AMDGPU.csdata,"",@progbits
; Kernel info:
; codeLenInByte = 3408
; NumSgprs: 46
; NumVgprs: 70
; NumAgprs: 0
; TotalNumVgprs: 70
; ScratchSize: 0
; MemoryBound: 0
; FloatMode: 240
; IeeeMode: 1
; LDSByteSize: 16384 bytes/workgroup (compile time only)
; SGPRBlocks: 5
; VGPRBlocks: 8
; NumSGPRsForWavesPerEU: 46
; NumVGPRsForWavesPerEU: 70
; AccumOffset: 72
; Occupancy: 7
; WaveLimiterHint : 1
; COMPUTE_PGM_RSRC2:SCRATCH_EN: 0
; COMPUTE_PGM_RSRC2:USER_SGPR: 2
; COMPUTE_PGM_RSRC2:TRAP_HANDLER: 0
; COMPUTE_PGM_RSRC2:TGID_X_EN: 1
; COMPUTE_PGM_RSRC2:TGID_Y_EN: 0
; COMPUTE_PGM_RSRC2:TGID_Z_EN: 1
; COMPUTE_PGM_RSRC2:TIDIG_COMP_CNT: 1
; COMPUTE_PGM_RSRC3_GFX90A:ACCUM_OFFSET: 17
; COMPUTE_PGM_RSRC3_GFX90A:TG_SPLIT: 0
	.section	.text._ZL20rocblas_gemvn_kernelILi32ELi16ElPK19rocblas_complex_numIfES3_KPS1_EviiT3_lPKT2_lT1_lS9_lSA_lS6_lPT4_lSA_li,"axG",@progbits,_ZL20rocblas_gemvn_kernelILi32ELi16ElPK19rocblas_complex_numIfES3_KPS1_EviiT3_lPKT2_lT1_lS9_lSA_lS6_lPT4_lSA_li,comdat
	.globl	_ZL20rocblas_gemvn_kernelILi32ELi16ElPK19rocblas_complex_numIfES3_KPS1_EviiT3_lPKT2_lT1_lS9_lSA_lS6_lPT4_lSA_li ; -- Begin function _ZL20rocblas_gemvn_kernelILi32ELi16ElPK19rocblas_complex_numIfES3_KPS1_EviiT3_lPKT2_lT1_lS9_lSA_lS6_lPT4_lSA_li
	.p2align	8
	.type	_ZL20rocblas_gemvn_kernelILi32ELi16ElPK19rocblas_complex_numIfES3_KPS1_EviiT3_lPKT2_lT1_lS9_lSA_lS6_lPT4_lSA_li,@function
_ZL20rocblas_gemvn_kernelILi32ELi16ElPK19rocblas_complex_numIfES3_KPS1_EviiT3_lPKT2_lT1_lS9_lSA_lS6_lPT4_lSA_li: ; @_ZL20rocblas_gemvn_kernelILi32ELi16ElPK19rocblas_complex_numIfES3_KPS1_EviiT3_lPKT2_lT1_lS9_lSA_lS6_lPT4_lSA_li
; %bb.0:
	s_load_dwordx2 s[4:5], s[0:1], 0x9c
	s_mov_b32 s28, s3
	s_waitcnt lgkmcnt(0)
	s_and_b32 s3, s5, 0xffff
	s_lshr_b32 s5, s4, 16
	s_and_b32 s4, s4, 0xffff
	s_mul_i32 s4, s5, s4
	s_mul_i32 s4, s4, s3
	s_cmpk_lg_i32 s4, 0x200
	s_cbranch_scc1 .LBB299_49
; %bb.1:
	s_load_dwordx8 s[12:19], s[0:1], 0x8
	s_load_dwordx8 s[4:11], s[0:1], 0x58
	s_waitcnt lgkmcnt(0)
	s_mul_i32 s3, s28, s15
	s_mul_hi_u32 s15, s28, s14
	s_mul_i32 s14, s28, s14
	s_add_i32 s15, s15, s3
	s_lshl_b64 s[14:15], s[14:15], 3
	s_mul_i32 s7, s28, s7
	s_add_u32 s12, s12, s14
	s_mul_hi_u32 s3, s28, s6
	s_addc_u32 s13, s13, s15
	s_add_i32 s7, s3, s7
	s_mul_i32 s6, s28, s6
	s_lshl_b64 s[6:7], s[6:7], 3
	s_add_u32 s4, s4, s6
	s_load_dwordx2 s[14:15], s[12:13], 0x0
	s_addc_u32 s5, s5, s7
	s_load_dwordx2 s[12:13], s[4:5], 0x0
	s_waitcnt lgkmcnt(0)
	v_cmp_eq_f32_e64 s[4:5], s14, 0
	v_cmp_eq_f32_e64 s[6:7], s15, 0
	s_and_b64 s[4:5], s[4:5], s[6:7]
	v_cmp_eq_f32_e64 s[6:7], s12, 1.0
	v_cmp_eq_f32_e64 s[20:21], s13, 0
	s_and_b64 s[6:7], s[6:7], s[20:21]
	s_and_b64 s[4:5], s[4:5], s[6:7]
	s_and_b64 vcc, exec, s[4:5]
	s_cbranch_vccnz .LBB299_49
; %bb.2:
	s_or_b32 s3, s14, s15
	s_load_dwordx2 s[22:23], s[0:1], 0x28
	s_load_dwordx2 s[20:21], s[0:1], 0x78
	s_bitset0_b32 s3, 31
	s_cmp_lg_u32 s3, 0
	s_cselect_b64 s[34:35], -1, 0
	s_cmp_eq_u32 s3, 0
	s_cselect_b64 s[30:31], -1, 0
	s_mov_b32 s29, 0
	s_mov_b64 s[26:27], 0
	s_and_b64 vcc, exec, s[30:31]
	s_mov_b64 s[24:25], 0
	s_cbranch_vccnz .LBB299_4
; %bb.3:
	s_lshl_b64 s[4:5], s[28:29], 3
	s_add_u32 s4, s16, s4
	s_addc_u32 s5, s17, s5
	s_load_dwordx2 s[4:5], s[4:5], 0x0
	s_lshl_b64 s[6:7], s[18:19], 3
	s_waitcnt lgkmcnt(0)
	s_add_u32 s24, s4, s6
	s_addc_u32 s25, s5, s7
.LBB299_4:
	s_load_dwordx4 s[4:7], s[0:1], 0x38
	s_load_dwordx2 s[18:19], s[0:1], 0x48
	s_andn2_b64 vcc, exec, s[34:35]
	s_cbranch_vccnz .LBB299_6
; %bb.5:
	s_lshl_b64 s[16:17], s[28:29], 3
	s_waitcnt lgkmcnt(0)
	s_add_u32 s4, s4, s16
	s_addc_u32 s5, s5, s17
	s_load_dwordx2 s[4:5], s[4:5], 0x0
	s_lshl_b64 s[6:7], s[6:7], 3
	s_waitcnt lgkmcnt(0)
	s_add_u32 s26, s4, s6
	s_addc_u32 s27, s5, s7
.LBB299_6:
	s_waitcnt lgkmcnt(0)
	s_lshl_b64 s[4:5], s[28:29], 3
	s_add_u32 s4, s8, s4
	s_addc_u32 s5, s9, s5
	s_load_dwordx2 s[6:7], s[4:5], 0x0
	s_load_dwordx2 s[16:17], s[0:1], 0x0
	s_lshl_b64 s[0:1], s[10:11], 3
	v_and_b32_e32 v63, 0x3ff, v0
	v_bfe_u32 v64, v0, 10, 10
	s_waitcnt lgkmcnt(0)
	s_add_u32 s8, s6, s0
	s_addc_u32 s9, s7, s1
	v_lshl_add_u32 v62, v64, 5, v63
	s_andn2_b64 vcc, exec, s[30:31]
	s_mov_b64 s[0:1], -1
	s_cbranch_vccnz .LBB299_13
; %bb.7:
	s_movk_i32 s0, 0x80
	v_cmp_gt_u32_e32 vcc, s0, v62
	s_and_saveexec_b64 s[0:1], vcc
	s_cbranch_execz .LBB299_12
; %bb.8:
	v_lshl_or_b32 v0, s2, 7, v62
	v_mov_b32_e32 v1, 0
	s_ashr_i32 s5, s16, 31
	s_mov_b32 s4, s16
	v_cmp_gt_i64_e32 vcc, s[4:5], v[0:1]
	s_and_b64 exec, exec, vcc
	s_cbranch_execz .LBB299_12
; %bb.9:
	v_mad_u64_u32 v[2:3], s[10:11], v0, s20, 0
	v_mov_b32_e32 v4, v3
	v_cmp_neq_f32_e64 s[4:5], s12, 0
	v_cmp_neq_f32_e64 s[6:7], s13, 0
	v_mad_u64_u32 v[4:5], s[10:11], v0, s21, v[4:5]
	v_mov_b32_e32 v3, v4
	s_or_b64 s[4:5], s[4:5], s[6:7]
	s_andn2_b64 vcc, exec, s[4:5]
	v_lshl_add_u64 v[2:3], v[2:3], 3, s[8:9]
	v_mov_b32_e32 v5, v1
	s_cbranch_vccnz .LBB299_11
; %bb.10:
	global_load_dwordx2 v[0:1], v[2:3], off
	s_waitcnt vmcnt(0)
	v_pk_mul_f32 v[4:5], s[12:13], v[0:1] op_sel:[0,1]
	s_nop 0
	v_pk_fma_f32 v[6:7], s[12:13], v[0:1], v[4:5] op_sel:[0,0,1] op_sel_hi:[1,1,0] neg_lo:[0,0,1] neg_hi:[0,0,1]
	v_pk_fma_f32 v[4:5], s[12:13], v[0:1], v[4:5] op_sel:[0,0,1] op_sel_hi:[1,0,0]
	v_mov_b32_e32 v1, v6
.LBB299_11:
	v_mov_b32_e32 v4, v1
	global_store_dwordx2 v[2:3], v[4:5], off
.LBB299_12:
	s_or_b64 exec, exec, s[0:1]
	s_mov_b64 s[0:1], 0
.LBB299_13:
	s_andn2_b64 vcc, exec, s[0:1]
	s_cbranch_vccnz .LBB299_49
; %bb.14:
	s_ashr_i32 s0, s17, 31
	s_lshr_b32 s0, s0, 26
	s_add_i32 s44, s17, s0
	s_mov_b32 s6, 0
	s_lshl_b32 s33, s2, 7
	s_andn2_b32 s44, s44, 63
	v_lshlrev_b32_e32 v65, 2, v64
	s_mov_b32 s7, s6
	v_add_u32_e32 v4, s33, v63
	v_cmp_gt_i32_e32 vcc, s44, v65
	v_mov_b64_e32 v[8:9], s[6:7]
	v_mov_b32_e32 v1, 0
	v_mov_b32_e32 v0, 0
	;; [unrolled: 1-line block ×6, first 2 shown]
	s_and_saveexec_b64 s[10:11], vcc
	s_cbranch_execz .LBB299_26
; %bb.15:
	v_ashrrev_i32_e32 v5, 31, v4
	v_add_u32_e32 v0, 32, v4
	v_cmp_gt_i32_e64 s[0:1], s16, v0
	v_add_u32_e32 v0, 64, v4
	v_lshl_add_u64 v[10:11], v[4:5], 3, s[24:25]
	v_lshlrev_b32_e32 v5, 2, v64
	v_cmp_gt_i32_e64 s[2:3], s16, v0
	v_add_u32_e32 v0, 0x60, v4
	v_or_b32_e32 v3, 3, v5
	v_cmp_gt_i32_e64 s[4:5], s16, v0
	v_mad_u64_u32 v[0:1], s[28:29], s22, v3, 0
	v_mov_b32_e32 v2, v1
	v_mad_u64_u32 v[2:3], s[28:29], s23, v3, v[2:3]
	v_mov_b32_e32 v1, v2
	v_lshlrev_b64 v[12:13], 3, v[0:1]
	v_mad_u64_u32 v[0:1], s[30:31], s18, v64, 0
	v_mov_b32_e32 v2, v1
	v_mad_u64_u32 v[2:3], s[30:31], s19, v64, v[2:3]
	v_mov_b32_e32 v1, v2
	v_lshlrev_b64 v[0:1], 5, v[0:1]
	v_lshl_add_u64 v[14:15], s[26:27], 0, v[0:1]
	v_mad_u64_u32 v[0:1], s[34:35], s22, v64, 0
	v_mov_b32_e32 v2, v1
	v_mad_u64_u32 v[2:3], s[34:35], s23, v64, v[2:3]
	v_mov_b32_e32 v1, v2
	v_lshlrev_b64 v[16:17], 5, v[0:1]
	v_mov_b64_e32 v[0:1], s[22:23]
	v_mad_u64_u32 v[0:1], s[34:35], s22, v5, v[0:1]
	v_mov_b32_e32 v2, v1
	v_mad_u64_u32 v[2:3], s[34:35], s23, v5, v[2:3]
	v_mov_b32_e32 v1, v2
	v_or_b32_e32 v3, 2, v5
	v_lshlrev_b64 v[18:19], 3, v[0:1]
	v_mad_u64_u32 v[0:1], s[34:35], s22, v3, 0
	v_mov_b32_e32 v2, v1
	v_mad_u64_u32 v[2:3], s[34:35], s23, v3, v[2:3]
	v_mov_b32_e32 v1, v2
	v_lshlrev_b64 v[20:21], 3, v[0:1]
	v_mov_b32_e32 v1, 0
	v_cmp_gt_i32_e32 vcc, s16, v4
	s_lshl_b64 s[28:29], s[22:23], 9
	s_lshl_b64 s[30:31], s[18:19], 9
	;; [unrolled: 1-line block ×3, first 2 shown]
	s_mov_b64 s[34:35], 0
	v_mov_b64_e32 v[8:9], s[6:7]
	v_mov_b32_e32 v0, v1
	v_mov_b32_e32 v3, v1
	;; [unrolled: 1-line block ×5, first 2 shown]
	s_branch .LBB299_20
.LBB299_16:                             ;   in Loop: Header=BB299_20 Depth=1
	s_or_b64 exec, exec, s[42:43]
	s_waitcnt vmcnt(0) lgkmcnt(0)
	v_mul_f32_e32 v5, v33, v53
	v_fma_f32 v5, v32, v52, -v5
	v_add_f32_e32 v2, v2, v5
	v_mul_f32_e32 v5, v29, v51
	v_mul_f32_e32 v53, v32, v53
	v_fma_f32 v5, v28, v50, -v5
	v_fmac_f32_e32 v53, v33, v52
	v_mul_f32_e32 v51, v28, v51
	v_add_f32_e32 v2, v2, v5
	v_mul_f32_e32 v5, v25, v49
	v_add_f32_e32 v3, v3, v53
	v_fmac_f32_e32 v51, v29, v50
	v_fma_f32 v5, v24, v48, -v5
	v_mul_f32_e32 v49, v24, v49
	v_add_f32_e32 v3, v3, v51
	v_fmac_f32_e32 v49, v25, v48
	v_add_f32_e32 v2, v2, v5
	v_mul_f32_e32 v5, v23, v47
	v_mul_f32_e32 v47, v22, v47
	v_add_f32_e32 v3, v3, v49
	v_fma_f32 v5, v22, v46, -v5
	v_fmac_f32_e32 v47, v23, v46
	v_add_f32_e32 v2, v2, v5
	v_add_f32_e32 v3, v3, v47
.LBB299_17:                             ;   in Loop: Header=BB299_20 Depth=1
	s_or_b64 exec, exec, s[40:41]
	s_waitcnt vmcnt(0) lgkmcnt(0)
	v_mul_f32_e32 v5, v33, v45
	v_mul_f32_e32 v45, v32, v45
	v_fma_f32 v5, v32, v44, -v5
	v_fmac_f32_e32 v45, v33, v44
	v_add_f32_e32 v5, v6, v5
	v_add_f32_e32 v6, v7, v45
	v_mul_f32_e32 v7, v29, v43
	v_fma_f32 v7, v28, v42, -v7
	v_mul_f32_e32 v43, v28, v43
	v_fmac_f32_e32 v43, v29, v42
	v_add_f32_e32 v5, v5, v7
	v_mul_f32_e32 v7, v25, v41
	v_mul_f32_e32 v41, v24, v41
	v_add_f32_e32 v6, v6, v43
	v_fma_f32 v7, v24, v40, -v7
	v_fmac_f32_e32 v41, v25, v40
	v_add_f32_e32 v5, v5, v7
	v_add_f32_e32 v7, v6, v41
	v_mul_f32_e32 v6, v23, v39
	v_mul_f32_e32 v39, v22, v39
	v_fma_f32 v6, v22, v38, -v6
	v_fmac_f32_e32 v39, v23, v38
	v_add_f32_e32 v6, v5, v6
	v_add_f32_e32 v7, v7, v39
.LBB299_18:                             ;   in Loop: Header=BB299_20 Depth=1
	s_or_b64 exec, exec, s[38:39]
	s_waitcnt vmcnt(0) lgkmcnt(0)
	v_mul_f32_e32 v5, v33, v37
	v_mul_f32_e32 v39, v32, v37
	v_fma_f32 v38, v32, v36, -v5
	v_fmac_f32_e32 v39, v33, v36
	v_mul_f32_e32 v5, v29, v35
	v_mul_f32_e32 v33, v28, v35
	v_fma_f32 v32, v28, v34, -v5
	v_fmac_f32_e32 v33, v29, v34
	v_pk_add_f32 v[8:9], v[8:9], v[38:39]
	v_mov_b32_e32 v28, v25
	v_mov_b32_e32 v29, v24
	v_pk_add_f32 v[8:9], v[8:9], v[32:33]
	v_mov_b32_e32 v24, v31
	v_pk_mul_f32 v[32:33], v[28:29], v[30:31] op_sel_hi:[1,0]
	s_nop 0
	v_pk_fma_f32 v[24:25], v[28:29], v[24:25], v[32:33] op_sel:[0,0,1] op_sel_hi:[1,1,0] neg_lo:[1,0,0] neg_hi:[1,0,0]
	v_pk_fma_f32 v[28:29], v[28:29], v[30:31], v[32:33] op_sel:[0,1,1] op_sel_hi:[1,1,0]
	s_nop 0
	v_mov_b32_e32 v25, v29
	v_pk_add_f32 v[8:9], v[8:9], v[24:25]
	v_pk_mul_f32 v[24:25], v[22:23], v[26:27] op_sel:[0,1]
	s_nop 0
	v_pk_fma_f32 v[28:29], v[22:23], v[26:27], v[24:25] op_sel:[0,0,1] op_sel_hi:[1,1,0] neg_lo:[0,0,1] neg_hi:[0,0,1]
	v_pk_fma_f32 v[22:23], v[22:23], v[26:27], v[24:25] op_sel:[0,0,1] op_sel_hi:[1,0,0]
	s_nop 0
	v_mov_b32_e32 v29, v23
	v_pk_add_f32 v[8:9], v[8:9], v[28:29]
.LBB299_19:                             ;   in Loop: Header=BB299_20 Depth=1
	s_or_b64 exec, exec, s[6:7]
	v_add_u32_e32 v65, 64, v65
	v_cmp_le_i32_e64 s[6:7], s44, v65
	v_lshl_add_u64 v[10:11], v[10:11], 0, s[28:29]
	s_or_b64 s[34:35], s[6:7], s[34:35]
	v_lshl_add_u64 v[14:15], v[14:15], 0, s[30:31]
	s_andn2_b64 exec, exec, s[34:35]
	s_cbranch_execz .LBB299_25
.LBB299_20:                             ; =>This Inner Loop Header: Depth=1
	s_and_saveexec_b64 s[6:7], vcc
	s_cbranch_execz .LBB299_19
; %bb.21:                               ;   in Loop: Header=BB299_20 Depth=1
	v_lshl_add_u64 v[22:23], v[14:15], 0, s[36:37]
	v_lshl_add_u64 v[26:27], v[22:23], 0, s[36:37]
	flat_load_dwordx2 v[28:29], v[22:23]
	flat_load_dwordx2 v[24:25], v[26:27]
	v_lshl_add_u64 v[26:27], v[26:27], 0, s[36:37]
	v_lshl_add_u64 v[54:55], v[10:11], 0, v[16:17]
	flat_load_dwordx2 v[32:33], v[14:15]
	flat_load_dwordx2 v[22:23], v[26:27]
	v_lshl_add_u64 v[56:57], v[10:11], 0, v[18:19]
	v_lshl_add_u64 v[58:59], v[10:11], 0, v[20:21]
	;; [unrolled: 1-line block ×3, first 2 shown]
	flat_load_dwordx2 v[36:37], v[54:55]
	flat_load_dwordx2 v[34:35], v[56:57]
	;; [unrolled: 1-line block ×4, first 2 shown]
	s_and_saveexec_b64 s[38:39], s[0:1]
	s_cbranch_execz .LBB299_18
; %bb.22:                               ;   in Loop: Header=BB299_20 Depth=1
	flat_load_dwordx2 v[44:45], v[54:55] offset:256
	flat_load_dwordx2 v[42:43], v[56:57] offset:256
	flat_load_dwordx2 v[40:41], v[58:59] offset:256
	flat_load_dwordx2 v[38:39], v[60:61] offset:256
	s_and_saveexec_b64 s[40:41], s[2:3]
	s_cbranch_execz .LBB299_17
; %bb.23:                               ;   in Loop: Header=BB299_20 Depth=1
	flat_load_dwordx2 v[52:53], v[54:55] offset:512
	flat_load_dwordx2 v[50:51], v[56:57] offset:512
	flat_load_dwordx2 v[48:49], v[58:59] offset:512
	flat_load_dwordx2 v[46:47], v[60:61] offset:512
	;; [unrolled: 7-line block ×3, first 2 shown]
	s_waitcnt vmcnt(0) lgkmcnt(0)
	v_mul_f32_e32 v5, v33, v67
	v_mul_f32_e32 v54, v32, v67
	;; [unrolled: 1-line block ×4, first 2 shown]
	v_fma_f32 v5, v32, v66, -v5
	v_fmac_f32_e32 v54, v33, v66
	v_mul_f32_e32 v57, v25, v71
	v_mul_f32_e32 v58, v24, v71
	v_fma_f32 v55, v28, v68, -v55
	v_fmac_f32_e32 v56, v29, v68
	v_add_f32_e32 v0, v0, v5
	v_add_f32_e32 v1, v1, v54
	v_mul_f32_e32 v59, v23, v73
	v_mul_f32_e32 v60, v22, v73
	v_fma_f32 v57, v24, v70, -v57
	v_fmac_f32_e32 v58, v25, v70
	v_add_f32_e32 v0, v0, v55
	v_add_f32_e32 v1, v1, v56
	v_fma_f32 v59, v22, v72, -v59
	v_fmac_f32_e32 v60, v23, v72
	v_add_f32_e32 v0, v0, v57
	v_add_f32_e32 v1, v1, v58
	;; [unrolled: 1-line block ×4, first 2 shown]
	s_branch .LBB299_16
.LBB299_25:
	s_or_b64 exec, exec, s[34:35]
.LBB299_26:
	s_or_b64 exec, exec, s[10:11]
	s_sub_i32 s0, s17, s44
	s_cmp_lt_i32 s0, 1
	s_cbranch_scc1 .LBB299_44
; %bb.27:
	v_cmp_gt_i32_e32 vcc, s17, v65
	v_mov_b32_e32 v10, 0
	v_or_b32_e32 v20, 1, v65
	v_mov_b32_e32 v11, 0
	v_mov_b32_e32 v12, 0
	;; [unrolled: 1-line block ×7, first 2 shown]
	s_and_saveexec_b64 s[2:3], vcc
	s_cbranch_execz .LBB299_35
; %bb.28:
	v_mad_u64_u32 v[10:11], s[0:1], v65, s18, 0
	v_mov_b32_e32 v12, v11
	v_mad_u64_u32 v[12:13], s[0:1], v65, s19, v[12:13]
	v_mov_b32_e32 v11, v12
	v_lshl_add_u64 v[10:11], v[10:11], 3, s[26:27]
	flat_load_dwordx2 v[10:11], v[10:11]
	v_cmp_gt_i32_e64 s[0:1], s17, v20
	v_mov_b32_e32 v17, 0
	v_mov_b32_e32 v16, 0
	;; [unrolled: 1-line block ×6, first 2 shown]
	s_and_saveexec_b64 s[4:5], s[0:1]
	s_cbranch_execz .LBB299_34
; %bb.29:
	v_mad_u64_u32 v[12:13], s[0:1], v20, s18, 0
	v_mov_b32_e32 v14, v13
	v_mad_u64_u32 v[14:15], s[0:1], v20, s19, v[14:15]
	v_mov_b32_e32 v13, v14
	v_lshl_add_u64 v[12:13], v[12:13], 3, s[26:27]
	flat_load_dwordx2 v[12:13], v[12:13]
	v_or_b32_e32 v5, 2, v65
	v_cmp_gt_i32_e64 s[0:1], s17, v5
	v_mov_b32_e32 v17, 0
	v_mov_b32_e32 v16, 0
	;; [unrolled: 1-line block ×4, first 2 shown]
	s_and_saveexec_b64 s[6:7], s[0:1]
	s_cbranch_execz .LBB299_33
; %bb.30:
	v_mad_u64_u32 v[14:15], s[0:1], v5, s18, 0
	v_mov_b32_e32 v16, v15
	v_mad_u64_u32 v[16:17], s[0:1], v5, s19, v[16:17]
	v_mov_b32_e32 v15, v16
	v_lshl_add_u64 v[14:15], v[14:15], 3, s[26:27]
	flat_load_dwordx2 v[14:15], v[14:15]
	v_or_b32_e32 v5, 3, v65
	v_cmp_gt_i32_e64 s[0:1], s17, v5
	v_mov_b32_e32 v17, 0
	v_mov_b32_e32 v16, 0
	s_and_saveexec_b64 s[10:11], s[0:1]
	s_cbranch_execz .LBB299_32
; %bb.31:
	v_mad_u64_u32 v[16:17], s[0:1], v5, s18, 0
	v_mov_b32_e32 v18, v17
	v_mad_u64_u32 v[18:19], s[0:1], v5, s19, v[18:19]
	v_mov_b32_e32 v17, v18
	v_lshl_add_u64 v[16:17], v[16:17], 3, s[26:27]
	flat_load_dwordx2 v[16:17], v[16:17]
.LBB299_32:
	s_or_b64 exec, exec, s[10:11]
.LBB299_33:
	s_or_b64 exec, exec, s[6:7]
.LBB299_34:
	s_or_b64 exec, exec, s[4:5]
.LBB299_35:
	s_or_b64 exec, exec, s[2:3]
	v_cmp_gt_i32_e64 s[0:1], s16, v4
	s_and_saveexec_b64 s[2:3], s[0:1]
	s_cbranch_execz .LBB299_43
; %bb.36:
	v_mad_u64_u32 v[18:19], s[0:1], v65, s22, 0
	v_mov_b32_e32 v22, v19
	v_ashrrev_i32_e32 v5, 31, v4
	v_mad_u64_u32 v[22:23], s[0:1], v65, s23, v[22:23]
	v_mad_u64_u32 v[24:25], s[0:1], v20, s22, 0
	v_cndmask_b32_e32 v18, 0, v18, vcc
	v_cndmask_b32_e32 v19, 0, v22, vcc
	v_lshlrev_b64 v[22:23], 3, v[4:5]
	v_mov_b32_e32 v26, v25
	v_cmp_gt_i32_e32 vcc, s17, v20
	v_or_b32_e32 v5, 2, v65
	v_mad_u64_u32 v[26:27], s[0:1], v20, s23, v[26:27]
	v_cndmask_b32_e32 v20, 0, v24, vcc
	v_mad_u64_u32 v[24:25], s[0:1], v5, s22, 0
	v_cndmask_b32_e32 v21, 0, v26, vcc
	v_mov_b32_e32 v26, v25
	v_mad_u64_u32 v[26:27], s[0:1], v5, s23, v[26:27]
	v_cmp_gt_i32_e32 vcc, s17, v5
	v_or_b32_e32 v5, 3, v65
	v_lshl_add_u64 v[18:19], v[18:19], 3, s[24:25]
	v_cndmask_b32_e32 v25, 0, v26, vcc
	v_mad_u64_u32 v[26:27], s[0:1], v5, s22, 0
	v_mov_b32_e32 v32, v27
	v_lshl_add_u64 v[18:19], v[18:19], 0, v[22:23]
	v_lshl_add_u64 v[20:21], v[20:21], 3, s[24:25]
	v_cndmask_b32_e32 v24, 0, v24, vcc
	v_mad_u64_u32 v[32:33], s[0:1], v5, s23, v[32:33]
	v_cmp_gt_i32_e32 vcc, s17, v5
	v_lshl_add_u64 v[20:21], v[20:21], 0, v[22:23]
	flat_load_dwordx2 v[28:29], v[18:19]
	flat_load_dwordx2 v[30:31], v[20:21]
	v_lshl_add_u64 v[24:25], v[24:25], 3, s[24:25]
	v_cndmask_b32_e32 v26, 0, v26, vcc
	v_cndmask_b32_e32 v27, 0, v32, vcc
	v_lshl_add_u64 v[24:25], v[24:25], 0, v[22:23]
	v_lshl_add_u64 v[26:27], v[26:27], 3, s[24:25]
	;; [unrolled: 1-line block ×3, first 2 shown]
	flat_load_dwordx2 v[22:23], v[24:25]
	flat_load_dwordx2 v[32:33], v[26:27]
	v_add_u32_e32 v5, 32, v4
	v_cmp_gt_i32_e32 vcc, s16, v5
	s_waitcnt vmcnt(0) lgkmcnt(0)
	v_pk_mul_f32 v[34:35], v[10:11], v[28:29] op_sel:[0,1]
	v_pk_mul_f32 v[36:37], v[12:13], v[30:31] op_sel:[0,1]
	v_pk_fma_f32 v[38:39], v[10:11], v[28:29], v[34:35] op_sel:[0,0,1] op_sel_hi:[1,1,0] neg_lo:[0,0,1] neg_hi:[0,0,1]
	v_pk_fma_f32 v[28:29], v[10:11], v[28:29], v[34:35] op_sel:[0,0,1] op_sel_hi:[1,0,0]
	v_pk_fma_f32 v[34:35], v[12:13], v[30:31], v[36:37] op_sel:[0,0,1] op_sel_hi:[1,1,0] neg_lo:[0,0,1] neg_hi:[0,0,1]
	v_pk_fma_f32 v[30:31], v[12:13], v[30:31], v[36:37] op_sel:[0,0,1] op_sel_hi:[1,0,0]
	v_mov_b32_e32 v39, v29
	v_pk_mul_f32 v[36:37], v[14:15], v[22:23] op_sel:[0,1]
	v_pk_mul_f32 v[40:41], v[16:17], v[32:33] op_sel:[0,1]
	v_mov_b32_e32 v35, v31
	v_pk_fma_f32 v[28:29], v[14:15], v[22:23], v[36:37] op_sel:[0,0,1] op_sel_hi:[1,1,0] neg_lo:[0,0,1] neg_hi:[0,0,1]
	v_pk_fma_f32 v[30:31], v[14:15], v[22:23], v[36:37] op_sel:[0,0,1] op_sel_hi:[1,0,0]
	v_pk_add_f32 v[8:9], v[8:9], v[38:39]
	v_pk_fma_f32 v[22:23], v[16:17], v[32:33], v[40:41] op_sel:[0,0,1] op_sel_hi:[1,1,0] neg_lo:[0,0,1] neg_hi:[0,0,1]
	v_pk_fma_f32 v[32:33], v[16:17], v[32:33], v[40:41] op_sel:[0,0,1] op_sel_hi:[1,0,0]
	v_mov_b32_e32 v29, v31
	v_pk_add_f32 v[8:9], v[8:9], v[34:35]
	v_mov_b32_e32 v23, v33
	v_pk_add_f32 v[8:9], v[8:9], v[28:29]
	s_and_saveexec_b64 s[0:1], vcc
	s_cbranch_execz .LBB299_42
; %bb.37:
	flat_load_dwordx2 v[28:29], v[18:19] offset:256
	flat_load_dwordx2 v[30:31], v[20:21] offset:256
	flat_load_dwordx2 v[32:33], v[24:25] offset:256
	flat_load_dwordx2 v[34:35], v[26:27] offset:256
	v_add_u32_e32 v36, 64, v4
	v_cmp_gt_i32_e32 vcc, s16, v36
	s_waitcnt vmcnt(0) lgkmcnt(0)
	v_mul_f32_e32 v37, v11, v29
	v_mul_f32_e32 v29, v10, v29
	;; [unrolled: 1-line block ×6, first 2 shown]
	v_fma_f32 v35, v10, v28, -v37
	v_fmac_f32_e32 v29, v11, v28
	v_mul_f32_e32 v39, v15, v33
	v_mul_f32_e32 v33, v14, v33
	v_fma_f32 v37, v12, v30, -v38
	v_fmac_f32_e32 v31, v13, v30
	v_add_f32_e32 v6, v6, v35
	v_add_f32_e32 v7, v7, v29
	v_fma_f32 v30, v14, v32, -v39
	v_fmac_f32_e32 v33, v15, v32
	v_add_f32_e32 v6, v6, v37
	v_add_f32_e32 v7, v7, v31
	;; [unrolled: 4-line block ×3, first 2 shown]
	s_and_saveexec_b64 s[4:5], vcc
	s_cbranch_execz .LBB299_41
; %bb.38:
	flat_load_dwordx2 v[30:31], v[18:19] offset:512
	flat_load_dwordx2 v[32:33], v[20:21] offset:512
	;; [unrolled: 1-line block ×4, first 2 shown]
	v_add_u32_e32 v38, 0x60, v4
	v_cmp_gt_i32_e32 vcc, s16, v38
	s_waitcnt vmcnt(0) lgkmcnt(0)
	v_mul_f32_e32 v29, v11, v31
	v_mul_f32_e32 v31, v10, v31
	;; [unrolled: 1-line block ×6, first 2 shown]
	v_fma_f32 v37, v10, v30, -v29
	v_fmac_f32_e32 v31, v11, v30
	v_mul_f32_e32 v40, v15, v35
	v_mul_f32_e32 v35, v14, v35
	v_fma_f32 v30, v12, v32, -v39
	v_fmac_f32_e32 v33, v13, v32
	v_add_f32_e32 v2, v2, v37
	v_add_f32_e32 v3, v3, v31
	v_fma_f32 v32, v14, v34, -v40
	v_fmac_f32_e32 v35, v15, v34
	v_add_f32_e32 v2, v2, v30
	v_add_f32_e32 v3, v3, v33
	;; [unrolled: 4-line block ×3, first 2 shown]
	s_and_saveexec_b64 s[6:7], vcc
	s_cbranch_execz .LBB299_40
; %bb.39:
	flat_load_dwordx2 v[30:31], v[18:19] offset:768
	flat_load_dwordx2 v[32:33], v[20:21] offset:768
	;; [unrolled: 1-line block ×4, first 2 shown]
	s_waitcnt vmcnt(0) lgkmcnt(0)
	v_mul_f32_e32 v18, v11, v31
	v_mul_f32_e32 v19, v10, v31
	;; [unrolled: 1-line block ×4, first 2 shown]
	v_fma_f32 v10, v10, v30, -v18
	v_fmac_f32_e32 v19, v11, v30
	v_mul_f32_e32 v24, v15, v35
	v_mul_f32_e32 v25, v14, v35
	v_fma_f32 v11, v12, v32, -v20
	v_fmac_f32_e32 v21, v13, v32
	v_add_f32_e32 v0, v0, v10
	v_add_f32_e32 v1, v1, v19
	v_mul_f32_e32 v26, v17, v37
	v_mul_f32_e32 v27, v16, v37
	v_fma_f32 v12, v14, v34, -v24
	v_fmac_f32_e32 v25, v15, v34
	v_add_f32_e32 v0, v0, v11
	v_add_f32_e32 v1, v1, v21
	v_fma_f32 v13, v16, v36, -v26
	v_fmac_f32_e32 v27, v17, v36
	v_add_f32_e32 v0, v0, v12
	v_add_f32_e32 v1, v1, v25
	;; [unrolled: 1-line block ×4, first 2 shown]
.LBB299_40:
	s_or_b64 exec, exec, s[6:7]
	v_add_f32_e32 v2, v2, v29
	v_add_f32_e32 v3, v3, v4
.LBB299_41:
	s_or_b64 exec, exec, s[4:5]
	v_add_f32_e32 v6, v6, v28
	v_add_f32_e32 v7, v7, v5
.LBB299_42:
	s_or_b64 exec, exec, s[0:1]
	v_pk_add_f32 v[8:9], v[8:9], v[22:23]
.LBB299_43:
	s_or_b64 exec, exec, s[2:3]
.LBB299_44:
	v_lshlrev_b32_e32 v4, 7, v64
	s_movk_i32 s0, 0x80
	v_add_lshl_u32 v4, v4, v63, 3
	v_cmp_gt_u32_e32 vcc, s0, v62
	ds_write2_b64 v4, v[8:9], v[6:7] offset1:32
	ds_write2_b64 v4, v[2:3], v[0:1] offset0:64 offset1:96
	s_waitcnt lgkmcnt(0)
	s_barrier
	s_and_saveexec_b64 s[0:1], vcc
	s_cbranch_execz .LBB299_49
; %bb.45:
	v_lshlrev_b32_e32 v20, 3, v62
	ds_read2st64_b64 v[0:3], v20 offset1:2
	ds_read2st64_b64 v[4:7], v20 offset0:4 offset1:6
	s_waitcnt vmcnt(0)
	ds_read2st64_b64 v[8:11], v20 offset0:8 offset1:10
	ds_read2st64_b64 v[12:15], v20 offset0:12 offset1:14
	;; [unrolled: 1-line block ×3, first 2 shown]
	s_waitcnt lgkmcnt(4)
	v_pk_add_f32 v[0:1], v[0:1], v[2:3]
	s_waitcnt lgkmcnt(3)
	v_pk_add_f32 v[0:1], v[0:1], v[4:5]
	s_nop 0
	v_pk_add_f32 v[0:1], v[0:1], v[6:7]
	s_waitcnt lgkmcnt(2)
	v_pk_add_f32 v[0:1], v[0:1], v[8:9]
	s_nop 0
	;; [unrolled: 4-line block ×3, first 2 shown]
	v_pk_add_f32 v[4:5], v[0:1], v[14:15]
	ds_read2st64_b64 v[0:3], v20 offset0:20 offset1:22
	s_waitcnt lgkmcnt(1)
	v_pk_add_f32 v[8:9], v[4:5], v[16:17]
	ds_read2st64_b64 v[4:7], v20 offset0:24 offset1:26
	v_pk_add_f32 v[12:13], v[8:9], v[18:19]
	ds_read2st64_b64 v[8:11], v20 offset0:28 offset1:30
	s_waitcnt lgkmcnt(2)
	v_pk_add_f32 v[0:1], v[12:13], v[0:1]
	s_nop 0
	v_pk_add_f32 v[0:1], v[0:1], v[2:3]
	s_waitcnt lgkmcnt(1)
	v_pk_add_f32 v[0:1], v[0:1], v[4:5]
	v_or_b32_e32 v4, s33, v62
	v_pk_add_f32 v[0:1], v[0:1], v[6:7]
	v_cmp_gt_i32_e32 vcc, s16, v4
	s_waitcnt lgkmcnt(0)
	v_pk_add_f32 v[0:1], v[0:1], v[8:9]
	s_nop 0
	v_pk_add_f32 v[2:3], v[0:1], v[10:11]
	ds_write_b64 v20, v[2:3]
	s_and_b64 exec, exec, vcc
	s_cbranch_execz .LBB299_49
; %bb.46:
	v_pk_mul_f32 v[6:7], v[2:3], s[14:15] op_sel:[1,0]
	v_cmp_neq_f32_e64 s[0:1], s12, 0
	v_pk_fma_f32 v[0:1], v[2:3], s[14:15], v[6:7] op_sel:[0,0,1] op_sel_hi:[0,1,0] neg_lo:[0,0,1] neg_hi:[0,0,1]
	v_pk_fma_f32 v[2:3], v[2:3], s[14:15], v[6:7] op_sel:[0,0,1] op_sel_hi:[0,1,0]
	v_ashrrev_i32_e32 v1, 31, v4
	v_cmp_neq_f32_e64 s[2:3], s13, 0
	v_mul_lo_u32 v2, v4, s21
	v_mul_lo_u32 v1, v1, s20
	v_mad_u64_u32 v[4:5], s[4:5], v4, s20, 0
	v_add3_u32 v5, v5, v2, v1
	s_or_b64 s[0:1], s[0:1], s[2:3]
	s_andn2_b64 vcc, exec, s[0:1]
	v_lshl_add_u64 v[4:5], v[4:5], 3, s[8:9]
	s_cbranch_vccnz .LBB299_48
; %bb.47:
	global_load_dwordx2 v[6:7], v[4:5], off
	v_mov_b32_e32 v1, v3
	s_waitcnt vmcnt(0)
	v_pk_mul_f32 v[2:3], s[12:13], v[6:7] op_sel:[0,1]
	s_nop 0
	v_pk_fma_f32 v[8:9], s[12:13], v[6:7], v[2:3] op_sel:[0,0,1] op_sel_hi:[1,1,0] neg_lo:[0,0,1] neg_hi:[0,0,1]
	v_pk_fma_f32 v[2:3], s[12:13], v[6:7], v[2:3] op_sel:[0,0,1] op_sel_hi:[1,0,0]
	s_nop 0
	v_mov_b32_e32 v9, v3
	v_pk_add_f32 v[0:1], v[0:1], v[8:9]
	s_nop 0
	v_mov_b32_e32 v3, v1
.LBB299_48:
	v_mov_b32_e32 v1, v3
	global_store_dwordx2 v[4:5], v[0:1], off
.LBB299_49:
	s_endpgm
	.section	.rodata,"a",@progbits
	.p2align	6, 0x0
	.amdhsa_kernel _ZL20rocblas_gemvn_kernelILi32ELi16ElPK19rocblas_complex_numIfES3_KPS1_EviiT3_lPKT2_lT1_lS9_lSA_lS6_lPT4_lSA_li
		.amdhsa_group_segment_fixed_size 16384
		.amdhsa_private_segment_fixed_size 0
		.amdhsa_kernarg_size 400
		.amdhsa_user_sgpr_count 2
		.amdhsa_user_sgpr_dispatch_ptr 0
		.amdhsa_user_sgpr_queue_ptr 0
		.amdhsa_user_sgpr_kernarg_segment_ptr 1
		.amdhsa_user_sgpr_dispatch_id 0
		.amdhsa_user_sgpr_kernarg_preload_length 0
		.amdhsa_user_sgpr_kernarg_preload_offset 0
		.amdhsa_user_sgpr_private_segment_size 0
		.amdhsa_uses_dynamic_stack 0
		.amdhsa_enable_private_segment 0
		.amdhsa_system_sgpr_workgroup_id_x 1
		.amdhsa_system_sgpr_workgroup_id_y 0
		.amdhsa_system_sgpr_workgroup_id_z 1
		.amdhsa_system_sgpr_workgroup_info 0
		.amdhsa_system_vgpr_workitem_id 1
		.amdhsa_next_free_vgpr 74
		.amdhsa_next_free_sgpr 45
		.amdhsa_accum_offset 76
		.amdhsa_reserve_vcc 1
		.amdhsa_float_round_mode_32 0
		.amdhsa_float_round_mode_16_64 0
		.amdhsa_float_denorm_mode_32 3
		.amdhsa_float_denorm_mode_16_64 3
		.amdhsa_dx10_clamp 1
		.amdhsa_ieee_mode 1
		.amdhsa_fp16_overflow 0
		.amdhsa_tg_split 0
		.amdhsa_exception_fp_ieee_invalid_op 0
		.amdhsa_exception_fp_denorm_src 0
		.amdhsa_exception_fp_ieee_div_zero 0
		.amdhsa_exception_fp_ieee_overflow 0
		.amdhsa_exception_fp_ieee_underflow 0
		.amdhsa_exception_fp_ieee_inexact 0
		.amdhsa_exception_int_div_zero 0
	.end_amdhsa_kernel
	.section	.text._ZL20rocblas_gemvn_kernelILi32ELi16ElPK19rocblas_complex_numIfES3_KPS1_EviiT3_lPKT2_lT1_lS9_lSA_lS6_lPT4_lSA_li,"axG",@progbits,_ZL20rocblas_gemvn_kernelILi32ELi16ElPK19rocblas_complex_numIfES3_KPS1_EviiT3_lPKT2_lT1_lS9_lSA_lS6_lPT4_lSA_li,comdat
.Lfunc_end299:
	.size	_ZL20rocblas_gemvn_kernelILi32ELi16ElPK19rocblas_complex_numIfES3_KPS1_EviiT3_lPKT2_lT1_lS9_lSA_lS6_lPT4_lSA_li, .Lfunc_end299-_ZL20rocblas_gemvn_kernelILi32ELi16ElPK19rocblas_complex_numIfES3_KPS1_EviiT3_lPKT2_lT1_lS9_lSA_lS6_lPT4_lSA_li
                                        ; -- End function
	.section	.AMDGPU.csdata,"",@progbits
; Kernel info:
; codeLenInByte = 3572
; NumSgprs: 51
; NumVgprs: 74
; NumAgprs: 0
; TotalNumVgprs: 74
; ScratchSize: 0
; MemoryBound: 0
; FloatMode: 240
; IeeeMode: 1
; LDSByteSize: 16384 bytes/workgroup (compile time only)
; SGPRBlocks: 6
; VGPRBlocks: 9
; NumSGPRsForWavesPerEU: 51
; NumVGPRsForWavesPerEU: 74
; AccumOffset: 76
; Occupancy: 6
; WaveLimiterHint : 1
; COMPUTE_PGM_RSRC2:SCRATCH_EN: 0
; COMPUTE_PGM_RSRC2:USER_SGPR: 2
; COMPUTE_PGM_RSRC2:TRAP_HANDLER: 0
; COMPUTE_PGM_RSRC2:TGID_X_EN: 1
; COMPUTE_PGM_RSRC2:TGID_Y_EN: 0
; COMPUTE_PGM_RSRC2:TGID_Z_EN: 1
; COMPUTE_PGM_RSRC2:TIDIG_COMP_CNT: 1
; COMPUTE_PGM_RSRC3_GFX90A:ACCUM_OFFSET: 18
; COMPUTE_PGM_RSRC3_GFX90A:TG_SPLIT: 0
	.section	.text._ZL20rocblas_gemvn_kernelILi32ELi16EiPK19rocblas_complex_numIfES1_KPS1_EviiT3_lPKT2_lT1_lS9_lSA_lS6_lPT4_lSA_li,"axG",@progbits,_ZL20rocblas_gemvn_kernelILi32ELi16EiPK19rocblas_complex_numIfES1_KPS1_EviiT3_lPKT2_lT1_lS9_lSA_lS6_lPT4_lSA_li,comdat
	.globl	_ZL20rocblas_gemvn_kernelILi32ELi16EiPK19rocblas_complex_numIfES1_KPS1_EviiT3_lPKT2_lT1_lS9_lSA_lS6_lPT4_lSA_li ; -- Begin function _ZL20rocblas_gemvn_kernelILi32ELi16EiPK19rocblas_complex_numIfES1_KPS1_EviiT3_lPKT2_lT1_lS9_lSA_lS6_lPT4_lSA_li
	.p2align	8
	.type	_ZL20rocblas_gemvn_kernelILi32ELi16EiPK19rocblas_complex_numIfES1_KPS1_EviiT3_lPKT2_lT1_lS9_lSA_lS6_lPT4_lSA_li,@function
_ZL20rocblas_gemvn_kernelILi32ELi16EiPK19rocblas_complex_numIfES1_KPS1_EviiT3_lPKT2_lT1_lS9_lSA_lS6_lPT4_lSA_li: ; @_ZL20rocblas_gemvn_kernelILi32ELi16EiPK19rocblas_complex_numIfES1_KPS1_EviiT3_lPKT2_lT1_lS9_lSA_lS6_lPT4_lSA_li
; %bb.0:
	s_load_dwordx2 s[6:7], s[0:1], 0x9c
	s_mov_b32 s4, s3
	s_waitcnt lgkmcnt(0)
	s_lshr_b32 s5, s6, 16
	s_and_b32 s6, s6, 0xffff
	s_and_b32 s3, s7, 0xffff
	s_mul_i32 s5, s5, s6
	s_mul_i32 s5, s5, s3
	s_cmpk_lg_i32 s5, 0x200
	s_cbranch_scc1 .LBB300_51
; %bb.1:
	s_load_dwordx4 s[8:11], s[0:1], 0x0
	s_load_dwordx2 s[12:13], s[0:1], 0x58
	s_waitcnt lgkmcnt(0)
	v_cmp_eq_f32_e64 s[6:7], s10, 0
	v_cmp_eq_f32_e64 s[14:15], s11, 0
	v_cmp_eq_f32_e64 s[16:17], s12, 1.0
	v_cmp_eq_f32_e64 s[18:19], s13, 0
	s_and_b64 s[6:7], s[6:7], s[14:15]
	s_and_b64 s[14:15], s[16:17], s[18:19]
	;; [unrolled: 1-line block ×3, first 2 shown]
	s_and_b64 vcc, exec, s[6:7]
	s_cbranch_vccnz .LBB300_51
; %bb.2:
	s_or_b32 s3, s10, s11
	s_bitset0_b32 s3, 31
	s_cmp_lg_u32 s3, 0
	s_cselect_b64 s[14:15], -1, 0
	s_cmp_eq_u32 s3, 0
	s_cselect_b64 s[6:7], -1, 0
	s_and_b64 vcc, exec, s[14:15]
	s_cbranch_vccnz .LBB300_4
; %bb.3:
	s_mov_b32 s5, 0
	s_mov_b64 s[16:17], 0
	s_cbranch_execz .LBB300_5
	s_branch .LBB300_6
.LBB300_4:
                                        ; implicit-def: $sgpr16_sgpr17
.LBB300_5:
	s_load_dwordx4 s[16:19], s[0:1], 0x18
	s_mov_b32 s5, 0
	s_lshl_b64 s[20:21], s[4:5], 3
	s_waitcnt lgkmcnt(0)
	s_add_u32 s16, s16, s20
	s_addc_u32 s17, s17, s21
	s_load_dwordx2 s[16:17], s[16:17], 0x0
	s_lshl_b64 s[18:19], s[18:19], 3
	s_waitcnt lgkmcnt(0)
	s_add_u32 s16, s16, s18
	s_addc_u32 s17, s17, s19
.LBB300_6:
	s_andn2_b64 vcc, exec, s[14:15]
	s_mov_b64 s[18:19], 0
	s_cbranch_vccnz .LBB300_8
; %bb.7:
	s_load_dwordx4 s[20:23], s[0:1], 0x38
	s_lshl_b64 s[14:15], s[4:5], 3
	s_waitcnt lgkmcnt(0)
	s_add_u32 s14, s20, s14
	s_addc_u32 s15, s21, s15
	s_load_dwordx2 s[14:15], s[14:15], 0x0
	s_lshl_b64 s[18:19], s[22:23], 3
	s_waitcnt lgkmcnt(0)
	s_add_u32 s18, s14, s18
	s_addc_u32 s19, s15, s19
.LBB300_8:
	s_load_dwordx4 s[20:23], s[0:1], 0x68
	s_load_dword s33, s[0:1], 0x78
	s_lshl_b64 s[4:5], s[4:5], 3
	v_and_b32_e32 v2, 0x3ff, v0
	v_bfe_u32 v3, v0, 10, 10
	s_waitcnt lgkmcnt(0)
	s_add_u32 s4, s20, s4
	s_addc_u32 s5, s21, s5
	s_load_dwordx2 s[4:5], s[4:5], 0x0
	s_lshl_b64 s[14:15], s[22:23], 3
	v_lshl_add_u32 v54, v3, 5, v2
	s_waitcnt lgkmcnt(0)
	s_add_u32 s14, s4, s14
	s_addc_u32 s15, s5, s15
	s_andn2_b64 vcc, exec, s[6:7]
	s_mov_b64 s[4:5], -1
	s_cbranch_vccnz .LBB300_15
; %bb.9:
	s_movk_i32 s3, 0x80
	v_cmp_gt_u32_e32 vcc, s3, v54
	s_and_saveexec_b64 s[4:5], vcc
	s_cbranch_execz .LBB300_14
; %bb.10:
	v_lshl_or_b32 v0, s2, 7, v54
	v_mov_b32_e32 v1, 0
	s_ashr_i32 s7, s8, 31
	s_mov_b32 s6, s8
	v_cmp_gt_i64_e32 vcc, s[6:7], v[0:1]
	s_and_b64 exec, exec, vcc
	s_cbranch_execz .LBB300_14
; %bb.11:
	v_mad_u64_u32 v[4:5], s[22:23], s33, v0, 0
	s_ashr_i32 s3, s33, 31
	v_mov_b32_e32 v6, v5
	v_cmp_neq_f32_e64 s[6:7], s12, 0
	v_cmp_neq_f32_e64 s[20:21], s13, 0
	v_mad_u64_u32 v[6:7], s[22:23], s3, v0, v[6:7]
	v_mov_b32_e32 v5, v6
	s_or_b64 s[6:7], s[6:7], s[20:21]
	s_andn2_b64 vcc, exec, s[6:7]
	v_lshl_add_u64 v[4:5], v[4:5], 3, s[14:15]
	v_mov_b32_e32 v7, v1
	s_cbranch_vccnz .LBB300_13
; %bb.12:
	global_load_dwordx2 v[0:1], v[4:5], off
	s_waitcnt vmcnt(0)
	v_pk_mul_f32 v[6:7], s[12:13], v[0:1] op_sel:[0,1]
	s_nop 0
	v_pk_fma_f32 v[8:9], s[12:13], v[0:1], v[6:7] op_sel:[0,0,1] op_sel_hi:[1,1,0] neg_lo:[0,0,1] neg_hi:[0,0,1]
	v_pk_fma_f32 v[6:7], s[12:13], v[0:1], v[6:7] op_sel:[0,0,1] op_sel_hi:[1,0,0]
	v_mov_b32_e32 v1, v8
.LBB300_13:
	v_mov_b32_e32 v6, v1
	global_store_dwordx2 v[4:5], v[6:7], off
.LBB300_14:
	s_or_b64 exec, exec, s[4:5]
	s_mov_b64 s[4:5], 0
.LBB300_15:
	s_andn2_b64 vcc, exec, s[4:5]
	s_cbranch_vccnz .LBB300_51
; %bb.16:
	s_load_dword s35, s[0:1], 0x28
	s_load_dword s36, s[0:1], 0x48
	s_ashr_i32 s0, s9, 31
	s_lshr_b32 s0, s0, 26
	s_add_i32 s37, s9, s0
	s_mov_b32 s20, 0
	s_lshl_b32 s34, s2, 7
	s_andn2_b32 s37, s37, 63
	v_lshlrev_b32_e32 v56, 2, v3
	s_mov_b32 s21, s20
	v_add_u32_e32 v55, s34, v2
	v_cmp_gt_i32_e32 vcc, s37, v56
	v_mov_b64_e32 v[8:9], s[20:21]
	v_mov_b32_e32 v1, 0
	v_mov_b32_e32 v0, 0
	;; [unrolled: 1-line block ×6, first 2 shown]
	s_and_saveexec_b64 s[22:23], vcc
	s_cbranch_execz .LBB300_28
; %bb.17:
	v_add_u32_e32 v0, 32, v55
	v_cmp_gt_i32_e64 s[0:1], s8, v0
	v_add_u32_e32 v0, 64, v55
	v_cmp_gt_i32_e64 s[2:3], s8, v0
	v_add_u32_e32 v0, 0x60, v55
	v_cmp_gt_i32_e64 s[4:5], s8, v0
	s_waitcnt lgkmcnt(0)
	v_mul_lo_u32 v0, s35, v56
	v_add3_u32 v57, v0, s35, v2
	v_add_u32_e32 v0, 2, v56
	v_mad_u64_u32 v[10:11], s[6:7], s35, v0, v[2:3]
	v_add_u32_e32 v1, 3, v56
	v_mul_lo_u32 v4, v3, s35
	v_mad_u64_u32 v[12:13], s[6:7], s35, v1, v[2:3]
	v_lshl_add_u32 v11, v4, 2, v2
	v_mul_lo_u32 v4, s36, v56
	v_mul_lo_u32 v58, s36, v0
	;; [unrolled: 1-line block ×4, first 2 shown]
	v_mov_b32_e32 v1, 0
	v_cmp_gt_i32_e32 vcc, s8, v55
	s_lshl_b32 s38, s35, 6
	v_add_u32_e32 v13, s36, v4
	s_lshl_b32 s39, s36, 6
	v_lshlrev_b32_e32 v60, 2, v0
	s_mov_b64 s[24:25], 0
	v_mov_b64_e32 v[8:9], s[20:21]
	v_mov_b32_e32 v0, v1
	v_mov_b32_e32 v5, v1
	;; [unrolled: 1-line block ×5, first 2 shown]
	s_branch .LBB300_22
.LBB300_18:                             ;   in Loop: Header=BB300_22 Depth=1
	s_or_b64 exec, exec, s[30:31]
	s_waitcnt vmcnt(0) lgkmcnt(0)
	v_mul_f32_e32 v42, v21, v51
	v_fma_f32 v42, v20, v50, -v42
	v_mul_f32_e32 v43, v20, v51
	v_fmac_f32_e32 v43, v21, v50
	v_add_f32_e32 v4, v4, v42
	v_mul_f32_e32 v42, v19, v45
	v_add_f32_e32 v5, v5, v43
	v_fma_f32 v42, v18, v44, -v42
	v_mul_f32_e32 v43, v18, v45
	v_fmac_f32_e32 v43, v19, v44
	v_add_f32_e32 v4, v4, v42
	v_mul_f32_e32 v42, v17, v41
	v_mul_f32_e32 v41, v16, v41
	v_add_f32_e32 v5, v5, v43
	v_fma_f32 v42, v16, v40, -v42
	v_fmac_f32_e32 v41, v17, v40
	v_mul_f32_e32 v40, v15, v39
	v_mul_f32_e32 v39, v14, v39
	v_add_f32_e32 v4, v4, v42
	v_add_f32_e32 v5, v5, v41
	v_fma_f32 v40, v14, v38, -v40
	v_fmac_f32_e32 v39, v15, v38
	v_add_f32_e32 v4, v4, v40
	v_add_f32_e32 v5, v5, v39
.LBB300_19:                             ;   in Loop: Header=BB300_22 Depth=1
	s_or_b64 exec, exec, s[28:29]
	s_waitcnt vmcnt(0) lgkmcnt(0)
	v_mul_f32_e32 v38, v21, v37
	v_mul_f32_e32 v37, v20, v37
	v_fma_f32 v38, v20, v36, -v38
	v_fmac_f32_e32 v37, v21, v36
	v_mul_f32_e32 v36, v19, v35
	v_mul_f32_e32 v35, v18, v35
	v_add_f32_e32 v6, v6, v38
	v_add_f32_e32 v7, v7, v37
	v_fma_f32 v36, v18, v34, -v36
	v_fmac_f32_e32 v35, v19, v34
	v_mul_f32_e32 v34, v17, v33
	v_mul_f32_e32 v33, v16, v33
	v_add_f32_e32 v6, v6, v36
	v_add_f32_e32 v7, v7, v35
	;; [unrolled: 6-line block ×3, first 2 shown]
	v_fma_f32 v32, v14, v30, -v32
	v_fmac_f32_e32 v31, v15, v30
	v_add_f32_e32 v6, v6, v32
	v_add_f32_e32 v7, v7, v31
.LBB300_20:                             ;   in Loop: Header=BB300_22 Depth=1
	s_or_b64 exec, exec, s[26:27]
	s_waitcnt vmcnt(0) lgkmcnt(0)
	v_mul_f32_e32 v30, v21, v29
	v_mul_f32_e32 v31, v20, v29
	v_fma_f32 v30, v20, v28, -v30
	v_fmac_f32_e32 v31, v21, v28
	v_mul_f32_e32 v20, v19, v27
	v_mul_f32_e32 v21, v18, v27
	v_fma_f32 v20, v18, v26, -v20
	v_fmac_f32_e32 v21, v19, v26
	v_pk_add_f32 v[8:9], v[8:9], v[30:31]
	v_mov_b32_e32 v18, v17
	v_mov_b32_e32 v19, v16
	v_pk_add_f32 v[8:9], v[8:9], v[20:21]
	v_mov_b32_e32 v16, v25
	v_pk_mul_f32 v[20:21], v[18:19], v[24:25] op_sel_hi:[1,0]
	s_nop 0
	v_pk_fma_f32 v[16:17], v[18:19], v[16:17], v[20:21] op_sel:[0,0,1] op_sel_hi:[1,1,0] neg_lo:[1,0,0] neg_hi:[1,0,0]
	v_pk_fma_f32 v[18:19], v[18:19], v[24:25], v[20:21] op_sel:[0,1,1] op_sel_hi:[1,1,0]
	s_nop 0
	v_mov_b32_e32 v17, v19
	v_pk_add_f32 v[8:9], v[8:9], v[16:17]
	v_pk_mul_f32 v[16:17], v[14:15], v[22:23] op_sel:[0,1]
	s_nop 0
	v_pk_fma_f32 v[18:19], v[14:15], v[22:23], v[16:17] op_sel:[0,0,1] op_sel_hi:[1,1,0] neg_lo:[0,0,1] neg_hi:[0,0,1]
	v_pk_fma_f32 v[14:15], v[14:15], v[22:23], v[16:17] op_sel:[0,0,1] op_sel_hi:[1,0,0]
	s_nop 0
	v_mov_b32_e32 v19, v15
	v_pk_add_f32 v[8:9], v[8:9], v[18:19]
.LBB300_21:                             ;   in Loop: Header=BB300_22 Depth=1
	s_or_b64 exec, exec, s[6:7]
	v_add_u32_e32 v56, 64, v56
	s_add_i32 s20, s20, s39
	v_cmp_le_i32_e64 s[6:7], s37, v56
	v_add_u32_e32 v57, s38, v57
	v_add_u32_e32 v10, s38, v10
	;; [unrolled: 1-line block ×3, first 2 shown]
	s_or_b64 s[24:25], s[6:7], s[24:25]
	v_add_u32_e32 v11, s38, v11
	s_andn2_b64 exec, exec, s[24:25]
	s_cbranch_execz .LBB300_27
.LBB300_22:                             ; =>This Inner Loop Header: Depth=1
	s_and_saveexec_b64 s[6:7], vcc
	s_cbranch_execz .LBB300_21
; %bb.23:                               ;   in Loop: Header=BB300_22 Depth=1
	v_add_u32_e32 v14, s20, v60
	v_ashrrev_i32_e32 v15, 31, v14
	v_lshl_add_u64 v[22:23], v[14:15], 3, s[18:19]
	v_add_u32_e32 v14, s20, v13
	v_ashrrev_i32_e32 v15, 31, v14
	v_lshl_add_u64 v[24:25], v[14:15], 3, s[18:19]
	;; [unrolled: 3-line block ×4, first 2 shown]
	flat_load_dwordx2 v[20:21], v[22:23]
	flat_load_dwordx2 v[18:19], v[24:25]
	;; [unrolled: 1-line block ×4, first 2 shown]
	v_add_u32_e32 v22, s34, v11
	v_ashrrev_i32_e32 v23, 31, v22
	v_lshl_add_u64 v[42:43], v[22:23], 3, s[16:17]
	v_add_u32_e32 v22, s34, v57
	v_ashrrev_i32_e32 v23, 31, v22
	v_lshl_add_u64 v[46:47], v[22:23], 3, s[16:17]
	;; [unrolled: 3-line block ×4, first 2 shown]
	flat_load_dwordx2 v[28:29], v[42:43]
	flat_load_dwordx2 v[26:27], v[46:47]
	;; [unrolled: 1-line block ×4, first 2 shown]
	s_and_saveexec_b64 s[26:27], s[0:1]
	s_cbranch_execz .LBB300_20
; %bb.24:                               ;   in Loop: Header=BB300_22 Depth=1
	flat_load_dwordx2 v[36:37], v[42:43] offset:256
	flat_load_dwordx2 v[34:35], v[46:47] offset:256
	flat_load_dwordx2 v[32:33], v[48:49] offset:256
	flat_load_dwordx2 v[30:31], v[52:53] offset:256
	s_and_saveexec_b64 s[28:29], s[2:3]
	s_cbranch_execz .LBB300_19
; %bb.25:                               ;   in Loop: Header=BB300_22 Depth=1
	flat_load_dwordx2 v[50:51], v[42:43] offset:512
	flat_load_dwordx2 v[44:45], v[46:47] offset:512
	flat_load_dwordx2 v[40:41], v[48:49] offset:512
	flat_load_dwordx2 v[38:39], v[52:53] offset:512
	;; [unrolled: 7-line block ×3, first 2 shown]
	s_waitcnt vmcnt(0) lgkmcnt(0)
	v_mul_f32_e32 v42, v21, v63
	v_mul_f32_e32 v43, v20, v63
	;; [unrolled: 1-line block ×4, first 2 shown]
	v_fma_f32 v42, v20, v62, -v42
	v_fmac_f32_e32 v43, v21, v62
	v_mul_f32_e32 v48, v17, v67
	v_mul_f32_e32 v49, v16, v67
	v_fma_f32 v46, v18, v64, -v46
	v_fmac_f32_e32 v47, v19, v64
	v_add_f32_e32 v0, v0, v42
	v_add_f32_e32 v1, v1, v43
	v_mul_f32_e32 v52, v15, v69
	v_mul_f32_e32 v53, v14, v69
	v_fma_f32 v48, v16, v66, -v48
	v_fmac_f32_e32 v49, v17, v66
	v_add_f32_e32 v0, v0, v46
	v_add_f32_e32 v1, v1, v47
	v_fma_f32 v52, v14, v68, -v52
	v_fmac_f32_e32 v53, v15, v68
	v_add_f32_e32 v0, v0, v48
	v_add_f32_e32 v1, v1, v49
	;; [unrolled: 1-line block ×4, first 2 shown]
	s_branch .LBB300_18
.LBB300_27:
	s_or_b64 exec, exec, s[24:25]
.LBB300_28:
	s_or_b64 exec, exec, s[22:23]
	s_sub_i32 s0, s9, s37
	s_cmp_lt_i32 s0, 1
	s_cbranch_scc1 .LBB300_46
; %bb.29:
	v_cmp_gt_i32_e32 vcc, s9, v56
	v_mov_b32_e32 v10, 0
	v_or_b32_e32 v20, 1, v56
	v_mov_b32_e32 v11, 0
	v_mov_b32_e32 v12, 0
	;; [unrolled: 1-line block ×7, first 2 shown]
	s_and_saveexec_b64 s[2:3], vcc
	s_cbranch_execz .LBB300_37
; %bb.30:
	s_waitcnt lgkmcnt(0)
	v_mul_lo_u32 v10, v56, s36
	v_ashrrev_i32_e32 v11, 31, v10
	v_lshl_add_u64 v[10:11], v[10:11], 3, s[18:19]
	flat_load_dwordx2 v[10:11], v[10:11]
	v_cmp_gt_i32_e64 s[0:1], s9, v20
	v_mov_b32_e32 v17, 0
	v_mov_b32_e32 v16, 0
	;; [unrolled: 1-line block ×6, first 2 shown]
	s_and_saveexec_b64 s[4:5], s[0:1]
	s_cbranch_execz .LBB300_36
; %bb.31:
	v_mul_lo_u32 v12, v20, s36
	v_ashrrev_i32_e32 v13, 31, v12
	v_lshl_add_u64 v[12:13], v[12:13], 3, s[18:19]
	flat_load_dwordx2 v[12:13], v[12:13]
	v_or_b32_e32 v18, 2, v56
	v_cmp_gt_i32_e64 s[0:1], s9, v18
	v_mov_b32_e32 v17, 0
	v_mov_b32_e32 v16, 0
	;; [unrolled: 1-line block ×4, first 2 shown]
	s_and_saveexec_b64 s[6:7], s[0:1]
	s_cbranch_execz .LBB300_35
; %bb.32:
	v_mul_lo_u32 v14, v18, s36
	v_ashrrev_i32_e32 v15, 31, v14
	v_lshl_add_u64 v[14:15], v[14:15], 3, s[18:19]
	flat_load_dwordx2 v[14:15], v[14:15]
	v_or_b32_e32 v18, 3, v56
	v_cmp_gt_i32_e64 s[0:1], s9, v18
	v_mov_b32_e32 v17, 0
	v_mov_b32_e32 v16, 0
	s_and_saveexec_b64 s[20:21], s[0:1]
	s_cbranch_execz .LBB300_34
; %bb.33:
	v_mul_lo_u32 v16, v18, s36
	v_ashrrev_i32_e32 v17, 31, v16
	v_lshl_add_u64 v[16:17], v[16:17], 3, s[18:19]
	flat_load_dwordx2 v[16:17], v[16:17]
.LBB300_34:
	s_or_b64 exec, exec, s[20:21]
.LBB300_35:
	s_or_b64 exec, exec, s[6:7]
.LBB300_36:
	s_or_b64 exec, exec, s[4:5]
.LBB300_37:
	s_or_b64 exec, exec, s[2:3]
	v_cmp_gt_i32_e64 s[0:1], s8, v55
	s_and_saveexec_b64 s[2:3], s[0:1]
	s_cbranch_execz .LBB300_45
; %bb.38:
	s_waitcnt lgkmcnt(0)
	v_mul_lo_u32 v18, v56, s35
	v_cndmask_b32_e32 v18, 0, v18, vcc
	v_mul_lo_u32 v21, v20, s35
	v_cmp_gt_i32_e32 vcc, s9, v20
	v_or_b32_e32 v24, 2, v56
	v_add_u32_e32 v18, v18, v55
	v_cndmask_b32_e32 v20, 0, v21, vcc
	v_mul_lo_u32 v25, v24, s35
	v_cmp_gt_i32_e32 vcc, s9, v24
	v_or_b32_e32 v26, 3, v56
	v_ashrrev_i32_e32 v19, 31, v18
	v_add_u32_e32 v20, v20, v55
	v_cndmask_b32_e32 v24, 0, v25, vcc
	v_mul_lo_u32 v27, v26, s35
	v_cmp_gt_i32_e32 vcc, s9, v26
	v_lshl_add_u64 v[18:19], v[18:19], 3, s[16:17]
	v_ashrrev_i32_e32 v21, 31, v20
	v_add_u32_e32 v24, v24, v55
	v_cndmask_b32_e32 v26, 0, v27, vcc
	v_lshl_add_u64 v[22:23], v[20:21], 3, s[16:17]
	flat_load_dwordx2 v[20:21], v[18:19]
	flat_load_dwordx2 v[28:29], v[22:23]
	v_ashrrev_i32_e32 v25, 31, v24
	v_add_u32_e32 v26, v26, v55
	v_lshl_add_u64 v[24:25], v[24:25], 3, s[16:17]
	v_ashrrev_i32_e32 v27, 31, v26
	v_lshl_add_u64 v[26:27], v[26:27], 3, s[16:17]
	flat_load_dwordx2 v[30:31], v[24:25]
	flat_load_dwordx2 v[32:33], v[26:27]
	v_add_u32_e32 v42, 32, v55
	v_cmp_gt_i32_e32 vcc, s8, v42
	s_waitcnt vmcnt(0) lgkmcnt(0)
	v_pk_mul_f32 v[34:35], v[10:11], v[20:21] op_sel:[0,1]
	v_pk_mul_f32 v[36:37], v[12:13], v[28:29] op_sel:[0,1]
	v_pk_fma_f32 v[38:39], v[10:11], v[20:21], v[34:35] op_sel:[0,0,1] op_sel_hi:[1,1,0] neg_lo:[0,0,1] neg_hi:[0,0,1]
	v_pk_fma_f32 v[20:21], v[10:11], v[20:21], v[34:35] op_sel:[0,0,1] op_sel_hi:[1,0,0]
	v_pk_fma_f32 v[34:35], v[12:13], v[28:29], v[36:37] op_sel:[0,0,1] op_sel_hi:[1,1,0] neg_lo:[0,0,1] neg_hi:[0,0,1]
	v_pk_fma_f32 v[28:29], v[12:13], v[28:29], v[36:37] op_sel:[0,0,1] op_sel_hi:[1,0,0]
	v_pk_mul_f32 v[36:37], v[14:15], v[30:31] op_sel:[0,1]
	v_mov_b32_e32 v39, v21
	v_pk_mul_f32 v[40:41], v[16:17], v[32:33] op_sel:[0,1]
	v_mov_b32_e32 v35, v29
	v_pk_fma_f32 v[28:29], v[14:15], v[30:31], v[36:37] op_sel:[0,0,1] op_sel_hi:[1,1,0] neg_lo:[0,0,1] neg_hi:[0,0,1]
	v_pk_fma_f32 v[30:31], v[14:15], v[30:31], v[36:37] op_sel:[0,0,1] op_sel_hi:[1,0,0]
	v_pk_add_f32 v[8:9], v[8:9], v[38:39]
	v_pk_fma_f32 v[20:21], v[16:17], v[32:33], v[40:41] op_sel:[0,0,1] op_sel_hi:[1,1,0] neg_lo:[0,0,1] neg_hi:[0,0,1]
	v_pk_fma_f32 v[32:33], v[16:17], v[32:33], v[40:41] op_sel:[0,0,1] op_sel_hi:[1,0,0]
	v_mov_b32_e32 v29, v31
	v_pk_add_f32 v[8:9], v[8:9], v[34:35]
	v_mov_b32_e32 v21, v33
	v_pk_add_f32 v[8:9], v[8:9], v[28:29]
	s_and_saveexec_b64 s[0:1], vcc
	s_cbranch_execz .LBB300_44
; %bb.39:
	flat_load_dwordx2 v[30:31], v[18:19] offset:256
	flat_load_dwordx2 v[32:33], v[22:23] offset:256
	flat_load_dwordx2 v[34:35], v[24:25] offset:256
	flat_load_dwordx2 v[36:37], v[26:27] offset:256
	v_add_u32_e32 v38, 64, v55
	v_cmp_gt_i32_e32 vcc, s8, v38
	s_waitcnt vmcnt(0) lgkmcnt(0)
	v_mul_f32_e32 v29, v11, v31
	v_mul_f32_e32 v31, v10, v31
	;; [unrolled: 1-line block ×6, first 2 shown]
	v_fma_f32 v37, v10, v30, -v29
	v_fmac_f32_e32 v31, v11, v30
	v_mul_f32_e32 v40, v15, v35
	v_mul_f32_e32 v35, v14, v35
	v_fma_f32 v30, v12, v32, -v39
	v_fmac_f32_e32 v33, v13, v32
	v_add_f32_e32 v6, v6, v37
	v_add_f32_e32 v7, v7, v31
	v_fma_f32 v32, v14, v34, -v40
	v_fmac_f32_e32 v35, v15, v34
	v_add_f32_e32 v6, v6, v30
	v_add_f32_e32 v7, v7, v33
	;; [unrolled: 4-line block ×3, first 2 shown]
	s_and_saveexec_b64 s[4:5], vcc
	s_cbranch_execz .LBB300_43
; %bb.40:
	flat_load_dwordx2 v[32:33], v[18:19] offset:512
	flat_load_dwordx2 v[34:35], v[22:23] offset:512
	;; [unrolled: 1-line block ×4, first 2 shown]
	v_add_u32_e32 v40, 0x60, v55
	v_cmp_gt_i32_e32 vcc, s8, v40
	s_waitcnt vmcnt(0) lgkmcnt(0)
	v_mul_f32_e32 v31, v11, v33
	v_mul_f32_e32 v33, v10, v33
	;; [unrolled: 1-line block ×6, first 2 shown]
	v_fma_f32 v39, v10, v32, -v31
	v_fmac_f32_e32 v33, v11, v32
	v_mul_f32_e32 v42, v15, v37
	v_mul_f32_e32 v37, v14, v37
	v_fma_f32 v32, v12, v34, -v41
	v_fmac_f32_e32 v35, v13, v34
	v_add_f32_e32 v4, v4, v39
	v_add_f32_e32 v5, v5, v33
	v_fma_f32 v34, v14, v36, -v42
	v_fmac_f32_e32 v37, v15, v36
	v_add_f32_e32 v4, v4, v32
	v_add_f32_e32 v5, v5, v35
	;; [unrolled: 4-line block ×3, first 2 shown]
	s_and_saveexec_b64 s[6:7], vcc
	s_cbranch_execz .LBB300_42
; %bb.41:
	flat_load_dwordx2 v[32:33], v[18:19] offset:768
	flat_load_dwordx2 v[34:35], v[22:23] offset:768
	;; [unrolled: 1-line block ×4, first 2 shown]
	s_waitcnt vmcnt(0) lgkmcnt(0)
	v_mul_f32_e32 v18, v11, v33
	v_mul_f32_e32 v19, v10, v33
	;; [unrolled: 1-line block ×4, first 2 shown]
	v_fma_f32 v10, v10, v32, -v18
	v_fmac_f32_e32 v19, v11, v32
	v_mul_f32_e32 v24, v15, v37
	v_mul_f32_e32 v25, v14, v37
	v_fma_f32 v11, v12, v34, -v22
	v_fmac_f32_e32 v23, v13, v34
	v_add_f32_e32 v0, v0, v10
	v_add_f32_e32 v1, v1, v19
	v_mul_f32_e32 v26, v17, v39
	v_mul_f32_e32 v27, v16, v39
	v_fma_f32 v12, v14, v36, -v24
	v_fmac_f32_e32 v25, v15, v36
	v_add_f32_e32 v0, v0, v11
	v_add_f32_e32 v1, v1, v23
	v_fma_f32 v13, v16, v38, -v26
	v_fmac_f32_e32 v27, v17, v38
	v_add_f32_e32 v0, v0, v12
	v_add_f32_e32 v1, v1, v25
	;; [unrolled: 1-line block ×4, first 2 shown]
.LBB300_42:
	s_or_b64 exec, exec, s[6:7]
	v_add_f32_e32 v4, v4, v31
	v_add_f32_e32 v5, v5, v30
.LBB300_43:
	s_or_b64 exec, exec, s[4:5]
	v_add_f32_e32 v6, v6, v29
	v_add_f32_e32 v7, v7, v28
.LBB300_44:
	s_or_b64 exec, exec, s[0:1]
	v_pk_add_f32 v[8:9], v[8:9], v[20:21]
.LBB300_45:
	s_or_b64 exec, exec, s[2:3]
.LBB300_46:
	v_lshlrev_b32_e32 v3, 7, v3
	s_movk_i32 s0, 0x80
	v_add_lshl_u32 v2, v3, v2, 3
	v_cmp_gt_u32_e32 vcc, s0, v54
	ds_write2_b64 v2, v[8:9], v[6:7] offset1:32
	ds_write2_b64 v2, v[4:5], v[0:1] offset0:64 offset1:96
	s_waitcnt lgkmcnt(0)
	s_barrier
	s_and_saveexec_b64 s[0:1], vcc
	s_cbranch_execz .LBB300_51
; %bb.47:
	v_lshlrev_b32_e32 v20, 3, v54
	ds_read2st64_b64 v[0:3], v20 offset1:2
	ds_read2st64_b64 v[4:7], v20 offset0:4 offset1:6
	s_waitcnt vmcnt(0)
	ds_read2st64_b64 v[8:11], v20 offset0:8 offset1:10
	ds_read2st64_b64 v[12:15], v20 offset0:12 offset1:14
	ds_read2st64_b64 v[16:19], v20 offset0:16 offset1:18
	s_waitcnt lgkmcnt(4)
	v_pk_add_f32 v[0:1], v[0:1], v[2:3]
	s_waitcnt lgkmcnt(3)
	v_pk_add_f32 v[0:1], v[0:1], v[4:5]
	s_nop 0
	v_pk_add_f32 v[0:1], v[0:1], v[6:7]
	s_waitcnt lgkmcnt(2)
	v_pk_add_f32 v[0:1], v[0:1], v[8:9]
	s_nop 0
	;; [unrolled: 4-line block ×3, first 2 shown]
	v_pk_add_f32 v[4:5], v[0:1], v[14:15]
	ds_read2st64_b64 v[0:3], v20 offset0:20 offset1:22
	s_waitcnt lgkmcnt(1)
	v_pk_add_f32 v[8:9], v[4:5], v[16:17]
	ds_read2st64_b64 v[4:7], v20 offset0:24 offset1:26
	v_pk_add_f32 v[12:13], v[8:9], v[18:19]
	ds_read2st64_b64 v[8:11], v20 offset0:28 offset1:30
	s_waitcnt lgkmcnt(2)
	v_pk_add_f32 v[0:1], v[12:13], v[0:1]
	s_nop 0
	v_pk_add_f32 v[0:1], v[0:1], v[2:3]
	s_waitcnt lgkmcnt(1)
	v_pk_add_f32 v[0:1], v[0:1], v[4:5]
	v_or_b32_e32 v4, s34, v54
	v_pk_add_f32 v[0:1], v[0:1], v[6:7]
	v_cmp_gt_i32_e32 vcc, s8, v4
	s_waitcnt lgkmcnt(0)
	v_pk_add_f32 v[0:1], v[0:1], v[8:9]
	s_nop 0
	v_pk_add_f32 v[2:3], v[0:1], v[10:11]
	ds_write_b64 v20, v[2:3]
	s_and_b64 exec, exec, vcc
	s_cbranch_execz .LBB300_51
; %bb.48:
	v_cmp_neq_f32_e64 s[0:1], s12, 0
	v_cmp_neq_f32_e64 s[2:3], s13, 0
	v_mul_lo_u32 v4, v4, s33
	v_pk_mul_f32 v[6:7], v[2:3], s[10:11] op_sel:[1,0]
	v_ashrrev_i32_e32 v5, 31, v4
	s_or_b64 s[0:1], s[0:1], s[2:3]
	v_pk_fma_f32 v[0:1], v[2:3], s[10:11], v[6:7] op_sel:[0,0,1] op_sel_hi:[0,1,0] neg_lo:[0,0,1] neg_hi:[0,0,1]
	v_pk_fma_f32 v[2:3], v[2:3], s[10:11], v[6:7] op_sel:[0,0,1] op_sel_hi:[0,1,0]
	s_andn2_b64 vcc, exec, s[0:1]
	v_lshl_add_u64 v[4:5], v[4:5], 3, s[14:15]
	s_cbranch_vccnz .LBB300_50
; %bb.49:
	global_load_dwordx2 v[6:7], v[4:5], off
	v_mov_b32_e32 v1, v3
	s_waitcnt vmcnt(0)
	v_pk_mul_f32 v[2:3], s[12:13], v[6:7] op_sel:[0,1]
	s_nop 0
	v_pk_fma_f32 v[8:9], s[12:13], v[6:7], v[2:3] op_sel:[0,0,1] op_sel_hi:[1,1,0] neg_lo:[0,0,1] neg_hi:[0,0,1]
	v_pk_fma_f32 v[2:3], s[12:13], v[6:7], v[2:3] op_sel:[0,0,1] op_sel_hi:[1,0,0]
	s_nop 0
	v_mov_b32_e32 v9, v3
	v_pk_add_f32 v[0:1], v[0:1], v[8:9]
	s_nop 0
	v_mov_b32_e32 v3, v1
.LBB300_50:
	v_mov_b32_e32 v1, v3
	global_store_dwordx2 v[4:5], v[0:1], off
.LBB300_51:
	s_endpgm
	.section	.rodata,"a",@progbits
	.p2align	6, 0x0
	.amdhsa_kernel _ZL20rocblas_gemvn_kernelILi32ELi16EiPK19rocblas_complex_numIfES1_KPS1_EviiT3_lPKT2_lT1_lS9_lSA_lS6_lPT4_lSA_li
		.amdhsa_group_segment_fixed_size 16384
		.amdhsa_private_segment_fixed_size 0
		.amdhsa_kernarg_size 400
		.amdhsa_user_sgpr_count 2
		.amdhsa_user_sgpr_dispatch_ptr 0
		.amdhsa_user_sgpr_queue_ptr 0
		.amdhsa_user_sgpr_kernarg_segment_ptr 1
		.amdhsa_user_sgpr_dispatch_id 0
		.amdhsa_user_sgpr_kernarg_preload_length 0
		.amdhsa_user_sgpr_kernarg_preload_offset 0
		.amdhsa_user_sgpr_private_segment_size 0
		.amdhsa_uses_dynamic_stack 0
		.amdhsa_enable_private_segment 0
		.amdhsa_system_sgpr_workgroup_id_x 1
		.amdhsa_system_sgpr_workgroup_id_y 0
		.amdhsa_system_sgpr_workgroup_id_z 1
		.amdhsa_system_sgpr_workgroup_info 0
		.amdhsa_system_vgpr_workitem_id 1
		.amdhsa_next_free_vgpr 70
		.amdhsa_next_free_sgpr 40
		.amdhsa_accum_offset 72
		.amdhsa_reserve_vcc 1
		.amdhsa_float_round_mode_32 0
		.amdhsa_float_round_mode_16_64 0
		.amdhsa_float_denorm_mode_32 3
		.amdhsa_float_denorm_mode_16_64 3
		.amdhsa_dx10_clamp 1
		.amdhsa_ieee_mode 1
		.amdhsa_fp16_overflow 0
		.amdhsa_tg_split 0
		.amdhsa_exception_fp_ieee_invalid_op 0
		.amdhsa_exception_fp_denorm_src 0
		.amdhsa_exception_fp_ieee_div_zero 0
		.amdhsa_exception_fp_ieee_overflow 0
		.amdhsa_exception_fp_ieee_underflow 0
		.amdhsa_exception_fp_ieee_inexact 0
		.amdhsa_exception_int_div_zero 0
	.end_amdhsa_kernel
	.section	.text._ZL20rocblas_gemvn_kernelILi32ELi16EiPK19rocblas_complex_numIfES1_KPS1_EviiT3_lPKT2_lT1_lS9_lSA_lS6_lPT4_lSA_li,"axG",@progbits,_ZL20rocblas_gemvn_kernelILi32ELi16EiPK19rocblas_complex_numIfES1_KPS1_EviiT3_lPKT2_lT1_lS9_lSA_lS6_lPT4_lSA_li,comdat
.Lfunc_end300:
	.size	_ZL20rocblas_gemvn_kernelILi32ELi16EiPK19rocblas_complex_numIfES1_KPS1_EviiT3_lPKT2_lT1_lS9_lSA_lS6_lPT4_lSA_li, .Lfunc_end300-_ZL20rocblas_gemvn_kernelILi32ELi16EiPK19rocblas_complex_numIfES1_KPS1_EviiT3_lPKT2_lT1_lS9_lSA_lS6_lPT4_lSA_li
                                        ; -- End function
	.section	.AMDGPU.csdata,"",@progbits
; Kernel info:
; codeLenInByte = 3360
; NumSgprs: 46
; NumVgprs: 70
; NumAgprs: 0
; TotalNumVgprs: 70
; ScratchSize: 0
; MemoryBound: 0
; FloatMode: 240
; IeeeMode: 1
; LDSByteSize: 16384 bytes/workgroup (compile time only)
; SGPRBlocks: 5
; VGPRBlocks: 8
; NumSGPRsForWavesPerEU: 46
; NumVGPRsForWavesPerEU: 70
; AccumOffset: 72
; Occupancy: 7
; WaveLimiterHint : 1
; COMPUTE_PGM_RSRC2:SCRATCH_EN: 0
; COMPUTE_PGM_RSRC2:USER_SGPR: 2
; COMPUTE_PGM_RSRC2:TRAP_HANDLER: 0
; COMPUTE_PGM_RSRC2:TGID_X_EN: 1
; COMPUTE_PGM_RSRC2:TGID_Y_EN: 0
; COMPUTE_PGM_RSRC2:TGID_Z_EN: 1
; COMPUTE_PGM_RSRC2:TIDIG_COMP_CNT: 1
; COMPUTE_PGM_RSRC3_GFX90A:ACCUM_OFFSET: 17
; COMPUTE_PGM_RSRC3_GFX90A:TG_SPLIT: 0
	.section	.text._ZL20rocblas_gemvn_kernelILi32ELi16ElPK19rocblas_complex_numIfES1_KPS1_EviiT3_lPKT2_lT1_lS9_lSA_lS6_lPT4_lSA_li,"axG",@progbits,_ZL20rocblas_gemvn_kernelILi32ELi16ElPK19rocblas_complex_numIfES1_KPS1_EviiT3_lPKT2_lT1_lS9_lSA_lS6_lPT4_lSA_li,comdat
	.globl	_ZL20rocblas_gemvn_kernelILi32ELi16ElPK19rocblas_complex_numIfES1_KPS1_EviiT3_lPKT2_lT1_lS9_lSA_lS6_lPT4_lSA_li ; -- Begin function _ZL20rocblas_gemvn_kernelILi32ELi16ElPK19rocblas_complex_numIfES1_KPS1_EviiT3_lPKT2_lT1_lS9_lSA_lS6_lPT4_lSA_li
	.p2align	8
	.type	_ZL20rocblas_gemvn_kernelILi32ELi16ElPK19rocblas_complex_numIfES1_KPS1_EviiT3_lPKT2_lT1_lS9_lSA_lS6_lPT4_lSA_li,@function
_ZL20rocblas_gemvn_kernelILi32ELi16ElPK19rocblas_complex_numIfES1_KPS1_EviiT3_lPKT2_lT1_lS9_lSA_lS6_lPT4_lSA_li: ; @_ZL20rocblas_gemvn_kernelILi32ELi16ElPK19rocblas_complex_numIfES1_KPS1_EviiT3_lPKT2_lT1_lS9_lSA_lS6_lPT4_lSA_li
; %bb.0:
	s_load_dwordx2 s[4:5], s[0:1], 0x9c
	s_mov_b32 s16, s3
	s_waitcnt lgkmcnt(0)
	s_and_b32 s3, s5, 0xffff
	s_lshr_b32 s5, s4, 16
	s_and_b32 s4, s4, 0xffff
	s_mul_i32 s4, s5, s4
	s_mul_i32 s4, s4, s3
	s_cmpk_lg_i32 s4, 0x200
	s_cbranch_scc1 .LBB301_51
; %bb.1:
	s_load_dwordx4 s[8:11], s[0:1], 0x0
	s_load_dwordx2 s[12:13], s[0:1], 0x58
	s_waitcnt lgkmcnt(0)
	v_cmp_eq_f32_e64 s[4:5], s10, 0
	v_cmp_eq_f32_e64 s[6:7], s11, 0
	v_cmp_eq_f32_e64 s[14:15], s12, 1.0
	v_cmp_eq_f32_e64 s[18:19], s13, 0
	s_and_b64 s[4:5], s[4:5], s[6:7]
	s_and_b64 s[6:7], s[14:15], s[18:19]
	;; [unrolled: 1-line block ×3, first 2 shown]
	s_and_b64 vcc, exec, s[4:5]
	s_cbranch_vccnz .LBB301_51
; %bb.2:
	s_load_dwordx4 s[4:7], s[0:1], 0x18
	s_load_dwordx2 s[18:19], s[0:1], 0x28
	s_or_b32 s3, s10, s11
	s_bitset0_b32 s3, 31
	s_cmp_lg_u32 s3, 0
	s_cselect_b64 s[14:15], -1, 0
	s_cmp_eq_u32 s3, 0
	s_cselect_b64 s[26:27], -1, 0
	s_and_b64 vcc, exec, s[14:15]
	s_cbranch_vccnz .LBB301_4
; %bb.3:
	s_mov_b32 s17, 0
	s_mov_b64 s[20:21], 0
	s_cbranch_execz .LBB301_5
	s_branch .LBB301_6
.LBB301_4:
                                        ; implicit-def: $sgpr20_sgpr21
.LBB301_5:
	s_mov_b32 s17, 0
	s_lshl_b64 s[20:21], s[16:17], 3
	s_waitcnt lgkmcnt(0)
	s_add_u32 s4, s4, s20
	s_addc_u32 s5, s5, s21
	s_load_dwordx2 s[4:5], s[4:5], 0x0
	s_lshl_b64 s[6:7], s[6:7], 3
	s_waitcnt lgkmcnt(0)
	s_add_u32 s20, s4, s6
	s_addc_u32 s21, s5, s7
.LBB301_6:
	s_waitcnt lgkmcnt(0)
	s_load_dwordx4 s[4:7], s[0:1], 0x38
	s_load_dwordx2 s[22:23], s[0:1], 0x48
	s_andn2_b64 vcc, exec, s[14:15]
	s_mov_b64 s[24:25], 0
	s_cbranch_vccnz .LBB301_8
; %bb.7:
	s_lshl_b64 s[14:15], s[16:17], 3
	s_waitcnt lgkmcnt(0)
	s_add_u32 s4, s4, s14
	s_addc_u32 s5, s5, s15
	s_load_dwordx2 s[4:5], s[4:5], 0x0
	s_lshl_b64 s[6:7], s[6:7], 3
	s_waitcnt lgkmcnt(0)
	s_add_u32 s24, s4, s6
	s_addc_u32 s25, s5, s7
.LBB301_8:
	s_waitcnt lgkmcnt(0)
	s_load_dwordx4 s[4:7], s[0:1], 0x68
	s_load_dwordx2 s[14:15], s[0:1], 0x78
	s_lshl_b64 s[0:1], s[16:17], 3
	v_and_b32_e32 v63, 0x3ff, v0
	v_bfe_u32 v64, v0, 10, 10
	s_waitcnt lgkmcnt(0)
	s_add_u32 s0, s4, s0
	s_addc_u32 s1, s5, s1
	s_load_dwordx2 s[0:1], s[0:1], 0x0
	s_lshl_b64 s[4:5], s[6:7], 3
	v_lshl_add_u32 v62, v64, 5, v63
	s_waitcnt lgkmcnt(0)
	s_add_u32 s16, s0, s4
	s_addc_u32 s17, s1, s5
	s_andn2_b64 vcc, exec, s[26:27]
	s_mov_b64 s[0:1], -1
	s_cbranch_vccnz .LBB301_15
; %bb.9:
	s_movk_i32 s0, 0x80
	v_cmp_gt_u32_e32 vcc, s0, v62
	s_and_saveexec_b64 s[0:1], vcc
	s_cbranch_execz .LBB301_14
; %bb.10:
	v_lshl_or_b32 v0, s2, 7, v62
	v_mov_b32_e32 v1, 0
	s_ashr_i32 s5, s8, 31
	s_mov_b32 s4, s8
	v_cmp_gt_i64_e32 vcc, s[4:5], v[0:1]
	s_and_b64 exec, exec, vcc
	s_cbranch_execz .LBB301_14
; %bb.11:
	v_mad_u64_u32 v[2:3], s[26:27], v0, s14, 0
	v_mov_b32_e32 v4, v3
	v_cmp_neq_f32_e64 s[4:5], s12, 0
	v_cmp_neq_f32_e64 s[6:7], s13, 0
	v_mad_u64_u32 v[4:5], s[26:27], v0, s15, v[4:5]
	v_mov_b32_e32 v3, v4
	s_or_b64 s[4:5], s[4:5], s[6:7]
	s_andn2_b64 vcc, exec, s[4:5]
	v_lshl_add_u64 v[2:3], v[2:3], 3, s[16:17]
	v_mov_b32_e32 v5, v1
	s_cbranch_vccnz .LBB301_13
; %bb.12:
	global_load_dwordx2 v[0:1], v[2:3], off
	s_waitcnt vmcnt(0)
	v_pk_mul_f32 v[4:5], s[12:13], v[0:1] op_sel:[0,1]
	s_nop 0
	v_pk_fma_f32 v[6:7], s[12:13], v[0:1], v[4:5] op_sel:[0,0,1] op_sel_hi:[1,1,0] neg_lo:[0,0,1] neg_hi:[0,0,1]
	v_pk_fma_f32 v[4:5], s[12:13], v[0:1], v[4:5] op_sel:[0,0,1] op_sel_hi:[1,0,0]
	v_mov_b32_e32 v1, v6
.LBB301_13:
	v_mov_b32_e32 v4, v1
	global_store_dwordx2 v[2:3], v[4:5], off
.LBB301_14:
	s_or_b64 exec, exec, s[0:1]
	s_mov_b64 s[0:1], 0
.LBB301_15:
	s_andn2_b64 vcc, exec, s[0:1]
	s_cbranch_vccnz .LBB301_51
; %bb.16:
	s_ashr_i32 s0, s9, 31
	s_lshr_b32 s0, s0, 26
	s_add_i32 s44, s9, s0
	s_mov_b32 s6, 0
	s_lshl_b32 s33, s2, 7
	s_andn2_b32 s44, s44, 63
	v_lshlrev_b32_e32 v65, 2, v64
	s_mov_b32 s7, s6
	v_add_u32_e32 v4, s33, v63
	v_cmp_gt_i32_e32 vcc, s44, v65
	v_mov_b64_e32 v[8:9], s[6:7]
	v_mov_b32_e32 v1, 0
	v_mov_b32_e32 v0, 0
	;; [unrolled: 1-line block ×6, first 2 shown]
	s_and_saveexec_b64 s[26:27], vcc
	s_cbranch_execz .LBB301_28
; %bb.17:
	v_ashrrev_i32_e32 v5, 31, v4
	v_add_u32_e32 v0, 32, v4
	v_cmp_gt_i32_e64 s[0:1], s8, v0
	v_add_u32_e32 v0, 64, v4
	v_lshl_add_u64 v[10:11], v[4:5], 3, s[20:21]
	v_lshlrev_b32_e32 v5, 2, v64
	v_cmp_gt_i32_e64 s[2:3], s8, v0
	v_add_u32_e32 v0, 0x60, v4
	v_or_b32_e32 v3, 3, v5
	v_cmp_gt_i32_e64 s[4:5], s8, v0
	v_mad_u64_u32 v[0:1], s[28:29], s18, v3, 0
	v_mov_b32_e32 v2, v1
	v_mad_u64_u32 v[2:3], s[28:29], s19, v3, v[2:3]
	v_mov_b32_e32 v1, v2
	v_lshlrev_b64 v[12:13], 3, v[0:1]
	v_mad_u64_u32 v[0:1], s[30:31], s22, v64, 0
	v_mov_b32_e32 v2, v1
	v_mad_u64_u32 v[2:3], s[30:31], s23, v64, v[2:3]
	v_mov_b32_e32 v1, v2
	v_lshlrev_b64 v[0:1], 5, v[0:1]
	v_lshl_add_u64 v[14:15], s[24:25], 0, v[0:1]
	v_mad_u64_u32 v[0:1], s[34:35], s18, v64, 0
	v_mov_b32_e32 v2, v1
	v_mad_u64_u32 v[2:3], s[34:35], s19, v64, v[2:3]
	v_mov_b32_e32 v1, v2
	v_lshlrev_b64 v[16:17], 5, v[0:1]
	v_mov_b64_e32 v[0:1], s[18:19]
	v_mad_u64_u32 v[0:1], s[34:35], s18, v5, v[0:1]
	v_mov_b32_e32 v2, v1
	v_mad_u64_u32 v[2:3], s[34:35], s19, v5, v[2:3]
	v_mov_b32_e32 v1, v2
	v_or_b32_e32 v3, 2, v5
	v_lshlrev_b64 v[18:19], 3, v[0:1]
	v_mad_u64_u32 v[0:1], s[34:35], s18, v3, 0
	v_mov_b32_e32 v2, v1
	v_mad_u64_u32 v[2:3], s[34:35], s19, v3, v[2:3]
	v_mov_b32_e32 v1, v2
	v_lshlrev_b64 v[20:21], 3, v[0:1]
	v_mov_b32_e32 v1, 0
	v_cmp_gt_i32_e32 vcc, s8, v4
	s_lshl_b64 s[28:29], s[18:19], 9
	s_lshl_b64 s[30:31], s[22:23], 9
	;; [unrolled: 1-line block ×3, first 2 shown]
	s_mov_b64 s[34:35], 0
	v_mov_b64_e32 v[8:9], s[6:7]
	v_mov_b32_e32 v0, v1
	v_mov_b32_e32 v3, v1
	;; [unrolled: 1-line block ×5, first 2 shown]
	s_branch .LBB301_22
.LBB301_18:                             ;   in Loop: Header=BB301_22 Depth=1
	s_or_b64 exec, exec, s[42:43]
	s_waitcnt vmcnt(0) lgkmcnt(0)
	v_mul_f32_e32 v5, v33, v53
	v_fma_f32 v5, v32, v52, -v5
	v_add_f32_e32 v2, v2, v5
	v_mul_f32_e32 v5, v29, v51
	v_mul_f32_e32 v53, v32, v53
	v_fma_f32 v5, v28, v50, -v5
	v_fmac_f32_e32 v53, v33, v52
	v_mul_f32_e32 v51, v28, v51
	v_add_f32_e32 v2, v2, v5
	v_mul_f32_e32 v5, v25, v49
	v_add_f32_e32 v3, v3, v53
	v_fmac_f32_e32 v51, v29, v50
	v_fma_f32 v5, v24, v48, -v5
	v_mul_f32_e32 v49, v24, v49
	v_add_f32_e32 v3, v3, v51
	v_fmac_f32_e32 v49, v25, v48
	v_add_f32_e32 v2, v2, v5
	v_mul_f32_e32 v5, v23, v47
	v_mul_f32_e32 v47, v22, v47
	v_add_f32_e32 v3, v3, v49
	v_fma_f32 v5, v22, v46, -v5
	v_fmac_f32_e32 v47, v23, v46
	v_add_f32_e32 v2, v2, v5
	v_add_f32_e32 v3, v3, v47
.LBB301_19:                             ;   in Loop: Header=BB301_22 Depth=1
	s_or_b64 exec, exec, s[40:41]
	s_waitcnt vmcnt(0) lgkmcnt(0)
	v_mul_f32_e32 v5, v33, v45
	v_mul_f32_e32 v45, v32, v45
	v_fma_f32 v5, v32, v44, -v5
	v_fmac_f32_e32 v45, v33, v44
	v_add_f32_e32 v5, v6, v5
	v_add_f32_e32 v6, v7, v45
	v_mul_f32_e32 v7, v29, v43
	v_fma_f32 v7, v28, v42, -v7
	v_mul_f32_e32 v43, v28, v43
	v_fmac_f32_e32 v43, v29, v42
	v_add_f32_e32 v5, v5, v7
	v_mul_f32_e32 v7, v25, v41
	v_mul_f32_e32 v41, v24, v41
	v_add_f32_e32 v6, v6, v43
	v_fma_f32 v7, v24, v40, -v7
	v_fmac_f32_e32 v41, v25, v40
	v_add_f32_e32 v5, v5, v7
	v_add_f32_e32 v7, v6, v41
	v_mul_f32_e32 v6, v23, v39
	v_mul_f32_e32 v39, v22, v39
	v_fma_f32 v6, v22, v38, -v6
	v_fmac_f32_e32 v39, v23, v38
	v_add_f32_e32 v6, v5, v6
	v_add_f32_e32 v7, v7, v39
.LBB301_20:                             ;   in Loop: Header=BB301_22 Depth=1
	s_or_b64 exec, exec, s[38:39]
	s_waitcnt vmcnt(0) lgkmcnt(0)
	v_mul_f32_e32 v5, v33, v37
	v_mul_f32_e32 v39, v32, v37
	v_fma_f32 v38, v32, v36, -v5
	v_fmac_f32_e32 v39, v33, v36
	v_mul_f32_e32 v5, v29, v35
	v_mul_f32_e32 v33, v28, v35
	v_fma_f32 v32, v28, v34, -v5
	v_fmac_f32_e32 v33, v29, v34
	v_pk_add_f32 v[8:9], v[8:9], v[38:39]
	v_mov_b32_e32 v28, v25
	v_mov_b32_e32 v29, v24
	v_pk_add_f32 v[8:9], v[8:9], v[32:33]
	v_mov_b32_e32 v24, v31
	v_pk_mul_f32 v[32:33], v[28:29], v[30:31] op_sel_hi:[1,0]
	s_nop 0
	v_pk_fma_f32 v[24:25], v[28:29], v[24:25], v[32:33] op_sel:[0,0,1] op_sel_hi:[1,1,0] neg_lo:[1,0,0] neg_hi:[1,0,0]
	v_pk_fma_f32 v[28:29], v[28:29], v[30:31], v[32:33] op_sel:[0,1,1] op_sel_hi:[1,1,0]
	s_nop 0
	v_mov_b32_e32 v25, v29
	v_pk_add_f32 v[8:9], v[8:9], v[24:25]
	v_pk_mul_f32 v[24:25], v[22:23], v[26:27] op_sel:[0,1]
	s_nop 0
	v_pk_fma_f32 v[28:29], v[22:23], v[26:27], v[24:25] op_sel:[0,0,1] op_sel_hi:[1,1,0] neg_lo:[0,0,1] neg_hi:[0,0,1]
	v_pk_fma_f32 v[22:23], v[22:23], v[26:27], v[24:25] op_sel:[0,0,1] op_sel_hi:[1,0,0]
	s_nop 0
	v_mov_b32_e32 v29, v23
	v_pk_add_f32 v[8:9], v[8:9], v[28:29]
.LBB301_21:                             ;   in Loop: Header=BB301_22 Depth=1
	s_or_b64 exec, exec, s[6:7]
	v_add_u32_e32 v65, 64, v65
	v_cmp_le_i32_e64 s[6:7], s44, v65
	v_lshl_add_u64 v[10:11], v[10:11], 0, s[28:29]
	s_or_b64 s[34:35], s[6:7], s[34:35]
	v_lshl_add_u64 v[14:15], v[14:15], 0, s[30:31]
	s_andn2_b64 exec, exec, s[34:35]
	s_cbranch_execz .LBB301_27
.LBB301_22:                             ; =>This Inner Loop Header: Depth=1
	s_and_saveexec_b64 s[6:7], vcc
	s_cbranch_execz .LBB301_21
; %bb.23:                               ;   in Loop: Header=BB301_22 Depth=1
	v_lshl_add_u64 v[22:23], v[14:15], 0, s[36:37]
	v_lshl_add_u64 v[26:27], v[22:23], 0, s[36:37]
	flat_load_dwordx2 v[28:29], v[22:23]
	flat_load_dwordx2 v[24:25], v[26:27]
	v_lshl_add_u64 v[26:27], v[26:27], 0, s[36:37]
	v_lshl_add_u64 v[54:55], v[10:11], 0, v[16:17]
	flat_load_dwordx2 v[32:33], v[14:15]
	flat_load_dwordx2 v[22:23], v[26:27]
	v_lshl_add_u64 v[56:57], v[10:11], 0, v[18:19]
	v_lshl_add_u64 v[58:59], v[10:11], 0, v[20:21]
	;; [unrolled: 1-line block ×3, first 2 shown]
	flat_load_dwordx2 v[36:37], v[54:55]
	flat_load_dwordx2 v[34:35], v[56:57]
	;; [unrolled: 1-line block ×4, first 2 shown]
	s_and_saveexec_b64 s[38:39], s[0:1]
	s_cbranch_execz .LBB301_20
; %bb.24:                               ;   in Loop: Header=BB301_22 Depth=1
	flat_load_dwordx2 v[44:45], v[54:55] offset:256
	flat_load_dwordx2 v[42:43], v[56:57] offset:256
	flat_load_dwordx2 v[40:41], v[58:59] offset:256
	flat_load_dwordx2 v[38:39], v[60:61] offset:256
	s_and_saveexec_b64 s[40:41], s[2:3]
	s_cbranch_execz .LBB301_19
; %bb.25:                               ;   in Loop: Header=BB301_22 Depth=1
	flat_load_dwordx2 v[52:53], v[54:55] offset:512
	flat_load_dwordx2 v[50:51], v[56:57] offset:512
	flat_load_dwordx2 v[48:49], v[58:59] offset:512
	flat_load_dwordx2 v[46:47], v[60:61] offset:512
	;; [unrolled: 7-line block ×3, first 2 shown]
	s_waitcnt vmcnt(0) lgkmcnt(0)
	v_mul_f32_e32 v5, v33, v67
	v_mul_f32_e32 v54, v32, v67
	v_mul_f32_e32 v55, v29, v69
	v_mul_f32_e32 v56, v28, v69
	v_fma_f32 v5, v32, v66, -v5
	v_fmac_f32_e32 v54, v33, v66
	v_mul_f32_e32 v57, v25, v71
	v_mul_f32_e32 v58, v24, v71
	v_fma_f32 v55, v28, v68, -v55
	v_fmac_f32_e32 v56, v29, v68
	v_add_f32_e32 v0, v0, v5
	v_add_f32_e32 v1, v1, v54
	v_mul_f32_e32 v59, v23, v73
	v_mul_f32_e32 v60, v22, v73
	v_fma_f32 v57, v24, v70, -v57
	v_fmac_f32_e32 v58, v25, v70
	v_add_f32_e32 v0, v0, v55
	v_add_f32_e32 v1, v1, v56
	v_fma_f32 v59, v22, v72, -v59
	v_fmac_f32_e32 v60, v23, v72
	v_add_f32_e32 v0, v0, v57
	v_add_f32_e32 v1, v1, v58
	;; [unrolled: 1-line block ×4, first 2 shown]
	s_branch .LBB301_18
.LBB301_27:
	s_or_b64 exec, exec, s[34:35]
.LBB301_28:
	s_or_b64 exec, exec, s[26:27]
	s_sub_i32 s0, s9, s44
	s_cmp_lt_i32 s0, 1
	s_cbranch_scc1 .LBB301_46
; %bb.29:
	v_cmp_gt_i32_e32 vcc, s9, v65
	v_mov_b32_e32 v10, 0
	v_or_b32_e32 v20, 1, v65
	v_mov_b32_e32 v11, 0
	v_mov_b32_e32 v12, 0
	;; [unrolled: 1-line block ×7, first 2 shown]
	s_and_saveexec_b64 s[2:3], vcc
	s_cbranch_execz .LBB301_37
; %bb.30:
	v_mad_u64_u32 v[10:11], s[0:1], v65, s22, 0
	v_mov_b32_e32 v12, v11
	v_mad_u64_u32 v[12:13], s[0:1], v65, s23, v[12:13]
	v_mov_b32_e32 v11, v12
	v_lshl_add_u64 v[10:11], v[10:11], 3, s[24:25]
	flat_load_dwordx2 v[10:11], v[10:11]
	v_cmp_gt_i32_e64 s[0:1], s9, v20
	v_mov_b32_e32 v17, 0
	v_mov_b32_e32 v16, 0
	;; [unrolled: 1-line block ×6, first 2 shown]
	s_and_saveexec_b64 s[4:5], s[0:1]
	s_cbranch_execz .LBB301_36
; %bb.31:
	v_mad_u64_u32 v[12:13], s[0:1], v20, s22, 0
	v_mov_b32_e32 v14, v13
	v_mad_u64_u32 v[14:15], s[0:1], v20, s23, v[14:15]
	v_mov_b32_e32 v13, v14
	v_lshl_add_u64 v[12:13], v[12:13], 3, s[24:25]
	flat_load_dwordx2 v[12:13], v[12:13]
	v_or_b32_e32 v5, 2, v65
	v_cmp_gt_i32_e64 s[0:1], s9, v5
	v_mov_b32_e32 v17, 0
	v_mov_b32_e32 v16, 0
	;; [unrolled: 1-line block ×4, first 2 shown]
	s_and_saveexec_b64 s[6:7], s[0:1]
	s_cbranch_execz .LBB301_35
; %bb.32:
	v_mad_u64_u32 v[14:15], s[0:1], v5, s22, 0
	v_mov_b32_e32 v16, v15
	v_mad_u64_u32 v[16:17], s[0:1], v5, s23, v[16:17]
	v_mov_b32_e32 v15, v16
	v_lshl_add_u64 v[14:15], v[14:15], 3, s[24:25]
	flat_load_dwordx2 v[14:15], v[14:15]
	v_or_b32_e32 v5, 3, v65
	v_cmp_gt_i32_e64 s[0:1], s9, v5
	v_mov_b32_e32 v17, 0
	v_mov_b32_e32 v16, 0
	s_and_saveexec_b64 s[26:27], s[0:1]
	s_cbranch_execz .LBB301_34
; %bb.33:
	v_mad_u64_u32 v[16:17], s[0:1], v5, s22, 0
	v_mov_b32_e32 v18, v17
	v_mad_u64_u32 v[18:19], s[0:1], v5, s23, v[18:19]
	v_mov_b32_e32 v17, v18
	v_lshl_add_u64 v[16:17], v[16:17], 3, s[24:25]
	flat_load_dwordx2 v[16:17], v[16:17]
.LBB301_34:
	s_or_b64 exec, exec, s[26:27]
.LBB301_35:
	s_or_b64 exec, exec, s[6:7]
.LBB301_36:
	s_or_b64 exec, exec, s[4:5]
.LBB301_37:
	s_or_b64 exec, exec, s[2:3]
	v_cmp_gt_i32_e64 s[0:1], s8, v4
	s_and_saveexec_b64 s[2:3], s[0:1]
	s_cbranch_execz .LBB301_45
; %bb.38:
	v_mad_u64_u32 v[18:19], s[0:1], v65, s18, 0
	v_mov_b32_e32 v22, v19
	v_ashrrev_i32_e32 v5, 31, v4
	v_mad_u64_u32 v[22:23], s[0:1], v65, s19, v[22:23]
	v_mad_u64_u32 v[24:25], s[0:1], v20, s18, 0
	v_cndmask_b32_e32 v18, 0, v18, vcc
	v_cndmask_b32_e32 v19, 0, v22, vcc
	v_lshlrev_b64 v[22:23], 3, v[4:5]
	v_mov_b32_e32 v26, v25
	v_cmp_gt_i32_e32 vcc, s9, v20
	v_or_b32_e32 v5, 2, v65
	v_mad_u64_u32 v[26:27], s[0:1], v20, s19, v[26:27]
	v_cndmask_b32_e32 v20, 0, v24, vcc
	v_mad_u64_u32 v[24:25], s[0:1], v5, s18, 0
	v_cndmask_b32_e32 v21, 0, v26, vcc
	v_mov_b32_e32 v26, v25
	v_mad_u64_u32 v[26:27], s[0:1], v5, s19, v[26:27]
	v_cmp_gt_i32_e32 vcc, s9, v5
	v_or_b32_e32 v5, 3, v65
	v_lshl_add_u64 v[18:19], v[18:19], 3, s[20:21]
	v_cndmask_b32_e32 v25, 0, v26, vcc
	v_mad_u64_u32 v[26:27], s[0:1], v5, s18, 0
	v_mov_b32_e32 v32, v27
	v_lshl_add_u64 v[18:19], v[18:19], 0, v[22:23]
	v_lshl_add_u64 v[20:21], v[20:21], 3, s[20:21]
	v_cndmask_b32_e32 v24, 0, v24, vcc
	v_mad_u64_u32 v[32:33], s[0:1], v5, s19, v[32:33]
	v_cmp_gt_i32_e32 vcc, s9, v5
	v_lshl_add_u64 v[20:21], v[20:21], 0, v[22:23]
	flat_load_dwordx2 v[28:29], v[18:19]
	flat_load_dwordx2 v[30:31], v[20:21]
	v_lshl_add_u64 v[24:25], v[24:25], 3, s[20:21]
	v_cndmask_b32_e32 v26, 0, v26, vcc
	v_cndmask_b32_e32 v27, 0, v32, vcc
	v_lshl_add_u64 v[24:25], v[24:25], 0, v[22:23]
	v_lshl_add_u64 v[26:27], v[26:27], 3, s[20:21]
	;; [unrolled: 1-line block ×3, first 2 shown]
	flat_load_dwordx2 v[22:23], v[24:25]
	flat_load_dwordx2 v[32:33], v[26:27]
	v_add_u32_e32 v5, 32, v4
	v_cmp_gt_i32_e32 vcc, s8, v5
	s_waitcnt vmcnt(0) lgkmcnt(0)
	v_pk_mul_f32 v[34:35], v[10:11], v[28:29] op_sel:[0,1]
	v_pk_mul_f32 v[36:37], v[12:13], v[30:31] op_sel:[0,1]
	v_pk_fma_f32 v[38:39], v[10:11], v[28:29], v[34:35] op_sel:[0,0,1] op_sel_hi:[1,1,0] neg_lo:[0,0,1] neg_hi:[0,0,1]
	v_pk_fma_f32 v[28:29], v[10:11], v[28:29], v[34:35] op_sel:[0,0,1] op_sel_hi:[1,0,0]
	v_pk_fma_f32 v[34:35], v[12:13], v[30:31], v[36:37] op_sel:[0,0,1] op_sel_hi:[1,1,0] neg_lo:[0,0,1] neg_hi:[0,0,1]
	v_pk_fma_f32 v[30:31], v[12:13], v[30:31], v[36:37] op_sel:[0,0,1] op_sel_hi:[1,0,0]
	v_mov_b32_e32 v39, v29
	v_pk_mul_f32 v[36:37], v[14:15], v[22:23] op_sel:[0,1]
	v_pk_mul_f32 v[40:41], v[16:17], v[32:33] op_sel:[0,1]
	v_mov_b32_e32 v35, v31
	v_pk_fma_f32 v[28:29], v[14:15], v[22:23], v[36:37] op_sel:[0,0,1] op_sel_hi:[1,1,0] neg_lo:[0,0,1] neg_hi:[0,0,1]
	v_pk_fma_f32 v[30:31], v[14:15], v[22:23], v[36:37] op_sel:[0,0,1] op_sel_hi:[1,0,0]
	v_pk_add_f32 v[8:9], v[8:9], v[38:39]
	v_pk_fma_f32 v[22:23], v[16:17], v[32:33], v[40:41] op_sel:[0,0,1] op_sel_hi:[1,1,0] neg_lo:[0,0,1] neg_hi:[0,0,1]
	v_pk_fma_f32 v[32:33], v[16:17], v[32:33], v[40:41] op_sel:[0,0,1] op_sel_hi:[1,0,0]
	v_mov_b32_e32 v29, v31
	v_pk_add_f32 v[8:9], v[8:9], v[34:35]
	v_mov_b32_e32 v23, v33
	v_pk_add_f32 v[8:9], v[8:9], v[28:29]
	s_and_saveexec_b64 s[0:1], vcc
	s_cbranch_execz .LBB301_44
; %bb.39:
	flat_load_dwordx2 v[28:29], v[18:19] offset:256
	flat_load_dwordx2 v[30:31], v[20:21] offset:256
	;; [unrolled: 1-line block ×4, first 2 shown]
	v_add_u32_e32 v36, 64, v4
	v_cmp_gt_i32_e32 vcc, s8, v36
	s_waitcnt vmcnt(0) lgkmcnt(0)
	v_mul_f32_e32 v37, v11, v29
	v_mul_f32_e32 v29, v10, v29
	;; [unrolled: 1-line block ×6, first 2 shown]
	v_fma_f32 v35, v10, v28, -v37
	v_fmac_f32_e32 v29, v11, v28
	v_mul_f32_e32 v39, v15, v33
	v_mul_f32_e32 v33, v14, v33
	v_fma_f32 v37, v12, v30, -v38
	v_fmac_f32_e32 v31, v13, v30
	v_add_f32_e32 v6, v6, v35
	v_add_f32_e32 v7, v7, v29
	v_fma_f32 v30, v14, v32, -v39
	v_fmac_f32_e32 v33, v15, v32
	v_add_f32_e32 v6, v6, v37
	v_add_f32_e32 v7, v7, v31
	;; [unrolled: 4-line block ×3, first 2 shown]
	s_and_saveexec_b64 s[4:5], vcc
	s_cbranch_execz .LBB301_43
; %bb.40:
	flat_load_dwordx2 v[30:31], v[18:19] offset:512
	flat_load_dwordx2 v[32:33], v[20:21] offset:512
	;; [unrolled: 1-line block ×4, first 2 shown]
	v_add_u32_e32 v38, 0x60, v4
	v_cmp_gt_i32_e32 vcc, s8, v38
	s_waitcnt vmcnt(0) lgkmcnt(0)
	v_mul_f32_e32 v29, v11, v31
	v_mul_f32_e32 v31, v10, v31
	;; [unrolled: 1-line block ×6, first 2 shown]
	v_fma_f32 v37, v10, v30, -v29
	v_fmac_f32_e32 v31, v11, v30
	v_mul_f32_e32 v40, v15, v35
	v_mul_f32_e32 v35, v14, v35
	v_fma_f32 v30, v12, v32, -v39
	v_fmac_f32_e32 v33, v13, v32
	v_add_f32_e32 v2, v2, v37
	v_add_f32_e32 v3, v3, v31
	v_fma_f32 v32, v14, v34, -v40
	v_fmac_f32_e32 v35, v15, v34
	v_add_f32_e32 v2, v2, v30
	v_add_f32_e32 v3, v3, v33
	v_fma_f32 v29, v16, v36, -v41
	v_fmac_f32_e32 v4, v17, v36
	v_add_f32_e32 v2, v2, v32
	v_add_f32_e32 v3, v3, v35
	s_and_saveexec_b64 s[6:7], vcc
	s_cbranch_execz .LBB301_42
; %bb.41:
	flat_load_dwordx2 v[30:31], v[18:19] offset:768
	flat_load_dwordx2 v[32:33], v[20:21] offset:768
	;; [unrolled: 1-line block ×4, first 2 shown]
	s_waitcnt vmcnt(0) lgkmcnt(0)
	v_mul_f32_e32 v18, v11, v31
	v_mul_f32_e32 v19, v10, v31
	;; [unrolled: 1-line block ×4, first 2 shown]
	v_fma_f32 v10, v10, v30, -v18
	v_fmac_f32_e32 v19, v11, v30
	v_mul_f32_e32 v24, v15, v35
	v_mul_f32_e32 v25, v14, v35
	v_fma_f32 v11, v12, v32, -v20
	v_fmac_f32_e32 v21, v13, v32
	v_add_f32_e32 v0, v0, v10
	v_add_f32_e32 v1, v1, v19
	v_mul_f32_e32 v26, v17, v37
	v_mul_f32_e32 v27, v16, v37
	v_fma_f32 v12, v14, v34, -v24
	v_fmac_f32_e32 v25, v15, v34
	v_add_f32_e32 v0, v0, v11
	v_add_f32_e32 v1, v1, v21
	v_fma_f32 v13, v16, v36, -v26
	v_fmac_f32_e32 v27, v17, v36
	v_add_f32_e32 v0, v0, v12
	v_add_f32_e32 v1, v1, v25
	;; [unrolled: 1-line block ×4, first 2 shown]
.LBB301_42:
	s_or_b64 exec, exec, s[6:7]
	v_add_f32_e32 v2, v2, v29
	v_add_f32_e32 v3, v3, v4
.LBB301_43:
	s_or_b64 exec, exec, s[4:5]
	v_add_f32_e32 v6, v6, v28
	v_add_f32_e32 v7, v7, v5
.LBB301_44:
	s_or_b64 exec, exec, s[0:1]
	v_pk_add_f32 v[8:9], v[8:9], v[22:23]
.LBB301_45:
	s_or_b64 exec, exec, s[2:3]
.LBB301_46:
	v_lshlrev_b32_e32 v4, 7, v64
	s_movk_i32 s0, 0x80
	v_add_lshl_u32 v4, v4, v63, 3
	v_cmp_gt_u32_e32 vcc, s0, v62
	ds_write2_b64 v4, v[8:9], v[6:7] offset1:32
	ds_write2_b64 v4, v[2:3], v[0:1] offset0:64 offset1:96
	s_waitcnt lgkmcnt(0)
	s_barrier
	s_and_saveexec_b64 s[0:1], vcc
	s_cbranch_execz .LBB301_51
; %bb.47:
	v_lshlrev_b32_e32 v20, 3, v62
	ds_read2st64_b64 v[0:3], v20 offset1:2
	ds_read2st64_b64 v[4:7], v20 offset0:4 offset1:6
	s_waitcnt vmcnt(0)
	ds_read2st64_b64 v[8:11], v20 offset0:8 offset1:10
	ds_read2st64_b64 v[12:15], v20 offset0:12 offset1:14
	;; [unrolled: 1-line block ×3, first 2 shown]
	s_waitcnt lgkmcnt(4)
	v_pk_add_f32 v[0:1], v[0:1], v[2:3]
	s_waitcnt lgkmcnt(3)
	v_pk_add_f32 v[0:1], v[0:1], v[4:5]
	s_nop 0
	v_pk_add_f32 v[0:1], v[0:1], v[6:7]
	s_waitcnt lgkmcnt(2)
	v_pk_add_f32 v[0:1], v[0:1], v[8:9]
	s_nop 0
	;; [unrolled: 4-line block ×3, first 2 shown]
	v_pk_add_f32 v[4:5], v[0:1], v[14:15]
	ds_read2st64_b64 v[0:3], v20 offset0:20 offset1:22
	s_waitcnt lgkmcnt(1)
	v_pk_add_f32 v[8:9], v[4:5], v[16:17]
	ds_read2st64_b64 v[4:7], v20 offset0:24 offset1:26
	v_pk_add_f32 v[12:13], v[8:9], v[18:19]
	ds_read2st64_b64 v[8:11], v20 offset0:28 offset1:30
	s_waitcnt lgkmcnt(2)
	v_pk_add_f32 v[0:1], v[12:13], v[0:1]
	s_nop 0
	v_pk_add_f32 v[0:1], v[0:1], v[2:3]
	s_waitcnt lgkmcnt(1)
	v_pk_add_f32 v[0:1], v[0:1], v[4:5]
	v_or_b32_e32 v4, s33, v62
	v_pk_add_f32 v[0:1], v[0:1], v[6:7]
	v_cmp_gt_i32_e32 vcc, s8, v4
	s_waitcnt lgkmcnt(0)
	v_pk_add_f32 v[0:1], v[0:1], v[8:9]
	s_nop 0
	v_pk_add_f32 v[2:3], v[0:1], v[10:11]
	ds_write_b64 v20, v[2:3]
	s_and_b64 exec, exec, vcc
	s_cbranch_execz .LBB301_51
; %bb.48:
	v_pk_mul_f32 v[6:7], v[2:3], s[10:11] op_sel:[1,0]
	v_cmp_neq_f32_e64 s[0:1], s12, 0
	v_pk_fma_f32 v[0:1], v[2:3], s[10:11], v[6:7] op_sel:[0,0,1] op_sel_hi:[0,1,0] neg_lo:[0,0,1] neg_hi:[0,0,1]
	v_pk_fma_f32 v[2:3], v[2:3], s[10:11], v[6:7] op_sel:[0,0,1] op_sel_hi:[0,1,0]
	v_ashrrev_i32_e32 v1, 31, v4
	v_cmp_neq_f32_e64 s[2:3], s13, 0
	v_mul_lo_u32 v2, v4, s15
	v_mul_lo_u32 v1, v1, s14
	v_mad_u64_u32 v[4:5], s[4:5], v4, s14, 0
	v_add3_u32 v5, v5, v2, v1
	s_or_b64 s[0:1], s[0:1], s[2:3]
	s_andn2_b64 vcc, exec, s[0:1]
	v_lshl_add_u64 v[4:5], v[4:5], 3, s[16:17]
	s_cbranch_vccnz .LBB301_50
; %bb.49:
	global_load_dwordx2 v[6:7], v[4:5], off
	v_mov_b32_e32 v1, v3
	s_waitcnt vmcnt(0)
	v_pk_mul_f32 v[2:3], s[12:13], v[6:7] op_sel:[0,1]
	s_nop 0
	v_pk_fma_f32 v[8:9], s[12:13], v[6:7], v[2:3] op_sel:[0,0,1] op_sel_hi:[1,1,0] neg_lo:[0,0,1] neg_hi:[0,0,1]
	v_pk_fma_f32 v[2:3], s[12:13], v[6:7], v[2:3] op_sel:[0,0,1] op_sel_hi:[1,0,0]
	s_nop 0
	v_mov_b32_e32 v9, v3
	v_pk_add_f32 v[0:1], v[0:1], v[8:9]
	s_nop 0
	v_mov_b32_e32 v3, v1
.LBB301_50:
	v_mov_b32_e32 v1, v3
	global_store_dwordx2 v[4:5], v[0:1], off
.LBB301_51:
	s_endpgm
	.section	.rodata,"a",@progbits
	.p2align	6, 0x0
	.amdhsa_kernel _ZL20rocblas_gemvn_kernelILi32ELi16ElPK19rocblas_complex_numIfES1_KPS1_EviiT3_lPKT2_lT1_lS9_lSA_lS6_lPT4_lSA_li
		.amdhsa_group_segment_fixed_size 16384
		.amdhsa_private_segment_fixed_size 0
		.amdhsa_kernarg_size 400
		.amdhsa_user_sgpr_count 2
		.amdhsa_user_sgpr_dispatch_ptr 0
		.amdhsa_user_sgpr_queue_ptr 0
		.amdhsa_user_sgpr_kernarg_segment_ptr 1
		.amdhsa_user_sgpr_dispatch_id 0
		.amdhsa_user_sgpr_kernarg_preload_length 0
		.amdhsa_user_sgpr_kernarg_preload_offset 0
		.amdhsa_user_sgpr_private_segment_size 0
		.amdhsa_uses_dynamic_stack 0
		.amdhsa_enable_private_segment 0
		.amdhsa_system_sgpr_workgroup_id_x 1
		.amdhsa_system_sgpr_workgroup_id_y 0
		.amdhsa_system_sgpr_workgroup_id_z 1
		.amdhsa_system_sgpr_workgroup_info 0
		.amdhsa_system_vgpr_workitem_id 1
		.amdhsa_next_free_vgpr 74
		.amdhsa_next_free_sgpr 45
		.amdhsa_accum_offset 76
		.amdhsa_reserve_vcc 1
		.amdhsa_float_round_mode_32 0
		.amdhsa_float_round_mode_16_64 0
		.amdhsa_float_denorm_mode_32 3
		.amdhsa_float_denorm_mode_16_64 3
		.amdhsa_dx10_clamp 1
		.amdhsa_ieee_mode 1
		.amdhsa_fp16_overflow 0
		.amdhsa_tg_split 0
		.amdhsa_exception_fp_ieee_invalid_op 0
		.amdhsa_exception_fp_denorm_src 0
		.amdhsa_exception_fp_ieee_div_zero 0
		.amdhsa_exception_fp_ieee_overflow 0
		.amdhsa_exception_fp_ieee_underflow 0
		.amdhsa_exception_fp_ieee_inexact 0
		.amdhsa_exception_int_div_zero 0
	.end_amdhsa_kernel
	.section	.text._ZL20rocblas_gemvn_kernelILi32ELi16ElPK19rocblas_complex_numIfES1_KPS1_EviiT3_lPKT2_lT1_lS9_lSA_lS6_lPT4_lSA_li,"axG",@progbits,_ZL20rocblas_gemvn_kernelILi32ELi16ElPK19rocblas_complex_numIfES1_KPS1_EviiT3_lPKT2_lT1_lS9_lSA_lS6_lPT4_lSA_li,comdat
.Lfunc_end301:
	.size	_ZL20rocblas_gemvn_kernelILi32ELi16ElPK19rocblas_complex_numIfES1_KPS1_EviiT3_lPKT2_lT1_lS9_lSA_lS6_lPT4_lSA_li, .Lfunc_end301-_ZL20rocblas_gemvn_kernelILi32ELi16ElPK19rocblas_complex_numIfES1_KPS1_EviiT3_lPKT2_lT1_lS9_lSA_lS6_lPT4_lSA_li
                                        ; -- End function
	.section	.AMDGPU.csdata,"",@progbits
; Kernel info:
; codeLenInByte = 3528
; NumSgprs: 51
; NumVgprs: 74
; NumAgprs: 0
; TotalNumVgprs: 74
; ScratchSize: 0
; MemoryBound: 0
; FloatMode: 240
; IeeeMode: 1
; LDSByteSize: 16384 bytes/workgroup (compile time only)
; SGPRBlocks: 6
; VGPRBlocks: 9
; NumSGPRsForWavesPerEU: 51
; NumVGPRsForWavesPerEU: 74
; AccumOffset: 76
; Occupancy: 6
; WaveLimiterHint : 1
; COMPUTE_PGM_RSRC2:SCRATCH_EN: 0
; COMPUTE_PGM_RSRC2:USER_SGPR: 2
; COMPUTE_PGM_RSRC2:TRAP_HANDLER: 0
; COMPUTE_PGM_RSRC2:TGID_X_EN: 1
; COMPUTE_PGM_RSRC2:TGID_Y_EN: 0
; COMPUTE_PGM_RSRC2:TGID_Z_EN: 1
; COMPUTE_PGM_RSRC2:TIDIG_COMP_CNT: 1
; COMPUTE_PGM_RSRC3_GFX90A:ACCUM_OFFSET: 18
; COMPUTE_PGM_RSRC3_GFX90A:TG_SPLIT: 0
	.section	.text._ZL20rocblas_gemvn_kernelILi64ELi16EiPK19rocblas_complex_numIfES3_KPS1_EviiT3_lPKT2_lT1_lS9_lSA_lS6_lPT4_lSA_li,"axG",@progbits,_ZL20rocblas_gemvn_kernelILi64ELi16EiPK19rocblas_complex_numIfES3_KPS1_EviiT3_lPKT2_lT1_lS9_lSA_lS6_lPT4_lSA_li,comdat
	.globl	_ZL20rocblas_gemvn_kernelILi64ELi16EiPK19rocblas_complex_numIfES3_KPS1_EviiT3_lPKT2_lT1_lS9_lSA_lS6_lPT4_lSA_li ; -- Begin function _ZL20rocblas_gemvn_kernelILi64ELi16EiPK19rocblas_complex_numIfES3_KPS1_EviiT3_lPKT2_lT1_lS9_lSA_lS6_lPT4_lSA_li
	.p2align	8
	.type	_ZL20rocblas_gemvn_kernelILi64ELi16EiPK19rocblas_complex_numIfES3_KPS1_EviiT3_lPKT2_lT1_lS9_lSA_lS6_lPT4_lSA_li,@function
_ZL20rocblas_gemvn_kernelILi64ELi16EiPK19rocblas_complex_numIfES3_KPS1_EviiT3_lPKT2_lT1_lS9_lSA_lS6_lPT4_lSA_li: ; @_ZL20rocblas_gemvn_kernelILi64ELi16EiPK19rocblas_complex_numIfES3_KPS1_EviiT3_lPKT2_lT1_lS9_lSA_lS6_lPT4_lSA_li
; %bb.0:
	s_load_dwordx2 s[4:5], s[0:1], 0x9c
	s_mov_b32 s24, s3
	s_waitcnt lgkmcnt(0)
	s_and_b32 s3, s5, 0xffff
	s_lshr_b32 s5, s4, 16
	s_and_b32 s4, s4, 0xffff
	s_mul_i32 s4, s5, s4
	s_mul_i32 s4, s4, s3
	s_cmpk_lg_i32 s4, 0x400
	s_cbranch_scc1 .LBB302_49
; %bb.1:
	s_load_dwordx8 s[12:19], s[0:1], 0x8
	s_load_dwordx8 s[4:11], s[0:1], 0x58
	s_waitcnt lgkmcnt(0)
	s_mul_i32 s3, s24, s15
	s_mul_hi_u32 s15, s24, s14
	s_mul_i32 s14, s24, s14
	s_add_i32 s15, s15, s3
	s_lshl_b64 s[14:15], s[14:15], 3
	s_mul_i32 s7, s24, s7
	s_add_u32 s12, s12, s14
	s_mul_hi_u32 s3, s24, s6
	s_addc_u32 s13, s13, s15
	s_add_i32 s7, s3, s7
	s_mul_i32 s6, s24, s6
	s_lshl_b64 s[6:7], s[6:7], 3
	s_add_u32 s4, s4, s6
	s_load_dwordx2 s[14:15], s[12:13], 0x0
	s_addc_u32 s5, s5, s7
	s_load_dwordx2 s[12:13], s[4:5], 0x0
	s_waitcnt lgkmcnt(0)
	v_cmp_eq_f32_e64 s[4:5], s14, 0
	v_cmp_eq_f32_e64 s[6:7], s15, 0
	s_and_b64 s[4:5], s[4:5], s[6:7]
	v_cmp_eq_f32_e64 s[6:7], s12, 1.0
	v_cmp_eq_f32_e64 s[20:21], s13, 0
	s_and_b64 s[6:7], s[6:7], s[20:21]
	s_and_b64 s[4:5], s[4:5], s[6:7]
	s_and_b64 vcc, exec, s[4:5]
	s_cbranch_vccnz .LBB302_49
; %bb.2:
	s_or_b32 s3, s14, s15
	s_bitset0_b32 s3, 31
	s_cmp_lg_u32 s3, 0
	s_cselect_b64 s[6:7], -1, 0
	s_cmp_eq_u32 s3, 0
	s_cselect_b64 s[4:5], -1, 0
	s_mov_b32 s25, 0
	s_mov_b64 s[22:23], 0
	s_and_b64 vcc, exec, s[4:5]
	s_mov_b64 s[20:21], 0
	s_cbranch_vccnz .LBB302_4
; %bb.3:
	s_lshl_b64 s[20:21], s[24:25], 3
	s_add_u32 s16, s16, s20
	s_addc_u32 s17, s17, s21
	s_load_dwordx2 s[16:17], s[16:17], 0x0
	s_lshl_b64 s[18:19], s[18:19], 3
	s_waitcnt lgkmcnt(0)
	s_add_u32 s20, s16, s18
	s_addc_u32 s21, s17, s19
.LBB302_4:
	s_andn2_b64 vcc, exec, s[6:7]
	s_cbranch_vccnz .LBB302_6
; %bb.5:
	s_load_dwordx4 s[16:19], s[0:1], 0x38
	s_lshl_b64 s[6:7], s[24:25], 3
	s_waitcnt lgkmcnt(0)
	s_add_u32 s6, s16, s6
	s_addc_u32 s7, s17, s7
	s_load_dwordx2 s[6:7], s[6:7], 0x0
	s_lshl_b64 s[16:17], s[18:19], 3
	s_waitcnt lgkmcnt(0)
	s_add_u32 s22, s6, s16
	s_addc_u32 s23, s7, s17
.LBB302_6:
	s_lshl_b64 s[6:7], s[24:25], 3
	s_add_u32 s6, s8, s6
	s_addc_u32 s7, s9, s7
	s_load_dwordx2 s[8:9], s[6:7], 0x0
	s_load_dwordx2 s[16:17], s[0:1], 0x0
	s_load_dword s33, s[0:1], 0x78
	s_lshl_b64 s[6:7], s[10:11], 3
	v_and_b32_e32 v2, 0x3ff, v0
	s_waitcnt lgkmcnt(0)
	s_add_u32 s8, s8, s6
	v_bfe_u32 v3, v0, 10, 10
	s_addc_u32 s9, s9, s7
	v_lshl_add_u32 v54, v3, 6, v2
	s_andn2_b64 vcc, exec, s[4:5]
	s_mov_b64 s[4:5], -1
	s_cbranch_vccnz .LBB302_13
; %bb.7:
	s_movk_i32 s3, 0x100
	v_cmp_gt_u32_e32 vcc, s3, v54
	s_and_saveexec_b64 s[4:5], vcc
	s_cbranch_execz .LBB302_12
; %bb.8:
	v_lshl_or_b32 v0, s2, 8, v54
	v_mov_b32_e32 v1, 0
	s_ashr_i32 s7, s16, 31
	s_mov_b32 s6, s16
	v_cmp_gt_i64_e32 vcc, s[6:7], v[0:1]
	s_and_b64 exec, exec, vcc
	s_cbranch_execz .LBB302_12
; %bb.9:
	v_mad_u64_u32 v[4:5], s[18:19], s33, v0, 0
	s_ashr_i32 s3, s33, 31
	v_mov_b32_e32 v6, v5
	v_cmp_neq_f32_e64 s[6:7], s12, 0
	v_cmp_neq_f32_e64 s[10:11], s13, 0
	v_mad_u64_u32 v[6:7], s[18:19], s3, v0, v[6:7]
	v_mov_b32_e32 v5, v6
	s_or_b64 s[6:7], s[6:7], s[10:11]
	s_andn2_b64 vcc, exec, s[6:7]
	v_lshl_add_u64 v[4:5], v[4:5], 3, s[8:9]
	v_mov_b32_e32 v7, v1
	s_cbranch_vccnz .LBB302_11
; %bb.10:
	global_load_dwordx2 v[0:1], v[4:5], off
	s_waitcnt vmcnt(0)
	v_pk_mul_f32 v[6:7], s[12:13], v[0:1] op_sel:[0,1]
	s_nop 0
	v_pk_fma_f32 v[8:9], s[12:13], v[0:1], v[6:7] op_sel:[0,0,1] op_sel_hi:[1,1,0] neg_lo:[0,0,1] neg_hi:[0,0,1]
	v_pk_fma_f32 v[6:7], s[12:13], v[0:1], v[6:7] op_sel:[0,0,1] op_sel_hi:[1,0,0]
	v_mov_b32_e32 v1, v8
.LBB302_11:
	v_mov_b32_e32 v6, v1
	global_store_dwordx2 v[4:5], v[6:7], off
.LBB302_12:
	s_or_b64 exec, exec, s[4:5]
	s_mov_b64 s[4:5], 0
.LBB302_13:
	s_andn2_b64 vcc, exec, s[4:5]
	s_cbranch_vccnz .LBB302_49
; %bb.14:
	s_load_dword s35, s[0:1], 0x28
	s_load_dword s36, s[0:1], 0x48
	s_ashr_i32 s0, s17, 31
	s_lshr_b32 s0, s0, 26
	s_add_i32 s37, s17, s0
	s_mov_b32 s10, 0
	s_lshl_b32 s34, s2, 8
	s_andn2_b32 s37, s37, 63
	v_lshlrev_b32_e32 v56, 2, v3
	s_mov_b32 s11, s10
	v_add_u32_e32 v55, s34, v2
	v_cmp_gt_i32_e32 vcc, s37, v56
	v_mov_b64_e32 v[8:9], s[10:11]
	v_mov_b32_e32 v1, 0
	v_mov_b32_e32 v0, 0
	;; [unrolled: 1-line block ×6, first 2 shown]
	s_and_saveexec_b64 s[18:19], vcc
	s_cbranch_execz .LBB302_26
; %bb.15:
	v_add_u32_e32 v0, 64, v55
	v_cmp_gt_i32_e64 s[0:1], s16, v0
	v_add_u32_e32 v0, 0x80, v55
	v_cmp_gt_i32_e64 s[2:3], s16, v0
	;; [unrolled: 2-line block ×3, first 2 shown]
	s_waitcnt lgkmcnt(0)
	v_mul_lo_u32 v0, s35, v56
	v_add3_u32 v57, v0, s35, v2
	v_add_u32_e32 v0, 2, v56
	v_mad_u64_u32 v[10:11], s[6:7], s35, v0, v[2:3]
	v_add_u32_e32 v1, 3, v56
	v_mul_lo_u32 v4, v3, s35
	v_mad_u64_u32 v[12:13], s[6:7], s35, v1, v[2:3]
	v_lshl_add_u32 v11, v4, 2, v2
	v_mul_lo_u32 v4, s36, v56
	v_mul_lo_u32 v58, s36, v0
	;; [unrolled: 1-line block ×4, first 2 shown]
	v_mov_b32_e32 v1, 0
	v_cmp_gt_i32_e32 vcc, s16, v55
	s_lshl_b32 s38, s35, 6
	v_add_u32_e32 v13, s36, v4
	s_lshl_b32 s39, s36, 6
	v_lshlrev_b32_e32 v60, 2, v0
	s_mov_b64 s[24:25], 0
	v_mov_b64_e32 v[8:9], s[10:11]
	v_mov_b32_e32 v0, v1
	v_mov_b32_e32 v5, v1
	;; [unrolled: 1-line block ×5, first 2 shown]
	s_branch .LBB302_20
.LBB302_16:                             ;   in Loop: Header=BB302_20 Depth=1
	s_or_b64 exec, exec, s[30:31]
	s_waitcnt vmcnt(0) lgkmcnt(0)
	v_mul_f32_e32 v46, v21, v45
	v_mul_f32_e32 v45, v20, v45
	v_fma_f32 v46, v20, v44, -v46
	v_fmac_f32_e32 v45, v21, v44
	v_mul_f32_e32 v44, v19, v43
	v_mul_f32_e32 v43, v18, v43
	v_add_f32_e32 v4, v4, v46
	v_add_f32_e32 v5, v5, v45
	v_fma_f32 v44, v18, v42, -v44
	v_fmac_f32_e32 v43, v19, v42
	v_mul_f32_e32 v42, v17, v41
	v_mul_f32_e32 v41, v16, v41
	v_add_f32_e32 v4, v4, v44
	v_add_f32_e32 v5, v5, v43
	;; [unrolled: 6-line block ×3, first 2 shown]
	v_fma_f32 v40, v14, v38, -v40
	v_fmac_f32_e32 v39, v15, v38
	v_add_f32_e32 v4, v4, v40
	v_add_f32_e32 v5, v5, v39
.LBB302_17:                             ;   in Loop: Header=BB302_20 Depth=1
	s_or_b64 exec, exec, s[28:29]
	s_waitcnt vmcnt(0) lgkmcnt(0)
	v_mul_f32_e32 v38, v21, v37
	v_mul_f32_e32 v37, v20, v37
	v_fma_f32 v38, v20, v36, -v38
	v_fmac_f32_e32 v37, v21, v36
	v_mul_f32_e32 v36, v19, v35
	v_mul_f32_e32 v35, v18, v35
	v_add_f32_e32 v6, v6, v38
	v_add_f32_e32 v7, v7, v37
	v_fma_f32 v36, v18, v34, -v36
	v_fmac_f32_e32 v35, v19, v34
	v_mul_f32_e32 v34, v17, v33
	v_mul_f32_e32 v33, v16, v33
	v_add_f32_e32 v6, v6, v36
	v_add_f32_e32 v7, v7, v35
	;; [unrolled: 6-line block ×3, first 2 shown]
	v_fma_f32 v32, v14, v30, -v32
	v_fmac_f32_e32 v31, v15, v30
	v_add_f32_e32 v6, v6, v32
	v_add_f32_e32 v7, v7, v31
.LBB302_18:                             ;   in Loop: Header=BB302_20 Depth=1
	s_or_b64 exec, exec, s[26:27]
	s_waitcnt vmcnt(0) lgkmcnt(0)
	v_mul_f32_e32 v30, v21, v29
	v_mul_f32_e32 v31, v20, v29
	v_fma_f32 v30, v20, v28, -v30
	v_fmac_f32_e32 v31, v21, v28
	v_mul_f32_e32 v20, v19, v27
	v_mul_f32_e32 v21, v18, v27
	v_fma_f32 v20, v18, v26, -v20
	v_fmac_f32_e32 v21, v19, v26
	v_pk_add_f32 v[8:9], v[8:9], v[30:31]
	v_mov_b32_e32 v18, v17
	v_mov_b32_e32 v19, v16
	v_pk_add_f32 v[8:9], v[8:9], v[20:21]
	v_mov_b32_e32 v16, v25
	v_pk_mul_f32 v[20:21], v[18:19], v[24:25] op_sel_hi:[1,0]
	s_nop 0
	v_pk_fma_f32 v[16:17], v[18:19], v[16:17], v[20:21] op_sel:[0,0,1] op_sel_hi:[1,1,0] neg_lo:[1,0,0] neg_hi:[1,0,0]
	v_pk_fma_f32 v[18:19], v[18:19], v[24:25], v[20:21] op_sel:[0,1,1] op_sel_hi:[1,1,0]
	s_nop 0
	v_mov_b32_e32 v17, v19
	v_pk_add_f32 v[8:9], v[8:9], v[16:17]
	v_pk_mul_f32 v[16:17], v[14:15], v[22:23] op_sel:[0,1]
	s_nop 0
	v_pk_fma_f32 v[18:19], v[14:15], v[22:23], v[16:17] op_sel:[0,0,1] op_sel_hi:[1,1,0] neg_lo:[0,0,1] neg_hi:[0,0,1]
	v_pk_fma_f32 v[14:15], v[14:15], v[22:23], v[16:17] op_sel:[0,0,1] op_sel_hi:[1,0,0]
	s_nop 0
	v_mov_b32_e32 v19, v15
	v_pk_add_f32 v[8:9], v[8:9], v[18:19]
.LBB302_19:                             ;   in Loop: Header=BB302_20 Depth=1
	s_or_b64 exec, exec, s[6:7]
	v_add_u32_e32 v56, 64, v56
	s_add_i32 s10, s10, s39
	v_cmp_le_i32_e64 s[6:7], s37, v56
	v_add_u32_e32 v57, s38, v57
	v_add_u32_e32 v10, s38, v10
	;; [unrolled: 1-line block ×3, first 2 shown]
	s_or_b64 s[24:25], s[6:7], s[24:25]
	v_add_u32_e32 v11, s38, v11
	s_andn2_b64 exec, exec, s[24:25]
	s_cbranch_execz .LBB302_25
.LBB302_20:                             ; =>This Inner Loop Header: Depth=1
	s_and_saveexec_b64 s[6:7], vcc
	s_cbranch_execz .LBB302_19
; %bb.21:                               ;   in Loop: Header=BB302_20 Depth=1
	v_add_u32_e32 v14, s10, v60
	v_ashrrev_i32_e32 v15, 31, v14
	v_lshl_add_u64 v[22:23], v[14:15], 3, s[22:23]
	v_add_u32_e32 v14, s10, v13
	v_ashrrev_i32_e32 v15, 31, v14
	v_lshl_add_u64 v[24:25], v[14:15], 3, s[22:23]
	;; [unrolled: 3-line block ×4, first 2 shown]
	flat_load_dwordx2 v[20:21], v[22:23]
	flat_load_dwordx2 v[18:19], v[24:25]
	;; [unrolled: 1-line block ×4, first 2 shown]
	v_add_u32_e32 v22, s34, v11
	v_ashrrev_i32_e32 v23, 31, v22
	v_lshl_add_u64 v[52:53], v[22:23], 3, s[20:21]
	v_add_u32_e32 v22, s34, v57
	v_ashrrev_i32_e32 v23, 31, v22
	v_lshl_add_u64 v[50:51], v[22:23], 3, s[20:21]
	;; [unrolled: 3-line block ×4, first 2 shown]
	flat_load_dwordx2 v[28:29], v[52:53]
	flat_load_dwordx2 v[26:27], v[50:51]
	;; [unrolled: 1-line block ×4, first 2 shown]
	s_and_saveexec_b64 s[26:27], s[0:1]
	s_cbranch_execz .LBB302_18
; %bb.22:                               ;   in Loop: Header=BB302_20 Depth=1
	flat_load_dwordx2 v[36:37], v[52:53] offset:512
	flat_load_dwordx2 v[34:35], v[50:51] offset:512
	;; [unrolled: 1-line block ×4, first 2 shown]
	s_and_saveexec_b64 s[28:29], s[2:3]
	s_cbranch_execz .LBB302_17
; %bb.23:                               ;   in Loop: Header=BB302_20 Depth=1
	flat_load_dwordx2 v[44:45], v[52:53] offset:1024
	flat_load_dwordx2 v[42:43], v[50:51] offset:1024
	;; [unrolled: 1-line block ×4, first 2 shown]
	s_and_saveexec_b64 s[30:31], s[4:5]
	s_cbranch_execz .LBB302_16
; %bb.24:                               ;   in Loop: Header=BB302_20 Depth=1
	flat_load_dwordx2 v[52:53], v[52:53] offset:1536
	s_nop 0
	flat_load_dwordx2 v[50:51], v[50:51] offset:1536
	s_nop 0
	;; [unrolled: 2-line block ×3, first 2 shown]
	flat_load_dwordx2 v[46:47], v[46:47] offset:1536
	s_waitcnt vmcnt(0) lgkmcnt(0)
	v_mul_f32_e32 v61, v21, v53
	v_mul_f32_e32 v53, v20, v53
	;; [unrolled: 1-line block ×4, first 2 shown]
	v_fma_f32 v61, v20, v52, -v61
	v_fmac_f32_e32 v53, v21, v52
	v_mul_f32_e32 v63, v17, v49
	v_mul_f32_e32 v49, v16, v49
	v_fma_f32 v52, v18, v50, -v62
	v_fmac_f32_e32 v51, v19, v50
	v_add_f32_e32 v0, v0, v61
	v_add_f32_e32 v1, v1, v53
	v_mul_f32_e32 v64, v15, v47
	v_mul_f32_e32 v47, v14, v47
	v_fma_f32 v50, v16, v48, -v63
	v_fmac_f32_e32 v49, v17, v48
	v_add_f32_e32 v0, v0, v52
	v_add_f32_e32 v1, v1, v51
	v_fma_f32 v48, v14, v46, -v64
	v_fmac_f32_e32 v47, v15, v46
	v_add_f32_e32 v0, v0, v50
	v_add_f32_e32 v1, v1, v49
	v_add_f32_e32 v0, v0, v48
	v_add_f32_e32 v1, v1, v47
	s_branch .LBB302_16
.LBB302_25:
	s_or_b64 exec, exec, s[24:25]
.LBB302_26:
	s_or_b64 exec, exec, s[18:19]
	s_sub_i32 s0, s17, s37
	s_cmp_lt_i32 s0, 1
	s_cbranch_scc1 .LBB302_44
; %bb.27:
	v_cmp_gt_i32_e32 vcc, s17, v56
	v_mov_b32_e32 v10, 0
	v_or_b32_e32 v20, 1, v56
	v_mov_b32_e32 v11, 0
	v_mov_b32_e32 v12, 0
	;; [unrolled: 1-line block ×7, first 2 shown]
	s_and_saveexec_b64 s[2:3], vcc
	s_cbranch_execz .LBB302_35
; %bb.28:
	s_waitcnt lgkmcnt(0)
	v_mul_lo_u32 v10, v56, s36
	v_ashrrev_i32_e32 v11, 31, v10
	v_lshl_add_u64 v[10:11], v[10:11], 3, s[22:23]
	flat_load_dwordx2 v[10:11], v[10:11]
	v_cmp_gt_i32_e64 s[0:1], s17, v20
	v_mov_b32_e32 v17, 0
	v_mov_b32_e32 v16, 0
	;; [unrolled: 1-line block ×6, first 2 shown]
	s_and_saveexec_b64 s[4:5], s[0:1]
	s_cbranch_execz .LBB302_34
; %bb.29:
	v_mul_lo_u32 v12, v20, s36
	v_ashrrev_i32_e32 v13, 31, v12
	v_lshl_add_u64 v[12:13], v[12:13], 3, s[22:23]
	flat_load_dwordx2 v[12:13], v[12:13]
	v_or_b32_e32 v18, 2, v56
	v_cmp_gt_i32_e64 s[0:1], s17, v18
	v_mov_b32_e32 v17, 0
	v_mov_b32_e32 v16, 0
	v_mov_b32_e32 v15, 0
	v_mov_b32_e32 v14, 0
	s_and_saveexec_b64 s[6:7], s[0:1]
	s_cbranch_execz .LBB302_33
; %bb.30:
	v_mul_lo_u32 v14, v18, s36
	v_ashrrev_i32_e32 v15, 31, v14
	v_lshl_add_u64 v[14:15], v[14:15], 3, s[22:23]
	flat_load_dwordx2 v[14:15], v[14:15]
	v_or_b32_e32 v18, 3, v56
	v_cmp_gt_i32_e64 s[0:1], s17, v18
	v_mov_b32_e32 v17, 0
	v_mov_b32_e32 v16, 0
	s_and_saveexec_b64 s[10:11], s[0:1]
	s_cbranch_execz .LBB302_32
; %bb.31:
	v_mul_lo_u32 v16, v18, s36
	v_ashrrev_i32_e32 v17, 31, v16
	v_lshl_add_u64 v[16:17], v[16:17], 3, s[22:23]
	flat_load_dwordx2 v[16:17], v[16:17]
.LBB302_32:
	s_or_b64 exec, exec, s[10:11]
.LBB302_33:
	s_or_b64 exec, exec, s[6:7]
.LBB302_34:
	s_or_b64 exec, exec, s[4:5]
.LBB302_35:
	s_or_b64 exec, exec, s[2:3]
	v_cmp_gt_i32_e64 s[0:1], s16, v55
	s_and_saveexec_b64 s[2:3], s[0:1]
	s_cbranch_execz .LBB302_43
; %bb.36:
	s_waitcnt lgkmcnt(0)
	v_mul_lo_u32 v18, v56, s35
	v_cndmask_b32_e32 v18, 0, v18, vcc
	v_mul_lo_u32 v21, v20, s35
	v_cmp_gt_i32_e32 vcc, s17, v20
	v_or_b32_e32 v24, 2, v56
	v_add_u32_e32 v18, v18, v55
	v_cndmask_b32_e32 v20, 0, v21, vcc
	v_mul_lo_u32 v25, v24, s35
	v_cmp_gt_i32_e32 vcc, s17, v24
	v_or_b32_e32 v26, 3, v56
	v_ashrrev_i32_e32 v19, 31, v18
	v_add_u32_e32 v20, v20, v55
	v_cndmask_b32_e32 v24, 0, v25, vcc
	v_mul_lo_u32 v27, v26, s35
	v_cmp_gt_i32_e32 vcc, s17, v26
	v_lshl_add_u64 v[18:19], v[18:19], 3, s[20:21]
	v_ashrrev_i32_e32 v21, 31, v20
	v_add_u32_e32 v24, v24, v55
	v_cndmask_b32_e32 v26, 0, v27, vcc
	v_lshl_add_u64 v[22:23], v[20:21], 3, s[20:21]
	flat_load_dwordx2 v[20:21], v[18:19]
	flat_load_dwordx2 v[28:29], v[22:23]
	v_ashrrev_i32_e32 v25, 31, v24
	v_add_u32_e32 v26, v26, v55
	v_lshl_add_u64 v[24:25], v[24:25], 3, s[20:21]
	v_ashrrev_i32_e32 v27, 31, v26
	v_lshl_add_u64 v[26:27], v[26:27], 3, s[20:21]
	flat_load_dwordx2 v[30:31], v[24:25]
	flat_load_dwordx2 v[32:33], v[26:27]
	v_add_u32_e32 v42, 64, v55
	v_cmp_gt_i32_e32 vcc, s16, v42
	s_waitcnt vmcnt(0) lgkmcnt(0)
	v_pk_mul_f32 v[34:35], v[10:11], v[20:21] op_sel:[0,1]
	v_pk_mul_f32 v[36:37], v[12:13], v[28:29] op_sel:[0,1]
	v_pk_fma_f32 v[38:39], v[10:11], v[20:21], v[34:35] op_sel:[0,0,1] op_sel_hi:[1,1,0] neg_lo:[0,0,1] neg_hi:[0,0,1]
	v_pk_fma_f32 v[20:21], v[10:11], v[20:21], v[34:35] op_sel:[0,0,1] op_sel_hi:[1,0,0]
	v_pk_fma_f32 v[34:35], v[12:13], v[28:29], v[36:37] op_sel:[0,0,1] op_sel_hi:[1,1,0] neg_lo:[0,0,1] neg_hi:[0,0,1]
	v_pk_fma_f32 v[28:29], v[12:13], v[28:29], v[36:37] op_sel:[0,0,1] op_sel_hi:[1,0,0]
	v_pk_mul_f32 v[36:37], v[14:15], v[30:31] op_sel:[0,1]
	v_mov_b32_e32 v39, v21
	v_pk_mul_f32 v[40:41], v[16:17], v[32:33] op_sel:[0,1]
	v_mov_b32_e32 v35, v29
	v_pk_fma_f32 v[28:29], v[14:15], v[30:31], v[36:37] op_sel:[0,0,1] op_sel_hi:[1,1,0] neg_lo:[0,0,1] neg_hi:[0,0,1]
	v_pk_fma_f32 v[30:31], v[14:15], v[30:31], v[36:37] op_sel:[0,0,1] op_sel_hi:[1,0,0]
	v_pk_add_f32 v[8:9], v[8:9], v[38:39]
	v_pk_fma_f32 v[20:21], v[16:17], v[32:33], v[40:41] op_sel:[0,0,1] op_sel_hi:[1,1,0] neg_lo:[0,0,1] neg_hi:[0,0,1]
	v_pk_fma_f32 v[32:33], v[16:17], v[32:33], v[40:41] op_sel:[0,0,1] op_sel_hi:[1,0,0]
	v_mov_b32_e32 v29, v31
	v_pk_add_f32 v[8:9], v[8:9], v[34:35]
	v_mov_b32_e32 v21, v33
	v_pk_add_f32 v[8:9], v[8:9], v[28:29]
	s_and_saveexec_b64 s[0:1], vcc
	s_cbranch_execz .LBB302_42
; %bb.37:
	flat_load_dwordx2 v[30:31], v[18:19] offset:512
	flat_load_dwordx2 v[32:33], v[22:23] offset:512
	;; [unrolled: 1-line block ×4, first 2 shown]
	v_add_u32_e32 v38, 0x80, v55
	v_cmp_gt_i32_e32 vcc, s16, v38
	s_waitcnt vmcnt(0) lgkmcnt(0)
	v_mul_f32_e32 v29, v11, v31
	v_mul_f32_e32 v31, v10, v31
	;; [unrolled: 1-line block ×6, first 2 shown]
	v_fma_f32 v37, v10, v30, -v29
	v_fmac_f32_e32 v31, v11, v30
	v_mul_f32_e32 v40, v15, v35
	v_mul_f32_e32 v35, v14, v35
	v_fma_f32 v30, v12, v32, -v39
	v_fmac_f32_e32 v33, v13, v32
	v_add_f32_e32 v6, v6, v37
	v_add_f32_e32 v7, v7, v31
	v_fma_f32 v32, v14, v34, -v40
	v_fmac_f32_e32 v35, v15, v34
	v_add_f32_e32 v6, v6, v30
	v_add_f32_e32 v7, v7, v33
	;; [unrolled: 4-line block ×3, first 2 shown]
	s_and_saveexec_b64 s[4:5], vcc
	s_cbranch_execz .LBB302_41
; %bb.38:
	flat_load_dwordx2 v[32:33], v[18:19] offset:1024
	flat_load_dwordx2 v[34:35], v[22:23] offset:1024
	;; [unrolled: 1-line block ×4, first 2 shown]
	v_add_u32_e32 v40, 0xc0, v55
	v_cmp_gt_i32_e32 vcc, s16, v40
	s_waitcnt vmcnt(0) lgkmcnt(0)
	v_mul_f32_e32 v31, v11, v33
	v_mul_f32_e32 v33, v10, v33
	;; [unrolled: 1-line block ×6, first 2 shown]
	v_fma_f32 v39, v10, v32, -v31
	v_fmac_f32_e32 v33, v11, v32
	v_mul_f32_e32 v42, v15, v37
	v_mul_f32_e32 v37, v14, v37
	v_fma_f32 v32, v12, v34, -v41
	v_fmac_f32_e32 v35, v13, v34
	v_add_f32_e32 v4, v4, v39
	v_add_f32_e32 v5, v5, v33
	v_fma_f32 v34, v14, v36, -v42
	v_fmac_f32_e32 v37, v15, v36
	v_add_f32_e32 v4, v4, v32
	v_add_f32_e32 v5, v5, v35
	;; [unrolled: 4-line block ×3, first 2 shown]
	s_and_saveexec_b64 s[6:7], vcc
	s_cbranch_execz .LBB302_40
; %bb.39:
	flat_load_dwordx2 v[32:33], v[18:19] offset:1536
	flat_load_dwordx2 v[34:35], v[22:23] offset:1536
	;; [unrolled: 1-line block ×4, first 2 shown]
	s_waitcnt vmcnt(0) lgkmcnt(0)
	v_mul_f32_e32 v18, v11, v33
	v_mul_f32_e32 v19, v10, v33
	;; [unrolled: 1-line block ×4, first 2 shown]
	v_fma_f32 v10, v10, v32, -v18
	v_fmac_f32_e32 v19, v11, v32
	v_mul_f32_e32 v24, v15, v37
	v_mul_f32_e32 v25, v14, v37
	v_fma_f32 v11, v12, v34, -v22
	v_fmac_f32_e32 v23, v13, v34
	v_add_f32_e32 v0, v0, v10
	v_add_f32_e32 v1, v1, v19
	v_mul_f32_e32 v26, v17, v39
	v_mul_f32_e32 v27, v16, v39
	v_fma_f32 v12, v14, v36, -v24
	v_fmac_f32_e32 v25, v15, v36
	v_add_f32_e32 v0, v0, v11
	v_add_f32_e32 v1, v1, v23
	v_fma_f32 v13, v16, v38, -v26
	v_fmac_f32_e32 v27, v17, v38
	v_add_f32_e32 v0, v0, v12
	v_add_f32_e32 v1, v1, v25
	;; [unrolled: 1-line block ×4, first 2 shown]
.LBB302_40:
	s_or_b64 exec, exec, s[6:7]
	v_add_f32_e32 v4, v4, v31
	v_add_f32_e32 v5, v5, v30
.LBB302_41:
	s_or_b64 exec, exec, s[4:5]
	v_add_f32_e32 v6, v6, v29
	v_add_f32_e32 v7, v7, v28
.LBB302_42:
	s_or_b64 exec, exec, s[0:1]
	v_pk_add_f32 v[8:9], v[8:9], v[20:21]
.LBB302_43:
	s_or_b64 exec, exec, s[2:3]
.LBB302_44:
	v_lshlrev_b32_e32 v3, 8, v3
	s_movk_i32 s0, 0x100
	v_add_lshl_u32 v2, v3, v2, 3
	v_cmp_gt_u32_e32 vcc, s0, v54
	ds_write2st64_b64 v2, v[8:9], v[6:7] offset1:1
	ds_write2st64_b64 v2, v[4:5], v[0:1] offset0:2 offset1:3
	s_waitcnt lgkmcnt(0)
	s_barrier
	s_and_saveexec_b64 s[0:1], vcc
	s_cbranch_execz .LBB302_49
; %bb.45:
	v_lshlrev_b32_e32 v20, 3, v54
	ds_read2st64_b64 v[0:3], v20 offset1:4
	ds_read2st64_b64 v[4:7], v20 offset0:8 offset1:12
	s_waitcnt vmcnt(0)
	ds_read2st64_b64 v[8:11], v20 offset0:16 offset1:20
	ds_read2st64_b64 v[12:15], v20 offset0:24 offset1:28
	;; [unrolled: 1-line block ×3, first 2 shown]
	s_waitcnt lgkmcnt(4)
	v_pk_add_f32 v[0:1], v[0:1], v[2:3]
	s_waitcnt lgkmcnt(3)
	v_pk_add_f32 v[0:1], v[0:1], v[4:5]
	s_nop 0
	v_pk_add_f32 v[0:1], v[0:1], v[6:7]
	s_waitcnt lgkmcnt(2)
	v_pk_add_f32 v[0:1], v[0:1], v[8:9]
	s_nop 0
	;; [unrolled: 4-line block ×3, first 2 shown]
	v_pk_add_f32 v[4:5], v[0:1], v[14:15]
	ds_read2st64_b64 v[0:3], v20 offset0:40 offset1:44
	s_waitcnt lgkmcnt(1)
	v_pk_add_f32 v[8:9], v[4:5], v[16:17]
	ds_read2st64_b64 v[4:7], v20 offset0:48 offset1:52
	v_pk_add_f32 v[12:13], v[8:9], v[18:19]
	ds_read2st64_b64 v[8:11], v20 offset0:56 offset1:60
	s_waitcnt lgkmcnt(2)
	v_pk_add_f32 v[0:1], v[12:13], v[0:1]
	s_nop 0
	v_pk_add_f32 v[0:1], v[0:1], v[2:3]
	s_waitcnt lgkmcnt(1)
	v_pk_add_f32 v[0:1], v[0:1], v[4:5]
	v_or_b32_e32 v4, s34, v54
	v_pk_add_f32 v[0:1], v[0:1], v[6:7]
	v_cmp_gt_i32_e32 vcc, s16, v4
	s_waitcnt lgkmcnt(0)
	v_pk_add_f32 v[0:1], v[0:1], v[8:9]
	s_nop 0
	v_pk_add_f32 v[2:3], v[0:1], v[10:11]
	ds_write_b64 v20, v[2:3]
	s_and_b64 exec, exec, vcc
	s_cbranch_execz .LBB302_49
; %bb.46:
	v_cmp_neq_f32_e64 s[0:1], s12, 0
	v_cmp_neq_f32_e64 s[2:3], s13, 0
	v_mul_lo_u32 v4, v4, s33
	v_pk_mul_f32 v[6:7], v[2:3], s[14:15] op_sel:[1,0]
	v_ashrrev_i32_e32 v5, 31, v4
	s_or_b64 s[0:1], s[0:1], s[2:3]
	v_pk_fma_f32 v[0:1], v[2:3], s[14:15], v[6:7] op_sel:[0,0,1] op_sel_hi:[0,1,0] neg_lo:[0,0,1] neg_hi:[0,0,1]
	v_pk_fma_f32 v[2:3], v[2:3], s[14:15], v[6:7] op_sel:[0,0,1] op_sel_hi:[0,1,0]
	s_andn2_b64 vcc, exec, s[0:1]
	v_lshl_add_u64 v[4:5], v[4:5], 3, s[8:9]
	s_cbranch_vccnz .LBB302_48
; %bb.47:
	global_load_dwordx2 v[6:7], v[4:5], off
	v_mov_b32_e32 v1, v3
	s_waitcnt vmcnt(0)
	v_pk_mul_f32 v[2:3], s[12:13], v[6:7] op_sel:[0,1]
	s_nop 0
	v_pk_fma_f32 v[8:9], s[12:13], v[6:7], v[2:3] op_sel:[0,0,1] op_sel_hi:[1,1,0] neg_lo:[0,0,1] neg_hi:[0,0,1]
	v_pk_fma_f32 v[2:3], s[12:13], v[6:7], v[2:3] op_sel:[0,0,1] op_sel_hi:[1,0,0]
	s_nop 0
	v_mov_b32_e32 v9, v3
	v_pk_add_f32 v[0:1], v[0:1], v[8:9]
	s_nop 0
	v_mov_b32_e32 v3, v1
.LBB302_48:
	v_mov_b32_e32 v1, v3
	global_store_dwordx2 v[4:5], v[0:1], off
.LBB302_49:
	s_endpgm
	.section	.rodata,"a",@progbits
	.p2align	6, 0x0
	.amdhsa_kernel _ZL20rocblas_gemvn_kernelILi64ELi16EiPK19rocblas_complex_numIfES3_KPS1_EviiT3_lPKT2_lT1_lS9_lSA_lS6_lPT4_lSA_li
		.amdhsa_group_segment_fixed_size 32768
		.amdhsa_private_segment_fixed_size 0
		.amdhsa_kernarg_size 400
		.amdhsa_user_sgpr_count 2
		.amdhsa_user_sgpr_dispatch_ptr 0
		.amdhsa_user_sgpr_queue_ptr 0
		.amdhsa_user_sgpr_kernarg_segment_ptr 1
		.amdhsa_user_sgpr_dispatch_id 0
		.amdhsa_user_sgpr_kernarg_preload_length 0
		.amdhsa_user_sgpr_kernarg_preload_offset 0
		.amdhsa_user_sgpr_private_segment_size 0
		.amdhsa_uses_dynamic_stack 0
		.amdhsa_enable_private_segment 0
		.amdhsa_system_sgpr_workgroup_id_x 1
		.amdhsa_system_sgpr_workgroup_id_y 0
		.amdhsa_system_sgpr_workgroup_id_z 1
		.amdhsa_system_sgpr_workgroup_info 0
		.amdhsa_system_vgpr_workitem_id 1
		.amdhsa_next_free_vgpr 65
		.amdhsa_next_free_sgpr 40
		.amdhsa_accum_offset 68
		.amdhsa_reserve_vcc 1
		.amdhsa_float_round_mode_32 0
		.amdhsa_float_round_mode_16_64 0
		.amdhsa_float_denorm_mode_32 3
		.amdhsa_float_denorm_mode_16_64 3
		.amdhsa_dx10_clamp 1
		.amdhsa_ieee_mode 1
		.amdhsa_fp16_overflow 0
		.amdhsa_tg_split 0
		.amdhsa_exception_fp_ieee_invalid_op 0
		.amdhsa_exception_fp_denorm_src 0
		.amdhsa_exception_fp_ieee_div_zero 0
		.amdhsa_exception_fp_ieee_overflow 0
		.amdhsa_exception_fp_ieee_underflow 0
		.amdhsa_exception_fp_ieee_inexact 0
		.amdhsa_exception_int_div_zero 0
	.end_amdhsa_kernel
	.section	.text._ZL20rocblas_gemvn_kernelILi64ELi16EiPK19rocblas_complex_numIfES3_KPS1_EviiT3_lPKT2_lT1_lS9_lSA_lS6_lPT4_lSA_li,"axG",@progbits,_ZL20rocblas_gemvn_kernelILi64ELi16EiPK19rocblas_complex_numIfES3_KPS1_EviiT3_lPKT2_lT1_lS9_lSA_lS6_lPT4_lSA_li,comdat
.Lfunc_end302:
	.size	_ZL20rocblas_gemvn_kernelILi64ELi16EiPK19rocblas_complex_numIfES3_KPS1_EviiT3_lPKT2_lT1_lS9_lSA_lS6_lPT4_lSA_li, .Lfunc_end302-_ZL20rocblas_gemvn_kernelILi64ELi16EiPK19rocblas_complex_numIfES3_KPS1_EviiT3_lPKT2_lT1_lS9_lSA_lS6_lPT4_lSA_li
                                        ; -- End function
	.section	.AMDGPU.csdata,"",@progbits
; Kernel info:
; codeLenInByte = 3428
; NumSgprs: 46
; NumVgprs: 65
; NumAgprs: 0
; TotalNumVgprs: 65
; ScratchSize: 0
; MemoryBound: 0
; FloatMode: 240
; IeeeMode: 1
; LDSByteSize: 32768 bytes/workgroup (compile time only)
; SGPRBlocks: 5
; VGPRBlocks: 8
; NumSGPRsForWavesPerEU: 46
; NumVGPRsForWavesPerEU: 65
; AccumOffset: 68
; Occupancy: 7
; WaveLimiterHint : 1
; COMPUTE_PGM_RSRC2:SCRATCH_EN: 0
; COMPUTE_PGM_RSRC2:USER_SGPR: 2
; COMPUTE_PGM_RSRC2:TRAP_HANDLER: 0
; COMPUTE_PGM_RSRC2:TGID_X_EN: 1
; COMPUTE_PGM_RSRC2:TGID_Y_EN: 0
; COMPUTE_PGM_RSRC2:TGID_Z_EN: 1
; COMPUTE_PGM_RSRC2:TIDIG_COMP_CNT: 1
; COMPUTE_PGM_RSRC3_GFX90A:ACCUM_OFFSET: 16
; COMPUTE_PGM_RSRC3_GFX90A:TG_SPLIT: 0
	.section	.text._ZL20rocblas_gemvn_kernelILi64ELi16ElPK19rocblas_complex_numIfES3_KPS1_EviiT3_lPKT2_lT1_lS9_lSA_lS6_lPT4_lSA_li,"axG",@progbits,_ZL20rocblas_gemvn_kernelILi64ELi16ElPK19rocblas_complex_numIfES3_KPS1_EviiT3_lPKT2_lT1_lS9_lSA_lS6_lPT4_lSA_li,comdat
	.globl	_ZL20rocblas_gemvn_kernelILi64ELi16ElPK19rocblas_complex_numIfES3_KPS1_EviiT3_lPKT2_lT1_lS9_lSA_lS6_lPT4_lSA_li ; -- Begin function _ZL20rocblas_gemvn_kernelILi64ELi16ElPK19rocblas_complex_numIfES3_KPS1_EviiT3_lPKT2_lT1_lS9_lSA_lS6_lPT4_lSA_li
	.p2align	8
	.type	_ZL20rocblas_gemvn_kernelILi64ELi16ElPK19rocblas_complex_numIfES3_KPS1_EviiT3_lPKT2_lT1_lS9_lSA_lS6_lPT4_lSA_li,@function
_ZL20rocblas_gemvn_kernelILi64ELi16ElPK19rocblas_complex_numIfES3_KPS1_EviiT3_lPKT2_lT1_lS9_lSA_lS6_lPT4_lSA_li: ; @_ZL20rocblas_gemvn_kernelILi64ELi16ElPK19rocblas_complex_numIfES3_KPS1_EviiT3_lPKT2_lT1_lS9_lSA_lS6_lPT4_lSA_li
; %bb.0:
	s_load_dwordx2 s[4:5], s[0:1], 0x9c
	s_mov_b32 s28, s3
	s_waitcnt lgkmcnt(0)
	s_and_b32 s3, s5, 0xffff
	s_lshr_b32 s5, s4, 16
	s_and_b32 s4, s4, 0xffff
	s_mul_i32 s4, s5, s4
	s_mul_i32 s4, s4, s3
	s_cmpk_lg_i32 s4, 0x400
	s_cbranch_scc1 .LBB303_49
; %bb.1:
	s_load_dwordx8 s[12:19], s[0:1], 0x8
	s_load_dwordx8 s[4:11], s[0:1], 0x58
	s_waitcnt lgkmcnt(0)
	s_mul_i32 s3, s28, s15
	s_mul_hi_u32 s15, s28, s14
	s_mul_i32 s14, s28, s14
	s_add_i32 s15, s15, s3
	s_lshl_b64 s[14:15], s[14:15], 3
	s_mul_i32 s7, s28, s7
	s_add_u32 s12, s12, s14
	s_mul_hi_u32 s3, s28, s6
	s_addc_u32 s13, s13, s15
	s_add_i32 s7, s3, s7
	s_mul_i32 s6, s28, s6
	s_lshl_b64 s[6:7], s[6:7], 3
	s_add_u32 s4, s4, s6
	s_load_dwordx2 s[14:15], s[12:13], 0x0
	s_addc_u32 s5, s5, s7
	s_load_dwordx2 s[12:13], s[4:5], 0x0
	s_waitcnt lgkmcnt(0)
	v_cmp_eq_f32_e64 s[4:5], s14, 0
	v_cmp_eq_f32_e64 s[6:7], s15, 0
	s_and_b64 s[4:5], s[4:5], s[6:7]
	v_cmp_eq_f32_e64 s[6:7], s12, 1.0
	v_cmp_eq_f32_e64 s[20:21], s13, 0
	s_and_b64 s[6:7], s[6:7], s[20:21]
	s_and_b64 s[4:5], s[4:5], s[6:7]
	s_and_b64 vcc, exec, s[4:5]
	s_cbranch_vccnz .LBB303_49
; %bb.2:
	s_or_b32 s3, s14, s15
	s_load_dwordx2 s[22:23], s[0:1], 0x28
	s_load_dwordx2 s[20:21], s[0:1], 0x78
	s_bitset0_b32 s3, 31
	s_cmp_lg_u32 s3, 0
	s_cselect_b64 s[34:35], -1, 0
	s_cmp_eq_u32 s3, 0
	s_cselect_b64 s[30:31], -1, 0
	s_mov_b32 s29, 0
	s_mov_b64 s[26:27], 0
	s_and_b64 vcc, exec, s[30:31]
	s_mov_b64 s[24:25], 0
	s_cbranch_vccnz .LBB303_4
; %bb.3:
	s_lshl_b64 s[4:5], s[28:29], 3
	s_add_u32 s4, s16, s4
	s_addc_u32 s5, s17, s5
	s_load_dwordx2 s[4:5], s[4:5], 0x0
	s_lshl_b64 s[6:7], s[18:19], 3
	s_waitcnt lgkmcnt(0)
	s_add_u32 s24, s4, s6
	s_addc_u32 s25, s5, s7
.LBB303_4:
	s_load_dwordx4 s[4:7], s[0:1], 0x38
	s_load_dwordx2 s[18:19], s[0:1], 0x48
	s_andn2_b64 vcc, exec, s[34:35]
	s_cbranch_vccnz .LBB303_6
; %bb.5:
	s_lshl_b64 s[16:17], s[28:29], 3
	s_waitcnt lgkmcnt(0)
	s_add_u32 s4, s4, s16
	s_addc_u32 s5, s5, s17
	s_load_dwordx2 s[4:5], s[4:5], 0x0
	s_lshl_b64 s[6:7], s[6:7], 3
	s_waitcnt lgkmcnt(0)
	s_add_u32 s26, s4, s6
	s_addc_u32 s27, s5, s7
.LBB303_6:
	s_waitcnt lgkmcnt(0)
	s_lshl_b64 s[4:5], s[28:29], 3
	s_add_u32 s4, s8, s4
	s_addc_u32 s5, s9, s5
	s_load_dwordx2 s[6:7], s[4:5], 0x0
	s_load_dwordx2 s[16:17], s[0:1], 0x0
	s_lshl_b64 s[0:1], s[10:11], 3
	v_and_b32_e32 v63, 0x3ff, v0
	v_bfe_u32 v64, v0, 10, 10
	s_waitcnt lgkmcnt(0)
	s_add_u32 s8, s6, s0
	s_addc_u32 s9, s7, s1
	v_lshl_add_u32 v62, v64, 6, v63
	s_andn2_b64 vcc, exec, s[30:31]
	s_mov_b64 s[0:1], -1
	s_cbranch_vccnz .LBB303_13
; %bb.7:
	s_movk_i32 s0, 0x100
	v_cmp_gt_u32_e32 vcc, s0, v62
	s_and_saveexec_b64 s[0:1], vcc
	s_cbranch_execz .LBB303_12
; %bb.8:
	v_lshl_or_b32 v0, s2, 8, v62
	v_mov_b32_e32 v1, 0
	s_ashr_i32 s5, s16, 31
	s_mov_b32 s4, s16
	v_cmp_gt_i64_e32 vcc, s[4:5], v[0:1]
	s_and_b64 exec, exec, vcc
	s_cbranch_execz .LBB303_12
; %bb.9:
	v_mad_u64_u32 v[2:3], s[10:11], v0, s20, 0
	v_mov_b32_e32 v4, v3
	v_cmp_neq_f32_e64 s[4:5], s12, 0
	v_cmp_neq_f32_e64 s[6:7], s13, 0
	v_mad_u64_u32 v[4:5], s[10:11], v0, s21, v[4:5]
	v_mov_b32_e32 v3, v4
	s_or_b64 s[4:5], s[4:5], s[6:7]
	s_andn2_b64 vcc, exec, s[4:5]
	v_lshl_add_u64 v[2:3], v[2:3], 3, s[8:9]
	v_mov_b32_e32 v5, v1
	s_cbranch_vccnz .LBB303_11
; %bb.10:
	global_load_dwordx2 v[0:1], v[2:3], off
	s_waitcnt vmcnt(0)
	v_pk_mul_f32 v[4:5], s[12:13], v[0:1] op_sel:[0,1]
	s_nop 0
	v_pk_fma_f32 v[6:7], s[12:13], v[0:1], v[4:5] op_sel:[0,0,1] op_sel_hi:[1,1,0] neg_lo:[0,0,1] neg_hi:[0,0,1]
	v_pk_fma_f32 v[4:5], s[12:13], v[0:1], v[4:5] op_sel:[0,0,1] op_sel_hi:[1,0,0]
	v_mov_b32_e32 v1, v6
.LBB303_11:
	v_mov_b32_e32 v4, v1
	global_store_dwordx2 v[2:3], v[4:5], off
.LBB303_12:
	s_or_b64 exec, exec, s[0:1]
	s_mov_b64 s[0:1], 0
.LBB303_13:
	s_andn2_b64 vcc, exec, s[0:1]
	s_cbranch_vccnz .LBB303_49
; %bb.14:
	s_ashr_i32 s0, s17, 31
	s_lshr_b32 s0, s0, 26
	s_add_i32 s44, s17, s0
	s_mov_b32 s6, 0
	s_lshl_b32 s33, s2, 8
	s_andn2_b32 s44, s44, 63
	v_lshlrev_b32_e32 v65, 2, v64
	s_mov_b32 s7, s6
	v_add_u32_e32 v4, s33, v63
	v_cmp_gt_i32_e32 vcc, s44, v65
	v_mov_b64_e32 v[8:9], s[6:7]
	v_mov_b32_e32 v1, 0
	v_mov_b32_e32 v0, 0
	;; [unrolled: 1-line block ×6, first 2 shown]
	s_and_saveexec_b64 s[10:11], vcc
	s_cbranch_execz .LBB303_26
; %bb.15:
	v_ashrrev_i32_e32 v5, 31, v4
	v_add_u32_e32 v0, 64, v4
	v_cmp_gt_i32_e64 s[0:1], s16, v0
	v_add_u32_e32 v0, 0x80, v4
	v_lshl_add_u64 v[10:11], v[4:5], 3, s[24:25]
	v_lshlrev_b32_e32 v5, 2, v64
	v_cmp_gt_i32_e64 s[2:3], s16, v0
	v_add_u32_e32 v0, 0xc0, v4
	v_or_b32_e32 v3, 3, v5
	v_cmp_gt_i32_e64 s[4:5], s16, v0
	v_mad_u64_u32 v[0:1], s[28:29], s22, v3, 0
	v_mov_b32_e32 v2, v1
	v_mad_u64_u32 v[2:3], s[28:29], s23, v3, v[2:3]
	v_mov_b32_e32 v1, v2
	v_lshlrev_b64 v[12:13], 3, v[0:1]
	v_mad_u64_u32 v[0:1], s[30:31], s18, v64, 0
	v_mov_b32_e32 v2, v1
	v_mad_u64_u32 v[2:3], s[30:31], s19, v64, v[2:3]
	v_mov_b32_e32 v1, v2
	v_lshlrev_b64 v[0:1], 5, v[0:1]
	v_lshl_add_u64 v[14:15], s[26:27], 0, v[0:1]
	v_mad_u64_u32 v[0:1], s[34:35], s22, v64, 0
	v_mov_b32_e32 v2, v1
	v_mad_u64_u32 v[2:3], s[34:35], s23, v64, v[2:3]
	v_mov_b32_e32 v1, v2
	v_lshlrev_b64 v[16:17], 5, v[0:1]
	v_mov_b64_e32 v[0:1], s[22:23]
	v_mad_u64_u32 v[0:1], s[34:35], s22, v5, v[0:1]
	v_mov_b32_e32 v2, v1
	v_mad_u64_u32 v[2:3], s[34:35], s23, v5, v[2:3]
	v_mov_b32_e32 v1, v2
	v_or_b32_e32 v3, 2, v5
	v_lshlrev_b64 v[18:19], 3, v[0:1]
	v_mad_u64_u32 v[0:1], s[34:35], s22, v3, 0
	v_mov_b32_e32 v2, v1
	v_mad_u64_u32 v[2:3], s[34:35], s23, v3, v[2:3]
	v_mov_b32_e32 v1, v2
	v_lshlrev_b64 v[20:21], 3, v[0:1]
	v_mov_b32_e32 v1, 0
	v_cmp_gt_i32_e32 vcc, s16, v4
	s_lshl_b64 s[28:29], s[22:23], 9
	s_lshl_b64 s[30:31], s[18:19], 9
	s_lshl_b64 s[36:37], s[18:19], 3
	s_mov_b64 s[34:35], 0
	v_mov_b64_e32 v[8:9], s[6:7]
	v_mov_b32_e32 v0, v1
	v_mov_b32_e32 v3, v1
	;; [unrolled: 1-line block ×5, first 2 shown]
	s_branch .LBB303_20
.LBB303_16:                             ;   in Loop: Header=BB303_20 Depth=1
	s_or_b64 exec, exec, s[42:43]
	s_waitcnt vmcnt(0) lgkmcnt(0)
	v_mul_f32_e32 v5, v33, v53
	v_fma_f32 v5, v32, v52, -v5
	v_add_f32_e32 v2, v2, v5
	v_mul_f32_e32 v5, v29, v51
	v_mul_f32_e32 v53, v32, v53
	v_fma_f32 v5, v28, v50, -v5
	v_fmac_f32_e32 v53, v33, v52
	v_mul_f32_e32 v51, v28, v51
	v_add_f32_e32 v2, v2, v5
	v_mul_f32_e32 v5, v25, v49
	v_add_f32_e32 v3, v3, v53
	v_fmac_f32_e32 v51, v29, v50
	v_fma_f32 v5, v24, v48, -v5
	v_mul_f32_e32 v49, v24, v49
	v_add_f32_e32 v3, v3, v51
	v_fmac_f32_e32 v49, v25, v48
	v_add_f32_e32 v2, v2, v5
	v_mul_f32_e32 v5, v23, v47
	v_mul_f32_e32 v47, v22, v47
	v_add_f32_e32 v3, v3, v49
	v_fma_f32 v5, v22, v46, -v5
	v_fmac_f32_e32 v47, v23, v46
	v_add_f32_e32 v2, v2, v5
	v_add_f32_e32 v3, v3, v47
.LBB303_17:                             ;   in Loop: Header=BB303_20 Depth=1
	s_or_b64 exec, exec, s[40:41]
	s_waitcnt vmcnt(0) lgkmcnt(0)
	v_mul_f32_e32 v5, v33, v45
	v_mul_f32_e32 v45, v32, v45
	v_fma_f32 v5, v32, v44, -v5
	v_fmac_f32_e32 v45, v33, v44
	v_add_f32_e32 v5, v6, v5
	v_add_f32_e32 v6, v7, v45
	v_mul_f32_e32 v7, v29, v43
	v_fma_f32 v7, v28, v42, -v7
	v_mul_f32_e32 v43, v28, v43
	v_fmac_f32_e32 v43, v29, v42
	v_add_f32_e32 v5, v5, v7
	v_mul_f32_e32 v7, v25, v41
	v_mul_f32_e32 v41, v24, v41
	v_add_f32_e32 v6, v6, v43
	v_fma_f32 v7, v24, v40, -v7
	v_fmac_f32_e32 v41, v25, v40
	v_add_f32_e32 v5, v5, v7
	v_add_f32_e32 v7, v6, v41
	v_mul_f32_e32 v6, v23, v39
	v_mul_f32_e32 v39, v22, v39
	v_fma_f32 v6, v22, v38, -v6
	v_fmac_f32_e32 v39, v23, v38
	v_add_f32_e32 v6, v5, v6
	v_add_f32_e32 v7, v7, v39
.LBB303_18:                             ;   in Loop: Header=BB303_20 Depth=1
	s_or_b64 exec, exec, s[38:39]
	s_waitcnt vmcnt(0) lgkmcnt(0)
	v_mul_f32_e32 v5, v33, v37
	v_mul_f32_e32 v39, v32, v37
	v_fma_f32 v38, v32, v36, -v5
	v_fmac_f32_e32 v39, v33, v36
	v_mul_f32_e32 v5, v29, v35
	v_mul_f32_e32 v33, v28, v35
	v_fma_f32 v32, v28, v34, -v5
	v_fmac_f32_e32 v33, v29, v34
	v_pk_add_f32 v[8:9], v[8:9], v[38:39]
	v_mov_b32_e32 v28, v25
	v_mov_b32_e32 v29, v24
	v_pk_add_f32 v[8:9], v[8:9], v[32:33]
	v_mov_b32_e32 v24, v31
	v_pk_mul_f32 v[32:33], v[28:29], v[30:31] op_sel_hi:[1,0]
	s_nop 0
	v_pk_fma_f32 v[24:25], v[28:29], v[24:25], v[32:33] op_sel:[0,0,1] op_sel_hi:[1,1,0] neg_lo:[1,0,0] neg_hi:[1,0,0]
	v_pk_fma_f32 v[28:29], v[28:29], v[30:31], v[32:33] op_sel:[0,1,1] op_sel_hi:[1,1,0]
	s_nop 0
	v_mov_b32_e32 v25, v29
	v_pk_add_f32 v[8:9], v[8:9], v[24:25]
	v_pk_mul_f32 v[24:25], v[22:23], v[26:27] op_sel:[0,1]
	s_nop 0
	v_pk_fma_f32 v[28:29], v[22:23], v[26:27], v[24:25] op_sel:[0,0,1] op_sel_hi:[1,1,0] neg_lo:[0,0,1] neg_hi:[0,0,1]
	v_pk_fma_f32 v[22:23], v[22:23], v[26:27], v[24:25] op_sel:[0,0,1] op_sel_hi:[1,0,0]
	s_nop 0
	v_mov_b32_e32 v29, v23
	v_pk_add_f32 v[8:9], v[8:9], v[28:29]
.LBB303_19:                             ;   in Loop: Header=BB303_20 Depth=1
	s_or_b64 exec, exec, s[6:7]
	v_add_u32_e32 v65, 64, v65
	v_cmp_le_i32_e64 s[6:7], s44, v65
	v_lshl_add_u64 v[10:11], v[10:11], 0, s[28:29]
	s_or_b64 s[34:35], s[6:7], s[34:35]
	v_lshl_add_u64 v[14:15], v[14:15], 0, s[30:31]
	s_andn2_b64 exec, exec, s[34:35]
	s_cbranch_execz .LBB303_25
.LBB303_20:                             ; =>This Inner Loop Header: Depth=1
	s_and_saveexec_b64 s[6:7], vcc
	s_cbranch_execz .LBB303_19
; %bb.21:                               ;   in Loop: Header=BB303_20 Depth=1
	v_lshl_add_u64 v[22:23], v[14:15], 0, s[36:37]
	v_lshl_add_u64 v[26:27], v[22:23], 0, s[36:37]
	flat_load_dwordx2 v[28:29], v[22:23]
	flat_load_dwordx2 v[24:25], v[26:27]
	v_lshl_add_u64 v[26:27], v[26:27], 0, s[36:37]
	v_lshl_add_u64 v[60:61], v[10:11], 0, v[16:17]
	flat_load_dwordx2 v[32:33], v[14:15]
	flat_load_dwordx2 v[22:23], v[26:27]
	v_lshl_add_u64 v[58:59], v[10:11], 0, v[18:19]
	v_lshl_add_u64 v[56:57], v[10:11], 0, v[20:21]
	;; [unrolled: 1-line block ×3, first 2 shown]
	flat_load_dwordx2 v[36:37], v[60:61]
	flat_load_dwordx2 v[34:35], v[58:59]
	flat_load_dwordx2 v[30:31], v[56:57]
	flat_load_dwordx2 v[26:27], v[54:55]
	s_and_saveexec_b64 s[38:39], s[0:1]
	s_cbranch_execz .LBB303_18
; %bb.22:                               ;   in Loop: Header=BB303_20 Depth=1
	flat_load_dwordx2 v[44:45], v[60:61] offset:512
	flat_load_dwordx2 v[42:43], v[58:59] offset:512
	;; [unrolled: 1-line block ×4, first 2 shown]
	s_and_saveexec_b64 s[40:41], s[2:3]
	s_cbranch_execz .LBB303_17
; %bb.23:                               ;   in Loop: Header=BB303_20 Depth=1
	flat_load_dwordx2 v[52:53], v[60:61] offset:1024
	flat_load_dwordx2 v[50:51], v[58:59] offset:1024
	;; [unrolled: 1-line block ×4, first 2 shown]
	s_and_saveexec_b64 s[42:43], s[4:5]
	s_cbranch_execz .LBB303_16
; %bb.24:                               ;   in Loop: Header=BB303_20 Depth=1
	flat_load_dwordx2 v[60:61], v[60:61] offset:1536
	s_nop 0
	flat_load_dwordx2 v[58:59], v[58:59] offset:1536
	s_nop 0
	;; [unrolled: 2-line block ×3, first 2 shown]
	flat_load_dwordx2 v[54:55], v[54:55] offset:1536
	s_waitcnt vmcnt(0) lgkmcnt(0)
	v_mul_f32_e32 v5, v33, v61
	v_mul_f32_e32 v61, v32, v61
	;; [unrolled: 1-line block ×4, first 2 shown]
	v_fma_f32 v5, v32, v60, -v5
	v_fmac_f32_e32 v61, v33, v60
	v_mul_f32_e32 v67, v25, v57
	v_mul_f32_e32 v57, v24, v57
	v_fma_f32 v60, v28, v58, -v66
	v_fmac_f32_e32 v59, v29, v58
	v_add_f32_e32 v0, v0, v5
	v_add_f32_e32 v1, v1, v61
	v_mul_f32_e32 v68, v23, v55
	v_mul_f32_e32 v55, v22, v55
	v_fma_f32 v58, v24, v56, -v67
	v_fmac_f32_e32 v57, v25, v56
	v_add_f32_e32 v0, v0, v60
	v_add_f32_e32 v1, v1, v59
	v_fma_f32 v56, v22, v54, -v68
	v_fmac_f32_e32 v55, v23, v54
	v_add_f32_e32 v0, v0, v58
	v_add_f32_e32 v1, v1, v57
	;; [unrolled: 1-line block ×4, first 2 shown]
	s_branch .LBB303_16
.LBB303_25:
	s_or_b64 exec, exec, s[34:35]
.LBB303_26:
	s_or_b64 exec, exec, s[10:11]
	s_sub_i32 s0, s17, s44
	s_cmp_lt_i32 s0, 1
	s_cbranch_scc1 .LBB303_44
; %bb.27:
	v_cmp_gt_i32_e32 vcc, s17, v65
	v_mov_b32_e32 v10, 0
	v_or_b32_e32 v20, 1, v65
	v_mov_b32_e32 v11, 0
	v_mov_b32_e32 v12, 0
	v_mov_b32_e32 v13, 0
	v_mov_b32_e32 v14, 0
	v_mov_b32_e32 v15, 0
	v_mov_b32_e32 v16, 0
	v_mov_b32_e32 v17, 0
	s_and_saveexec_b64 s[2:3], vcc
	s_cbranch_execz .LBB303_35
; %bb.28:
	v_mad_u64_u32 v[10:11], s[0:1], v65, s18, 0
	v_mov_b32_e32 v12, v11
	v_mad_u64_u32 v[12:13], s[0:1], v65, s19, v[12:13]
	v_mov_b32_e32 v11, v12
	v_lshl_add_u64 v[10:11], v[10:11], 3, s[26:27]
	flat_load_dwordx2 v[10:11], v[10:11]
	v_cmp_gt_i32_e64 s[0:1], s17, v20
	v_mov_b32_e32 v17, 0
	v_mov_b32_e32 v16, 0
	;; [unrolled: 1-line block ×6, first 2 shown]
	s_and_saveexec_b64 s[4:5], s[0:1]
	s_cbranch_execz .LBB303_34
; %bb.29:
	v_mad_u64_u32 v[12:13], s[0:1], v20, s18, 0
	v_mov_b32_e32 v14, v13
	v_mad_u64_u32 v[14:15], s[0:1], v20, s19, v[14:15]
	v_mov_b32_e32 v13, v14
	v_lshl_add_u64 v[12:13], v[12:13], 3, s[26:27]
	flat_load_dwordx2 v[12:13], v[12:13]
	v_or_b32_e32 v5, 2, v65
	v_cmp_gt_i32_e64 s[0:1], s17, v5
	v_mov_b32_e32 v17, 0
	v_mov_b32_e32 v16, 0
	;; [unrolled: 1-line block ×4, first 2 shown]
	s_and_saveexec_b64 s[6:7], s[0:1]
	s_cbranch_execz .LBB303_33
; %bb.30:
	v_mad_u64_u32 v[14:15], s[0:1], v5, s18, 0
	v_mov_b32_e32 v16, v15
	v_mad_u64_u32 v[16:17], s[0:1], v5, s19, v[16:17]
	v_mov_b32_e32 v15, v16
	v_lshl_add_u64 v[14:15], v[14:15], 3, s[26:27]
	flat_load_dwordx2 v[14:15], v[14:15]
	v_or_b32_e32 v5, 3, v65
	v_cmp_gt_i32_e64 s[0:1], s17, v5
	v_mov_b32_e32 v17, 0
	v_mov_b32_e32 v16, 0
	s_and_saveexec_b64 s[10:11], s[0:1]
	s_cbranch_execz .LBB303_32
; %bb.31:
	v_mad_u64_u32 v[16:17], s[0:1], v5, s18, 0
	v_mov_b32_e32 v18, v17
	v_mad_u64_u32 v[18:19], s[0:1], v5, s19, v[18:19]
	v_mov_b32_e32 v17, v18
	v_lshl_add_u64 v[16:17], v[16:17], 3, s[26:27]
	flat_load_dwordx2 v[16:17], v[16:17]
.LBB303_32:
	s_or_b64 exec, exec, s[10:11]
.LBB303_33:
	s_or_b64 exec, exec, s[6:7]
.LBB303_34:
	s_or_b64 exec, exec, s[4:5]
.LBB303_35:
	s_or_b64 exec, exec, s[2:3]
	v_cmp_gt_i32_e64 s[0:1], s16, v4
	s_and_saveexec_b64 s[2:3], s[0:1]
	s_cbranch_execz .LBB303_43
; %bb.36:
	v_mad_u64_u32 v[18:19], s[0:1], v65, s22, 0
	v_mov_b32_e32 v22, v19
	v_ashrrev_i32_e32 v5, 31, v4
	v_mad_u64_u32 v[22:23], s[0:1], v65, s23, v[22:23]
	v_mad_u64_u32 v[24:25], s[0:1], v20, s22, 0
	v_cndmask_b32_e32 v18, 0, v18, vcc
	v_cndmask_b32_e32 v19, 0, v22, vcc
	v_lshlrev_b64 v[22:23], 3, v[4:5]
	v_mov_b32_e32 v26, v25
	v_cmp_gt_i32_e32 vcc, s17, v20
	v_or_b32_e32 v5, 2, v65
	v_mad_u64_u32 v[26:27], s[0:1], v20, s23, v[26:27]
	v_cndmask_b32_e32 v20, 0, v24, vcc
	v_mad_u64_u32 v[24:25], s[0:1], v5, s22, 0
	v_cndmask_b32_e32 v21, 0, v26, vcc
	v_mov_b32_e32 v26, v25
	v_mad_u64_u32 v[26:27], s[0:1], v5, s23, v[26:27]
	v_cmp_gt_i32_e32 vcc, s17, v5
	v_or_b32_e32 v5, 3, v65
	v_lshl_add_u64 v[18:19], v[18:19], 3, s[24:25]
	v_cndmask_b32_e32 v25, 0, v26, vcc
	v_mad_u64_u32 v[26:27], s[0:1], v5, s22, 0
	v_mov_b32_e32 v32, v27
	v_lshl_add_u64 v[18:19], v[18:19], 0, v[22:23]
	v_lshl_add_u64 v[20:21], v[20:21], 3, s[24:25]
	v_cndmask_b32_e32 v24, 0, v24, vcc
	v_mad_u64_u32 v[32:33], s[0:1], v5, s23, v[32:33]
	v_cmp_gt_i32_e32 vcc, s17, v5
	v_lshl_add_u64 v[20:21], v[20:21], 0, v[22:23]
	flat_load_dwordx2 v[28:29], v[18:19]
	flat_load_dwordx2 v[30:31], v[20:21]
	v_lshl_add_u64 v[24:25], v[24:25], 3, s[24:25]
	v_cndmask_b32_e32 v26, 0, v26, vcc
	v_cndmask_b32_e32 v27, 0, v32, vcc
	v_lshl_add_u64 v[24:25], v[24:25], 0, v[22:23]
	v_lshl_add_u64 v[26:27], v[26:27], 3, s[24:25]
	;; [unrolled: 1-line block ×3, first 2 shown]
	flat_load_dwordx2 v[22:23], v[24:25]
	flat_load_dwordx2 v[32:33], v[26:27]
	v_add_u32_e32 v5, 64, v4
	v_cmp_gt_i32_e32 vcc, s16, v5
	s_waitcnt vmcnt(0) lgkmcnt(0)
	v_pk_mul_f32 v[34:35], v[10:11], v[28:29] op_sel:[0,1]
	v_pk_mul_f32 v[36:37], v[12:13], v[30:31] op_sel:[0,1]
	v_pk_fma_f32 v[38:39], v[10:11], v[28:29], v[34:35] op_sel:[0,0,1] op_sel_hi:[1,1,0] neg_lo:[0,0,1] neg_hi:[0,0,1]
	v_pk_fma_f32 v[28:29], v[10:11], v[28:29], v[34:35] op_sel:[0,0,1] op_sel_hi:[1,0,0]
	v_pk_fma_f32 v[34:35], v[12:13], v[30:31], v[36:37] op_sel:[0,0,1] op_sel_hi:[1,1,0] neg_lo:[0,0,1] neg_hi:[0,0,1]
	v_pk_fma_f32 v[30:31], v[12:13], v[30:31], v[36:37] op_sel:[0,0,1] op_sel_hi:[1,0,0]
	v_mov_b32_e32 v39, v29
	v_pk_mul_f32 v[36:37], v[14:15], v[22:23] op_sel:[0,1]
	v_pk_mul_f32 v[40:41], v[16:17], v[32:33] op_sel:[0,1]
	v_mov_b32_e32 v35, v31
	v_pk_fma_f32 v[28:29], v[14:15], v[22:23], v[36:37] op_sel:[0,0,1] op_sel_hi:[1,1,0] neg_lo:[0,0,1] neg_hi:[0,0,1]
	v_pk_fma_f32 v[30:31], v[14:15], v[22:23], v[36:37] op_sel:[0,0,1] op_sel_hi:[1,0,0]
	v_pk_add_f32 v[8:9], v[8:9], v[38:39]
	v_pk_fma_f32 v[22:23], v[16:17], v[32:33], v[40:41] op_sel:[0,0,1] op_sel_hi:[1,1,0] neg_lo:[0,0,1] neg_hi:[0,0,1]
	v_pk_fma_f32 v[32:33], v[16:17], v[32:33], v[40:41] op_sel:[0,0,1] op_sel_hi:[1,0,0]
	v_mov_b32_e32 v29, v31
	v_pk_add_f32 v[8:9], v[8:9], v[34:35]
	v_mov_b32_e32 v23, v33
	v_pk_add_f32 v[8:9], v[8:9], v[28:29]
	s_and_saveexec_b64 s[0:1], vcc
	s_cbranch_execz .LBB303_42
; %bb.37:
	flat_load_dwordx2 v[28:29], v[18:19] offset:512
	flat_load_dwordx2 v[30:31], v[20:21] offset:512
	;; [unrolled: 1-line block ×4, first 2 shown]
	v_add_u32_e32 v36, 0x80, v4
	v_cmp_gt_i32_e32 vcc, s16, v36
	s_waitcnt vmcnt(0) lgkmcnt(0)
	v_mul_f32_e32 v37, v11, v29
	v_mul_f32_e32 v29, v10, v29
	;; [unrolled: 1-line block ×6, first 2 shown]
	v_fma_f32 v35, v10, v28, -v37
	v_fmac_f32_e32 v29, v11, v28
	v_mul_f32_e32 v39, v15, v33
	v_mul_f32_e32 v33, v14, v33
	v_fma_f32 v37, v12, v30, -v38
	v_fmac_f32_e32 v31, v13, v30
	v_add_f32_e32 v6, v6, v35
	v_add_f32_e32 v7, v7, v29
	v_fma_f32 v30, v14, v32, -v39
	v_fmac_f32_e32 v33, v15, v32
	v_add_f32_e32 v6, v6, v37
	v_add_f32_e32 v7, v7, v31
	;; [unrolled: 4-line block ×3, first 2 shown]
	s_and_saveexec_b64 s[4:5], vcc
	s_cbranch_execz .LBB303_41
; %bb.38:
	flat_load_dwordx2 v[30:31], v[18:19] offset:1024
	flat_load_dwordx2 v[32:33], v[20:21] offset:1024
	;; [unrolled: 1-line block ×4, first 2 shown]
	v_add_u32_e32 v38, 0xc0, v4
	v_cmp_gt_i32_e32 vcc, s16, v38
	s_waitcnt vmcnt(0) lgkmcnt(0)
	v_mul_f32_e32 v29, v11, v31
	v_mul_f32_e32 v31, v10, v31
	;; [unrolled: 1-line block ×6, first 2 shown]
	v_fma_f32 v37, v10, v30, -v29
	v_fmac_f32_e32 v31, v11, v30
	v_mul_f32_e32 v40, v15, v35
	v_mul_f32_e32 v35, v14, v35
	v_fma_f32 v30, v12, v32, -v39
	v_fmac_f32_e32 v33, v13, v32
	v_add_f32_e32 v2, v2, v37
	v_add_f32_e32 v3, v3, v31
	v_fma_f32 v32, v14, v34, -v40
	v_fmac_f32_e32 v35, v15, v34
	v_add_f32_e32 v2, v2, v30
	v_add_f32_e32 v3, v3, v33
	;; [unrolled: 4-line block ×3, first 2 shown]
	s_and_saveexec_b64 s[6:7], vcc
	s_cbranch_execz .LBB303_40
; %bb.39:
	flat_load_dwordx2 v[30:31], v[18:19] offset:1536
	flat_load_dwordx2 v[32:33], v[20:21] offset:1536
	;; [unrolled: 1-line block ×4, first 2 shown]
	s_waitcnt vmcnt(0) lgkmcnt(0)
	v_mul_f32_e32 v18, v11, v31
	v_mul_f32_e32 v19, v10, v31
	;; [unrolled: 1-line block ×4, first 2 shown]
	v_fma_f32 v10, v10, v30, -v18
	v_fmac_f32_e32 v19, v11, v30
	v_mul_f32_e32 v24, v15, v35
	v_mul_f32_e32 v25, v14, v35
	v_fma_f32 v11, v12, v32, -v20
	v_fmac_f32_e32 v21, v13, v32
	v_add_f32_e32 v0, v0, v10
	v_add_f32_e32 v1, v1, v19
	v_mul_f32_e32 v26, v17, v37
	v_mul_f32_e32 v27, v16, v37
	v_fma_f32 v12, v14, v34, -v24
	v_fmac_f32_e32 v25, v15, v34
	v_add_f32_e32 v0, v0, v11
	v_add_f32_e32 v1, v1, v21
	v_fma_f32 v13, v16, v36, -v26
	v_fmac_f32_e32 v27, v17, v36
	v_add_f32_e32 v0, v0, v12
	v_add_f32_e32 v1, v1, v25
	;; [unrolled: 1-line block ×4, first 2 shown]
.LBB303_40:
	s_or_b64 exec, exec, s[6:7]
	v_add_f32_e32 v2, v2, v29
	v_add_f32_e32 v3, v3, v4
.LBB303_41:
	s_or_b64 exec, exec, s[4:5]
	v_add_f32_e32 v6, v6, v28
	v_add_f32_e32 v7, v7, v5
.LBB303_42:
	s_or_b64 exec, exec, s[0:1]
	v_pk_add_f32 v[8:9], v[8:9], v[22:23]
.LBB303_43:
	s_or_b64 exec, exec, s[2:3]
.LBB303_44:
	v_lshlrev_b32_e32 v4, 8, v64
	s_movk_i32 s0, 0x100
	v_add_lshl_u32 v4, v4, v63, 3
	v_cmp_gt_u32_e32 vcc, s0, v62
	ds_write2st64_b64 v4, v[8:9], v[6:7] offset1:1
	ds_write2st64_b64 v4, v[2:3], v[0:1] offset0:2 offset1:3
	s_waitcnt lgkmcnt(0)
	s_barrier
	s_and_saveexec_b64 s[0:1], vcc
	s_cbranch_execz .LBB303_49
; %bb.45:
	v_lshlrev_b32_e32 v20, 3, v62
	ds_read2st64_b64 v[0:3], v20 offset1:4
	ds_read2st64_b64 v[4:7], v20 offset0:8 offset1:12
	s_waitcnt vmcnt(0)
	ds_read2st64_b64 v[8:11], v20 offset0:16 offset1:20
	ds_read2st64_b64 v[12:15], v20 offset0:24 offset1:28
	;; [unrolled: 1-line block ×3, first 2 shown]
	s_waitcnt lgkmcnt(4)
	v_pk_add_f32 v[0:1], v[0:1], v[2:3]
	s_waitcnt lgkmcnt(3)
	v_pk_add_f32 v[0:1], v[0:1], v[4:5]
	s_nop 0
	v_pk_add_f32 v[0:1], v[0:1], v[6:7]
	s_waitcnt lgkmcnt(2)
	v_pk_add_f32 v[0:1], v[0:1], v[8:9]
	s_nop 0
	;; [unrolled: 4-line block ×3, first 2 shown]
	v_pk_add_f32 v[4:5], v[0:1], v[14:15]
	ds_read2st64_b64 v[0:3], v20 offset0:40 offset1:44
	s_waitcnt lgkmcnt(1)
	v_pk_add_f32 v[8:9], v[4:5], v[16:17]
	ds_read2st64_b64 v[4:7], v20 offset0:48 offset1:52
	v_pk_add_f32 v[12:13], v[8:9], v[18:19]
	ds_read2st64_b64 v[8:11], v20 offset0:56 offset1:60
	s_waitcnt lgkmcnt(2)
	v_pk_add_f32 v[0:1], v[12:13], v[0:1]
	s_nop 0
	v_pk_add_f32 v[0:1], v[0:1], v[2:3]
	s_waitcnt lgkmcnt(1)
	v_pk_add_f32 v[0:1], v[0:1], v[4:5]
	v_or_b32_e32 v4, s33, v62
	v_pk_add_f32 v[0:1], v[0:1], v[6:7]
	v_cmp_gt_i32_e32 vcc, s16, v4
	s_waitcnt lgkmcnt(0)
	v_pk_add_f32 v[0:1], v[0:1], v[8:9]
	s_nop 0
	v_pk_add_f32 v[2:3], v[0:1], v[10:11]
	ds_write_b64 v20, v[2:3]
	s_and_b64 exec, exec, vcc
	s_cbranch_execz .LBB303_49
; %bb.46:
	v_pk_mul_f32 v[6:7], v[2:3], s[14:15] op_sel:[1,0]
	v_cmp_neq_f32_e64 s[0:1], s12, 0
	v_pk_fma_f32 v[0:1], v[2:3], s[14:15], v[6:7] op_sel:[0,0,1] op_sel_hi:[0,1,0] neg_lo:[0,0,1] neg_hi:[0,0,1]
	v_pk_fma_f32 v[2:3], v[2:3], s[14:15], v[6:7] op_sel:[0,0,1] op_sel_hi:[0,1,0]
	v_ashrrev_i32_e32 v1, 31, v4
	v_cmp_neq_f32_e64 s[2:3], s13, 0
	v_mul_lo_u32 v2, v4, s21
	v_mul_lo_u32 v1, v1, s20
	v_mad_u64_u32 v[4:5], s[4:5], v4, s20, 0
	v_add3_u32 v5, v5, v2, v1
	s_or_b64 s[0:1], s[0:1], s[2:3]
	s_andn2_b64 vcc, exec, s[0:1]
	v_lshl_add_u64 v[4:5], v[4:5], 3, s[8:9]
	s_cbranch_vccnz .LBB303_48
; %bb.47:
	global_load_dwordx2 v[6:7], v[4:5], off
	v_mov_b32_e32 v1, v3
	s_waitcnt vmcnt(0)
	v_pk_mul_f32 v[2:3], s[12:13], v[6:7] op_sel:[0,1]
	s_nop 0
	v_pk_fma_f32 v[8:9], s[12:13], v[6:7], v[2:3] op_sel:[0,0,1] op_sel_hi:[1,1,0] neg_lo:[0,0,1] neg_hi:[0,0,1]
	v_pk_fma_f32 v[2:3], s[12:13], v[6:7], v[2:3] op_sel:[0,0,1] op_sel_hi:[1,0,0]
	s_nop 0
	v_mov_b32_e32 v9, v3
	v_pk_add_f32 v[0:1], v[0:1], v[8:9]
	s_nop 0
	v_mov_b32_e32 v3, v1
.LBB303_48:
	v_mov_b32_e32 v1, v3
	global_store_dwordx2 v[4:5], v[0:1], off
.LBB303_49:
	s_endpgm
	.section	.rodata,"a",@progbits
	.p2align	6, 0x0
	.amdhsa_kernel _ZL20rocblas_gemvn_kernelILi64ELi16ElPK19rocblas_complex_numIfES3_KPS1_EviiT3_lPKT2_lT1_lS9_lSA_lS6_lPT4_lSA_li
		.amdhsa_group_segment_fixed_size 32768
		.amdhsa_private_segment_fixed_size 0
		.amdhsa_kernarg_size 400
		.amdhsa_user_sgpr_count 2
		.amdhsa_user_sgpr_dispatch_ptr 0
		.amdhsa_user_sgpr_queue_ptr 0
		.amdhsa_user_sgpr_kernarg_segment_ptr 1
		.amdhsa_user_sgpr_dispatch_id 0
		.amdhsa_user_sgpr_kernarg_preload_length 0
		.amdhsa_user_sgpr_kernarg_preload_offset 0
		.amdhsa_user_sgpr_private_segment_size 0
		.amdhsa_uses_dynamic_stack 0
		.amdhsa_enable_private_segment 0
		.amdhsa_system_sgpr_workgroup_id_x 1
		.amdhsa_system_sgpr_workgroup_id_y 0
		.amdhsa_system_sgpr_workgroup_id_z 1
		.amdhsa_system_sgpr_workgroup_info 0
		.amdhsa_system_vgpr_workitem_id 1
		.amdhsa_next_free_vgpr 69
		.amdhsa_next_free_sgpr 45
		.amdhsa_accum_offset 72
		.amdhsa_reserve_vcc 1
		.amdhsa_float_round_mode_32 0
		.amdhsa_float_round_mode_16_64 0
		.amdhsa_float_denorm_mode_32 3
		.amdhsa_float_denorm_mode_16_64 3
		.amdhsa_dx10_clamp 1
		.amdhsa_ieee_mode 1
		.amdhsa_fp16_overflow 0
		.amdhsa_tg_split 0
		.amdhsa_exception_fp_ieee_invalid_op 0
		.amdhsa_exception_fp_denorm_src 0
		.amdhsa_exception_fp_ieee_div_zero 0
		.amdhsa_exception_fp_ieee_overflow 0
		.amdhsa_exception_fp_ieee_underflow 0
		.amdhsa_exception_fp_ieee_inexact 0
		.amdhsa_exception_int_div_zero 0
	.end_amdhsa_kernel
	.section	.text._ZL20rocblas_gemvn_kernelILi64ELi16ElPK19rocblas_complex_numIfES3_KPS1_EviiT3_lPKT2_lT1_lS9_lSA_lS6_lPT4_lSA_li,"axG",@progbits,_ZL20rocblas_gemvn_kernelILi64ELi16ElPK19rocblas_complex_numIfES3_KPS1_EviiT3_lPKT2_lT1_lS9_lSA_lS6_lPT4_lSA_li,comdat
.Lfunc_end303:
	.size	_ZL20rocblas_gemvn_kernelILi64ELi16ElPK19rocblas_complex_numIfES3_KPS1_EviiT3_lPKT2_lT1_lS9_lSA_lS6_lPT4_lSA_li, .Lfunc_end303-_ZL20rocblas_gemvn_kernelILi64ELi16ElPK19rocblas_complex_numIfES3_KPS1_EviiT3_lPKT2_lT1_lS9_lSA_lS6_lPT4_lSA_li
                                        ; -- End function
	.section	.AMDGPU.csdata,"",@progbits
; Kernel info:
; codeLenInByte = 3592
; NumSgprs: 51
; NumVgprs: 69
; NumAgprs: 0
; TotalNumVgprs: 69
; ScratchSize: 0
; MemoryBound: 0
; FloatMode: 240
; IeeeMode: 1
; LDSByteSize: 32768 bytes/workgroup (compile time only)
; SGPRBlocks: 6
; VGPRBlocks: 8
; NumSGPRsForWavesPerEU: 51
; NumVGPRsForWavesPerEU: 69
; AccumOffset: 72
; Occupancy: 7
; WaveLimiterHint : 1
; COMPUTE_PGM_RSRC2:SCRATCH_EN: 0
; COMPUTE_PGM_RSRC2:USER_SGPR: 2
; COMPUTE_PGM_RSRC2:TRAP_HANDLER: 0
; COMPUTE_PGM_RSRC2:TGID_X_EN: 1
; COMPUTE_PGM_RSRC2:TGID_Y_EN: 0
; COMPUTE_PGM_RSRC2:TGID_Z_EN: 1
; COMPUTE_PGM_RSRC2:TIDIG_COMP_CNT: 1
; COMPUTE_PGM_RSRC3_GFX90A:ACCUM_OFFSET: 17
; COMPUTE_PGM_RSRC3_GFX90A:TG_SPLIT: 0
	.section	.text._ZL20rocblas_gemvn_kernelILi64ELi16EiPK19rocblas_complex_numIfES1_KPS1_EviiT3_lPKT2_lT1_lS9_lSA_lS6_lPT4_lSA_li,"axG",@progbits,_ZL20rocblas_gemvn_kernelILi64ELi16EiPK19rocblas_complex_numIfES1_KPS1_EviiT3_lPKT2_lT1_lS9_lSA_lS6_lPT4_lSA_li,comdat
	.globl	_ZL20rocblas_gemvn_kernelILi64ELi16EiPK19rocblas_complex_numIfES1_KPS1_EviiT3_lPKT2_lT1_lS9_lSA_lS6_lPT4_lSA_li ; -- Begin function _ZL20rocblas_gemvn_kernelILi64ELi16EiPK19rocblas_complex_numIfES1_KPS1_EviiT3_lPKT2_lT1_lS9_lSA_lS6_lPT4_lSA_li
	.p2align	8
	.type	_ZL20rocblas_gemvn_kernelILi64ELi16EiPK19rocblas_complex_numIfES1_KPS1_EviiT3_lPKT2_lT1_lS9_lSA_lS6_lPT4_lSA_li,@function
_ZL20rocblas_gemvn_kernelILi64ELi16EiPK19rocblas_complex_numIfES1_KPS1_EviiT3_lPKT2_lT1_lS9_lSA_lS6_lPT4_lSA_li: ; @_ZL20rocblas_gemvn_kernelILi64ELi16EiPK19rocblas_complex_numIfES1_KPS1_EviiT3_lPKT2_lT1_lS9_lSA_lS6_lPT4_lSA_li
; %bb.0:
	s_load_dwordx2 s[6:7], s[0:1], 0x9c
	s_mov_b32 s4, s3
	s_waitcnt lgkmcnt(0)
	s_lshr_b32 s5, s6, 16
	s_and_b32 s6, s6, 0xffff
	s_and_b32 s3, s7, 0xffff
	s_mul_i32 s5, s5, s6
	s_mul_i32 s5, s5, s3
	s_cmpk_lg_i32 s5, 0x400
	s_cbranch_scc1 .LBB304_51
; %bb.1:
	s_load_dwordx4 s[8:11], s[0:1], 0x0
	s_load_dwordx2 s[12:13], s[0:1], 0x58
	s_waitcnt lgkmcnt(0)
	v_cmp_eq_f32_e64 s[6:7], s10, 0
	v_cmp_eq_f32_e64 s[14:15], s11, 0
	v_cmp_eq_f32_e64 s[16:17], s12, 1.0
	v_cmp_eq_f32_e64 s[18:19], s13, 0
	s_and_b64 s[6:7], s[6:7], s[14:15]
	s_and_b64 s[14:15], s[16:17], s[18:19]
	s_and_b64 s[6:7], s[6:7], s[14:15]
	s_and_b64 vcc, exec, s[6:7]
	s_cbranch_vccnz .LBB304_51
; %bb.2:
	s_or_b32 s3, s10, s11
	s_bitset0_b32 s3, 31
	s_cmp_lg_u32 s3, 0
	s_cselect_b64 s[14:15], -1, 0
	s_cmp_eq_u32 s3, 0
	s_cselect_b64 s[6:7], -1, 0
	s_and_b64 vcc, exec, s[14:15]
	s_cbranch_vccnz .LBB304_4
; %bb.3:
	s_mov_b32 s5, 0
	s_mov_b64 s[16:17], 0
	s_cbranch_execz .LBB304_5
	s_branch .LBB304_6
.LBB304_4:
                                        ; implicit-def: $sgpr16_sgpr17
.LBB304_5:
	s_load_dwordx4 s[16:19], s[0:1], 0x18
	s_mov_b32 s5, 0
	s_lshl_b64 s[20:21], s[4:5], 3
	s_waitcnt lgkmcnt(0)
	s_add_u32 s16, s16, s20
	s_addc_u32 s17, s17, s21
	s_load_dwordx2 s[16:17], s[16:17], 0x0
	s_lshl_b64 s[18:19], s[18:19], 3
	s_waitcnt lgkmcnt(0)
	s_add_u32 s16, s16, s18
	s_addc_u32 s17, s17, s19
.LBB304_6:
	s_andn2_b64 vcc, exec, s[14:15]
	s_mov_b64 s[18:19], 0
	s_cbranch_vccnz .LBB304_8
; %bb.7:
	s_load_dwordx4 s[20:23], s[0:1], 0x38
	s_lshl_b64 s[14:15], s[4:5], 3
	s_waitcnt lgkmcnt(0)
	s_add_u32 s14, s20, s14
	s_addc_u32 s15, s21, s15
	s_load_dwordx2 s[14:15], s[14:15], 0x0
	s_lshl_b64 s[18:19], s[22:23], 3
	s_waitcnt lgkmcnt(0)
	s_add_u32 s18, s14, s18
	s_addc_u32 s19, s15, s19
.LBB304_8:
	s_load_dwordx4 s[20:23], s[0:1], 0x68
	s_load_dword s33, s[0:1], 0x78
	s_lshl_b64 s[4:5], s[4:5], 3
	v_and_b32_e32 v2, 0x3ff, v0
	v_bfe_u32 v3, v0, 10, 10
	s_waitcnt lgkmcnt(0)
	s_add_u32 s4, s20, s4
	s_addc_u32 s5, s21, s5
	s_load_dwordx2 s[4:5], s[4:5], 0x0
	s_lshl_b64 s[14:15], s[22:23], 3
	v_lshl_add_u32 v54, v3, 6, v2
	s_waitcnt lgkmcnt(0)
	s_add_u32 s14, s4, s14
	s_addc_u32 s15, s5, s15
	s_andn2_b64 vcc, exec, s[6:7]
	s_mov_b64 s[4:5], -1
	s_cbranch_vccnz .LBB304_15
; %bb.9:
	s_movk_i32 s3, 0x100
	v_cmp_gt_u32_e32 vcc, s3, v54
	s_and_saveexec_b64 s[4:5], vcc
	s_cbranch_execz .LBB304_14
; %bb.10:
	v_lshl_or_b32 v0, s2, 8, v54
	v_mov_b32_e32 v1, 0
	s_ashr_i32 s7, s8, 31
	s_mov_b32 s6, s8
	v_cmp_gt_i64_e32 vcc, s[6:7], v[0:1]
	s_and_b64 exec, exec, vcc
	s_cbranch_execz .LBB304_14
; %bb.11:
	v_mad_u64_u32 v[4:5], s[22:23], s33, v0, 0
	s_ashr_i32 s3, s33, 31
	v_mov_b32_e32 v6, v5
	v_cmp_neq_f32_e64 s[6:7], s12, 0
	v_cmp_neq_f32_e64 s[20:21], s13, 0
	v_mad_u64_u32 v[6:7], s[22:23], s3, v0, v[6:7]
	v_mov_b32_e32 v5, v6
	s_or_b64 s[6:7], s[6:7], s[20:21]
	s_andn2_b64 vcc, exec, s[6:7]
	v_lshl_add_u64 v[4:5], v[4:5], 3, s[14:15]
	v_mov_b32_e32 v7, v1
	s_cbranch_vccnz .LBB304_13
; %bb.12:
	global_load_dwordx2 v[0:1], v[4:5], off
	s_waitcnt vmcnt(0)
	v_pk_mul_f32 v[6:7], s[12:13], v[0:1] op_sel:[0,1]
	s_nop 0
	v_pk_fma_f32 v[8:9], s[12:13], v[0:1], v[6:7] op_sel:[0,0,1] op_sel_hi:[1,1,0] neg_lo:[0,0,1] neg_hi:[0,0,1]
	v_pk_fma_f32 v[6:7], s[12:13], v[0:1], v[6:7] op_sel:[0,0,1] op_sel_hi:[1,0,0]
	v_mov_b32_e32 v1, v8
.LBB304_13:
	v_mov_b32_e32 v6, v1
	global_store_dwordx2 v[4:5], v[6:7], off
.LBB304_14:
	s_or_b64 exec, exec, s[4:5]
	s_mov_b64 s[4:5], 0
.LBB304_15:
	s_andn2_b64 vcc, exec, s[4:5]
	s_cbranch_vccnz .LBB304_51
; %bb.16:
	s_load_dword s35, s[0:1], 0x28
	s_load_dword s36, s[0:1], 0x48
	s_ashr_i32 s0, s9, 31
	s_lshr_b32 s0, s0, 26
	s_add_i32 s37, s9, s0
	s_mov_b32 s20, 0
	s_lshl_b32 s34, s2, 8
	s_andn2_b32 s37, s37, 63
	v_lshlrev_b32_e32 v56, 2, v3
	s_mov_b32 s21, s20
	v_add_u32_e32 v55, s34, v2
	v_cmp_gt_i32_e32 vcc, s37, v56
	v_mov_b64_e32 v[8:9], s[20:21]
	v_mov_b32_e32 v1, 0
	v_mov_b32_e32 v0, 0
	;; [unrolled: 1-line block ×6, first 2 shown]
	s_and_saveexec_b64 s[22:23], vcc
	s_cbranch_execz .LBB304_28
; %bb.17:
	v_add_u32_e32 v0, 64, v55
	v_cmp_gt_i32_e64 s[0:1], s8, v0
	v_add_u32_e32 v0, 0x80, v55
	v_cmp_gt_i32_e64 s[2:3], s8, v0
	v_add_u32_e32 v0, 0xc0, v55
	v_cmp_gt_i32_e64 s[4:5], s8, v0
	s_waitcnt lgkmcnt(0)
	v_mul_lo_u32 v0, s35, v56
	v_add3_u32 v57, v0, s35, v2
	v_add_u32_e32 v0, 2, v56
	v_mad_u64_u32 v[10:11], s[6:7], s35, v0, v[2:3]
	v_add_u32_e32 v1, 3, v56
	v_mul_lo_u32 v4, v3, s35
	v_mad_u64_u32 v[12:13], s[6:7], s35, v1, v[2:3]
	v_lshl_add_u32 v11, v4, 2, v2
	v_mul_lo_u32 v4, s36, v56
	v_mul_lo_u32 v58, s36, v0
	;; [unrolled: 1-line block ×4, first 2 shown]
	v_mov_b32_e32 v1, 0
	v_cmp_gt_i32_e32 vcc, s8, v55
	s_lshl_b32 s38, s35, 6
	v_add_u32_e32 v13, s36, v4
	s_lshl_b32 s39, s36, 6
	v_lshlrev_b32_e32 v60, 2, v0
	s_mov_b64 s[24:25], 0
	v_mov_b64_e32 v[8:9], s[20:21]
	v_mov_b32_e32 v0, v1
	v_mov_b32_e32 v5, v1
	;; [unrolled: 1-line block ×5, first 2 shown]
	s_branch .LBB304_22
.LBB304_18:                             ;   in Loop: Header=BB304_22 Depth=1
	s_or_b64 exec, exec, s[30:31]
	s_waitcnt vmcnt(0) lgkmcnt(0)
	v_mul_f32_e32 v46, v21, v45
	v_mul_f32_e32 v45, v20, v45
	v_fma_f32 v46, v20, v44, -v46
	v_fmac_f32_e32 v45, v21, v44
	v_mul_f32_e32 v44, v19, v43
	v_mul_f32_e32 v43, v18, v43
	v_add_f32_e32 v4, v4, v46
	v_add_f32_e32 v5, v5, v45
	v_fma_f32 v44, v18, v42, -v44
	v_fmac_f32_e32 v43, v19, v42
	v_mul_f32_e32 v42, v17, v41
	v_mul_f32_e32 v41, v16, v41
	v_add_f32_e32 v4, v4, v44
	v_add_f32_e32 v5, v5, v43
	;; [unrolled: 6-line block ×3, first 2 shown]
	v_fma_f32 v40, v14, v38, -v40
	v_fmac_f32_e32 v39, v15, v38
	v_add_f32_e32 v4, v4, v40
	v_add_f32_e32 v5, v5, v39
.LBB304_19:                             ;   in Loop: Header=BB304_22 Depth=1
	s_or_b64 exec, exec, s[28:29]
	s_waitcnt vmcnt(0) lgkmcnt(0)
	v_mul_f32_e32 v38, v21, v37
	v_mul_f32_e32 v37, v20, v37
	v_fma_f32 v38, v20, v36, -v38
	v_fmac_f32_e32 v37, v21, v36
	v_mul_f32_e32 v36, v19, v35
	v_mul_f32_e32 v35, v18, v35
	v_add_f32_e32 v6, v6, v38
	v_add_f32_e32 v7, v7, v37
	v_fma_f32 v36, v18, v34, -v36
	v_fmac_f32_e32 v35, v19, v34
	v_mul_f32_e32 v34, v17, v33
	v_mul_f32_e32 v33, v16, v33
	v_add_f32_e32 v6, v6, v36
	v_add_f32_e32 v7, v7, v35
	;; [unrolled: 6-line block ×3, first 2 shown]
	v_fma_f32 v32, v14, v30, -v32
	v_fmac_f32_e32 v31, v15, v30
	v_add_f32_e32 v6, v6, v32
	v_add_f32_e32 v7, v7, v31
.LBB304_20:                             ;   in Loop: Header=BB304_22 Depth=1
	s_or_b64 exec, exec, s[26:27]
	s_waitcnt vmcnt(0) lgkmcnt(0)
	v_mul_f32_e32 v30, v21, v29
	v_mul_f32_e32 v31, v20, v29
	v_fma_f32 v30, v20, v28, -v30
	v_fmac_f32_e32 v31, v21, v28
	v_mul_f32_e32 v20, v19, v27
	v_mul_f32_e32 v21, v18, v27
	v_fma_f32 v20, v18, v26, -v20
	v_fmac_f32_e32 v21, v19, v26
	v_pk_add_f32 v[8:9], v[8:9], v[30:31]
	v_mov_b32_e32 v18, v17
	v_mov_b32_e32 v19, v16
	v_pk_add_f32 v[8:9], v[8:9], v[20:21]
	v_mov_b32_e32 v16, v25
	v_pk_mul_f32 v[20:21], v[18:19], v[24:25] op_sel_hi:[1,0]
	s_nop 0
	v_pk_fma_f32 v[16:17], v[18:19], v[16:17], v[20:21] op_sel:[0,0,1] op_sel_hi:[1,1,0] neg_lo:[1,0,0] neg_hi:[1,0,0]
	v_pk_fma_f32 v[18:19], v[18:19], v[24:25], v[20:21] op_sel:[0,1,1] op_sel_hi:[1,1,0]
	s_nop 0
	v_mov_b32_e32 v17, v19
	v_pk_add_f32 v[8:9], v[8:9], v[16:17]
	v_pk_mul_f32 v[16:17], v[14:15], v[22:23] op_sel:[0,1]
	s_nop 0
	v_pk_fma_f32 v[18:19], v[14:15], v[22:23], v[16:17] op_sel:[0,0,1] op_sel_hi:[1,1,0] neg_lo:[0,0,1] neg_hi:[0,0,1]
	v_pk_fma_f32 v[14:15], v[14:15], v[22:23], v[16:17] op_sel:[0,0,1] op_sel_hi:[1,0,0]
	s_nop 0
	v_mov_b32_e32 v19, v15
	v_pk_add_f32 v[8:9], v[8:9], v[18:19]
.LBB304_21:                             ;   in Loop: Header=BB304_22 Depth=1
	s_or_b64 exec, exec, s[6:7]
	v_add_u32_e32 v56, 64, v56
	s_add_i32 s20, s20, s39
	v_cmp_le_i32_e64 s[6:7], s37, v56
	v_add_u32_e32 v57, s38, v57
	v_add_u32_e32 v10, s38, v10
	;; [unrolled: 1-line block ×3, first 2 shown]
	s_or_b64 s[24:25], s[6:7], s[24:25]
	v_add_u32_e32 v11, s38, v11
	s_andn2_b64 exec, exec, s[24:25]
	s_cbranch_execz .LBB304_27
.LBB304_22:                             ; =>This Inner Loop Header: Depth=1
	s_and_saveexec_b64 s[6:7], vcc
	s_cbranch_execz .LBB304_21
; %bb.23:                               ;   in Loop: Header=BB304_22 Depth=1
	v_add_u32_e32 v14, s20, v60
	v_ashrrev_i32_e32 v15, 31, v14
	v_lshl_add_u64 v[22:23], v[14:15], 3, s[18:19]
	v_add_u32_e32 v14, s20, v13
	v_ashrrev_i32_e32 v15, 31, v14
	v_lshl_add_u64 v[24:25], v[14:15], 3, s[18:19]
	;; [unrolled: 3-line block ×4, first 2 shown]
	flat_load_dwordx2 v[20:21], v[22:23]
	flat_load_dwordx2 v[18:19], v[24:25]
	;; [unrolled: 1-line block ×4, first 2 shown]
	v_add_u32_e32 v22, s34, v11
	v_ashrrev_i32_e32 v23, 31, v22
	v_lshl_add_u64 v[52:53], v[22:23], 3, s[16:17]
	v_add_u32_e32 v22, s34, v57
	v_ashrrev_i32_e32 v23, 31, v22
	v_lshl_add_u64 v[50:51], v[22:23], 3, s[16:17]
	;; [unrolled: 3-line block ×4, first 2 shown]
	flat_load_dwordx2 v[28:29], v[52:53]
	flat_load_dwordx2 v[26:27], v[50:51]
	flat_load_dwordx2 v[24:25], v[48:49]
	flat_load_dwordx2 v[22:23], v[46:47]
	s_and_saveexec_b64 s[26:27], s[0:1]
	s_cbranch_execz .LBB304_20
; %bb.24:                               ;   in Loop: Header=BB304_22 Depth=1
	flat_load_dwordx2 v[36:37], v[52:53] offset:512
	flat_load_dwordx2 v[34:35], v[50:51] offset:512
	;; [unrolled: 1-line block ×4, first 2 shown]
	s_and_saveexec_b64 s[28:29], s[2:3]
	s_cbranch_execz .LBB304_19
; %bb.25:                               ;   in Loop: Header=BB304_22 Depth=1
	flat_load_dwordx2 v[44:45], v[52:53] offset:1024
	flat_load_dwordx2 v[42:43], v[50:51] offset:1024
	;; [unrolled: 1-line block ×4, first 2 shown]
	s_and_saveexec_b64 s[30:31], s[4:5]
	s_cbranch_execz .LBB304_18
; %bb.26:                               ;   in Loop: Header=BB304_22 Depth=1
	flat_load_dwordx2 v[52:53], v[52:53] offset:1536
	s_nop 0
	flat_load_dwordx2 v[50:51], v[50:51] offset:1536
	s_nop 0
	;; [unrolled: 2-line block ×3, first 2 shown]
	flat_load_dwordx2 v[46:47], v[46:47] offset:1536
	s_waitcnt vmcnt(0) lgkmcnt(0)
	v_mul_f32_e32 v61, v21, v53
	v_mul_f32_e32 v53, v20, v53
	;; [unrolled: 1-line block ×4, first 2 shown]
	v_fma_f32 v61, v20, v52, -v61
	v_fmac_f32_e32 v53, v21, v52
	v_mul_f32_e32 v63, v17, v49
	v_mul_f32_e32 v49, v16, v49
	v_fma_f32 v52, v18, v50, -v62
	v_fmac_f32_e32 v51, v19, v50
	v_add_f32_e32 v0, v0, v61
	v_add_f32_e32 v1, v1, v53
	v_mul_f32_e32 v64, v15, v47
	v_mul_f32_e32 v47, v14, v47
	v_fma_f32 v50, v16, v48, -v63
	v_fmac_f32_e32 v49, v17, v48
	v_add_f32_e32 v0, v0, v52
	v_add_f32_e32 v1, v1, v51
	v_fma_f32 v48, v14, v46, -v64
	v_fmac_f32_e32 v47, v15, v46
	v_add_f32_e32 v0, v0, v50
	v_add_f32_e32 v1, v1, v49
	;; [unrolled: 1-line block ×4, first 2 shown]
	s_branch .LBB304_18
.LBB304_27:
	s_or_b64 exec, exec, s[24:25]
.LBB304_28:
	s_or_b64 exec, exec, s[22:23]
	s_sub_i32 s0, s9, s37
	s_cmp_lt_i32 s0, 1
	s_cbranch_scc1 .LBB304_46
; %bb.29:
	v_cmp_gt_i32_e32 vcc, s9, v56
	v_mov_b32_e32 v10, 0
	v_or_b32_e32 v20, 1, v56
	v_mov_b32_e32 v11, 0
	v_mov_b32_e32 v12, 0
	;; [unrolled: 1-line block ×7, first 2 shown]
	s_and_saveexec_b64 s[2:3], vcc
	s_cbranch_execz .LBB304_37
; %bb.30:
	s_waitcnt lgkmcnt(0)
	v_mul_lo_u32 v10, v56, s36
	v_ashrrev_i32_e32 v11, 31, v10
	v_lshl_add_u64 v[10:11], v[10:11], 3, s[18:19]
	flat_load_dwordx2 v[10:11], v[10:11]
	v_cmp_gt_i32_e64 s[0:1], s9, v20
	v_mov_b32_e32 v17, 0
	v_mov_b32_e32 v16, 0
	;; [unrolled: 1-line block ×6, first 2 shown]
	s_and_saveexec_b64 s[4:5], s[0:1]
	s_cbranch_execz .LBB304_36
; %bb.31:
	v_mul_lo_u32 v12, v20, s36
	v_ashrrev_i32_e32 v13, 31, v12
	v_lshl_add_u64 v[12:13], v[12:13], 3, s[18:19]
	flat_load_dwordx2 v[12:13], v[12:13]
	v_or_b32_e32 v18, 2, v56
	v_cmp_gt_i32_e64 s[0:1], s9, v18
	v_mov_b32_e32 v17, 0
	v_mov_b32_e32 v16, 0
	;; [unrolled: 1-line block ×4, first 2 shown]
	s_and_saveexec_b64 s[6:7], s[0:1]
	s_cbranch_execz .LBB304_35
; %bb.32:
	v_mul_lo_u32 v14, v18, s36
	v_ashrrev_i32_e32 v15, 31, v14
	v_lshl_add_u64 v[14:15], v[14:15], 3, s[18:19]
	flat_load_dwordx2 v[14:15], v[14:15]
	v_or_b32_e32 v18, 3, v56
	v_cmp_gt_i32_e64 s[0:1], s9, v18
	v_mov_b32_e32 v17, 0
	v_mov_b32_e32 v16, 0
	s_and_saveexec_b64 s[20:21], s[0:1]
	s_cbranch_execz .LBB304_34
; %bb.33:
	v_mul_lo_u32 v16, v18, s36
	v_ashrrev_i32_e32 v17, 31, v16
	v_lshl_add_u64 v[16:17], v[16:17], 3, s[18:19]
	flat_load_dwordx2 v[16:17], v[16:17]
.LBB304_34:
	s_or_b64 exec, exec, s[20:21]
.LBB304_35:
	s_or_b64 exec, exec, s[6:7]
.LBB304_36:
	s_or_b64 exec, exec, s[4:5]
.LBB304_37:
	s_or_b64 exec, exec, s[2:3]
	v_cmp_gt_i32_e64 s[0:1], s8, v55
	s_and_saveexec_b64 s[2:3], s[0:1]
	s_cbranch_execz .LBB304_45
; %bb.38:
	s_waitcnt lgkmcnt(0)
	v_mul_lo_u32 v18, v56, s35
	v_cndmask_b32_e32 v18, 0, v18, vcc
	v_mul_lo_u32 v21, v20, s35
	v_cmp_gt_i32_e32 vcc, s9, v20
	v_or_b32_e32 v24, 2, v56
	v_add_u32_e32 v18, v18, v55
	v_cndmask_b32_e32 v20, 0, v21, vcc
	v_mul_lo_u32 v25, v24, s35
	v_cmp_gt_i32_e32 vcc, s9, v24
	v_or_b32_e32 v26, 3, v56
	v_ashrrev_i32_e32 v19, 31, v18
	v_add_u32_e32 v20, v20, v55
	v_cndmask_b32_e32 v24, 0, v25, vcc
	v_mul_lo_u32 v27, v26, s35
	v_cmp_gt_i32_e32 vcc, s9, v26
	v_lshl_add_u64 v[18:19], v[18:19], 3, s[16:17]
	v_ashrrev_i32_e32 v21, 31, v20
	v_add_u32_e32 v24, v24, v55
	v_cndmask_b32_e32 v26, 0, v27, vcc
	v_lshl_add_u64 v[22:23], v[20:21], 3, s[16:17]
	flat_load_dwordx2 v[20:21], v[18:19]
	flat_load_dwordx2 v[28:29], v[22:23]
	v_ashrrev_i32_e32 v25, 31, v24
	v_add_u32_e32 v26, v26, v55
	v_lshl_add_u64 v[24:25], v[24:25], 3, s[16:17]
	v_ashrrev_i32_e32 v27, 31, v26
	v_lshl_add_u64 v[26:27], v[26:27], 3, s[16:17]
	flat_load_dwordx2 v[30:31], v[24:25]
	flat_load_dwordx2 v[32:33], v[26:27]
	v_add_u32_e32 v42, 64, v55
	v_cmp_gt_i32_e32 vcc, s8, v42
	s_waitcnt vmcnt(0) lgkmcnt(0)
	v_pk_mul_f32 v[34:35], v[10:11], v[20:21] op_sel:[0,1]
	v_pk_mul_f32 v[36:37], v[12:13], v[28:29] op_sel:[0,1]
	v_pk_fma_f32 v[38:39], v[10:11], v[20:21], v[34:35] op_sel:[0,0,1] op_sel_hi:[1,1,0] neg_lo:[0,0,1] neg_hi:[0,0,1]
	v_pk_fma_f32 v[20:21], v[10:11], v[20:21], v[34:35] op_sel:[0,0,1] op_sel_hi:[1,0,0]
	v_pk_fma_f32 v[34:35], v[12:13], v[28:29], v[36:37] op_sel:[0,0,1] op_sel_hi:[1,1,0] neg_lo:[0,0,1] neg_hi:[0,0,1]
	v_pk_fma_f32 v[28:29], v[12:13], v[28:29], v[36:37] op_sel:[0,0,1] op_sel_hi:[1,0,0]
	v_pk_mul_f32 v[36:37], v[14:15], v[30:31] op_sel:[0,1]
	v_mov_b32_e32 v39, v21
	v_pk_mul_f32 v[40:41], v[16:17], v[32:33] op_sel:[0,1]
	v_mov_b32_e32 v35, v29
	v_pk_fma_f32 v[28:29], v[14:15], v[30:31], v[36:37] op_sel:[0,0,1] op_sel_hi:[1,1,0] neg_lo:[0,0,1] neg_hi:[0,0,1]
	v_pk_fma_f32 v[30:31], v[14:15], v[30:31], v[36:37] op_sel:[0,0,1] op_sel_hi:[1,0,0]
	v_pk_add_f32 v[8:9], v[8:9], v[38:39]
	v_pk_fma_f32 v[20:21], v[16:17], v[32:33], v[40:41] op_sel:[0,0,1] op_sel_hi:[1,1,0] neg_lo:[0,0,1] neg_hi:[0,0,1]
	v_pk_fma_f32 v[32:33], v[16:17], v[32:33], v[40:41] op_sel:[0,0,1] op_sel_hi:[1,0,0]
	v_mov_b32_e32 v29, v31
	v_pk_add_f32 v[8:9], v[8:9], v[34:35]
	v_mov_b32_e32 v21, v33
	v_pk_add_f32 v[8:9], v[8:9], v[28:29]
	s_and_saveexec_b64 s[0:1], vcc
	s_cbranch_execz .LBB304_44
; %bb.39:
	flat_load_dwordx2 v[30:31], v[18:19] offset:512
	flat_load_dwordx2 v[32:33], v[22:23] offset:512
	;; [unrolled: 1-line block ×4, first 2 shown]
	v_add_u32_e32 v38, 0x80, v55
	v_cmp_gt_i32_e32 vcc, s8, v38
	s_waitcnt vmcnt(0) lgkmcnt(0)
	v_mul_f32_e32 v29, v11, v31
	v_mul_f32_e32 v31, v10, v31
	;; [unrolled: 1-line block ×6, first 2 shown]
	v_fma_f32 v37, v10, v30, -v29
	v_fmac_f32_e32 v31, v11, v30
	v_mul_f32_e32 v40, v15, v35
	v_mul_f32_e32 v35, v14, v35
	v_fma_f32 v30, v12, v32, -v39
	v_fmac_f32_e32 v33, v13, v32
	v_add_f32_e32 v6, v6, v37
	v_add_f32_e32 v7, v7, v31
	v_fma_f32 v32, v14, v34, -v40
	v_fmac_f32_e32 v35, v15, v34
	v_add_f32_e32 v6, v6, v30
	v_add_f32_e32 v7, v7, v33
	;; [unrolled: 4-line block ×3, first 2 shown]
	s_and_saveexec_b64 s[4:5], vcc
	s_cbranch_execz .LBB304_43
; %bb.40:
	flat_load_dwordx2 v[32:33], v[18:19] offset:1024
	flat_load_dwordx2 v[34:35], v[22:23] offset:1024
	;; [unrolled: 1-line block ×4, first 2 shown]
	v_add_u32_e32 v40, 0xc0, v55
	v_cmp_gt_i32_e32 vcc, s8, v40
	s_waitcnt vmcnt(0) lgkmcnt(0)
	v_mul_f32_e32 v31, v11, v33
	v_mul_f32_e32 v33, v10, v33
	;; [unrolled: 1-line block ×6, first 2 shown]
	v_fma_f32 v39, v10, v32, -v31
	v_fmac_f32_e32 v33, v11, v32
	v_mul_f32_e32 v42, v15, v37
	v_mul_f32_e32 v37, v14, v37
	v_fma_f32 v32, v12, v34, -v41
	v_fmac_f32_e32 v35, v13, v34
	v_add_f32_e32 v4, v4, v39
	v_add_f32_e32 v5, v5, v33
	v_fma_f32 v34, v14, v36, -v42
	v_fmac_f32_e32 v37, v15, v36
	v_add_f32_e32 v4, v4, v32
	v_add_f32_e32 v5, v5, v35
	;; [unrolled: 4-line block ×3, first 2 shown]
	s_and_saveexec_b64 s[6:7], vcc
	s_cbranch_execz .LBB304_42
; %bb.41:
	flat_load_dwordx2 v[32:33], v[18:19] offset:1536
	flat_load_dwordx2 v[34:35], v[22:23] offset:1536
	;; [unrolled: 1-line block ×4, first 2 shown]
	s_waitcnt vmcnt(0) lgkmcnt(0)
	v_mul_f32_e32 v18, v11, v33
	v_mul_f32_e32 v19, v10, v33
	;; [unrolled: 1-line block ×4, first 2 shown]
	v_fma_f32 v10, v10, v32, -v18
	v_fmac_f32_e32 v19, v11, v32
	v_mul_f32_e32 v24, v15, v37
	v_mul_f32_e32 v25, v14, v37
	v_fma_f32 v11, v12, v34, -v22
	v_fmac_f32_e32 v23, v13, v34
	v_add_f32_e32 v0, v0, v10
	v_add_f32_e32 v1, v1, v19
	v_mul_f32_e32 v26, v17, v39
	v_mul_f32_e32 v27, v16, v39
	v_fma_f32 v12, v14, v36, -v24
	v_fmac_f32_e32 v25, v15, v36
	v_add_f32_e32 v0, v0, v11
	v_add_f32_e32 v1, v1, v23
	v_fma_f32 v13, v16, v38, -v26
	v_fmac_f32_e32 v27, v17, v38
	v_add_f32_e32 v0, v0, v12
	v_add_f32_e32 v1, v1, v25
	;; [unrolled: 1-line block ×4, first 2 shown]
.LBB304_42:
	s_or_b64 exec, exec, s[6:7]
	v_add_f32_e32 v4, v4, v31
	v_add_f32_e32 v5, v5, v30
.LBB304_43:
	s_or_b64 exec, exec, s[4:5]
	v_add_f32_e32 v6, v6, v29
	v_add_f32_e32 v7, v7, v28
.LBB304_44:
	s_or_b64 exec, exec, s[0:1]
	v_pk_add_f32 v[8:9], v[8:9], v[20:21]
.LBB304_45:
	s_or_b64 exec, exec, s[2:3]
.LBB304_46:
	v_lshlrev_b32_e32 v3, 8, v3
	s_movk_i32 s0, 0x100
	v_add_lshl_u32 v2, v3, v2, 3
	v_cmp_gt_u32_e32 vcc, s0, v54
	ds_write2st64_b64 v2, v[8:9], v[6:7] offset1:1
	ds_write2st64_b64 v2, v[4:5], v[0:1] offset0:2 offset1:3
	s_waitcnt lgkmcnt(0)
	s_barrier
	s_and_saveexec_b64 s[0:1], vcc
	s_cbranch_execz .LBB304_51
; %bb.47:
	v_lshlrev_b32_e32 v20, 3, v54
	ds_read2st64_b64 v[0:3], v20 offset1:4
	ds_read2st64_b64 v[4:7], v20 offset0:8 offset1:12
	s_waitcnt vmcnt(0)
	ds_read2st64_b64 v[8:11], v20 offset0:16 offset1:20
	ds_read2st64_b64 v[12:15], v20 offset0:24 offset1:28
	;; [unrolled: 1-line block ×3, first 2 shown]
	s_waitcnt lgkmcnt(4)
	v_pk_add_f32 v[0:1], v[0:1], v[2:3]
	s_waitcnt lgkmcnt(3)
	v_pk_add_f32 v[0:1], v[0:1], v[4:5]
	s_nop 0
	v_pk_add_f32 v[0:1], v[0:1], v[6:7]
	s_waitcnt lgkmcnt(2)
	v_pk_add_f32 v[0:1], v[0:1], v[8:9]
	s_nop 0
	;; [unrolled: 4-line block ×3, first 2 shown]
	v_pk_add_f32 v[4:5], v[0:1], v[14:15]
	ds_read2st64_b64 v[0:3], v20 offset0:40 offset1:44
	s_waitcnt lgkmcnt(1)
	v_pk_add_f32 v[8:9], v[4:5], v[16:17]
	ds_read2st64_b64 v[4:7], v20 offset0:48 offset1:52
	v_pk_add_f32 v[12:13], v[8:9], v[18:19]
	ds_read2st64_b64 v[8:11], v20 offset0:56 offset1:60
	s_waitcnt lgkmcnt(2)
	v_pk_add_f32 v[0:1], v[12:13], v[0:1]
	s_nop 0
	v_pk_add_f32 v[0:1], v[0:1], v[2:3]
	s_waitcnt lgkmcnt(1)
	v_pk_add_f32 v[0:1], v[0:1], v[4:5]
	v_or_b32_e32 v4, s34, v54
	v_pk_add_f32 v[0:1], v[0:1], v[6:7]
	v_cmp_gt_i32_e32 vcc, s8, v4
	s_waitcnt lgkmcnt(0)
	v_pk_add_f32 v[0:1], v[0:1], v[8:9]
	s_nop 0
	v_pk_add_f32 v[2:3], v[0:1], v[10:11]
	ds_write_b64 v20, v[2:3]
	s_and_b64 exec, exec, vcc
	s_cbranch_execz .LBB304_51
; %bb.48:
	v_cmp_neq_f32_e64 s[0:1], s12, 0
	v_cmp_neq_f32_e64 s[2:3], s13, 0
	v_mul_lo_u32 v4, v4, s33
	v_pk_mul_f32 v[6:7], v[2:3], s[10:11] op_sel:[1,0]
	v_ashrrev_i32_e32 v5, 31, v4
	s_or_b64 s[0:1], s[0:1], s[2:3]
	v_pk_fma_f32 v[0:1], v[2:3], s[10:11], v[6:7] op_sel:[0,0,1] op_sel_hi:[0,1,0] neg_lo:[0,0,1] neg_hi:[0,0,1]
	v_pk_fma_f32 v[2:3], v[2:3], s[10:11], v[6:7] op_sel:[0,0,1] op_sel_hi:[0,1,0]
	s_andn2_b64 vcc, exec, s[0:1]
	v_lshl_add_u64 v[4:5], v[4:5], 3, s[14:15]
	s_cbranch_vccnz .LBB304_50
; %bb.49:
	global_load_dwordx2 v[6:7], v[4:5], off
	v_mov_b32_e32 v1, v3
	s_waitcnt vmcnt(0)
	v_pk_mul_f32 v[2:3], s[12:13], v[6:7] op_sel:[0,1]
	s_nop 0
	v_pk_fma_f32 v[8:9], s[12:13], v[6:7], v[2:3] op_sel:[0,0,1] op_sel_hi:[1,1,0] neg_lo:[0,0,1] neg_hi:[0,0,1]
	v_pk_fma_f32 v[2:3], s[12:13], v[6:7], v[2:3] op_sel:[0,0,1] op_sel_hi:[1,0,0]
	s_nop 0
	v_mov_b32_e32 v9, v3
	v_pk_add_f32 v[0:1], v[0:1], v[8:9]
	s_nop 0
	v_mov_b32_e32 v3, v1
.LBB304_50:
	v_mov_b32_e32 v1, v3
	global_store_dwordx2 v[4:5], v[0:1], off
.LBB304_51:
	s_endpgm
	.section	.rodata,"a",@progbits
	.p2align	6, 0x0
	.amdhsa_kernel _ZL20rocblas_gemvn_kernelILi64ELi16EiPK19rocblas_complex_numIfES1_KPS1_EviiT3_lPKT2_lT1_lS9_lSA_lS6_lPT4_lSA_li
		.amdhsa_group_segment_fixed_size 32768
		.amdhsa_private_segment_fixed_size 0
		.amdhsa_kernarg_size 400
		.amdhsa_user_sgpr_count 2
		.amdhsa_user_sgpr_dispatch_ptr 0
		.amdhsa_user_sgpr_queue_ptr 0
		.amdhsa_user_sgpr_kernarg_segment_ptr 1
		.amdhsa_user_sgpr_dispatch_id 0
		.amdhsa_user_sgpr_kernarg_preload_length 0
		.amdhsa_user_sgpr_kernarg_preload_offset 0
		.amdhsa_user_sgpr_private_segment_size 0
		.amdhsa_uses_dynamic_stack 0
		.amdhsa_enable_private_segment 0
		.amdhsa_system_sgpr_workgroup_id_x 1
		.amdhsa_system_sgpr_workgroup_id_y 0
		.amdhsa_system_sgpr_workgroup_id_z 1
		.amdhsa_system_sgpr_workgroup_info 0
		.amdhsa_system_vgpr_workitem_id 1
		.amdhsa_next_free_vgpr 65
		.amdhsa_next_free_sgpr 40
		.amdhsa_accum_offset 68
		.amdhsa_reserve_vcc 1
		.amdhsa_float_round_mode_32 0
		.amdhsa_float_round_mode_16_64 0
		.amdhsa_float_denorm_mode_32 3
		.amdhsa_float_denorm_mode_16_64 3
		.amdhsa_dx10_clamp 1
		.amdhsa_ieee_mode 1
		.amdhsa_fp16_overflow 0
		.amdhsa_tg_split 0
		.amdhsa_exception_fp_ieee_invalid_op 0
		.amdhsa_exception_fp_denorm_src 0
		.amdhsa_exception_fp_ieee_div_zero 0
		.amdhsa_exception_fp_ieee_overflow 0
		.amdhsa_exception_fp_ieee_underflow 0
		.amdhsa_exception_fp_ieee_inexact 0
		.amdhsa_exception_int_div_zero 0
	.end_amdhsa_kernel
	.section	.text._ZL20rocblas_gemvn_kernelILi64ELi16EiPK19rocblas_complex_numIfES1_KPS1_EviiT3_lPKT2_lT1_lS9_lSA_lS6_lPT4_lSA_li,"axG",@progbits,_ZL20rocblas_gemvn_kernelILi64ELi16EiPK19rocblas_complex_numIfES1_KPS1_EviiT3_lPKT2_lT1_lS9_lSA_lS6_lPT4_lSA_li,comdat
.Lfunc_end304:
	.size	_ZL20rocblas_gemvn_kernelILi64ELi16EiPK19rocblas_complex_numIfES1_KPS1_EviiT3_lPKT2_lT1_lS9_lSA_lS6_lPT4_lSA_li, .Lfunc_end304-_ZL20rocblas_gemvn_kernelILi64ELi16EiPK19rocblas_complex_numIfES1_KPS1_EviiT3_lPKT2_lT1_lS9_lSA_lS6_lPT4_lSA_li
                                        ; -- End function
	.section	.AMDGPU.csdata,"",@progbits
; Kernel info:
; codeLenInByte = 3380
; NumSgprs: 46
; NumVgprs: 65
; NumAgprs: 0
; TotalNumVgprs: 65
; ScratchSize: 0
; MemoryBound: 0
; FloatMode: 240
; IeeeMode: 1
; LDSByteSize: 32768 bytes/workgroup (compile time only)
; SGPRBlocks: 5
; VGPRBlocks: 8
; NumSGPRsForWavesPerEU: 46
; NumVGPRsForWavesPerEU: 65
; AccumOffset: 68
; Occupancy: 7
; WaveLimiterHint : 1
; COMPUTE_PGM_RSRC2:SCRATCH_EN: 0
; COMPUTE_PGM_RSRC2:USER_SGPR: 2
; COMPUTE_PGM_RSRC2:TRAP_HANDLER: 0
; COMPUTE_PGM_RSRC2:TGID_X_EN: 1
; COMPUTE_PGM_RSRC2:TGID_Y_EN: 0
; COMPUTE_PGM_RSRC2:TGID_Z_EN: 1
; COMPUTE_PGM_RSRC2:TIDIG_COMP_CNT: 1
; COMPUTE_PGM_RSRC3_GFX90A:ACCUM_OFFSET: 16
; COMPUTE_PGM_RSRC3_GFX90A:TG_SPLIT: 0
	.section	.text._ZL20rocblas_gemvn_kernelILi64ELi16ElPK19rocblas_complex_numIfES1_KPS1_EviiT3_lPKT2_lT1_lS9_lSA_lS6_lPT4_lSA_li,"axG",@progbits,_ZL20rocblas_gemvn_kernelILi64ELi16ElPK19rocblas_complex_numIfES1_KPS1_EviiT3_lPKT2_lT1_lS9_lSA_lS6_lPT4_lSA_li,comdat
	.globl	_ZL20rocblas_gemvn_kernelILi64ELi16ElPK19rocblas_complex_numIfES1_KPS1_EviiT3_lPKT2_lT1_lS9_lSA_lS6_lPT4_lSA_li ; -- Begin function _ZL20rocblas_gemvn_kernelILi64ELi16ElPK19rocblas_complex_numIfES1_KPS1_EviiT3_lPKT2_lT1_lS9_lSA_lS6_lPT4_lSA_li
	.p2align	8
	.type	_ZL20rocblas_gemvn_kernelILi64ELi16ElPK19rocblas_complex_numIfES1_KPS1_EviiT3_lPKT2_lT1_lS9_lSA_lS6_lPT4_lSA_li,@function
_ZL20rocblas_gemvn_kernelILi64ELi16ElPK19rocblas_complex_numIfES1_KPS1_EviiT3_lPKT2_lT1_lS9_lSA_lS6_lPT4_lSA_li: ; @_ZL20rocblas_gemvn_kernelILi64ELi16ElPK19rocblas_complex_numIfES1_KPS1_EviiT3_lPKT2_lT1_lS9_lSA_lS6_lPT4_lSA_li
; %bb.0:
	s_load_dwordx2 s[4:5], s[0:1], 0x9c
	s_mov_b32 s16, s3
	s_waitcnt lgkmcnt(0)
	s_and_b32 s3, s5, 0xffff
	s_lshr_b32 s5, s4, 16
	s_and_b32 s4, s4, 0xffff
	s_mul_i32 s4, s5, s4
	s_mul_i32 s4, s4, s3
	s_cmpk_lg_i32 s4, 0x400
	s_cbranch_scc1 .LBB305_51
; %bb.1:
	s_load_dwordx4 s[8:11], s[0:1], 0x0
	s_load_dwordx2 s[12:13], s[0:1], 0x58
	s_waitcnt lgkmcnt(0)
	v_cmp_eq_f32_e64 s[4:5], s10, 0
	v_cmp_eq_f32_e64 s[6:7], s11, 0
	v_cmp_eq_f32_e64 s[14:15], s12, 1.0
	v_cmp_eq_f32_e64 s[18:19], s13, 0
	s_and_b64 s[4:5], s[4:5], s[6:7]
	s_and_b64 s[6:7], s[14:15], s[18:19]
	;; [unrolled: 1-line block ×3, first 2 shown]
	s_and_b64 vcc, exec, s[4:5]
	s_cbranch_vccnz .LBB305_51
; %bb.2:
	s_load_dwordx4 s[4:7], s[0:1], 0x18
	s_load_dwordx2 s[18:19], s[0:1], 0x28
	s_or_b32 s3, s10, s11
	s_bitset0_b32 s3, 31
	s_cmp_lg_u32 s3, 0
	s_cselect_b64 s[14:15], -1, 0
	s_cmp_eq_u32 s3, 0
	s_cselect_b64 s[26:27], -1, 0
	s_and_b64 vcc, exec, s[14:15]
	s_cbranch_vccnz .LBB305_4
; %bb.3:
	s_mov_b32 s17, 0
	s_mov_b64 s[20:21], 0
	s_cbranch_execz .LBB305_5
	s_branch .LBB305_6
.LBB305_4:
                                        ; implicit-def: $sgpr20_sgpr21
.LBB305_5:
	s_mov_b32 s17, 0
	s_lshl_b64 s[20:21], s[16:17], 3
	s_waitcnt lgkmcnt(0)
	s_add_u32 s4, s4, s20
	s_addc_u32 s5, s5, s21
	s_load_dwordx2 s[4:5], s[4:5], 0x0
	s_lshl_b64 s[6:7], s[6:7], 3
	s_waitcnt lgkmcnt(0)
	s_add_u32 s20, s4, s6
	s_addc_u32 s21, s5, s7
.LBB305_6:
	s_waitcnt lgkmcnt(0)
	s_load_dwordx4 s[4:7], s[0:1], 0x38
	s_load_dwordx2 s[22:23], s[0:1], 0x48
	s_andn2_b64 vcc, exec, s[14:15]
	s_mov_b64 s[24:25], 0
	s_cbranch_vccnz .LBB305_8
; %bb.7:
	s_lshl_b64 s[14:15], s[16:17], 3
	s_waitcnt lgkmcnt(0)
	s_add_u32 s4, s4, s14
	s_addc_u32 s5, s5, s15
	s_load_dwordx2 s[4:5], s[4:5], 0x0
	s_lshl_b64 s[6:7], s[6:7], 3
	s_waitcnt lgkmcnt(0)
	s_add_u32 s24, s4, s6
	s_addc_u32 s25, s5, s7
.LBB305_8:
	s_waitcnt lgkmcnt(0)
	s_load_dwordx4 s[4:7], s[0:1], 0x68
	s_load_dwordx2 s[14:15], s[0:1], 0x78
	s_lshl_b64 s[0:1], s[16:17], 3
	v_and_b32_e32 v63, 0x3ff, v0
	v_bfe_u32 v64, v0, 10, 10
	s_waitcnt lgkmcnt(0)
	s_add_u32 s0, s4, s0
	s_addc_u32 s1, s5, s1
	s_load_dwordx2 s[0:1], s[0:1], 0x0
	s_lshl_b64 s[4:5], s[6:7], 3
	v_lshl_add_u32 v62, v64, 6, v63
	s_waitcnt lgkmcnt(0)
	s_add_u32 s16, s0, s4
	s_addc_u32 s17, s1, s5
	s_andn2_b64 vcc, exec, s[26:27]
	s_mov_b64 s[0:1], -1
	s_cbranch_vccnz .LBB305_15
; %bb.9:
	s_movk_i32 s0, 0x100
	v_cmp_gt_u32_e32 vcc, s0, v62
	s_and_saveexec_b64 s[0:1], vcc
	s_cbranch_execz .LBB305_14
; %bb.10:
	v_lshl_or_b32 v0, s2, 8, v62
	v_mov_b32_e32 v1, 0
	s_ashr_i32 s5, s8, 31
	s_mov_b32 s4, s8
	v_cmp_gt_i64_e32 vcc, s[4:5], v[0:1]
	s_and_b64 exec, exec, vcc
	s_cbranch_execz .LBB305_14
; %bb.11:
	v_mad_u64_u32 v[2:3], s[26:27], v0, s14, 0
	v_mov_b32_e32 v4, v3
	v_cmp_neq_f32_e64 s[4:5], s12, 0
	v_cmp_neq_f32_e64 s[6:7], s13, 0
	v_mad_u64_u32 v[4:5], s[26:27], v0, s15, v[4:5]
	v_mov_b32_e32 v3, v4
	s_or_b64 s[4:5], s[4:5], s[6:7]
	s_andn2_b64 vcc, exec, s[4:5]
	v_lshl_add_u64 v[2:3], v[2:3], 3, s[16:17]
	v_mov_b32_e32 v5, v1
	s_cbranch_vccnz .LBB305_13
; %bb.12:
	global_load_dwordx2 v[0:1], v[2:3], off
	s_waitcnt vmcnt(0)
	v_pk_mul_f32 v[4:5], s[12:13], v[0:1] op_sel:[0,1]
	s_nop 0
	v_pk_fma_f32 v[6:7], s[12:13], v[0:1], v[4:5] op_sel:[0,0,1] op_sel_hi:[1,1,0] neg_lo:[0,0,1] neg_hi:[0,0,1]
	v_pk_fma_f32 v[4:5], s[12:13], v[0:1], v[4:5] op_sel:[0,0,1] op_sel_hi:[1,0,0]
	v_mov_b32_e32 v1, v6
.LBB305_13:
	v_mov_b32_e32 v4, v1
	global_store_dwordx2 v[2:3], v[4:5], off
.LBB305_14:
	s_or_b64 exec, exec, s[0:1]
	s_mov_b64 s[0:1], 0
.LBB305_15:
	s_andn2_b64 vcc, exec, s[0:1]
	s_cbranch_vccnz .LBB305_51
; %bb.16:
	s_ashr_i32 s0, s9, 31
	s_lshr_b32 s0, s0, 26
	s_add_i32 s44, s9, s0
	s_mov_b32 s6, 0
	s_lshl_b32 s33, s2, 8
	s_andn2_b32 s44, s44, 63
	v_lshlrev_b32_e32 v65, 2, v64
	s_mov_b32 s7, s6
	v_add_u32_e32 v4, s33, v63
	v_cmp_gt_i32_e32 vcc, s44, v65
	v_mov_b64_e32 v[8:9], s[6:7]
	v_mov_b32_e32 v1, 0
	v_mov_b32_e32 v0, 0
	;; [unrolled: 1-line block ×6, first 2 shown]
	s_and_saveexec_b64 s[26:27], vcc
	s_cbranch_execz .LBB305_28
; %bb.17:
	v_ashrrev_i32_e32 v5, 31, v4
	v_add_u32_e32 v0, 64, v4
	v_cmp_gt_i32_e64 s[0:1], s8, v0
	v_add_u32_e32 v0, 0x80, v4
	v_lshl_add_u64 v[10:11], v[4:5], 3, s[20:21]
	v_lshlrev_b32_e32 v5, 2, v64
	v_cmp_gt_i32_e64 s[2:3], s8, v0
	v_add_u32_e32 v0, 0xc0, v4
	v_or_b32_e32 v3, 3, v5
	v_cmp_gt_i32_e64 s[4:5], s8, v0
	v_mad_u64_u32 v[0:1], s[28:29], s18, v3, 0
	v_mov_b32_e32 v2, v1
	v_mad_u64_u32 v[2:3], s[28:29], s19, v3, v[2:3]
	v_mov_b32_e32 v1, v2
	v_lshlrev_b64 v[12:13], 3, v[0:1]
	v_mad_u64_u32 v[0:1], s[30:31], s22, v64, 0
	v_mov_b32_e32 v2, v1
	v_mad_u64_u32 v[2:3], s[30:31], s23, v64, v[2:3]
	v_mov_b32_e32 v1, v2
	v_lshlrev_b64 v[0:1], 5, v[0:1]
	v_lshl_add_u64 v[14:15], s[24:25], 0, v[0:1]
	v_mad_u64_u32 v[0:1], s[34:35], s18, v64, 0
	v_mov_b32_e32 v2, v1
	v_mad_u64_u32 v[2:3], s[34:35], s19, v64, v[2:3]
	v_mov_b32_e32 v1, v2
	v_lshlrev_b64 v[16:17], 5, v[0:1]
	v_mov_b64_e32 v[0:1], s[18:19]
	v_mad_u64_u32 v[0:1], s[34:35], s18, v5, v[0:1]
	v_mov_b32_e32 v2, v1
	v_mad_u64_u32 v[2:3], s[34:35], s19, v5, v[2:3]
	v_mov_b32_e32 v1, v2
	v_or_b32_e32 v3, 2, v5
	v_lshlrev_b64 v[18:19], 3, v[0:1]
	v_mad_u64_u32 v[0:1], s[34:35], s18, v3, 0
	v_mov_b32_e32 v2, v1
	v_mad_u64_u32 v[2:3], s[34:35], s19, v3, v[2:3]
	v_mov_b32_e32 v1, v2
	v_lshlrev_b64 v[20:21], 3, v[0:1]
	v_mov_b32_e32 v1, 0
	v_cmp_gt_i32_e32 vcc, s8, v4
	s_lshl_b64 s[28:29], s[18:19], 9
	s_lshl_b64 s[30:31], s[22:23], 9
	;; [unrolled: 1-line block ×3, first 2 shown]
	s_mov_b64 s[34:35], 0
	v_mov_b64_e32 v[8:9], s[6:7]
	v_mov_b32_e32 v0, v1
	v_mov_b32_e32 v3, v1
	;; [unrolled: 1-line block ×5, first 2 shown]
	s_branch .LBB305_22
.LBB305_18:                             ;   in Loop: Header=BB305_22 Depth=1
	s_or_b64 exec, exec, s[42:43]
	s_waitcnt vmcnt(0) lgkmcnt(0)
	v_mul_f32_e32 v5, v33, v53
	v_fma_f32 v5, v32, v52, -v5
	v_add_f32_e32 v2, v2, v5
	v_mul_f32_e32 v5, v29, v51
	v_mul_f32_e32 v53, v32, v53
	v_fma_f32 v5, v28, v50, -v5
	v_fmac_f32_e32 v53, v33, v52
	v_mul_f32_e32 v51, v28, v51
	v_add_f32_e32 v2, v2, v5
	v_mul_f32_e32 v5, v25, v49
	v_add_f32_e32 v3, v3, v53
	v_fmac_f32_e32 v51, v29, v50
	v_fma_f32 v5, v24, v48, -v5
	v_mul_f32_e32 v49, v24, v49
	v_add_f32_e32 v3, v3, v51
	v_fmac_f32_e32 v49, v25, v48
	v_add_f32_e32 v2, v2, v5
	v_mul_f32_e32 v5, v23, v47
	v_mul_f32_e32 v47, v22, v47
	v_add_f32_e32 v3, v3, v49
	v_fma_f32 v5, v22, v46, -v5
	v_fmac_f32_e32 v47, v23, v46
	v_add_f32_e32 v2, v2, v5
	v_add_f32_e32 v3, v3, v47
.LBB305_19:                             ;   in Loop: Header=BB305_22 Depth=1
	s_or_b64 exec, exec, s[40:41]
	s_waitcnt vmcnt(0) lgkmcnt(0)
	v_mul_f32_e32 v5, v33, v45
	v_mul_f32_e32 v45, v32, v45
	v_fma_f32 v5, v32, v44, -v5
	v_fmac_f32_e32 v45, v33, v44
	v_add_f32_e32 v5, v6, v5
	v_add_f32_e32 v6, v7, v45
	v_mul_f32_e32 v7, v29, v43
	v_fma_f32 v7, v28, v42, -v7
	v_mul_f32_e32 v43, v28, v43
	v_fmac_f32_e32 v43, v29, v42
	v_add_f32_e32 v5, v5, v7
	v_mul_f32_e32 v7, v25, v41
	v_mul_f32_e32 v41, v24, v41
	v_add_f32_e32 v6, v6, v43
	v_fma_f32 v7, v24, v40, -v7
	v_fmac_f32_e32 v41, v25, v40
	v_add_f32_e32 v5, v5, v7
	v_add_f32_e32 v7, v6, v41
	v_mul_f32_e32 v6, v23, v39
	v_mul_f32_e32 v39, v22, v39
	v_fma_f32 v6, v22, v38, -v6
	v_fmac_f32_e32 v39, v23, v38
	v_add_f32_e32 v6, v5, v6
	v_add_f32_e32 v7, v7, v39
.LBB305_20:                             ;   in Loop: Header=BB305_22 Depth=1
	s_or_b64 exec, exec, s[38:39]
	s_waitcnt vmcnt(0) lgkmcnt(0)
	v_mul_f32_e32 v5, v33, v37
	v_mul_f32_e32 v39, v32, v37
	v_fma_f32 v38, v32, v36, -v5
	v_fmac_f32_e32 v39, v33, v36
	v_mul_f32_e32 v5, v29, v35
	v_mul_f32_e32 v33, v28, v35
	v_fma_f32 v32, v28, v34, -v5
	v_fmac_f32_e32 v33, v29, v34
	v_pk_add_f32 v[8:9], v[8:9], v[38:39]
	v_mov_b32_e32 v28, v25
	v_mov_b32_e32 v29, v24
	v_pk_add_f32 v[8:9], v[8:9], v[32:33]
	v_mov_b32_e32 v24, v31
	v_pk_mul_f32 v[32:33], v[28:29], v[30:31] op_sel_hi:[1,0]
	s_nop 0
	v_pk_fma_f32 v[24:25], v[28:29], v[24:25], v[32:33] op_sel:[0,0,1] op_sel_hi:[1,1,0] neg_lo:[1,0,0] neg_hi:[1,0,0]
	v_pk_fma_f32 v[28:29], v[28:29], v[30:31], v[32:33] op_sel:[0,1,1] op_sel_hi:[1,1,0]
	s_nop 0
	v_mov_b32_e32 v25, v29
	v_pk_add_f32 v[8:9], v[8:9], v[24:25]
	v_pk_mul_f32 v[24:25], v[22:23], v[26:27] op_sel:[0,1]
	s_nop 0
	v_pk_fma_f32 v[28:29], v[22:23], v[26:27], v[24:25] op_sel:[0,0,1] op_sel_hi:[1,1,0] neg_lo:[0,0,1] neg_hi:[0,0,1]
	v_pk_fma_f32 v[22:23], v[22:23], v[26:27], v[24:25] op_sel:[0,0,1] op_sel_hi:[1,0,0]
	s_nop 0
	v_mov_b32_e32 v29, v23
	v_pk_add_f32 v[8:9], v[8:9], v[28:29]
.LBB305_21:                             ;   in Loop: Header=BB305_22 Depth=1
	s_or_b64 exec, exec, s[6:7]
	v_add_u32_e32 v65, 64, v65
	v_cmp_le_i32_e64 s[6:7], s44, v65
	v_lshl_add_u64 v[10:11], v[10:11], 0, s[28:29]
	s_or_b64 s[34:35], s[6:7], s[34:35]
	v_lshl_add_u64 v[14:15], v[14:15], 0, s[30:31]
	s_andn2_b64 exec, exec, s[34:35]
	s_cbranch_execz .LBB305_27
.LBB305_22:                             ; =>This Inner Loop Header: Depth=1
	s_and_saveexec_b64 s[6:7], vcc
	s_cbranch_execz .LBB305_21
; %bb.23:                               ;   in Loop: Header=BB305_22 Depth=1
	v_lshl_add_u64 v[22:23], v[14:15], 0, s[36:37]
	v_lshl_add_u64 v[26:27], v[22:23], 0, s[36:37]
	flat_load_dwordx2 v[28:29], v[22:23]
	flat_load_dwordx2 v[24:25], v[26:27]
	v_lshl_add_u64 v[26:27], v[26:27], 0, s[36:37]
	v_lshl_add_u64 v[60:61], v[10:11], 0, v[16:17]
	flat_load_dwordx2 v[32:33], v[14:15]
	flat_load_dwordx2 v[22:23], v[26:27]
	v_lshl_add_u64 v[58:59], v[10:11], 0, v[18:19]
	v_lshl_add_u64 v[56:57], v[10:11], 0, v[20:21]
	;; [unrolled: 1-line block ×3, first 2 shown]
	flat_load_dwordx2 v[36:37], v[60:61]
	flat_load_dwordx2 v[34:35], v[58:59]
	;; [unrolled: 1-line block ×4, first 2 shown]
	s_and_saveexec_b64 s[38:39], s[0:1]
	s_cbranch_execz .LBB305_20
; %bb.24:                               ;   in Loop: Header=BB305_22 Depth=1
	flat_load_dwordx2 v[44:45], v[60:61] offset:512
	flat_load_dwordx2 v[42:43], v[58:59] offset:512
	;; [unrolled: 1-line block ×4, first 2 shown]
	s_and_saveexec_b64 s[40:41], s[2:3]
	s_cbranch_execz .LBB305_19
; %bb.25:                               ;   in Loop: Header=BB305_22 Depth=1
	flat_load_dwordx2 v[52:53], v[60:61] offset:1024
	flat_load_dwordx2 v[50:51], v[58:59] offset:1024
	;; [unrolled: 1-line block ×4, first 2 shown]
	s_and_saveexec_b64 s[42:43], s[4:5]
	s_cbranch_execz .LBB305_18
; %bb.26:                               ;   in Loop: Header=BB305_22 Depth=1
	flat_load_dwordx2 v[60:61], v[60:61] offset:1536
	s_nop 0
	flat_load_dwordx2 v[58:59], v[58:59] offset:1536
	s_nop 0
	;; [unrolled: 2-line block ×3, first 2 shown]
	flat_load_dwordx2 v[54:55], v[54:55] offset:1536
	s_waitcnt vmcnt(0) lgkmcnt(0)
	v_mul_f32_e32 v5, v33, v61
	v_mul_f32_e32 v61, v32, v61
	;; [unrolled: 1-line block ×4, first 2 shown]
	v_fma_f32 v5, v32, v60, -v5
	v_fmac_f32_e32 v61, v33, v60
	v_mul_f32_e32 v67, v25, v57
	v_mul_f32_e32 v57, v24, v57
	v_fma_f32 v60, v28, v58, -v66
	v_fmac_f32_e32 v59, v29, v58
	v_add_f32_e32 v0, v0, v5
	v_add_f32_e32 v1, v1, v61
	v_mul_f32_e32 v68, v23, v55
	v_mul_f32_e32 v55, v22, v55
	v_fma_f32 v58, v24, v56, -v67
	v_fmac_f32_e32 v57, v25, v56
	v_add_f32_e32 v0, v0, v60
	v_add_f32_e32 v1, v1, v59
	v_fma_f32 v56, v22, v54, -v68
	v_fmac_f32_e32 v55, v23, v54
	v_add_f32_e32 v0, v0, v58
	v_add_f32_e32 v1, v1, v57
	;; [unrolled: 1-line block ×4, first 2 shown]
	s_branch .LBB305_18
.LBB305_27:
	s_or_b64 exec, exec, s[34:35]
.LBB305_28:
	s_or_b64 exec, exec, s[26:27]
	s_sub_i32 s0, s9, s44
	s_cmp_lt_i32 s0, 1
	s_cbranch_scc1 .LBB305_46
; %bb.29:
	v_cmp_gt_i32_e32 vcc, s9, v65
	v_mov_b32_e32 v10, 0
	v_or_b32_e32 v20, 1, v65
	v_mov_b32_e32 v11, 0
	v_mov_b32_e32 v12, 0
	;; [unrolled: 1-line block ×7, first 2 shown]
	s_and_saveexec_b64 s[2:3], vcc
	s_cbranch_execz .LBB305_37
; %bb.30:
	v_mad_u64_u32 v[10:11], s[0:1], v65, s22, 0
	v_mov_b32_e32 v12, v11
	v_mad_u64_u32 v[12:13], s[0:1], v65, s23, v[12:13]
	v_mov_b32_e32 v11, v12
	v_lshl_add_u64 v[10:11], v[10:11], 3, s[24:25]
	flat_load_dwordx2 v[10:11], v[10:11]
	v_cmp_gt_i32_e64 s[0:1], s9, v20
	v_mov_b32_e32 v17, 0
	v_mov_b32_e32 v16, 0
	;; [unrolled: 1-line block ×6, first 2 shown]
	s_and_saveexec_b64 s[4:5], s[0:1]
	s_cbranch_execz .LBB305_36
; %bb.31:
	v_mad_u64_u32 v[12:13], s[0:1], v20, s22, 0
	v_mov_b32_e32 v14, v13
	v_mad_u64_u32 v[14:15], s[0:1], v20, s23, v[14:15]
	v_mov_b32_e32 v13, v14
	v_lshl_add_u64 v[12:13], v[12:13], 3, s[24:25]
	flat_load_dwordx2 v[12:13], v[12:13]
	v_or_b32_e32 v5, 2, v65
	v_cmp_gt_i32_e64 s[0:1], s9, v5
	v_mov_b32_e32 v17, 0
	v_mov_b32_e32 v16, 0
	;; [unrolled: 1-line block ×4, first 2 shown]
	s_and_saveexec_b64 s[6:7], s[0:1]
	s_cbranch_execz .LBB305_35
; %bb.32:
	v_mad_u64_u32 v[14:15], s[0:1], v5, s22, 0
	v_mov_b32_e32 v16, v15
	v_mad_u64_u32 v[16:17], s[0:1], v5, s23, v[16:17]
	v_mov_b32_e32 v15, v16
	v_lshl_add_u64 v[14:15], v[14:15], 3, s[24:25]
	flat_load_dwordx2 v[14:15], v[14:15]
	v_or_b32_e32 v5, 3, v65
	v_cmp_gt_i32_e64 s[0:1], s9, v5
	v_mov_b32_e32 v17, 0
	v_mov_b32_e32 v16, 0
	s_and_saveexec_b64 s[26:27], s[0:1]
	s_cbranch_execz .LBB305_34
; %bb.33:
	v_mad_u64_u32 v[16:17], s[0:1], v5, s22, 0
	v_mov_b32_e32 v18, v17
	v_mad_u64_u32 v[18:19], s[0:1], v5, s23, v[18:19]
	v_mov_b32_e32 v17, v18
	v_lshl_add_u64 v[16:17], v[16:17], 3, s[24:25]
	flat_load_dwordx2 v[16:17], v[16:17]
.LBB305_34:
	s_or_b64 exec, exec, s[26:27]
.LBB305_35:
	s_or_b64 exec, exec, s[6:7]
.LBB305_36:
	s_or_b64 exec, exec, s[4:5]
.LBB305_37:
	s_or_b64 exec, exec, s[2:3]
	v_cmp_gt_i32_e64 s[0:1], s8, v4
	s_and_saveexec_b64 s[2:3], s[0:1]
	s_cbranch_execz .LBB305_45
; %bb.38:
	v_mad_u64_u32 v[18:19], s[0:1], v65, s18, 0
	v_mov_b32_e32 v22, v19
	v_ashrrev_i32_e32 v5, 31, v4
	v_mad_u64_u32 v[22:23], s[0:1], v65, s19, v[22:23]
	v_mad_u64_u32 v[24:25], s[0:1], v20, s18, 0
	v_cndmask_b32_e32 v18, 0, v18, vcc
	v_cndmask_b32_e32 v19, 0, v22, vcc
	v_lshlrev_b64 v[22:23], 3, v[4:5]
	v_mov_b32_e32 v26, v25
	v_cmp_gt_i32_e32 vcc, s9, v20
	v_or_b32_e32 v5, 2, v65
	v_mad_u64_u32 v[26:27], s[0:1], v20, s19, v[26:27]
	v_cndmask_b32_e32 v20, 0, v24, vcc
	v_mad_u64_u32 v[24:25], s[0:1], v5, s18, 0
	v_cndmask_b32_e32 v21, 0, v26, vcc
	v_mov_b32_e32 v26, v25
	v_mad_u64_u32 v[26:27], s[0:1], v5, s19, v[26:27]
	v_cmp_gt_i32_e32 vcc, s9, v5
	v_or_b32_e32 v5, 3, v65
	v_lshl_add_u64 v[18:19], v[18:19], 3, s[20:21]
	v_cndmask_b32_e32 v25, 0, v26, vcc
	v_mad_u64_u32 v[26:27], s[0:1], v5, s18, 0
	v_mov_b32_e32 v32, v27
	v_lshl_add_u64 v[18:19], v[18:19], 0, v[22:23]
	v_lshl_add_u64 v[20:21], v[20:21], 3, s[20:21]
	v_cndmask_b32_e32 v24, 0, v24, vcc
	v_mad_u64_u32 v[32:33], s[0:1], v5, s19, v[32:33]
	v_cmp_gt_i32_e32 vcc, s9, v5
	v_lshl_add_u64 v[20:21], v[20:21], 0, v[22:23]
	flat_load_dwordx2 v[28:29], v[18:19]
	flat_load_dwordx2 v[30:31], v[20:21]
	v_lshl_add_u64 v[24:25], v[24:25], 3, s[20:21]
	v_cndmask_b32_e32 v26, 0, v26, vcc
	v_cndmask_b32_e32 v27, 0, v32, vcc
	v_lshl_add_u64 v[24:25], v[24:25], 0, v[22:23]
	v_lshl_add_u64 v[26:27], v[26:27], 3, s[20:21]
	;; [unrolled: 1-line block ×3, first 2 shown]
	flat_load_dwordx2 v[22:23], v[24:25]
	flat_load_dwordx2 v[32:33], v[26:27]
	v_add_u32_e32 v5, 64, v4
	v_cmp_gt_i32_e32 vcc, s8, v5
	s_waitcnt vmcnt(0) lgkmcnt(0)
	v_pk_mul_f32 v[34:35], v[10:11], v[28:29] op_sel:[0,1]
	v_pk_mul_f32 v[36:37], v[12:13], v[30:31] op_sel:[0,1]
	v_pk_fma_f32 v[38:39], v[10:11], v[28:29], v[34:35] op_sel:[0,0,1] op_sel_hi:[1,1,0] neg_lo:[0,0,1] neg_hi:[0,0,1]
	v_pk_fma_f32 v[28:29], v[10:11], v[28:29], v[34:35] op_sel:[0,0,1] op_sel_hi:[1,0,0]
	v_pk_fma_f32 v[34:35], v[12:13], v[30:31], v[36:37] op_sel:[0,0,1] op_sel_hi:[1,1,0] neg_lo:[0,0,1] neg_hi:[0,0,1]
	v_pk_fma_f32 v[30:31], v[12:13], v[30:31], v[36:37] op_sel:[0,0,1] op_sel_hi:[1,0,0]
	v_mov_b32_e32 v39, v29
	v_pk_mul_f32 v[36:37], v[14:15], v[22:23] op_sel:[0,1]
	v_pk_mul_f32 v[40:41], v[16:17], v[32:33] op_sel:[0,1]
	v_mov_b32_e32 v35, v31
	v_pk_fma_f32 v[28:29], v[14:15], v[22:23], v[36:37] op_sel:[0,0,1] op_sel_hi:[1,1,0] neg_lo:[0,0,1] neg_hi:[0,0,1]
	v_pk_fma_f32 v[30:31], v[14:15], v[22:23], v[36:37] op_sel:[0,0,1] op_sel_hi:[1,0,0]
	v_pk_add_f32 v[8:9], v[8:9], v[38:39]
	v_pk_fma_f32 v[22:23], v[16:17], v[32:33], v[40:41] op_sel:[0,0,1] op_sel_hi:[1,1,0] neg_lo:[0,0,1] neg_hi:[0,0,1]
	v_pk_fma_f32 v[32:33], v[16:17], v[32:33], v[40:41] op_sel:[0,0,1] op_sel_hi:[1,0,0]
	v_mov_b32_e32 v29, v31
	v_pk_add_f32 v[8:9], v[8:9], v[34:35]
	v_mov_b32_e32 v23, v33
	v_pk_add_f32 v[8:9], v[8:9], v[28:29]
	s_and_saveexec_b64 s[0:1], vcc
	s_cbranch_execz .LBB305_44
; %bb.39:
	flat_load_dwordx2 v[28:29], v[18:19] offset:512
	flat_load_dwordx2 v[30:31], v[20:21] offset:512
	;; [unrolled: 1-line block ×4, first 2 shown]
	v_add_u32_e32 v36, 0x80, v4
	v_cmp_gt_i32_e32 vcc, s8, v36
	s_waitcnt vmcnt(0) lgkmcnt(0)
	v_mul_f32_e32 v37, v11, v29
	v_mul_f32_e32 v29, v10, v29
	;; [unrolled: 1-line block ×6, first 2 shown]
	v_fma_f32 v35, v10, v28, -v37
	v_fmac_f32_e32 v29, v11, v28
	v_mul_f32_e32 v39, v15, v33
	v_mul_f32_e32 v33, v14, v33
	v_fma_f32 v37, v12, v30, -v38
	v_fmac_f32_e32 v31, v13, v30
	v_add_f32_e32 v6, v6, v35
	v_add_f32_e32 v7, v7, v29
	v_fma_f32 v30, v14, v32, -v39
	v_fmac_f32_e32 v33, v15, v32
	v_add_f32_e32 v6, v6, v37
	v_add_f32_e32 v7, v7, v31
	v_fma_f32 v28, v16, v34, -v40
	v_fmac_f32_e32 v5, v17, v34
	v_add_f32_e32 v6, v6, v30
	v_add_f32_e32 v7, v7, v33
	s_and_saveexec_b64 s[4:5], vcc
	s_cbranch_execz .LBB305_43
; %bb.40:
	flat_load_dwordx2 v[30:31], v[18:19] offset:1024
	flat_load_dwordx2 v[32:33], v[20:21] offset:1024
	;; [unrolled: 1-line block ×4, first 2 shown]
	v_add_u32_e32 v38, 0xc0, v4
	v_cmp_gt_i32_e32 vcc, s8, v38
	s_waitcnt vmcnt(0) lgkmcnt(0)
	v_mul_f32_e32 v29, v11, v31
	v_mul_f32_e32 v31, v10, v31
	;; [unrolled: 1-line block ×6, first 2 shown]
	v_fma_f32 v37, v10, v30, -v29
	v_fmac_f32_e32 v31, v11, v30
	v_mul_f32_e32 v40, v15, v35
	v_mul_f32_e32 v35, v14, v35
	v_fma_f32 v30, v12, v32, -v39
	v_fmac_f32_e32 v33, v13, v32
	v_add_f32_e32 v2, v2, v37
	v_add_f32_e32 v3, v3, v31
	v_fma_f32 v32, v14, v34, -v40
	v_fmac_f32_e32 v35, v15, v34
	v_add_f32_e32 v2, v2, v30
	v_add_f32_e32 v3, v3, v33
	;; [unrolled: 4-line block ×3, first 2 shown]
	s_and_saveexec_b64 s[6:7], vcc
	s_cbranch_execz .LBB305_42
; %bb.41:
	flat_load_dwordx2 v[30:31], v[18:19] offset:1536
	flat_load_dwordx2 v[32:33], v[20:21] offset:1536
	flat_load_dwordx2 v[34:35], v[24:25] offset:1536
	flat_load_dwordx2 v[36:37], v[26:27] offset:1536
	s_waitcnt vmcnt(0) lgkmcnt(0)
	v_mul_f32_e32 v18, v11, v31
	v_mul_f32_e32 v19, v10, v31
	v_mul_f32_e32 v20, v13, v33
	v_mul_f32_e32 v21, v12, v33
	v_fma_f32 v10, v10, v30, -v18
	v_fmac_f32_e32 v19, v11, v30
	v_mul_f32_e32 v24, v15, v35
	v_mul_f32_e32 v25, v14, v35
	v_fma_f32 v11, v12, v32, -v20
	v_fmac_f32_e32 v21, v13, v32
	v_add_f32_e32 v0, v0, v10
	v_add_f32_e32 v1, v1, v19
	v_mul_f32_e32 v26, v17, v37
	v_mul_f32_e32 v27, v16, v37
	v_fma_f32 v12, v14, v34, -v24
	v_fmac_f32_e32 v25, v15, v34
	v_add_f32_e32 v0, v0, v11
	v_add_f32_e32 v1, v1, v21
	v_fma_f32 v13, v16, v36, -v26
	v_fmac_f32_e32 v27, v17, v36
	v_add_f32_e32 v0, v0, v12
	v_add_f32_e32 v1, v1, v25
	;; [unrolled: 1-line block ×4, first 2 shown]
.LBB305_42:
	s_or_b64 exec, exec, s[6:7]
	v_add_f32_e32 v2, v2, v29
	v_add_f32_e32 v3, v3, v4
.LBB305_43:
	s_or_b64 exec, exec, s[4:5]
	v_add_f32_e32 v6, v6, v28
	v_add_f32_e32 v7, v7, v5
.LBB305_44:
	s_or_b64 exec, exec, s[0:1]
	v_pk_add_f32 v[8:9], v[8:9], v[22:23]
.LBB305_45:
	s_or_b64 exec, exec, s[2:3]
.LBB305_46:
	v_lshlrev_b32_e32 v4, 8, v64
	s_movk_i32 s0, 0x100
	v_add_lshl_u32 v4, v4, v63, 3
	v_cmp_gt_u32_e32 vcc, s0, v62
	ds_write2st64_b64 v4, v[8:9], v[6:7] offset1:1
	ds_write2st64_b64 v4, v[2:3], v[0:1] offset0:2 offset1:3
	s_waitcnt lgkmcnt(0)
	s_barrier
	s_and_saveexec_b64 s[0:1], vcc
	s_cbranch_execz .LBB305_51
; %bb.47:
	v_lshlrev_b32_e32 v20, 3, v62
	ds_read2st64_b64 v[0:3], v20 offset1:4
	ds_read2st64_b64 v[4:7], v20 offset0:8 offset1:12
	s_waitcnt vmcnt(0)
	ds_read2st64_b64 v[8:11], v20 offset0:16 offset1:20
	ds_read2st64_b64 v[12:15], v20 offset0:24 offset1:28
	;; [unrolled: 1-line block ×3, first 2 shown]
	s_waitcnt lgkmcnt(4)
	v_pk_add_f32 v[0:1], v[0:1], v[2:3]
	s_waitcnt lgkmcnt(3)
	v_pk_add_f32 v[0:1], v[0:1], v[4:5]
	s_nop 0
	v_pk_add_f32 v[0:1], v[0:1], v[6:7]
	s_waitcnt lgkmcnt(2)
	v_pk_add_f32 v[0:1], v[0:1], v[8:9]
	s_nop 0
	;; [unrolled: 4-line block ×3, first 2 shown]
	v_pk_add_f32 v[4:5], v[0:1], v[14:15]
	ds_read2st64_b64 v[0:3], v20 offset0:40 offset1:44
	s_waitcnt lgkmcnt(1)
	v_pk_add_f32 v[8:9], v[4:5], v[16:17]
	ds_read2st64_b64 v[4:7], v20 offset0:48 offset1:52
	v_pk_add_f32 v[12:13], v[8:9], v[18:19]
	ds_read2st64_b64 v[8:11], v20 offset0:56 offset1:60
	s_waitcnt lgkmcnt(2)
	v_pk_add_f32 v[0:1], v[12:13], v[0:1]
	s_nop 0
	v_pk_add_f32 v[0:1], v[0:1], v[2:3]
	s_waitcnt lgkmcnt(1)
	v_pk_add_f32 v[0:1], v[0:1], v[4:5]
	v_or_b32_e32 v4, s33, v62
	v_pk_add_f32 v[0:1], v[0:1], v[6:7]
	v_cmp_gt_i32_e32 vcc, s8, v4
	s_waitcnt lgkmcnt(0)
	v_pk_add_f32 v[0:1], v[0:1], v[8:9]
	s_nop 0
	v_pk_add_f32 v[2:3], v[0:1], v[10:11]
	ds_write_b64 v20, v[2:3]
	s_and_b64 exec, exec, vcc
	s_cbranch_execz .LBB305_51
; %bb.48:
	v_pk_mul_f32 v[6:7], v[2:3], s[10:11] op_sel:[1,0]
	v_cmp_neq_f32_e64 s[0:1], s12, 0
	v_pk_fma_f32 v[0:1], v[2:3], s[10:11], v[6:7] op_sel:[0,0,1] op_sel_hi:[0,1,0] neg_lo:[0,0,1] neg_hi:[0,0,1]
	v_pk_fma_f32 v[2:3], v[2:3], s[10:11], v[6:7] op_sel:[0,0,1] op_sel_hi:[0,1,0]
	v_ashrrev_i32_e32 v1, 31, v4
	v_cmp_neq_f32_e64 s[2:3], s13, 0
	v_mul_lo_u32 v2, v4, s15
	v_mul_lo_u32 v1, v1, s14
	v_mad_u64_u32 v[4:5], s[4:5], v4, s14, 0
	v_add3_u32 v5, v5, v2, v1
	s_or_b64 s[0:1], s[0:1], s[2:3]
	s_andn2_b64 vcc, exec, s[0:1]
	v_lshl_add_u64 v[4:5], v[4:5], 3, s[16:17]
	s_cbranch_vccnz .LBB305_50
; %bb.49:
	global_load_dwordx2 v[6:7], v[4:5], off
	v_mov_b32_e32 v1, v3
	s_waitcnt vmcnt(0)
	v_pk_mul_f32 v[2:3], s[12:13], v[6:7] op_sel:[0,1]
	s_nop 0
	v_pk_fma_f32 v[8:9], s[12:13], v[6:7], v[2:3] op_sel:[0,0,1] op_sel_hi:[1,1,0] neg_lo:[0,0,1] neg_hi:[0,0,1]
	v_pk_fma_f32 v[2:3], s[12:13], v[6:7], v[2:3] op_sel:[0,0,1] op_sel_hi:[1,0,0]
	s_nop 0
	v_mov_b32_e32 v9, v3
	v_pk_add_f32 v[0:1], v[0:1], v[8:9]
	s_nop 0
	v_mov_b32_e32 v3, v1
.LBB305_50:
	v_mov_b32_e32 v1, v3
	global_store_dwordx2 v[4:5], v[0:1], off
.LBB305_51:
	s_endpgm
	.section	.rodata,"a",@progbits
	.p2align	6, 0x0
	.amdhsa_kernel _ZL20rocblas_gemvn_kernelILi64ELi16ElPK19rocblas_complex_numIfES1_KPS1_EviiT3_lPKT2_lT1_lS9_lSA_lS6_lPT4_lSA_li
		.amdhsa_group_segment_fixed_size 32768
		.amdhsa_private_segment_fixed_size 0
		.amdhsa_kernarg_size 400
		.amdhsa_user_sgpr_count 2
		.amdhsa_user_sgpr_dispatch_ptr 0
		.amdhsa_user_sgpr_queue_ptr 0
		.amdhsa_user_sgpr_kernarg_segment_ptr 1
		.amdhsa_user_sgpr_dispatch_id 0
		.amdhsa_user_sgpr_kernarg_preload_length 0
		.amdhsa_user_sgpr_kernarg_preload_offset 0
		.amdhsa_user_sgpr_private_segment_size 0
		.amdhsa_uses_dynamic_stack 0
		.amdhsa_enable_private_segment 0
		.amdhsa_system_sgpr_workgroup_id_x 1
		.amdhsa_system_sgpr_workgroup_id_y 0
		.amdhsa_system_sgpr_workgroup_id_z 1
		.amdhsa_system_sgpr_workgroup_info 0
		.amdhsa_system_vgpr_workitem_id 1
		.amdhsa_next_free_vgpr 69
		.amdhsa_next_free_sgpr 45
		.amdhsa_accum_offset 72
		.amdhsa_reserve_vcc 1
		.amdhsa_float_round_mode_32 0
		.amdhsa_float_round_mode_16_64 0
		.amdhsa_float_denorm_mode_32 3
		.amdhsa_float_denorm_mode_16_64 3
		.amdhsa_dx10_clamp 1
		.amdhsa_ieee_mode 1
		.amdhsa_fp16_overflow 0
		.amdhsa_tg_split 0
		.amdhsa_exception_fp_ieee_invalid_op 0
		.amdhsa_exception_fp_denorm_src 0
		.amdhsa_exception_fp_ieee_div_zero 0
		.amdhsa_exception_fp_ieee_overflow 0
		.amdhsa_exception_fp_ieee_underflow 0
		.amdhsa_exception_fp_ieee_inexact 0
		.amdhsa_exception_int_div_zero 0
	.end_amdhsa_kernel
	.section	.text._ZL20rocblas_gemvn_kernelILi64ELi16ElPK19rocblas_complex_numIfES1_KPS1_EviiT3_lPKT2_lT1_lS9_lSA_lS6_lPT4_lSA_li,"axG",@progbits,_ZL20rocblas_gemvn_kernelILi64ELi16ElPK19rocblas_complex_numIfES1_KPS1_EviiT3_lPKT2_lT1_lS9_lSA_lS6_lPT4_lSA_li,comdat
.Lfunc_end305:
	.size	_ZL20rocblas_gemvn_kernelILi64ELi16ElPK19rocblas_complex_numIfES1_KPS1_EviiT3_lPKT2_lT1_lS9_lSA_lS6_lPT4_lSA_li, .Lfunc_end305-_ZL20rocblas_gemvn_kernelILi64ELi16ElPK19rocblas_complex_numIfES1_KPS1_EviiT3_lPKT2_lT1_lS9_lSA_lS6_lPT4_lSA_li
                                        ; -- End function
	.section	.AMDGPU.csdata,"",@progbits
; Kernel info:
; codeLenInByte = 3548
; NumSgprs: 51
; NumVgprs: 69
; NumAgprs: 0
; TotalNumVgprs: 69
; ScratchSize: 0
; MemoryBound: 0
; FloatMode: 240
; IeeeMode: 1
; LDSByteSize: 32768 bytes/workgroup (compile time only)
; SGPRBlocks: 6
; VGPRBlocks: 8
; NumSGPRsForWavesPerEU: 51
; NumVGPRsForWavesPerEU: 69
; AccumOffset: 72
; Occupancy: 7
; WaveLimiterHint : 1
; COMPUTE_PGM_RSRC2:SCRATCH_EN: 0
; COMPUTE_PGM_RSRC2:USER_SGPR: 2
; COMPUTE_PGM_RSRC2:TRAP_HANDLER: 0
; COMPUTE_PGM_RSRC2:TGID_X_EN: 1
; COMPUTE_PGM_RSRC2:TGID_Y_EN: 0
; COMPUTE_PGM_RSRC2:TGID_Z_EN: 1
; COMPUTE_PGM_RSRC2:TIDIG_COMP_CNT: 1
; COMPUTE_PGM_RSRC3_GFX90A:ACCUM_OFFSET: 17
; COMPUTE_PGM_RSRC3_GFX90A:TG_SPLIT: 0
	.section	.text._ZL22rocblas_gemvtsm_kernelILb0ELi256EPK19rocblas_complex_numIfES3_KPS1_EviiT2_lPKT1_lilS9_lilS6_lPT3_lil,"axG",@progbits,_ZL22rocblas_gemvtsm_kernelILb0ELi256EPK19rocblas_complex_numIfES3_KPS1_EviiT2_lPKT1_lilS9_lilS6_lPT3_lil,comdat
	.globl	_ZL22rocblas_gemvtsm_kernelILb0ELi256EPK19rocblas_complex_numIfES3_KPS1_EviiT2_lPKT1_lilS9_lilS6_lPT3_lil ; -- Begin function _ZL22rocblas_gemvtsm_kernelILb0ELi256EPK19rocblas_complex_numIfES3_KPS1_EviiT2_lPKT1_lilS9_lilS6_lPT3_lil
	.p2align	8
	.type	_ZL22rocblas_gemvtsm_kernelILb0ELi256EPK19rocblas_complex_numIfES3_KPS1_EviiT2_lPKT1_lilS9_lilS6_lPT3_lil,@function
_ZL22rocblas_gemvtsm_kernelILb0ELi256EPK19rocblas_complex_numIfES3_KPS1_EviiT2_lPKT1_lilS9_lilS6_lPT3_lil: ; @_ZL22rocblas_gemvtsm_kernelILb0ELi256EPK19rocblas_complex_numIfES3_KPS1_EviiT2_lPKT1_lilS9_lilS6_lPT3_lil
; %bb.0:
	s_load_dwordx8 s[12:19], s[0:1], 0x8
	s_load_dwordx8 s[4:11], s[0:1], 0x58
	s_waitcnt lgkmcnt(0)
	s_mul_i32 s3, s2, s15
	s_mul_hi_u32 s15, s2, s14
	s_add_i32 s15, s15, s3
	s_mul_i32 s14, s2, s14
	s_lshl_b64 s[14:15], s[14:15], 3
	s_add_u32 s12, s12, s14
	s_mul_i32 s3, s2, s7
	s_mul_hi_u32 s7, s2, s6
	s_addc_u32 s13, s13, s15
	s_add_i32 s7, s7, s3
	s_mul_i32 s6, s2, s6
	s_lshl_b64 s[6:7], s[6:7], 3
	s_add_u32 s4, s4, s6
	s_load_dwordx2 s[20:21], s[12:13], 0x0
	s_addc_u32 s5, s5, s7
	s_load_dwordx2 s[6:7], s[4:5], 0x0
	s_waitcnt lgkmcnt(0)
	v_cmp_eq_f32_e64 s[4:5], s20, 0
	v_cmp_eq_f32_e64 s[12:13], s21, 0
	s_and_b64 s[4:5], s[4:5], s[12:13]
	v_cmp_eq_f32_e64 s[12:13], s6, 1.0
	v_cmp_eq_f32_e64 s[14:15], s7, 0
	s_and_b64 s[12:13], s[12:13], s[14:15]
	s_and_b64 s[4:5], s[4:5], s[12:13]
	s_and_b64 vcc, exec, s[4:5]
	s_cbranch_vccnz .LBB306_38
; %bb.1:
	s_or_b32 s4, s20, s21
	s_bitset0_b32 s4, 31
	s_cmp_lg_u32 s4, 0
	s_cselect_b64 s[12:13], -1, 0
	s_cmp_eq_u32 s4, 0
	s_cselect_b64 s[24:25], -1, 0
	s_mov_b32 s3, 0
	s_mov_b64 s[22:23], 0
	s_and_b64 vcc, exec, s[24:25]
	s_mov_b64 s[4:5], 0
	s_cbranch_vccnz .LBB306_3
; %bb.2:
	s_lshl_b64 s[4:5], s[2:3], 3
	s_add_u32 s4, s16, s4
	s_addc_u32 s5, s17, s5
	s_load_dwordx2 s[4:5], s[4:5], 0x0
	s_lshl_b64 s[14:15], s[18:19], 3
	s_waitcnt lgkmcnt(0)
	s_add_u32 s4, s4, s14
	s_addc_u32 s5, s5, s15
.LBB306_3:
	s_andn2_b64 vcc, exec, s[12:13]
	s_cbranch_vccnz .LBB306_5
; %bb.4:
	s_load_dwordx4 s[12:15], s[0:1], 0x38
	s_lshl_b64 s[16:17], s[2:3], 3
	s_waitcnt lgkmcnt(0)
	s_add_u32 s12, s12, s16
	s_addc_u32 s13, s13, s17
	s_load_dwordx2 s[12:13], s[12:13], 0x0
	s_lshl_b64 s[14:15], s[14:15], 3
	s_waitcnt lgkmcnt(0)
	s_add_u32 s22, s12, s14
	s_addc_u32 s23, s13, s15
.LBB306_5:
	s_lshl_b64 s[2:3], s[2:3], 3
	s_add_u32 s2, s8, s2
	s_addc_u32 s3, s9, s3
	s_load_dwordx2 s[12:13], s[0:1], 0x0
	s_load_dword s14, s[0:1], 0x78
	s_andn2_b64 vcc, exec, s[24:25]
	s_load_dwordx2 s[2:3], s[2:3], 0x0
	s_mov_b64 s[8:9], -1
	s_cbranch_vccnz .LBB306_20
; %bb.6:
	v_cmp_neq_f32_e64 s[8:9], s6, 0
	v_cmp_neq_f32_e64 s[16:17], s7, 0
	s_or_b64 s[18:19], s[8:9], s[16:17]
	s_waitcnt lgkmcnt(0)
	s_cmp_gt_i32 s13, 0
	s_mov_b64 s[16:17], -1
	s_cselect_b64 s[8:9], -1, 0
	s_and_b64 vcc, exec, s[18:19]
	s_cbranch_vccnz .LBB306_13
; %bb.7:
	s_andn2_b64 vcc, exec, s[8:9]
	s_cbranch_vccnz .LBB306_12
; %bb.8:
	v_mad_i64_i32 v[2:3], s[16:17], s14, v0, 0
	s_ashr_i32 s15, s14, 31
	s_lshl_b64 s[16:17], s[10:11], 3
	s_add_u32 s16, s2, s16
	s_addc_u32 s17, s3, s17
	v_lshl_add_u64 v[2:3], v[2:3], 3, s[16:17]
	s_lshl_b64 s[16:17], s[14:15], 11
	s_mov_b32 s15, 0
	v_mov_b32_e32 v4, 0
	s_branch .LBB306_10
.LBB306_9:                              ;   in Loop: Header=BB306_10 Depth=1
	s_or_b64 exec, exec, s[18:19]
	s_addk_i32 s15, 0x100
	s_cmp_ge_i32 s15, s13
	v_lshl_add_u64 v[2:3], v[2:3], 0, s[16:17]
	s_cbranch_scc1 .LBB306_12
.LBB306_10:                             ; =>This Inner Loop Header: Depth=1
	v_add_u32_e32 v1, s15, v0
	v_cmp_gt_i32_e32 vcc, s13, v1
	s_and_saveexec_b64 s[18:19], vcc
	s_cbranch_execz .LBB306_9
; %bb.11:                               ;   in Loop: Header=BB306_10 Depth=1
	v_mov_b32_e32 v5, v4
	global_store_dwordx2 v[2:3], v[4:5], off
	s_branch .LBB306_9
.LBB306_12:
	s_mov_b64 s[16:17], 0
.LBB306_13:
	s_andn2_b64 vcc, exec, s[16:17]
	s_cbranch_vccnz .LBB306_19
; %bb.14:
	s_andn2_b64 vcc, exec, s[8:9]
	s_cbranch_vccnz .LBB306_19
; %bb.15:
	v_mad_i64_i32 v[2:3], s[8:9], s14, v0, 0
	s_ashr_i32 s15, s14, 31
	s_lshl_b64 s[8:9], s[10:11], 3
	s_add_u32 s8, s2, s8
	s_addc_u32 s9, s3, s9
	v_lshl_add_u64 v[2:3], v[2:3], 3, s[8:9]
	v_lshl_add_u64 v[2:3], v[2:3], 0, 4
	s_lshl_b64 s[8:9], s[14:15], 11
	s_mov_b32 s15, 0
	s_branch .LBB306_17
.LBB306_16:                             ;   in Loop: Header=BB306_17 Depth=1
	s_or_b64 exec, exec, s[16:17]
	s_addk_i32 s15, 0x100
	s_cmp_ge_i32 s15, s13
	v_lshl_add_u64 v[2:3], v[2:3], 0, s[8:9]
	s_cbranch_scc1 .LBB306_19
.LBB306_17:                             ; =>This Inner Loop Header: Depth=1
	v_add_u32_e32 v1, s15, v0
	v_cmp_gt_i32_e32 vcc, s13, v1
	s_and_saveexec_b64 s[16:17], vcc
	s_cbranch_execz .LBB306_16
; %bb.18:                               ;   in Loop: Header=BB306_17 Depth=1
	global_load_dwordx2 v[4:5], v[2:3], off offset:-4
	s_waitcnt vmcnt(0)
	v_mul_f32_e32 v1, s7, v5
	v_mul_f32_e32 v7, s6, v5
	v_fma_f32 v6, s6, v4, -v1
	v_fmac_f32_e32 v7, s7, v4
	global_store_dwordx2 v[2:3], v[6:7], off offset:-4
	s_branch .LBB306_16
.LBB306_19:
	s_mov_b64 s[8:9], 0
.LBB306_20:
	s_andn2_b64 vcc, exec, s[8:9]
	s_cbranch_vccnz .LBB306_38
; %bb.21:
	s_waitcnt lgkmcnt(0)
	v_cmp_gt_i32_e32 vcc, s12, v0
	s_and_saveexec_b64 s[8:9], vcc
	s_cbranch_execz .LBB306_23
; %bb.22:
	s_load_dword s15, s[0:1], 0x48
	s_waitcnt lgkmcnt(0)
	v_mad_i64_i32 v[2:3], s[16:17], s15, v0, 0
	v_lshl_add_u64 v[2:3], v[2:3], 3, s[22:23]
	flat_load_dwordx2 v[2:3], v[2:3]
	s_waitcnt vmcnt(0) lgkmcnt(0)
	v_mul_f32_e32 v1, s21, v3
	v_mul_f32_e32 v5, s20, v3
	v_fma_f32 v4, v2, s20, -v1
	v_fmac_f32_e32 v5, s21, v2
	v_lshlrev_b32_e32 v1, 3, v0
	ds_write_b64 v1, v[4:5]
.LBB306_23:
	s_or_b64 exec, exec, s[8:9]
	s_cmp_lt_i32 s13, 1
	s_waitcnt lgkmcnt(0)
	s_barrier
	s_cbranch_scc1 .LBB306_38
; %bb.24:
	s_load_dword s0, s[0:1], 0x28
	s_lshl_b64 s[8:9], s[10:11], 3
	s_add_u32 s8, s2, s8
	s_addc_u32 s9, s3, s9
	v_cmp_neq_f32_e64 s[2:3], s6, 0
	v_cmp_neq_f32_e64 s[16:17], s7, 0
	s_ashr_i32 s15, s14, 31
	s_waitcnt lgkmcnt(0)
	s_ashr_i32 s1, s0, 31
	s_or_b64 s[2:3], s[2:3], s[16:17]
	s_cmp_gt_i32 s12, 0
	s_cselect_b64 s[20:21], -1, 0
	s_and_b32 s25, s12, 7
	s_cmp_gt_u32 s12, 7
	s_cselect_b64 s[22:23], -1, 0
	s_and_b32 s12, s12, 0x7ffffff8
	s_cmp_lg_u32 s25, 0
	v_mad_i64_i32 v[2:3], s[18:19], s0, v0, 0
	v_cndmask_b32_e64 v1, 0, 1, s[2:3]
	s_cselect_b64 s[16:17], -1, 0
	s_lshl_b64 s[18:19], s[0:1], 11
	v_cmp_ne_u32_e64 s[0:1], 1, v1
	v_cndmask_b32_e64 v1, 0, 1, s[20:21]
	v_cmp_ne_u32_e64 s[2:3], 1, v1
	v_cndmask_b32_e64 v1, 0, 1, s[22:23]
	s_mov_b32 s11, 0
	s_mov_b32 s24, s7
	v_lshl_add_u64 v[2:3], v[2:3], 3, s[4:5]
	v_cmp_ne_u32_e64 s[4:5], 1, v1
	s_mov_b32 s26, 0
	s_branch .LBB306_27
.LBB306_25:                             ;   in Loop: Header=BB306_27 Depth=1
	global_store_dwordx2 v[4:5], v[6:7], off
.LBB306_26:                             ;   in Loop: Header=BB306_27 Depth=1
	s_or_b64 exec, exec, s[20:21]
	s_addk_i32 s26, 0x100
	s_cmp_ge_i32 s26, s13
	v_lshl_add_u64 v[2:3], v[2:3], 0, s[18:19]
	s_cbranch_scc1 .LBB306_38
.LBB306_27:                             ; =>This Loop Header: Depth=1
                                        ;     Child Loop BB306_33 Depth 2
                                        ;     Child Loop BB306_37 Depth 2
	v_add_u32_e32 v1, s26, v0
	v_cmp_gt_i32_e32 vcc, s13, v1
	s_and_saveexec_b64 s[20:21], vcc
	s_cbranch_execz .LBB306_26
; %bb.28:                               ;   in Loop: Header=BB306_27 Depth=1
	v_mad_u64_u32 v[4:5], s[22:23], v1, s14, 0
	v_mov_b32_e32 v6, v5
	v_mad_u64_u32 v[6:7], s[22:23], v1, s15, v[6:7]
	v_mov_b32_e32 v5, v6
	s_and_b64 vcc, exec, s[0:1]
	v_mov_b32_e32 v6, 0
	v_lshl_add_u64 v[4:5], v[4:5], 3, s[8:9]
	v_mov_b32_e32 v7, 0
	s_cbranch_vccnz .LBB306_30
; %bb.29:                               ;   in Loop: Header=BB306_27 Depth=1
	global_load_dwordx2 v[8:9], v[4:5], off
	s_waitcnt vmcnt(0)
	v_pk_mul_f32 v[10:11], s[6:7], v[8:9]
	v_mul_f32_e32 v7, s24, v8
	v_sub_f32_e32 v6, v10, v11
	v_fmac_f32_e32 v7, s6, v9
.LBB306_30:                             ;   in Loop: Header=BB306_27 Depth=1
	s_and_b64 vcc, exec, s[2:3]
	s_cbranch_vccnz .LBB306_25
; %bb.31:                               ;   in Loop: Header=BB306_27 Depth=1
	s_mov_b32 s10, 0
	s_and_b64 vcc, exec, s[4:5]
	s_cbranch_vccnz .LBB306_35
; %bb.32:                               ;   in Loop: Header=BB306_27 Depth=1
	s_mov_b32 s22, 0
	v_mov_b64_e32 v[8:9], v[2:3]
.LBB306_33:                             ;   Parent Loop BB306_27 Depth=1
                                        ; =>  This Inner Loop Header: Depth=2
	flat_load_dwordx4 v[10:13], v[8:9]
	flat_load_dwordx4 v[14:17], v[8:9] offset:16
	flat_load_dwordx4 v[18:21], v[8:9] offset:32
	flat_load_dwordx4 v[22:25], v[8:9] offset:48
	v_mov_b32_e32 v1, s10
	ds_read_b128 v[26:29], v1
	ds_read_b128 v[30:33], v1 offset:16
	ds_read_b128 v[34:37], v1 offset:32
	;; [unrolled: 1-line block ×3, first 2 shown]
	s_add_i32 s22, s22, 8
	s_add_i32 s10, s10, 64
	v_lshl_add_u64 v[8:9], v[8:9], 0, 64
	s_cmp_eq_u32 s12, s22
	s_waitcnt vmcnt(0) lgkmcnt(0)
	v_mul_f32_e32 v1, v11, v27
	v_mul_f32_e32 v27, v10, v27
	;; [unrolled: 1-line block ×4, first 2 shown]
	v_fma_f32 v1, v10, v26, -v1
	v_fmac_f32_e32 v27, v11, v26
	v_mul_f32_e32 v43, v15, v31
	v_mul_f32_e32 v31, v14, v31
	v_fma_f32 v10, v12, v28, -v42
	v_fmac_f32_e32 v29, v13, v28
	v_add_f32_e32 v1, v6, v1
	v_add_f32_e32 v6, v7, v27
	v_mul_f32_e32 v44, v17, v33
	v_mul_f32_e32 v33, v16, v33
	v_fma_f32 v11, v14, v30, -v43
	v_fmac_f32_e32 v31, v15, v30
	v_add_f32_e32 v1, v1, v10
	v_add_f32_e32 v6, v6, v29
	;; [unrolled: 6-line block ×6, first 2 shown]
	v_fma_f32 v16, v24, v40, -v48
	v_fmac_f32_e32 v41, v25, v40
	v_add_f32_e32 v1, v1, v15
	v_add_f32_e32 v7, v6, v39
	;; [unrolled: 1-line block ×4, first 2 shown]
	s_cbranch_scc0 .LBB306_33
; %bb.34:                               ;   in Loop: Header=BB306_27 Depth=1
	s_mov_b32 s10, s12
.LBB306_35:                             ;   in Loop: Header=BB306_27 Depth=1
	s_andn2_b64 vcc, exec, s[16:17]
	s_cbranch_vccnz .LBB306_25
; %bb.36:                               ;   in Loop: Header=BB306_27 Depth=1
	s_lshl_b32 s27, s10, 3
	s_lshl_b64 s[22:23], s[10:11], 3
	s_mov_b32 s10, s25
.LBB306_37:                             ;   Parent Loop BB306_27 Depth=1
                                        ; =>  This Inner Loop Header: Depth=2
	v_lshl_add_u64 v[8:9], v[2:3], 0, s[22:23]
	flat_load_dwordx2 v[8:9], v[8:9]
	v_mov_b32_e32 v1, s27
	ds_read_b64 v[10:11], v1
	s_add_i32 s27, s27, 8
	s_add_u32 s22, s22, 8
	s_addc_u32 s23, s23, 0
	s_add_i32 s10, s10, -1
	s_cmp_lg_u32 s10, 0
	s_waitcnt vmcnt(0) lgkmcnt(0)
	v_mul_f32_e32 v1, v9, v11
	v_mul_f32_e32 v11, v8, v11
	v_fma_f32 v1, v8, v10, -v1
	v_fmac_f32_e32 v11, v9, v10
	v_add_f32_e32 v6, v6, v1
	v_add_f32_e32 v7, v7, v11
	s_cbranch_scc1 .LBB306_37
	s_branch .LBB306_25
.LBB306_38:
	s_endpgm
	.section	.rodata,"a",@progbits
	.p2align	6, 0x0
	.amdhsa_kernel _ZL22rocblas_gemvtsm_kernelILb0ELi256EPK19rocblas_complex_numIfES3_KPS1_EviiT2_lPKT1_lilS9_lilS6_lPT3_lil
		.amdhsa_group_segment_fixed_size 512
		.amdhsa_private_segment_fixed_size 0
		.amdhsa_kernarg_size 136
		.amdhsa_user_sgpr_count 2
		.amdhsa_user_sgpr_dispatch_ptr 0
		.amdhsa_user_sgpr_queue_ptr 0
		.amdhsa_user_sgpr_kernarg_segment_ptr 1
		.amdhsa_user_sgpr_dispatch_id 0
		.amdhsa_user_sgpr_kernarg_preload_length 0
		.amdhsa_user_sgpr_kernarg_preload_offset 0
		.amdhsa_user_sgpr_private_segment_size 0
		.amdhsa_uses_dynamic_stack 0
		.amdhsa_enable_private_segment 0
		.amdhsa_system_sgpr_workgroup_id_x 1
		.amdhsa_system_sgpr_workgroup_id_y 0
		.amdhsa_system_sgpr_workgroup_id_z 0
		.amdhsa_system_sgpr_workgroup_info 0
		.amdhsa_system_vgpr_workitem_id 0
		.amdhsa_next_free_vgpr 49
		.amdhsa_next_free_sgpr 28
		.amdhsa_accum_offset 52
		.amdhsa_reserve_vcc 1
		.amdhsa_float_round_mode_32 0
		.amdhsa_float_round_mode_16_64 0
		.amdhsa_float_denorm_mode_32 3
		.amdhsa_float_denorm_mode_16_64 3
		.amdhsa_dx10_clamp 1
		.amdhsa_ieee_mode 1
		.amdhsa_fp16_overflow 0
		.amdhsa_tg_split 0
		.amdhsa_exception_fp_ieee_invalid_op 0
		.amdhsa_exception_fp_denorm_src 0
		.amdhsa_exception_fp_ieee_div_zero 0
		.amdhsa_exception_fp_ieee_overflow 0
		.amdhsa_exception_fp_ieee_underflow 0
		.amdhsa_exception_fp_ieee_inexact 0
		.amdhsa_exception_int_div_zero 0
	.end_amdhsa_kernel
	.section	.text._ZL22rocblas_gemvtsm_kernelILb0ELi256EPK19rocblas_complex_numIfES3_KPS1_EviiT2_lPKT1_lilS9_lilS6_lPT3_lil,"axG",@progbits,_ZL22rocblas_gemvtsm_kernelILb0ELi256EPK19rocblas_complex_numIfES3_KPS1_EviiT2_lPKT1_lilS9_lilS6_lPT3_lil,comdat
.Lfunc_end306:
	.size	_ZL22rocblas_gemvtsm_kernelILb0ELi256EPK19rocblas_complex_numIfES3_KPS1_EviiT2_lPKT1_lilS9_lilS6_lPT3_lil, .Lfunc_end306-_ZL22rocblas_gemvtsm_kernelILb0ELi256EPK19rocblas_complex_numIfES3_KPS1_EviiT2_lPKT1_lilS9_lilS6_lPT3_lil
                                        ; -- End function
	.section	.AMDGPU.csdata,"",@progbits
; Kernel info:
; codeLenInByte = 1528
; NumSgprs: 34
; NumVgprs: 49
; NumAgprs: 0
; TotalNumVgprs: 49
; ScratchSize: 0
; MemoryBound: 0
; FloatMode: 240
; IeeeMode: 1
; LDSByteSize: 512 bytes/workgroup (compile time only)
; SGPRBlocks: 4
; VGPRBlocks: 6
; NumSGPRsForWavesPerEU: 34
; NumVGPRsForWavesPerEU: 49
; AccumOffset: 52
; Occupancy: 8
; WaveLimiterHint : 1
; COMPUTE_PGM_RSRC2:SCRATCH_EN: 0
; COMPUTE_PGM_RSRC2:USER_SGPR: 2
; COMPUTE_PGM_RSRC2:TRAP_HANDLER: 0
; COMPUTE_PGM_RSRC2:TGID_X_EN: 1
; COMPUTE_PGM_RSRC2:TGID_Y_EN: 0
; COMPUTE_PGM_RSRC2:TGID_Z_EN: 0
; COMPUTE_PGM_RSRC2:TIDIG_COMP_CNT: 0
; COMPUTE_PGM_RSRC3_GFX90A:ACCUM_OFFSET: 12
; COMPUTE_PGM_RSRC3_GFX90A:TG_SPLIT: 0
	.section	.text._ZL22rocblas_gemvtsm_kernelILb0ELi256EPK19rocblas_complex_numIfES1_KPS1_EviiT2_lPKT1_lilS9_lilS6_lPT3_lil,"axG",@progbits,_ZL22rocblas_gemvtsm_kernelILb0ELi256EPK19rocblas_complex_numIfES1_KPS1_EviiT2_lPKT1_lilS9_lilS6_lPT3_lil,comdat
	.globl	_ZL22rocblas_gemvtsm_kernelILb0ELi256EPK19rocblas_complex_numIfES1_KPS1_EviiT2_lPKT1_lilS9_lilS6_lPT3_lil ; -- Begin function _ZL22rocblas_gemvtsm_kernelILb0ELi256EPK19rocblas_complex_numIfES1_KPS1_EviiT2_lPKT1_lilS9_lilS6_lPT3_lil
	.p2align	8
	.type	_ZL22rocblas_gemvtsm_kernelILb0ELi256EPK19rocblas_complex_numIfES1_KPS1_EviiT2_lPKT1_lilS9_lilS6_lPT3_lil,@function
_ZL22rocblas_gemvtsm_kernelILb0ELi256EPK19rocblas_complex_numIfES1_KPS1_EviiT2_lPKT1_lilS9_lilS6_lPT3_lil: ; @_ZL22rocblas_gemvtsm_kernelILb0ELi256EPK19rocblas_complex_numIfES1_KPS1_EviiT2_lPKT1_lilS9_lilS6_lPT3_lil
; %bb.0:
	s_load_dwordx4 s[8:11], s[0:1], 0x0
	s_load_dwordx2 s[12:13], s[0:1], 0x58
	s_waitcnt lgkmcnt(0)
	v_cmp_eq_f32_e64 s[4:5], s10, 0
	v_cmp_eq_f32_e64 s[6:7], s11, 0
	s_and_b64 s[4:5], s[4:5], s[6:7]
	v_cmp_eq_f32_e64 s[6:7], s12, 1.0
	v_cmp_eq_f32_e64 s[14:15], s13, 0
	s_and_b64 s[6:7], s[6:7], s[14:15]
	s_and_b64 s[4:5], s[4:5], s[6:7]
	s_and_b64 vcc, exec, s[4:5]
	s_cbranch_vccnz .LBB307_40
; %bb.1:
	s_or_b32 s3, s10, s11
	s_bitset0_b32 s3, 31
	s_cmp_lg_u32 s3, 0
	s_cselect_b64 s[4:5], -1, 0
	s_cmp_eq_u32 s3, 0
	s_cselect_b64 s[20:21], -1, 0
	s_and_b64 vcc, exec, s[4:5]
	s_cbranch_vccnz .LBB307_3
; %bb.2:
	s_mov_b32 s3, 0
	s_mov_b64 s[18:19], 0
	s_cbranch_execz .LBB307_4
	s_branch .LBB307_5
.LBB307_3:
                                        ; implicit-def: $sgpr18_sgpr19
.LBB307_4:
	s_load_dwordx4 s[16:19], s[0:1], 0x18
	s_mov_b32 s3, 0
	s_lshl_b64 s[6:7], s[2:3], 3
	s_waitcnt lgkmcnt(0)
	s_add_u32 s6, s16, s6
	s_addc_u32 s7, s17, s7
	s_load_dwordx2 s[6:7], s[6:7], 0x0
	s_lshl_b64 s[14:15], s[18:19], 3
	s_waitcnt lgkmcnt(0)
	s_add_u32 s18, s6, s14
	s_addc_u32 s19, s7, s15
.LBB307_5:
	s_andn2_b64 vcc, exec, s[4:5]
	s_mov_b64 s[16:17], 0
	s_cbranch_vccnz .LBB307_7
; %bb.6:
	s_load_dwordx4 s[4:7], s[0:1], 0x38
	s_lshl_b64 s[14:15], s[2:3], 3
	s_waitcnt lgkmcnt(0)
	s_add_u32 s4, s4, s14
	s_addc_u32 s5, s5, s15
	s_load_dwordx2 s[4:5], s[4:5], 0x0
	s_lshl_b64 s[6:7], s[6:7], 3
	s_waitcnt lgkmcnt(0)
	s_add_u32 s16, s4, s6
	s_addc_u32 s17, s5, s7
.LBB307_7:
	s_load_dwordx4 s[4:7], s[0:1], 0x68
	s_load_dword s14, s[0:1], 0x78
	s_lshl_b64 s[2:3], s[2:3], 3
	s_waitcnt lgkmcnt(0)
	s_add_u32 s2, s4, s2
	s_addc_u32 s3, s5, s3
	s_load_dwordx2 s[2:3], s[2:3], 0x0
	s_andn2_b64 vcc, exec, s[20:21]
	s_mov_b64 s[4:5], -1
	s_cbranch_vccnz .LBB307_22
; %bb.8:
	v_cmp_neq_f32_e64 s[4:5], s12, 0
	v_cmp_neq_f32_e64 s[20:21], s13, 0
	s_or_b64 s[22:23], s[4:5], s[20:21]
	s_cmp_gt_i32 s9, 0
	s_mov_b64 s[20:21], -1
	s_cselect_b64 s[4:5], -1, 0
	s_and_b64 vcc, exec, s[22:23]
	s_cbranch_vccnz .LBB307_15
; %bb.9:
	s_andn2_b64 vcc, exec, s[4:5]
	s_cbranch_vccnz .LBB307_14
; %bb.10:
	v_mad_i64_i32 v[2:3], s[20:21], s14, v0, 0
	s_ashr_i32 s15, s14, 31
	s_lshl_b64 s[20:21], s[6:7], 3
	s_waitcnt lgkmcnt(0)
	s_add_u32 s20, s2, s20
	s_addc_u32 s21, s3, s21
	v_lshl_add_u64 v[2:3], v[2:3], 3, s[20:21]
	s_lshl_b64 s[20:21], s[14:15], 11
	s_mov_b32 s15, 0
	v_mov_b32_e32 v4, 0
	s_branch .LBB307_12
.LBB307_11:                             ;   in Loop: Header=BB307_12 Depth=1
	s_or_b64 exec, exec, s[22:23]
	s_addk_i32 s15, 0x100
	s_cmp_ge_i32 s15, s9
	v_lshl_add_u64 v[2:3], v[2:3], 0, s[20:21]
	s_cbranch_scc1 .LBB307_14
.LBB307_12:                             ; =>This Inner Loop Header: Depth=1
	v_add_u32_e32 v1, s15, v0
	v_cmp_gt_i32_e32 vcc, s9, v1
	s_and_saveexec_b64 s[22:23], vcc
	s_cbranch_execz .LBB307_11
; %bb.13:                               ;   in Loop: Header=BB307_12 Depth=1
	v_mov_b32_e32 v5, v4
	global_store_dwordx2 v[2:3], v[4:5], off
	s_branch .LBB307_11
.LBB307_14:
	s_mov_b64 s[20:21], 0
.LBB307_15:
	s_andn2_b64 vcc, exec, s[20:21]
	s_cbranch_vccnz .LBB307_21
; %bb.16:
	s_andn2_b64 vcc, exec, s[4:5]
	s_cbranch_vccnz .LBB307_21
; %bb.17:
	v_mad_i64_i32 v[2:3], s[4:5], s14, v0, 0
	s_ashr_i32 s15, s14, 31
	s_lshl_b64 s[4:5], s[6:7], 3
	s_waitcnt lgkmcnt(0)
	s_add_u32 s4, s2, s4
	s_addc_u32 s5, s3, s5
	v_lshl_add_u64 v[2:3], v[2:3], 3, s[4:5]
	v_lshl_add_u64 v[2:3], v[2:3], 0, 4
	s_lshl_b64 s[4:5], s[14:15], 11
	s_mov_b32 s15, 0
	s_branch .LBB307_19
.LBB307_18:                             ;   in Loop: Header=BB307_19 Depth=1
	s_or_b64 exec, exec, s[20:21]
	s_addk_i32 s15, 0x100
	s_cmp_ge_i32 s15, s9
	v_lshl_add_u64 v[2:3], v[2:3], 0, s[4:5]
	s_cbranch_scc1 .LBB307_21
.LBB307_19:                             ; =>This Inner Loop Header: Depth=1
	v_add_u32_e32 v1, s15, v0
	v_cmp_gt_i32_e32 vcc, s9, v1
	s_and_saveexec_b64 s[20:21], vcc
	s_cbranch_execz .LBB307_18
; %bb.20:                               ;   in Loop: Header=BB307_19 Depth=1
	global_load_dwordx2 v[4:5], v[2:3], off offset:-4
	s_waitcnt vmcnt(0)
	v_mul_f32_e32 v1, s13, v5
	v_mul_f32_e32 v7, s12, v5
	v_fma_f32 v6, s12, v4, -v1
	v_fmac_f32_e32 v7, s13, v4
	global_store_dwordx2 v[2:3], v[6:7], off offset:-4
	s_branch .LBB307_18
.LBB307_21:
	s_mov_b64 s[4:5], 0
.LBB307_22:
	s_andn2_b64 vcc, exec, s[4:5]
	s_cbranch_vccnz .LBB307_40
; %bb.23:
	v_cmp_gt_i32_e32 vcc, s8, v0
	s_and_saveexec_b64 s[4:5], vcc
	s_cbranch_execz .LBB307_25
; %bb.24:
	s_load_dword s15, s[0:1], 0x48
	s_waitcnt lgkmcnt(0)
	v_mad_i64_i32 v[2:3], s[20:21], s15, v0, 0
	v_lshl_add_u64 v[2:3], v[2:3], 3, s[16:17]
	flat_load_dwordx2 v[2:3], v[2:3]
	s_waitcnt vmcnt(0) lgkmcnt(0)
	v_mul_f32_e32 v1, s11, v3
	v_mul_f32_e32 v5, s10, v3
	v_fma_f32 v4, v2, s10, -v1
	v_fmac_f32_e32 v5, s11, v2
	v_lshlrev_b32_e32 v1, 3, v0
	ds_write_b64 v1, v[4:5]
.LBB307_25:
	s_or_b64 exec, exec, s[4:5]
	s_cmp_lt_i32 s9, 1
	s_waitcnt lgkmcnt(0)
	s_barrier
	s_cbranch_scc1 .LBB307_40
; %bb.26:
	s_load_dword s0, s[0:1], 0x28
	s_lshl_b64 s[4:5], s[6:7], 3
	s_add_u32 s6, s2, s4
	s_addc_u32 s7, s3, s5
	v_cmp_neq_f32_e64 s[2:3], s12, 0
	v_cmp_neq_f32_e64 s[4:5], s13, 0
	s_ashr_i32 s15, s14, 31
	s_waitcnt lgkmcnt(0)
	s_ashr_i32 s1, s0, 31
	s_or_b64 s[2:3], s[2:3], s[4:5]
	s_cmp_gt_i32 s8, 0
	s_cselect_b64 s[4:5], -1, 0
	s_and_b32 s25, s8, 7
	s_cmp_gt_u32 s8, 7
	s_cselect_b64 s[20:21], -1, 0
	s_and_b32 s8, s8, 0x7ffffff8
	s_cmp_lg_u32 s25, 0
	v_mad_i64_i32 v[2:3], s[22:23], s0, v0, 0
	v_cndmask_b32_e64 v1, 0, 1, s[2:3]
	s_cselect_b64 s[16:17], -1, 0
	v_lshl_add_u64 v[2:3], v[2:3], 3, s[18:19]
	s_lshl_b64 s[18:19], s[0:1], 11
	v_cmp_ne_u32_e64 s[0:1], 1, v1
	v_cndmask_b32_e64 v1, 0, 1, s[4:5]
	v_cmp_ne_u32_e64 s[2:3], 1, v1
	v_cndmask_b32_e64 v1, 0, 1, s[20:21]
	s_mov_b32 s11, 0
	s_mov_b32 s24, s13
	v_cmp_ne_u32_e64 s[4:5], 1, v1
	s_mov_b32 s26, 0
	s_branch .LBB307_29
.LBB307_27:                             ;   in Loop: Header=BB307_29 Depth=1
	global_store_dwordx2 v[4:5], v[6:7], off
.LBB307_28:                             ;   in Loop: Header=BB307_29 Depth=1
	s_or_b64 exec, exec, s[20:21]
	s_addk_i32 s26, 0x100
	s_cmp_ge_i32 s26, s9
	v_lshl_add_u64 v[2:3], v[2:3], 0, s[18:19]
	s_cbranch_scc1 .LBB307_40
.LBB307_29:                             ; =>This Loop Header: Depth=1
                                        ;     Child Loop BB307_35 Depth 2
                                        ;     Child Loop BB307_39 Depth 2
	v_add_u32_e32 v1, s26, v0
	v_cmp_gt_i32_e32 vcc, s9, v1
	s_and_saveexec_b64 s[20:21], vcc
	s_cbranch_execz .LBB307_28
; %bb.30:                               ;   in Loop: Header=BB307_29 Depth=1
	v_mad_u64_u32 v[4:5], s[22:23], v1, s14, 0
	v_mov_b32_e32 v6, v5
	v_mad_u64_u32 v[6:7], s[22:23], v1, s15, v[6:7]
	v_mov_b32_e32 v5, v6
	s_and_b64 vcc, exec, s[0:1]
	v_mov_b32_e32 v6, 0
	v_lshl_add_u64 v[4:5], v[4:5], 3, s[6:7]
	v_mov_b32_e32 v7, 0
	s_cbranch_vccnz .LBB307_32
; %bb.31:                               ;   in Loop: Header=BB307_29 Depth=1
	global_load_dwordx2 v[8:9], v[4:5], off
	s_waitcnt vmcnt(0)
	v_pk_mul_f32 v[10:11], s[12:13], v[8:9]
	v_mul_f32_e32 v7, s24, v8
	v_sub_f32_e32 v6, v10, v11
	v_fmac_f32_e32 v7, s12, v9
.LBB307_32:                             ;   in Loop: Header=BB307_29 Depth=1
	s_and_b64 vcc, exec, s[2:3]
	s_cbranch_vccnz .LBB307_27
; %bb.33:                               ;   in Loop: Header=BB307_29 Depth=1
	s_mov_b32 s10, 0
	s_and_b64 vcc, exec, s[4:5]
	s_cbranch_vccnz .LBB307_37
; %bb.34:                               ;   in Loop: Header=BB307_29 Depth=1
	s_mov_b32 s22, 0
	v_mov_b64_e32 v[8:9], v[2:3]
.LBB307_35:                             ;   Parent Loop BB307_29 Depth=1
                                        ; =>  This Inner Loop Header: Depth=2
	flat_load_dwordx4 v[10:13], v[8:9]
	flat_load_dwordx4 v[14:17], v[8:9] offset:16
	flat_load_dwordx4 v[18:21], v[8:9] offset:32
	;; [unrolled: 1-line block ×3, first 2 shown]
	v_mov_b32_e32 v1, s10
	ds_read_b128 v[26:29], v1
	ds_read_b128 v[30:33], v1 offset:16
	ds_read_b128 v[34:37], v1 offset:32
	;; [unrolled: 1-line block ×3, first 2 shown]
	s_add_i32 s22, s22, 8
	s_add_i32 s10, s10, 64
	v_lshl_add_u64 v[8:9], v[8:9], 0, 64
	s_cmp_eq_u32 s8, s22
	s_waitcnt vmcnt(0) lgkmcnt(0)
	v_mul_f32_e32 v1, v11, v27
	v_mul_f32_e32 v27, v10, v27
	;; [unrolled: 1-line block ×4, first 2 shown]
	v_fma_f32 v1, v10, v26, -v1
	v_fmac_f32_e32 v27, v11, v26
	v_mul_f32_e32 v43, v15, v31
	v_mul_f32_e32 v31, v14, v31
	v_fma_f32 v10, v12, v28, -v42
	v_fmac_f32_e32 v29, v13, v28
	v_add_f32_e32 v1, v6, v1
	v_add_f32_e32 v6, v7, v27
	v_mul_f32_e32 v44, v17, v33
	v_mul_f32_e32 v33, v16, v33
	v_fma_f32 v11, v14, v30, -v43
	v_fmac_f32_e32 v31, v15, v30
	v_add_f32_e32 v1, v1, v10
	v_add_f32_e32 v6, v6, v29
	;; [unrolled: 6-line block ×6, first 2 shown]
	v_fma_f32 v16, v24, v40, -v48
	v_fmac_f32_e32 v41, v25, v40
	v_add_f32_e32 v1, v1, v15
	v_add_f32_e32 v7, v6, v39
	;; [unrolled: 1-line block ×4, first 2 shown]
	s_cbranch_scc0 .LBB307_35
; %bb.36:                               ;   in Loop: Header=BB307_29 Depth=1
	s_mov_b32 s10, s8
.LBB307_37:                             ;   in Loop: Header=BB307_29 Depth=1
	s_andn2_b64 vcc, exec, s[16:17]
	s_cbranch_vccnz .LBB307_27
; %bb.38:                               ;   in Loop: Header=BB307_29 Depth=1
	s_lshl_b32 s27, s10, 3
	s_lshl_b64 s[22:23], s[10:11], 3
	s_mov_b32 s10, s25
.LBB307_39:                             ;   Parent Loop BB307_29 Depth=1
                                        ; =>  This Inner Loop Header: Depth=2
	v_lshl_add_u64 v[8:9], v[2:3], 0, s[22:23]
	flat_load_dwordx2 v[8:9], v[8:9]
	v_mov_b32_e32 v1, s27
	ds_read_b64 v[10:11], v1
	s_add_i32 s27, s27, 8
	s_add_u32 s22, s22, 8
	s_addc_u32 s23, s23, 0
	s_add_i32 s10, s10, -1
	s_cmp_lg_u32 s10, 0
	s_waitcnt vmcnt(0) lgkmcnt(0)
	v_mul_f32_e32 v1, v9, v11
	v_mul_f32_e32 v11, v8, v11
	v_fma_f32 v1, v8, v10, -v1
	v_fmac_f32_e32 v11, v9, v10
	v_add_f32_e32 v6, v6, v1
	v_add_f32_e32 v7, v7, v11
	s_cbranch_scc1 .LBB307_39
	s_branch .LBB307_27
.LBB307_40:
	s_endpgm
	.section	.rodata,"a",@progbits
	.p2align	6, 0x0
	.amdhsa_kernel _ZL22rocblas_gemvtsm_kernelILb0ELi256EPK19rocblas_complex_numIfES1_KPS1_EviiT2_lPKT1_lilS9_lilS6_lPT3_lil
		.amdhsa_group_segment_fixed_size 512
		.amdhsa_private_segment_fixed_size 0
		.amdhsa_kernarg_size 136
		.amdhsa_user_sgpr_count 2
		.amdhsa_user_sgpr_dispatch_ptr 0
		.amdhsa_user_sgpr_queue_ptr 0
		.amdhsa_user_sgpr_kernarg_segment_ptr 1
		.amdhsa_user_sgpr_dispatch_id 0
		.amdhsa_user_sgpr_kernarg_preload_length 0
		.amdhsa_user_sgpr_kernarg_preload_offset 0
		.amdhsa_user_sgpr_private_segment_size 0
		.amdhsa_uses_dynamic_stack 0
		.amdhsa_enable_private_segment 0
		.amdhsa_system_sgpr_workgroup_id_x 1
		.amdhsa_system_sgpr_workgroup_id_y 0
		.amdhsa_system_sgpr_workgroup_id_z 0
		.amdhsa_system_sgpr_workgroup_info 0
		.amdhsa_system_vgpr_workitem_id 0
		.amdhsa_next_free_vgpr 49
		.amdhsa_next_free_sgpr 28
		.amdhsa_accum_offset 52
		.amdhsa_reserve_vcc 1
		.amdhsa_float_round_mode_32 0
		.amdhsa_float_round_mode_16_64 0
		.amdhsa_float_denorm_mode_32 3
		.amdhsa_float_denorm_mode_16_64 3
		.amdhsa_dx10_clamp 1
		.amdhsa_ieee_mode 1
		.amdhsa_fp16_overflow 0
		.amdhsa_tg_split 0
		.amdhsa_exception_fp_ieee_invalid_op 0
		.amdhsa_exception_fp_denorm_src 0
		.amdhsa_exception_fp_ieee_div_zero 0
		.amdhsa_exception_fp_ieee_overflow 0
		.amdhsa_exception_fp_ieee_underflow 0
		.amdhsa_exception_fp_ieee_inexact 0
		.amdhsa_exception_int_div_zero 0
	.end_amdhsa_kernel
	.section	.text._ZL22rocblas_gemvtsm_kernelILb0ELi256EPK19rocblas_complex_numIfES1_KPS1_EviiT2_lPKT1_lilS9_lilS6_lPT3_lil,"axG",@progbits,_ZL22rocblas_gemvtsm_kernelILb0ELi256EPK19rocblas_complex_numIfES1_KPS1_EviiT2_lPKT1_lilS9_lilS6_lPT3_lil,comdat
.Lfunc_end307:
	.size	_ZL22rocblas_gemvtsm_kernelILb0ELi256EPK19rocblas_complex_numIfES1_KPS1_EviiT2_lPKT1_lilS9_lilS6_lPT3_lil, .Lfunc_end307-_ZL22rocblas_gemvtsm_kernelILb0ELi256EPK19rocblas_complex_numIfES1_KPS1_EviiT2_lPKT1_lilS9_lilS6_lPT3_lil
                                        ; -- End function
	.section	.AMDGPU.csdata,"",@progbits
; Kernel info:
; codeLenInByte = 1480
; NumSgprs: 34
; NumVgprs: 49
; NumAgprs: 0
; TotalNumVgprs: 49
; ScratchSize: 0
; MemoryBound: 0
; FloatMode: 240
; IeeeMode: 1
; LDSByteSize: 512 bytes/workgroup (compile time only)
; SGPRBlocks: 4
; VGPRBlocks: 6
; NumSGPRsForWavesPerEU: 34
; NumVGPRsForWavesPerEU: 49
; AccumOffset: 52
; Occupancy: 8
; WaveLimiterHint : 1
; COMPUTE_PGM_RSRC2:SCRATCH_EN: 0
; COMPUTE_PGM_RSRC2:USER_SGPR: 2
; COMPUTE_PGM_RSRC2:TRAP_HANDLER: 0
; COMPUTE_PGM_RSRC2:TGID_X_EN: 1
; COMPUTE_PGM_RSRC2:TGID_Y_EN: 0
; COMPUTE_PGM_RSRC2:TGID_Z_EN: 0
; COMPUTE_PGM_RSRC2:TIDIG_COMP_CNT: 0
; COMPUTE_PGM_RSRC3_GFX90A:ACCUM_OFFSET: 12
; COMPUTE_PGM_RSRC3_GFX90A:TG_SPLIT: 0
	.section	.text._ZL23rocblas_gemvt_sn_kernelILb0ELi256ELi4EiPK19rocblas_complex_numIfES3_S1_EviiT4_lPKT3_lilS7_lilPT5_i,"axG",@progbits,_ZL23rocblas_gemvt_sn_kernelILb0ELi256ELi4EiPK19rocblas_complex_numIfES3_S1_EviiT4_lPKT3_lilS7_lilPT5_i,comdat
	.globl	_ZL23rocblas_gemvt_sn_kernelILb0ELi256ELi4EiPK19rocblas_complex_numIfES3_S1_EviiT4_lPKT3_lilS7_lilPT5_i ; -- Begin function _ZL23rocblas_gemvt_sn_kernelILb0ELi256ELi4EiPK19rocblas_complex_numIfES3_S1_EviiT4_lPKT3_lilS7_lilPT5_i
	.p2align	8
	.type	_ZL23rocblas_gemvt_sn_kernelILb0ELi256ELi4EiPK19rocblas_complex_numIfES3_S1_EviiT4_lPKT3_lilS7_lilPT5_i,@function
_ZL23rocblas_gemvt_sn_kernelILb0ELi256ELi4EiPK19rocblas_complex_numIfES3_S1_EviiT4_lPKT3_lilS7_lilPT5_i: ; @_ZL23rocblas_gemvt_sn_kernelILb0ELi256ELi4EiPK19rocblas_complex_numIfES3_S1_EviiT4_lPKT3_lilS7_lilPT5_i
; %bb.0:
	s_load_dwordx8 s[4:11], s[0:1], 0x8
	s_mov_b32 s12, s3
	s_mov_b32 s13, 0
	s_mov_b64 s[16:17], 0
	s_waitcnt lgkmcnt(0)
	s_mul_i32 s3, s3, s7
	s_mul_hi_u32 s7, s12, s6
	s_add_i32 s7, s7, s3
	s_mul_i32 s6, s12, s6
	s_lshl_b64 s[6:7], s[6:7], 3
	s_add_u32 s4, s4, s6
	s_addc_u32 s5, s5, s7
	s_load_dwordx2 s[14:15], s[4:5], 0x0
	s_mov_b64 s[6:7], 0
	s_waitcnt lgkmcnt(0)
	s_or_b32 s3, s14, s15
	s_bitset0_b32 s3, 31
	s_cmp_lg_u32 s3, 0
	s_cselect_b64 s[18:19], -1, 0
	s_cmp_eq_u32 s3, 0
	s_cselect_b64 s[4:5], -1, 0
	s_and_b64 vcc, exec, s[4:5]
	s_cbranch_vccnz .LBB308_2
; %bb.1:
	s_lshl_b64 s[6:7], s[12:13], 3
	s_add_u32 s6, s8, s6
	s_addc_u32 s7, s9, s7
	s_load_dwordx2 s[6:7], s[6:7], 0x0
	s_lshl_b64 s[8:9], s[10:11], 3
	s_waitcnt lgkmcnt(0)
	s_add_u32 s6, s6, s8
	s_addc_u32 s7, s7, s9
.LBB308_2:
	s_andn2_b64 vcc, exec, s[18:19]
	s_cbranch_vccnz .LBB308_4
; %bb.3:
	s_load_dwordx4 s[8:11], s[0:1], 0x38
	s_lshl_b64 s[16:17], s[12:13], 3
	s_waitcnt lgkmcnt(0)
	s_add_u32 s8, s8, s16
	s_addc_u32 s9, s9, s17
	s_load_dwordx2 s[8:9], s[8:9], 0x0
	s_lshl_b64 s[10:11], s[10:11], 3
	s_waitcnt lgkmcnt(0)
	s_add_u32 s16, s8, s10
	s_addc_u32 s17, s9, s11
.LBB308_4:
	s_load_dwordx2 s[18:19], s[0:1], 0x0
	s_load_dwordx2 s[8:9], s[0:1], 0x58
	s_load_dword s20, s[0:1], 0x68
	s_mov_b32 s21, 0
	s_waitcnt lgkmcnt(0)
	s_ashr_i32 s26, s19, 31
	s_mul_hi_u32 s3, s19, s12
	s_mul_i32 s10, s26, s12
	s_add_i32 s11, s3, s10
	s_mul_i32 s10, s19, s12
	s_mul_i32 s3, s11, s20
	s_mul_hi_u32 s12, s10, s20
	s_add_i32 s13, s12, s3
	s_mul_i32 s12, s10, s20
	s_lshl_b64 s[12:13], s[12:13], 3
	s_add_u32 s43, s8, s12
	s_addc_u32 s44, s9, s13
	s_mov_b64 s[12:13], -1
	s_andn2_b64 vcc, exec, s[4:5]
	v_cmp_eq_u32_e64 s[4:5], 0, v0
	s_cbranch_vccnz .LBB308_14
; %bb.5:
	s_cmp_gt_i32 s19, 0
	s_cselect_b64 s[12:13], -1, 0
	s_and_b64 s[12:13], s[4:5], s[12:13]
	s_and_saveexec_b64 s[4:5], s[12:13]
	s_cbranch_execz .LBB308_13
; %bb.6:
	s_cmp_gt_u32 s19, 3
	s_cselect_b64 s[12:13], -1, 0
	s_cmp_eq_u32 s20, 1
	s_cselect_b64 s[28:29], -1, 0
	s_mov_b32 s3, 0
	s_and_b64 s[12:13], s[12:13], s[28:29]
	s_mov_b32 s22, 1
	s_mov_b64 s[24:25], -1
	s_andn2_b64 vcc, exec, s[12:13]
	s_mov_b32 s12, s3
	s_cbranch_vccnz .LBB308_10
; %bb.7:
	s_lshl_b64 s[24:25], s[2:3], 3
	s_add_u32 s13, s43, s24
	s_addc_u32 s27, s44, s25
	s_mov_b32 s25, 0
	s_and_b32 s12, s19, 0x7ffffffc
	s_mov_b32 s24, s25
	v_mov_b32_e32 v1, 0
	v_mov_b64_e32 v[2:3], s[24:25]
	s_mov_b32 s28, s12
.LBB308_8:                              ; =>This Inner Loop Header: Depth=1
	s_add_i32 s30, s22, 2
	s_add_i32 s34, s24, 2
	s_lshl_b64 s[36:37], s[24:25], 3
	s_mov_b32 s23, s25
	s_add_u32 s36, s13, s36
	s_addc_u32 s37, s27, s37
	s_lshl_b64 s[38:39], s[22:23], 3
	s_mov_b32 s35, s25
	s_add_u32 s38, s13, s38
	s_addc_u32 s39, s27, s39
	;; [unrolled: 4-line block ×3, first 2 shown]
	s_lshl_b64 s[30:31], s[30:31], 3
	s_add_u32 s30, s13, s30
	s_addc_u32 s31, s27, s31
	s_add_i32 s24, s24, 4
	s_add_i32 s22, s22, 4
	s_add_i32 s28, s28, -4
	s_cmp_lg_u32 s28, 0
	global_store_dwordx2 v1, v[2:3], s[36:37]
	global_store_dwordx2 v1, v[2:3], s[38:39]
	;; [unrolled: 1-line block ×4, first 2 shown]
	s_cbranch_scc1 .LBB308_8
; %bb.9:
	s_cmp_lg_u32 s12, s19
	s_cselect_b64 s[24:25], -1, 0
.LBB308_10:
	s_and_b64 vcc, exec, s[24:25]
	s_cbranch_vccz .LBB308_13
; %bb.11:
	s_mov_b32 s13, 0
	s_sub_i32 s22, s19, s12
	s_lshl_b64 s[10:11], s[10:11], 3
	s_lshl_b64 s[12:13], s[12:13], 3
	s_add_u32 s10, s10, s12
	s_addc_u32 s11, s11, s13
	s_mul_i32 s11, s11, s20
	s_mul_hi_u32 s12, s10, s20
	s_add_i32 s12, s12, s11
	s_mul_i32 s13, s10, s20
	s_lshl_b64 s[10:11], s[2:3], 3
	s_add_u32 s3, s13, s10
	s_addc_u32 s10, s12, s11
	s_add_u32 s8, s8, s3
	v_mov_b32_e32 v2, 0
	s_addc_u32 s9, s9, s10
	s_lshl_b64 s[10:11], s[20:21], 3
	v_mov_b32_e32 v3, v2
.LBB308_12:                             ; =>This Inner Loop Header: Depth=1
	s_add_i32 s22, s22, -1
	global_store_dwordx2 v2, v[2:3], s[8:9]
	s_add_u32 s8, s8, s10
	s_addc_u32 s9, s9, s11
	s_cmp_eq_u32 s22, 0
	s_cbranch_scc0 .LBB308_12
.LBB308_13:
	s_or_b64 exec, exec, s[4:5]
	s_mov_b64 s[12:13], 0
.LBB308_14:
	s_andn2_b64 vcc, exec, s[12:13]
	s_cbranch_vccnz .LBB308_85
; %bb.15:
	s_load_dword s21, s[0:1], 0x28
	s_load_dword s27, s[0:1], 0x48
	s_lshl_b32 s0, s2, 10
	v_lshl_or_b32 v2, v0, 2, s0
	s_lshr_b32 s0, s26, 30
	s_add_i32 s0, s19, s0
	s_and_b32 s3, s0, -4
	s_ashr_i32 s0, s18, 31
	s_lshr_b32 s0, s0, 30
	s_add_i32 s0, s18, s0
	s_and_b32 s0, s0, -4
	v_ashrrev_i32_e32 v3, 31, v2
	s_sub_i32 s33, s18, s0
	v_lshl_add_u64 v[14:15], v[2:3], 3, s[6:7]
	s_cmp_lt_i32 s3, 1
	v_add_u32_e32 v37, 4, v2
	v_add_u32_e32 v38, s33, v2
	v_and_b32_e32 v1, 63, v0
	v_cmp_gt_u32_e64 s[0:1], 64, v0
	v_mbcnt_lo_u32_b32 v36, -1, 0
	v_cmp_gt_u32_e64 s[4:5], 4, v0
	v_lshrrev_b32_e32 v17, 3, v0
	s_waitcnt lgkmcnt(0)
	v_mul_lo_u32 v16, v2, s27
	s_cbranch_scc1 .LBB308_62
; %bb.16:
	v_mbcnt_hi_u32_b32 v3, -1, v36
	v_and_b32_e32 v4, 63, v3
	v_cmp_gt_u32_e32 vcc, 32, v4
	v_mul_lo_u32 v18, v2, s27
	v_add_u32_e32 v2, s27, v18
	v_cndmask_b32_e64 v5, 0, 1, vcc
	v_lshlrev_b32_e32 v5, 5, v5
	v_cmp_gt_u32_e32 vcc, 48, v4
	v_add_lshl_u32 v39, v5, v3, 2
	s_cmp_gt_i32 s33, 0
	v_cndmask_b32_e64 v5, 0, 1, vcc
	v_lshlrev_b32_e32 v5, 4, v5
	v_cmp_gt_u32_e32 vcc, 56, v4
	v_add_lshl_u32 v40, v5, v3, 2
	v_ashrrev_i32_e32 v19, 31, v18
	v_cndmask_b32_e64 v5, 0, 1, vcc
	v_lshlrev_b32_e32 v5, 3, v5
	v_cmp_gt_u32_e32 vcc, 60, v4
	v_add_lshl_u32 v41, v5, v3, 2
	v_cmp_ge_i32_e64 s[6:7], s18, v37
	v_cndmask_b32_e64 v5, 0, 1, vcc
	v_lshlrev_b32_e32 v5, 2, v5
	v_cmp_gt_u32_e32 vcc, 62, v4
	v_add_lshl_u32 v42, v5, v3, 2
	v_cmp_ge_i32_e64 s[8:9], s18, v38
	v_cndmask_b32_e64 v5, 0, 1, vcc
	v_lshlrev_b32_e32 v5, 1, v5
	v_cmp_ne_u32_e32 vcc, 63, v4
	v_add_lshl_u32 v43, v5, v3, 2
	s_mov_b32 s22, 0
	v_addc_co_u32_e32 v3, vcc, 0, v3, vcc
	v_lshlrev_b32_e32 v44, 2, v3
	v_ashrrev_i32_e32 v3, 31, v2
	v_lshl_add_u64 v[22:23], v[2:3], 3, s[16:17]
	v_add_u32_e32 v2, s27, v2
	v_ashrrev_i32_e32 v3, 31, v2
	v_lshl_add_u64 v[24:25], v[2:3], 3, s[16:17]
	v_add_u32_e32 v2, s27, v2
	v_ashrrev_i32_e32 v3, 31, v2
	s_cselect_b64 s[24:25], -1, 0
	v_cmp_eq_u32_e64 s[10:11], 0, v1
	v_lshlrev_b32_e32 v45, 3, v1
	v_and_b32_e32 v46, 24, v17
	v_cmp_eq_u32_e64 s[12:13], 0, v0
	v_lshl_add_u64 v[20:21], v[18:19], 3, s[16:17]
	v_lshl_add_u64 v[26:27], v[2:3], 3, s[16:17]
	s_mov_b32 s26, s15
	s_lshl_b32 s45, s21, 2
	s_lshl_b32 s46, s21, 1
	s_mul_i32 s47, s21, 3
	v_mov_b32_e32 v28, 0
	s_mov_b32 s28, 0
	s_mov_b32 s48, s21
	;; [unrolled: 1-line block ×3, first 2 shown]
	s_branch .LBB308_18
.LBB308_17:                             ;   in Loop: Header=BB308_18 Depth=1
	s_or_b64 exec, exec, s[30:31]
	s_add_i32 s42, s42, 4
	s_add_i32 s48, s48, s45
	;; [unrolled: 1-line block ×5, first 2 shown]
	s_cmp_ge_i32 s42, s3
	s_cbranch_scc1 .LBB308_63
.LBB308_18:                             ; =>This Loop Header: Depth=1
                                        ;     Child Loop BB308_49 Depth 2
                                        ;     Child Loop BB308_51 Depth 2
                                        ; implicit-def: $vgpr13
                                        ; implicit-def: $vgpr11
                                        ; implicit-def: $vgpr7
                                        ; implicit-def: $vgpr3
	s_and_saveexec_b64 s[30:31], s[6:7]
	s_xor_b64 s[30:31], exec, s[30:31]
	s_cbranch_execnz .LBB308_45
; %bb.19:                               ;   in Loop: Header=BB308_18 Depth=1
	s_andn2_saveexec_b64 s[30:31], s[30:31]
	s_cbranch_execnz .LBB308_46
.LBB308_20:                             ;   in Loop: Header=BB308_18 Depth=1
	s_or_b64 exec, exec, s[30:31]
	s_and_saveexec_b64 s[30:31], s[0:1]
	s_cbranch_execz .LBB308_22
.LBB308_21:                             ;   in Loop: Header=BB308_18 Depth=1
	v_mov_b32_e32 v29, v28
	ds_write_b64 v45, v[28:29]
.LBB308_22:                             ;   in Loop: Header=BB308_18 Depth=1
	s_or_b64 exec, exec, s[30:31]
	ds_bpermute_b32 v4, v39, v12
	ds_bpermute_b32 v5, v39, v13
	s_waitcnt lgkmcnt(0)
	s_barrier
	v_pk_add_f32 v[4:5], v[12:13], v[4:5]
	ds_bpermute_b32 v8, v40, v4
	ds_bpermute_b32 v9, v40, v5
	s_waitcnt lgkmcnt(0)
	v_pk_add_f32 v[4:5], v[4:5], v[8:9]
	ds_bpermute_b32 v8, v41, v4
	ds_bpermute_b32 v9, v41, v5
	s_waitcnt lgkmcnt(0)
	v_pk_add_f32 v[4:5], v[4:5], v[8:9]
	ds_bpermute_b32 v8, v42, v4
	ds_bpermute_b32 v9, v42, v5
	s_waitcnt lgkmcnt(0)
	v_pk_add_f32 v[4:5], v[4:5], v[8:9]
	ds_bpermute_b32 v8, v43, v4
	ds_bpermute_b32 v9, v43, v5
	s_waitcnt lgkmcnt(0)
	v_pk_add_f32 v[4:5], v[4:5], v[8:9]
	ds_bpermute_b32 v8, v44, v4
	ds_bpermute_b32 v9, v44, v5
	s_and_saveexec_b64 s[30:31], s[10:11]
	s_cbranch_execz .LBB308_24
; %bb.23:                               ;   in Loop: Header=BB308_18 Depth=1
	s_waitcnt lgkmcnt(0)
	v_pk_add_f32 v[4:5], v[4:5], v[8:9]
	ds_write_b64 v46, v[4:5]
.LBB308_24:                             ;   in Loop: Header=BB308_18 Depth=1
	s_or_b64 exec, exec, s[30:31]
	s_mov_b32 s23, s22
	v_mov_b64_e32 v[4:5], s[22:23]
	s_waitcnt lgkmcnt(0)
	s_barrier
	s_and_saveexec_b64 s[30:31], s[4:5]
	s_cbranch_execnz .LBB308_53
; %bb.25:                               ;   in Loop: Header=BB308_18 Depth=1
	s_or_b64 exec, exec, s[30:31]
	s_and_saveexec_b64 s[30:31], s[0:1]
	s_cbranch_execnz .LBB308_54
.LBB308_26:                             ;   in Loop: Header=BB308_18 Depth=1
	s_or_b64 exec, exec, s[30:31]
	s_and_saveexec_b64 s[30:31], s[0:1]
	s_cbranch_execz .LBB308_28
.LBB308_27:                             ;   in Loop: Header=BB308_18 Depth=1
	v_mov_b32_e32 v29, v28
	ds_write_b64 v45, v[28:29]
.LBB308_28:                             ;   in Loop: Header=BB308_18 Depth=1
	s_or_b64 exec, exec, s[30:31]
	ds_bpermute_b32 v8, v39, v10
	ds_bpermute_b32 v9, v39, v11
	s_waitcnt lgkmcnt(0)
	s_barrier
	v_pk_add_f32 v[8:9], v[10:11], v[8:9]
	ds_bpermute_b32 v10, v40, v8
	ds_bpermute_b32 v11, v40, v9
	s_waitcnt lgkmcnt(0)
	v_pk_add_f32 v[8:9], v[8:9], v[10:11]
	ds_bpermute_b32 v10, v41, v8
	ds_bpermute_b32 v11, v41, v9
	s_waitcnt lgkmcnt(0)
	;; [unrolled: 4-line block ×4, first 2 shown]
	v_pk_add_f32 v[8:9], v[8:9], v[10:11]
	ds_bpermute_b32 v10, v44, v8
	ds_bpermute_b32 v11, v44, v9
	s_and_saveexec_b64 s[30:31], s[10:11]
	s_cbranch_execz .LBB308_30
; %bb.29:                               ;   in Loop: Header=BB308_18 Depth=1
	s_waitcnt lgkmcnt(0)
	v_pk_add_f32 v[8:9], v[8:9], v[10:11]
	ds_write_b64 v46, v[8:9]
.LBB308_30:                             ;   in Loop: Header=BB308_18 Depth=1
	s_or_b64 exec, exec, s[30:31]
	s_mov_b32 s23, s22
	v_mov_b64_e32 v[8:9], s[22:23]
	s_waitcnt lgkmcnt(0)
	s_barrier
	s_and_saveexec_b64 s[30:31], s[4:5]
	s_cbranch_execnz .LBB308_55
; %bb.31:                               ;   in Loop: Header=BB308_18 Depth=1
	s_or_b64 exec, exec, s[30:31]
	s_and_saveexec_b64 s[30:31], s[0:1]
	s_cbranch_execnz .LBB308_56
.LBB308_32:                             ;   in Loop: Header=BB308_18 Depth=1
	s_or_b64 exec, exec, s[30:31]
	s_and_saveexec_b64 s[30:31], s[0:1]
	s_cbranch_execz .LBB308_34
.LBB308_33:                             ;   in Loop: Header=BB308_18 Depth=1
	v_mov_b32_e32 v29, v28
	ds_write_b64 v45, v[28:29]
.LBB308_34:                             ;   in Loop: Header=BB308_18 Depth=1
	s_or_b64 exec, exec, s[30:31]
	ds_bpermute_b32 v10, v39, v6
	ds_bpermute_b32 v11, v39, v7
	s_waitcnt lgkmcnt(0)
	s_barrier
	v_pk_add_f32 v[6:7], v[6:7], v[10:11]
	ds_bpermute_b32 v10, v40, v6
	ds_bpermute_b32 v11, v40, v7
	s_waitcnt lgkmcnt(0)
	v_pk_add_f32 v[6:7], v[6:7], v[10:11]
	ds_bpermute_b32 v10, v41, v6
	ds_bpermute_b32 v11, v41, v7
	s_waitcnt lgkmcnt(0)
	;; [unrolled: 4-line block ×4, first 2 shown]
	v_pk_add_f32 v[6:7], v[6:7], v[10:11]
	ds_bpermute_b32 v10, v44, v6
	ds_bpermute_b32 v11, v44, v7
	s_and_saveexec_b64 s[30:31], s[10:11]
	s_cbranch_execz .LBB308_36
; %bb.35:                               ;   in Loop: Header=BB308_18 Depth=1
	s_waitcnt lgkmcnt(0)
	v_pk_add_f32 v[6:7], v[6:7], v[10:11]
	ds_write_b64 v46, v[6:7]
.LBB308_36:                             ;   in Loop: Header=BB308_18 Depth=1
	s_or_b64 exec, exec, s[30:31]
	s_mov_b32 s23, s22
	v_mov_b64_e32 v[6:7], s[22:23]
	s_waitcnt lgkmcnt(0)
	s_barrier
	s_and_saveexec_b64 s[30:31], s[4:5]
	s_cbranch_execnz .LBB308_57
; %bb.37:                               ;   in Loop: Header=BB308_18 Depth=1
	s_or_b64 exec, exec, s[30:31]
	s_and_saveexec_b64 s[30:31], s[0:1]
	s_cbranch_execnz .LBB308_58
.LBB308_38:                             ;   in Loop: Header=BB308_18 Depth=1
	s_or_b64 exec, exec, s[30:31]
	s_and_saveexec_b64 s[30:31], s[0:1]
	s_cbranch_execz .LBB308_40
.LBB308_39:                             ;   in Loop: Header=BB308_18 Depth=1
	v_mov_b32_e32 v29, v28
	ds_write_b64 v45, v[28:29]
.LBB308_40:                             ;   in Loop: Header=BB308_18 Depth=1
	s_or_b64 exec, exec, s[30:31]
	ds_bpermute_b32 v10, v39, v2
	ds_bpermute_b32 v11, v39, v3
	s_waitcnt lgkmcnt(0)
	s_barrier
	v_pk_add_f32 v[2:3], v[2:3], v[10:11]
	ds_bpermute_b32 v10, v40, v2
	ds_bpermute_b32 v11, v40, v3
	s_waitcnt lgkmcnt(0)
	v_pk_add_f32 v[2:3], v[2:3], v[10:11]
	ds_bpermute_b32 v10, v41, v2
	ds_bpermute_b32 v11, v41, v3
	s_waitcnt lgkmcnt(0)
	;; [unrolled: 4-line block ×4, first 2 shown]
	v_pk_add_f32 v[2:3], v[2:3], v[10:11]
	ds_bpermute_b32 v10, v44, v2
	ds_bpermute_b32 v11, v44, v3
	s_and_saveexec_b64 s[30:31], s[10:11]
	s_cbranch_execz .LBB308_42
; %bb.41:                               ;   in Loop: Header=BB308_18 Depth=1
	s_waitcnt lgkmcnt(0)
	v_pk_add_f32 v[2:3], v[2:3], v[10:11]
	ds_write_b64 v46, v[2:3]
.LBB308_42:                             ;   in Loop: Header=BB308_18 Depth=1
	s_or_b64 exec, exec, s[30:31]
	s_mov_b32 s23, s22
	v_mov_b64_e32 v[2:3], s[22:23]
	s_waitcnt lgkmcnt(0)
	s_barrier
	s_and_saveexec_b64 s[30:31], s[4:5]
	s_cbranch_execnz .LBB308_59
; %bb.43:                               ;   in Loop: Header=BB308_18 Depth=1
	s_or_b64 exec, exec, s[30:31]
	s_and_saveexec_b64 s[30:31], s[0:1]
	s_cbranch_execnz .LBB308_60
.LBB308_44:                             ;   in Loop: Header=BB308_18 Depth=1
	s_or_b64 exec, exec, s[30:31]
	s_and_saveexec_b64 s[30:31], s[12:13]
	s_cbranch_execz .LBB308_17
	s_branch .LBB308_61
.LBB308_45:                             ;   in Loop: Header=BB308_18 Depth=1
	s_mul_i32 s34, s42, s21
	s_ashr_i32 s35, s34, 31
	v_lshl_add_u64 v[68:69], s[34:35], 3, v[14:15]
	s_add_i32 s34, s34, s21
	s_ashr_i32 s35, s34, 31
	v_lshl_add_u64 v[70:71], s[34:35], 3, v[14:15]
	s_add_i32 s34, s34, s21
	flat_load_dwordx2 v[48:49], v[20:21]
	flat_load_dwordx2 v[50:51], v[22:23]
	flat_load_dwordx4 v[32:35], v[68:69]
	s_ashr_i32 s35, s34, 31
	flat_load_dwordx4 v[52:55], v[70:71]
	v_lshl_add_u64 v[30:31], s[34:35], 3, v[14:15]
	flat_load_dwordx4 v[56:59], v[30:31]
	s_add_i32 s34, s34, s21
	s_ashr_i32 s35, s34, 31
	v_lshl_add_u64 v[72:73], s[34:35], 3, v[14:15]
	flat_load_dwordx4 v[60:63], v[72:73]
	s_waitcnt lgkmcnt(0)
	flat_load_dwordx2 v[2:3], v[24:25]
	flat_load_dwordx4 v[64:67], v[68:69] offset:16
	flat_load_dwordx2 v[4:5], v[26:27]
	flat_load_dwordx4 v[10:13], v[70:71] offset:16
	flat_load_dwordx4 v[6:9], v[72:73] offset:16
	s_waitcnt vmcnt(0) lgkmcnt(0)
	v_mul_f32_e32 v19, v49, v33
	v_mul_f32_e32 v29, v51, v35
	v_fma_f32 v68, v48, v32, -v19
	v_fma_f32 v70, v50, v34, -v29
	v_mul_f32_e32 v19, v49, v53
	v_mul_f32_e32 v73, v48, v53
	;; [unrolled: 1-line block ×5, first 2 shown]
	v_fma_f32 v72, v48, v52, -v19
	v_fmac_f32_e32 v73, v49, v52
	v_fma_f32 v52, v50, v54, -v29
	v_mul_f32_e32 v19, v49, v57
	v_mul_f32_e32 v29, v51, v59
	v_fmac_f32_e32 v69, v49, v32
	v_fmac_f32_e32 v71, v51, v34
	v_mul_f32_e32 v53, v50, v55
	v_mul_f32_e32 v35, v48, v57
	v_fma_f32 v34, v48, v56, -v19
	v_fma_f32 v32, v50, v58, -v29
	v_mul_f32_e32 v19, v49, v61
	v_mul_f32_e32 v55, v48, v61
	;; [unrolled: 1-line block ×3, first 2 shown]
	scratch_store_dwordx4 off, v[48:51], off
	v_fmac_f32_e32 v53, v51, v54
	v_mul_f32_e32 v33, v50, v59
	v_fmac_f32_e32 v35, v49, v56
	v_fma_f32 v54, v48, v60, -v19
	v_mul_f32_e32 v57, v50, v63
	v_fmac_f32_e32 v55, v49, v60
	v_fma_f32 v56, v50, v62, -v29
	v_pk_mul_f32 v[48:49], v[2:3], v[64:65] op_sel:[1,1] op_sel_hi:[0,1]
	v_mov_b32_e32 v50, v67
	v_fmac_f32_e32 v33, v51, v58
	v_pk_fma_f32 v[58:59], v[2:3], v[64:65], v[48:49] neg_lo:[0,0,1] neg_hi:[0,0,1]
	v_pk_fma_f32 v[60:61], v[2:3], v[64:65], v[48:49] op_sel_hi:[1,0,1]
	v_pk_mul_f32 v[48:49], v[4:5], v[50:51] op_sel_hi:[1,0]
	v_fmac_f32_e32 v57, v51, v62
	v_pk_fma_f32 v[62:63], v[4:5], v[66:67], v[48:49] op_sel:[0,0,1] op_sel_hi:[1,1,0] neg_lo:[0,0,1] neg_hi:[0,0,1]
	v_pk_fma_f32 v[64:65], v[4:5], v[66:67], v[48:49] op_sel:[0,0,1] op_sel_hi:[1,0,0]
	flat_load_dwordx4 v[48:51], v[30:31] offset:16
	v_pk_mul_f32 v[30:31], v[2:3], v[10:11] op_sel:[1,1] op_sel_hi:[0,1]
	v_mov_b32_e32 v60, v13
	v_mov_b32_e32 v59, v61
	v_pk_add_f32 v[66:67], v[68:69], 0 op_sel_hi:[1,0]
	v_pk_fma_f32 v[68:69], v[2:3], v[10:11], v[30:31] neg_lo:[0,0,1] neg_hi:[0,0,1]
	v_pk_fma_f32 v[10:11], v[2:3], v[10:11], v[30:31] op_sel_hi:[1,0,1]
	v_pk_mul_f32 v[30:31], v[4:5], v[60:61] op_sel_hi:[1,0]
	v_mov_b32_e32 v63, v65
	v_pk_mul_f32 v[60:61], v[2:3], v[6:7] op_sel:[1,1] op_sel_hi:[0,1]
	v_pk_add_f32 v[64:65], v[72:73], 0 op_sel_hi:[1,0]
	v_mov_b32_e32 v69, v11
	v_pk_fma_f32 v[10:11], v[4:5], v[12:13], v[30:31] op_sel:[0,0,1] op_sel_hi:[1,1,0] neg_lo:[0,0,1] neg_hi:[0,0,1]
	v_pk_fma_f32 v[12:13], v[4:5], v[12:13], v[30:31] op_sel:[0,0,1] op_sel_hi:[1,0,0]
	v_pk_fma_f32 v[30:31], v[2:3], v[6:7], v[60:61] neg_lo:[0,0,1] neg_hi:[0,0,1]
	v_pk_fma_f32 v[6:7], v[2:3], v[6:7], v[60:61] op_sel_hi:[1,0,1]
	v_pk_add_f32 v[52:53], v[64:65], v[52:53]
	v_mov_b32_e32 v11, v13
	v_mov_b32_e32 v31, v7
	v_pk_add_f32 v[6:7], v[52:53], v[68:69]
	scratch_store_dwordx4 off, v[2:5], off offset:16
	v_pk_add_f32 v[10:11], v[6:7], v[10:11]
	v_pk_add_f32 v[6:7], v[34:35], 0 op_sel_hi:[1,0]
	v_pk_add_f32 v[54:55], v[54:55], 0 op_sel_hi:[1,0]
	v_pk_add_f32 v[6:7], v[6:7], v[32:33]
	v_pk_add_f32 v[66:67], v[66:67], v[70:71]
	;; [unrolled: 1-line block ×6, first 2 shown]
	s_waitcnt vmcnt(0) lgkmcnt(0)
	v_pk_mul_f32 v[32:33], v[2:3], v[48:49] op_sel:[1,1] op_sel_hi:[0,1]
	v_pk_fma_f32 v[34:35], v[2:3], v[48:49], v[32:33] neg_lo:[0,0,1] neg_hi:[0,0,1]
	v_pk_fma_f32 v[2:3], v[2:3], v[48:49], v[32:33] op_sel_hi:[1,0,1]
	s_nop 0
	v_mov_b32_e32 v35, v3
	v_pk_add_f32 v[2:3], v[6:7], v[34:35]
	v_mov_b32_e32 v6, v51
	v_pk_mul_f32 v[6:7], v[4:5], v[6:7] op_sel_hi:[1,0]
	s_nop 0
	v_pk_fma_f32 v[32:33], v[4:5], v[50:51], v[6:7] op_sel:[0,0,1] op_sel_hi:[1,1,0] neg_lo:[0,0,1] neg_hi:[0,0,1]
	v_pk_fma_f32 v[6:7], v[4:5], v[50:51], v[6:7] op_sel:[0,0,1] op_sel_hi:[1,0,0]
	s_nop 0
	v_mov_b32_e32 v33, v7
	v_pk_add_f32 v[6:7], v[2:3], v[32:33]
	v_mov_b32_e32 v2, v9
	v_pk_mul_f32 v[2:3], v[4:5], v[2:3] op_sel_hi:[1,0]
	s_nop 0
	v_pk_fma_f32 v[32:33], v[4:5], v[8:9], v[2:3] op_sel:[0,0,1] op_sel_hi:[1,1,0] neg_lo:[0,0,1] neg_hi:[0,0,1]
	v_pk_fma_f32 v[2:3], v[4:5], v[8:9], v[2:3] op_sel:[0,0,1] op_sel_hi:[1,0,0]
	s_nop 0
	v_mov_b32_e32 v33, v3
	v_pk_add_f32 v[2:3], v[30:31], v[32:33]
	s_andn2_saveexec_b64 s[30:31], s[30:31]
	s_cbranch_execz .LBB308_20
.LBB308_46:                             ;   in Loop: Header=BB308_18 Depth=1
	v_mov_b32_e32 v13, 0
	v_mov_b32_e32 v12, 0
	;; [unrolled: 1-line block ×6, first 2 shown]
	s_waitcnt lgkmcnt(0)
	v_mov_b32_e32 v3, 0
	v_mov_b32_e32 v2, 0
	s_and_saveexec_b64 s[34:35], s[8:9]
	s_cbranch_execz .LBB308_52
; %bb.47:                               ;   in Loop: Header=BB308_18 Depth=1
	v_mov_b32_e32 v13, 0
	s_andn2_b64 vcc, exec, s[24:25]
	v_mov_b32_e32 v12, v13
	v_mov_b32_e32 v11, v13
	v_mov_b32_e32 v10, v13
	v_mov_b32_e32 v7, v13
	v_mov_b32_e32 v6, v13
	v_mov_b32_e32 v3, v13
	v_mov_b32_e32 v2, v13
	s_cbranch_vccnz .LBB308_52
; %bb.48:                               ;   in Loop: Header=BB308_18 Depth=1
	v_mov_b32_e32 v4, 0
	v_mov_b32_e32 v2, v18
	s_mov_b32 s23, s33
.LBB308_49:                             ;   Parent Loop BB308_18 Depth=1
                                        ; =>  This Inner Loop Header: Depth=2
	v_ashrrev_i32_e32 v3, 31, v2
	v_lshl_add_u64 v[6:7], v[2:3], 3, s[16:17]
	flat_load_dwordx2 v[6:7], v[6:7]
	s_add_i32 s23, s23, -1
	v_add_u32_e32 v2, s27, v2
	s_cmp_eq_u32 s23, 0
	s_waitcnt vmcnt(0) lgkmcnt(0)
	scratch_store_dwordx2 v4, v[6:7], off
	v_add_u32_e32 v4, 8, v4
	s_cbranch_scc0 .LBB308_49
; %bb.50:                               ;   in Loop: Header=BB308_18 Depth=1
	s_ashr_i32 s29, s28, 31
	v_mov_b32_e32 v2, 0
	v_lshl_add_u64 v[4:5], s[28:29], 3, v[14:15]
	v_mov_b32_e32 v8, 0
	s_mov_b32 s36, s47
	s_mov_b32 s38, s46
	;; [unrolled: 1-line block ×4, first 2 shown]
	v_mov_b32_e32 v3, v2
	v_mov_b32_e32 v6, v2
	;; [unrolled: 1-line block ×7, first 2 shown]
.LBB308_51:                             ;   Parent Loop BB308_18 Depth=1
                                        ; =>  This Inner Loop Header: Depth=2
	flat_load_dwordx2 v[30:31], v[4:5]
	s_ashr_i32 s41, s40, 31
	scratch_load_dwordx2 v[32:33], v8, off
	s_ashr_i32 s39, s38, 31
	s_ashr_i32 s37, s36, 31
	v_lshl_add_u64 v[34:35], s[40:41], 3, v[14:15]
	v_lshl_add_u64 v[48:49], s[38:39], 3, v[14:15]
	;; [unrolled: 1-line block ×3, first 2 shown]
	flat_load_dwordx2 v[52:53], v[34:35]
	flat_load_dwordx2 v[54:55], v[48:49]
	;; [unrolled: 1-line block ×3, first 2 shown]
	s_add_i32 s23, s23, -1
	s_add_i32 s40, s40, 1
	s_add_i32 s38, s38, 1
	;; [unrolled: 1-line block ×3, first 2 shown]
	v_lshl_add_u64 v[4:5], v[4:5], 0, 8
	v_add_u32_e32 v8, 8, v8
	s_cmp_lg_u32 s23, 0
	s_waitcnt vmcnt(0) lgkmcnt(0)
	v_pk_mul_f32 v[34:35], v[32:33], v[30:31] op_sel:[0,1]
	s_nop 0
	v_pk_fma_f32 v[48:49], v[32:33], v[30:31], v[34:35] op_sel:[0,0,1] op_sel_hi:[1,1,0] neg_lo:[0,0,1] neg_hi:[0,0,1]
	v_pk_fma_f32 v[30:31], v[32:33], v[30:31], v[34:35] op_sel:[0,0,1] op_sel_hi:[1,0,0]
	v_pk_mul_f32 v[34:35], v[32:33], v[54:55] op_sel:[0,1]
	v_mov_b32_e32 v49, v31
	v_pk_mul_f32 v[30:31], v[32:33], v[52:53] op_sel:[0,1]
	v_pk_mul_f32 v[50:51], v[32:33], v[56:57] op_sel:[0,1]
	v_pk_add_f32 v[12:13], v[12:13], v[48:49]
	v_pk_fma_f32 v[48:49], v[32:33], v[52:53], v[30:31] op_sel:[0,0,1] op_sel_hi:[1,1,0] neg_lo:[0,0,1] neg_hi:[0,0,1]
	v_pk_fma_f32 v[30:31], v[32:33], v[52:53], v[30:31] op_sel:[0,0,1] op_sel_hi:[1,0,0]
	v_pk_fma_f32 v[52:53], v[32:33], v[54:55], v[34:35] op_sel:[0,0,1] op_sel_hi:[1,1,0] neg_lo:[0,0,1] neg_hi:[0,0,1]
	v_pk_fma_f32 v[34:35], v[32:33], v[54:55], v[34:35] op_sel:[0,0,1] op_sel_hi:[1,0,0]
	;; [unrolled: 2-line block ×3, first 2 shown]
	v_mov_b32_e32 v49, v31
	v_mov_b32_e32 v53, v35
	;; [unrolled: 1-line block ×3, first 2 shown]
	v_pk_add_f32 v[10:11], v[10:11], v[48:49]
	v_pk_add_f32 v[6:7], v[6:7], v[52:53]
	;; [unrolled: 1-line block ×3, first 2 shown]
	s_cbranch_scc1 .LBB308_51
.LBB308_52:                             ;   in Loop: Header=BB308_18 Depth=1
	s_or_b64 exec, exec, s[34:35]
	s_or_b64 exec, exec, s[30:31]
	s_and_saveexec_b64 s[30:31], s[0:1]
	s_cbranch_execnz .LBB308_21
	s_branch .LBB308_22
.LBB308_53:                             ;   in Loop: Header=BB308_18 Depth=1
	ds_read_b64 v[4:5], v45
	s_or_b64 exec, exec, s[30:31]
	s_and_saveexec_b64 s[30:31], s[0:1]
	s_cbranch_execz .LBB308_26
.LBB308_54:                             ;   in Loop: Header=BB308_18 Depth=1
	s_waitcnt lgkmcnt(0)
	ds_bpermute_b32 v8, v43, v4
	ds_bpermute_b32 v9, v43, v5
	s_waitcnt lgkmcnt(0)
	v_pk_add_f32 v[4:5], v[4:5], v[8:9]
	ds_bpermute_b32 v8, v44, v4
	ds_bpermute_b32 v9, v44, v5
	s_waitcnt lgkmcnt(0)
	v_pk_add_f32 v[4:5], v[4:5], v[8:9]
	s_or_b64 exec, exec, s[30:31]
	s_and_saveexec_b64 s[30:31], s[0:1]
	s_cbranch_execnz .LBB308_27
	s_branch .LBB308_28
.LBB308_55:                             ;   in Loop: Header=BB308_18 Depth=1
	ds_read_b64 v[8:9], v45
	s_or_b64 exec, exec, s[30:31]
	s_and_saveexec_b64 s[30:31], s[0:1]
	s_cbranch_execz .LBB308_32
.LBB308_56:                             ;   in Loop: Header=BB308_18 Depth=1
	s_waitcnt lgkmcnt(0)
	ds_bpermute_b32 v10, v43, v8
	ds_bpermute_b32 v11, v43, v9
	s_waitcnt lgkmcnt(0)
	v_pk_add_f32 v[8:9], v[8:9], v[10:11]
	ds_bpermute_b32 v10, v44, v8
	ds_bpermute_b32 v11, v44, v9
	s_waitcnt lgkmcnt(0)
	v_pk_add_f32 v[8:9], v[8:9], v[10:11]
	s_or_b64 exec, exec, s[30:31]
	s_and_saveexec_b64 s[30:31], s[0:1]
	s_cbranch_execnz .LBB308_33
	s_branch .LBB308_34
.LBB308_57:                             ;   in Loop: Header=BB308_18 Depth=1
	ds_read_b64 v[6:7], v45
	s_or_b64 exec, exec, s[30:31]
	s_and_saveexec_b64 s[30:31], s[0:1]
	s_cbranch_execz .LBB308_38
.LBB308_58:                             ;   in Loop: Header=BB308_18 Depth=1
	s_waitcnt lgkmcnt(0)
	ds_bpermute_b32 v10, v43, v6
	ds_bpermute_b32 v11, v43, v7
	s_waitcnt lgkmcnt(0)
	v_pk_add_f32 v[6:7], v[6:7], v[10:11]
	ds_bpermute_b32 v10, v44, v6
	ds_bpermute_b32 v11, v44, v7
	s_waitcnt lgkmcnt(0)
	v_pk_add_f32 v[6:7], v[6:7], v[10:11]
	s_or_b64 exec, exec, s[30:31]
	s_and_saveexec_b64 s[30:31], s[0:1]
	s_cbranch_execnz .LBB308_39
	s_branch .LBB308_40
.LBB308_59:                             ;   in Loop: Header=BB308_18 Depth=1
	ds_read_b64 v[2:3], v45
	s_or_b64 exec, exec, s[30:31]
	s_and_saveexec_b64 s[30:31], s[0:1]
	s_cbranch_execz .LBB308_44
.LBB308_60:                             ;   in Loop: Header=BB308_18 Depth=1
	s_waitcnt lgkmcnt(0)
	ds_bpermute_b32 v10, v43, v2
	ds_bpermute_b32 v11, v43, v3
	s_waitcnt lgkmcnt(0)
	v_pk_add_f32 v[2:3], v[2:3], v[10:11]
	ds_bpermute_b32 v10, v44, v2
	ds_bpermute_b32 v11, v44, v3
	s_waitcnt lgkmcnt(0)
	v_pk_add_f32 v[2:3], v[2:3], v[10:11]
	s_or_b64 exec, exec, s[30:31]
	s_and_saveexec_b64 s[30:31], s[12:13]
	s_cbranch_execz .LBB308_17
.LBB308_61:                             ;   in Loop: Header=BB308_18 Depth=1
	s_mul_i32 s23, s42, s20
	v_pk_mul_f32 v[10:11], v[4:5], s[14:15]
	v_mov_b32_e32 v12, v5
	s_add_i32 s34, s23, s2
	s_mov_b32 s35, s22
	v_mov_b32_e32 v10, v11
	v_pk_mul_f32 v[12:13], v[12:13], s[14:15]
	s_lshl_b64 s[36:37], s[34:35], 3
	v_pk_fma_f32 v[10:11], v[4:5], s[14:15], v[10:11] neg_lo:[0,0,1] neg_hi:[0,0,1]
	v_pk_fma_f32 v[4:5], v[4:5], s[26:27], v[12:13]
	s_add_u32 s36, s43, s36
	s_addc_u32 s37, s44, s37
	v_mov_b32_e32 v11, v4
	global_store_dwordx2 v28, v[10:11], s[36:37]
	v_pk_mul_f32 v[4:5], v[8:9], s[14:15]
	v_mov_b32_e32 v10, v9
	s_add_i32 s34, s34, s20
	v_mov_b32_e32 v4, v5
	v_pk_mul_f32 v[10:11], v[10:11], s[14:15]
	s_lshl_b64 s[36:37], s[34:35], 3
	v_pk_fma_f32 v[4:5], v[8:9], s[14:15], v[4:5] neg_lo:[0,0,1] neg_hi:[0,0,1]
	v_pk_fma_f32 v[8:9], v[8:9], s[26:27], v[10:11]
	s_add_u32 s36, s43, s36
	s_addc_u32 s37, s44, s37
	v_mov_b32_e32 v5, v8
	global_store_dwordx2 v28, v[4:5], s[36:37]
	v_pk_mul_f32 v[4:5], v[6:7], s[14:15]
	v_mov_b32_e32 v8, v7
	s_add_i32 s34, s34, s20
	v_mov_b32_e32 v4, v5
	v_pk_mul_f32 v[8:9], v[8:9], s[14:15]
	s_lshl_b64 s[36:37], s[34:35], 3
	v_pk_fma_f32 v[4:5], v[6:7], s[14:15], v[4:5] neg_lo:[0,0,1] neg_hi:[0,0,1]
	v_pk_fma_f32 v[6:7], v[6:7], s[26:27], v[8:9]
	s_add_u32 s36, s43, s36
	s_addc_u32 s37, s44, s37
	v_mov_b32_e32 v5, v6
	s_add_i32 s34, s34, s20
	global_store_dwordx2 v28, v[4:5], s[36:37]
	s_waitcnt lgkmcnt(0)
	v_pk_mul_f32 v[4:5], v[2:3], s[14:15] op_sel:[1,0]
	s_lshl_b64 s[34:35], s[34:35], 3
	s_add_u32 s34, s43, s34
	v_pk_fma_f32 v[6:7], v[2:3], s[14:15], v[4:5] op_sel:[0,0,1] op_sel_hi:[1,1,0] neg_lo:[0,0,1] neg_hi:[0,0,1]
	v_pk_fma_f32 v[2:3], v[2:3], s[14:15], v[4:5] op_sel:[0,0,1] op_sel_hi:[0,1,0]
	s_addc_u32 s35, s44, s35
	v_mov_b32_e32 v7, v3
	global_store_dwordx2 v28, v[6:7], s[34:35]
	s_branch .LBB308_17
.LBB308_62:
	s_mov_b32 s42, 0
.LBB308_63:
	s_cmp_ge_i32 s42, s19
	s_cbranch_scc1 .LBB308_85
; %bb.64:
	s_waitcnt lgkmcnt(0)
	v_mbcnt_hi_u32_b32 v2, -1, v36
	v_and_b32_e32 v3, 63, v2
	v_cmp_gt_u32_e64 s[4:5], 32, v3
	s_mov_b32 s12, 0
	s_cmp_gt_i32 s33, 0
	v_cndmask_b32_e64 v4, 0, 1, s[4:5]
	v_lshlrev_b32_e32 v4, 5, v4
	v_cmp_gt_u32_e64 s[4:5], 48, v3
	v_add_lshl_u32 v19, v4, v2, 2
	s_mov_b32 s3, s12
	v_cndmask_b32_e64 v4, 0, 1, s[4:5]
	v_lshlrev_b32_e32 v4, 4, v4
	v_cmp_gt_u32_e64 s[4:5], 56, v3
	v_add_lshl_u32 v20, v4, v2, 2
	s_cselect_b64 s[22:23], -1, 0
	v_cndmask_b32_e64 v4, 0, 1, s[4:5]
	v_lshlrev_b32_e32 v4, 3, v4
	v_cmp_gt_u32_e64 s[4:5], 60, v3
	v_add_lshl_u32 v21, v4, v2, 2
	s_lshl_b64 s[2:3], s[2:3], 3
	v_cndmask_b32_e64 v4, 0, 1, s[4:5]
	v_lshlrev_b32_e32 v4, 2, v4
	v_cmp_gt_u32_e64 s[4:5], 62, v3
	v_add_lshl_u32 v22, v4, v2, 2
	v_cmp_ge_i32_e32 vcc, s18, v37
	v_cndmask_b32_e64 v4, 0, 1, s[4:5]
	v_lshlrev_b32_e32 v4, 1, v4
	v_add_lshl_u32 v23, v4, v2, 2
	v_add_u32_e32 v4, s27, v16
	v_cmp_ne_u32_e64 s[4:5], 63, v3
	v_add_u32_e32 v6, s27, v4
	v_ashrrev_i32_e32 v5, 31, v4
	v_addc_co_u32_e64 v2, s[4:5], 0, v2, s[4:5]
	v_ashrrev_i32_e32 v7, 31, v6
	v_lshlrev_b32_e32 v24, 2, v2
	v_lshl_add_u64 v[2:3], v[4:5], 3, s[16:17]
	v_lshl_add_u64 v[4:5], v[6:7], 3, s[16:17]
	v_add_u32_e32 v6, s27, v6
	v_cmp_ge_i32_e64 s[10:11], s18, v38
	v_and_b32_e32 v25, 24, v17
	s_add_u32 s18, s43, s2
	v_ashrrev_i32_e32 v17, 31, v16
	v_ashrrev_i32_e32 v7, 31, v6
	v_cmp_gt_u32_e64 s[0:1], 64, v0
	v_lshlrev_b32_e32 v18, 3, v1
	v_cmp_eq_u32_e64 s[4:5], 0, v1
	v_cmp_gt_u32_e64 s[6:7], 4, v0
	v_cmp_eq_u32_e64 s[8:9], 0, v0
	s_addc_u32 s26, s44, s3
	v_lshl_add_u64 v[0:1], v[16:17], 3, s[16:17]
	v_lshl_add_u64 v[6:7], v[6:7], 3, s[16:17]
	s_and_b64 s[2:3], s[22:23], s[10:11]
	s_mul_i32 s10, s42, s21
	v_mov_b32_e32 v8, 0
	s_branch .LBB308_66
.LBB308_65:                             ;   in Loop: Header=BB308_66 Depth=1
	s_or_b64 exec, exec, s[22:23]
	s_add_i32 s42, s42, 1
	s_add_i32 s10, s10, s21
	s_cmp_lt_i32 s42, s19
	s_cbranch_scc0 .LBB308_85
.LBB308_66:                             ; =>This Loop Header: Depth=1
                                        ;     Child Loop BB308_78 Depth 2
                                        ;     Child Loop BB308_80 Depth 2
                                        ; implicit-def: $vgpr11
	s_and_saveexec_b64 s[22:23], vcc
	s_xor_b64 s[22:23], exec, s[22:23]
	s_cbranch_execnz .LBB308_75
; %bb.67:                               ;   in Loop: Header=BB308_66 Depth=1
	s_andn2_saveexec_b64 s[22:23], s[22:23]
	s_cbranch_execnz .LBB308_76
.LBB308_68:                             ;   in Loop: Header=BB308_66 Depth=1
	s_or_b64 exec, exec, s[22:23]
	s_and_saveexec_b64 s[22:23], s[0:1]
	s_cbranch_execz .LBB308_70
.LBB308_69:                             ;   in Loop: Header=BB308_66 Depth=1
	v_mov_b32_e32 v9, v8
	ds_write_b64 v18, v[8:9]
.LBB308_70:                             ;   in Loop: Header=BB308_66 Depth=1
	s_or_b64 exec, exec, s[22:23]
	s_waitcnt lgkmcnt(0)
	ds_bpermute_b32 v12, v19, v10
	ds_bpermute_b32 v13, v19, v11
	s_waitcnt lgkmcnt(0)
	s_barrier
	v_pk_add_f32 v[10:11], v[10:11], v[12:13]
	ds_bpermute_b32 v12, v20, v10
	ds_bpermute_b32 v13, v20, v11
	s_waitcnt lgkmcnt(0)
	v_pk_add_f32 v[10:11], v[10:11], v[12:13]
	ds_bpermute_b32 v12, v21, v10
	ds_bpermute_b32 v13, v21, v11
	s_waitcnt lgkmcnt(0)
	;; [unrolled: 4-line block ×4, first 2 shown]
	v_pk_add_f32 v[10:11], v[10:11], v[12:13]
	ds_bpermute_b32 v12, v24, v10
	ds_bpermute_b32 v13, v24, v11
	s_and_saveexec_b64 s[22:23], s[4:5]
	s_cbranch_execz .LBB308_72
; %bb.71:                               ;   in Loop: Header=BB308_66 Depth=1
	s_waitcnt lgkmcnt(0)
	v_pk_add_f32 v[10:11], v[10:11], v[12:13]
	ds_write_b64 v25, v[10:11]
.LBB308_72:                             ;   in Loop: Header=BB308_66 Depth=1
	s_or_b64 exec, exec, s[22:23]
	s_mov_b32 s13, s12
	v_mov_b64_e32 v[10:11], s[12:13]
	s_waitcnt lgkmcnt(0)
	s_barrier
	s_and_saveexec_b64 s[22:23], s[6:7]
	s_cbranch_execnz .LBB308_82
; %bb.73:                               ;   in Loop: Header=BB308_66 Depth=1
	s_or_b64 exec, exec, s[22:23]
	s_and_saveexec_b64 s[22:23], s[0:1]
	s_cbranch_execnz .LBB308_83
.LBB308_74:                             ;   in Loop: Header=BB308_66 Depth=1
	s_or_b64 exec, exec, s[22:23]
	s_and_saveexec_b64 s[22:23], s[8:9]
	s_cbranch_execz .LBB308_65
	s_branch .LBB308_84
.LBB308_75:                             ;   in Loop: Header=BB308_66 Depth=1
	s_mul_i32 s24, s42, s21
	s_ashr_i32 s25, s24, 31
	v_lshl_add_u64 v[38:39], s[24:25], 3, v[14:15]
	s_waitcnt lgkmcnt(0)
	flat_load_dwordx2 v[10:11], v[0:1]
	flat_load_dwordx2 v[12:13], v[2:3]
	;; [unrolled: 1-line block ×4, first 2 shown]
	flat_load_dwordx4 v[30:33], v[38:39]
	flat_load_dwordx4 v[34:37], v[38:39] offset:16
	s_waitcnt vmcnt(0) lgkmcnt(0)
	scratch_store_dwordx4 off, v[10:13], off
	scratch_store_dwordx4 off, v[26:29], off offset:16
	v_mul_f32_e32 v9, v11, v31
	v_mul_f32_e32 v39, v10, v31
	;; [unrolled: 1-line block ×4, first 2 shown]
	v_pk_mul_f32 v[40:41], v[26:27], v[34:35] op_sel:[1,0]
	v_fma_f32 v38, v10, v30, -v9
	v_fmac_f32_e32 v39, v11, v30
	v_pk_mul_f32 v[42:43], v[28:29], v[36:37] op_sel:[1,0]
	v_fma_f32 v30, v12, v32, -v17
	v_fmac_f32_e32 v31, v13, v32
	v_pk_fma_f32 v[10:11], v[26:27], v[34:35], v[40:41] op_sel:[0,0,1] op_sel_hi:[1,1,0] neg_lo:[0,0,1] neg_hi:[0,0,1]
	v_pk_fma_f32 v[12:13], v[26:27], v[34:35], v[40:41] op_sel:[0,0,1] op_sel_hi:[0,1,0]
	v_pk_add_f32 v[32:33], v[38:39], 0 op_sel_hi:[1,0]
	v_pk_fma_f32 v[26:27], v[28:29], v[36:37], v[42:43] op_sel:[0,0,1] op_sel_hi:[1,1,0] neg_lo:[0,0,1] neg_hi:[0,0,1]
	v_pk_fma_f32 v[28:29], v[28:29], v[36:37], v[42:43] op_sel:[0,0,1] op_sel_hi:[0,1,0]
	v_mov_b32_e32 v11, v13
	v_pk_add_f32 v[12:13], v[32:33], v[30:31]
	v_mov_b32_e32 v27, v29
	v_pk_add_f32 v[10:11], v[12:13], v[10:11]
	s_nop 0
	v_pk_add_f32 v[10:11], v[10:11], v[26:27]
	s_andn2_saveexec_b64 s[22:23], s[22:23]
	s_cbranch_execz .LBB308_68
.LBB308_76:                             ;   in Loop: Header=BB308_66 Depth=1
	s_waitcnt lgkmcnt(0)
	v_mov_b32_e32 v11, 0
	v_mov_b32_e32 v10, v11
	s_and_saveexec_b64 s[24:25], s[2:3]
	s_cbranch_execz .LBB308_81
; %bb.77:                               ;   in Loop: Header=BB308_66 Depth=1
	v_mov_b32_e32 v9, 0
	v_mov_b32_e32 v10, v16
	s_mov_b32 s11, s33
.LBB308_78:                             ;   Parent Loop BB308_66 Depth=1
                                        ; =>  This Inner Loop Header: Depth=2
	v_ashrrev_i32_e32 v11, 31, v10
	v_lshl_add_u64 v[12:13], v[10:11], 3, s[16:17]
	flat_load_dwordx2 v[12:13], v[12:13]
	s_add_i32 s11, s11, -1
	v_add_u32_e32 v10, s27, v10
	s_cmp_eq_u32 s11, 0
	s_waitcnt vmcnt(0) lgkmcnt(0)
	scratch_store_dwordx2 v9, v[12:13], off
	v_add_u32_e32 v9, 8, v9
	s_cbranch_scc0 .LBB308_78
; %bb.79:                               ;   in Loop: Header=BB308_66 Depth=1
	s_ashr_i32 s11, s10, 31
	v_mov_b32_e32 v10, 0
	v_lshl_add_u64 v[12:13], s[10:11], 3, v[14:15]
	v_mov_b32_e32 v9, 0
	s_mov_b32 s11, s33
	v_mov_b32_e32 v11, v10
.LBB308_80:                             ;   Parent Loop BB308_66 Depth=1
                                        ; =>  This Inner Loop Header: Depth=2
	flat_load_dwordx2 v[26:27], v[12:13]
	scratch_load_dwordx2 v[28:29], v9, off
	s_add_i32 s11, s11, -1
	v_add_u32_e32 v9, 8, v9
	v_lshl_add_u64 v[12:13], v[12:13], 0, 8
	s_cmp_lg_u32 s11, 0
	s_waitcnt vmcnt(0) lgkmcnt(0)
	v_pk_mul_f32 v[30:31], v[28:29], v[26:27] op_sel:[0,1]
	s_nop 0
	v_pk_fma_f32 v[32:33], v[28:29], v[26:27], v[30:31] op_sel:[0,0,1] op_sel_hi:[1,1,0] neg_lo:[0,0,1] neg_hi:[0,0,1]
	v_pk_fma_f32 v[26:27], v[28:29], v[26:27], v[30:31] op_sel:[0,0,1] op_sel_hi:[1,0,0]
	s_nop 0
	v_mov_b32_e32 v33, v27
	v_pk_add_f32 v[10:11], v[10:11], v[32:33]
	s_cbranch_scc1 .LBB308_80
.LBB308_81:                             ;   in Loop: Header=BB308_66 Depth=1
	s_or_b64 exec, exec, s[24:25]
	s_or_b64 exec, exec, s[22:23]
	s_and_saveexec_b64 s[22:23], s[0:1]
	s_cbranch_execnz .LBB308_69
	s_branch .LBB308_70
.LBB308_82:                             ;   in Loop: Header=BB308_66 Depth=1
	ds_read_b64 v[10:11], v18
	s_or_b64 exec, exec, s[22:23]
	s_and_saveexec_b64 s[22:23], s[0:1]
	s_cbranch_execz .LBB308_74
.LBB308_83:                             ;   in Loop: Header=BB308_66 Depth=1
	s_waitcnt lgkmcnt(0)
	ds_bpermute_b32 v12, v23, v10
	ds_bpermute_b32 v13, v23, v11
	s_waitcnt lgkmcnt(0)
	v_pk_add_f32 v[10:11], v[10:11], v[12:13]
	ds_bpermute_b32 v12, v24, v10
	ds_bpermute_b32 v13, v24, v11
	s_waitcnt lgkmcnt(0)
	v_pk_add_f32 v[10:11], v[10:11], v[12:13]
	s_or_b64 exec, exec, s[22:23]
	s_and_saveexec_b64 s[22:23], s[8:9]
	s_cbranch_execz .LBB308_65
.LBB308_84:                             ;   in Loop: Header=BB308_66 Depth=1
	s_mul_hi_u32 s25, s42, s20
	s_mul_i32 s24, s42, s20
	s_waitcnt lgkmcnt(0)
	v_pk_mul_f32 v[12:13], v[10:11], s[14:15] op_sel:[1,0]
	s_lshl_b64 s[24:25], s[24:25], 3
	s_add_u32 s24, s18, s24
	v_pk_fma_f32 v[26:27], v[10:11], s[14:15], v[12:13] op_sel:[0,0,1] op_sel_hi:[1,1,0] neg_lo:[0,0,1] neg_hi:[0,0,1]
	v_pk_fma_f32 v[10:11], v[10:11], s[14:15], v[12:13] op_sel:[0,0,1] op_sel_hi:[0,1,0]
	s_addc_u32 s25, s26, s25
	v_mov_b32_e32 v27, v11
	global_store_dwordx2 v8, v[26:27], s[24:25]
	s_branch .LBB308_65
.LBB308_85:
	s_endpgm
	.section	.rodata,"a",@progbits
	.p2align	6, 0x0
	.amdhsa_kernel _ZL23rocblas_gemvt_sn_kernelILb0ELi256ELi4EiPK19rocblas_complex_numIfES3_S1_EviiT4_lPKT3_lilS7_lilPT5_i
		.amdhsa_group_segment_fixed_size 512
		.amdhsa_private_segment_fixed_size 48
		.amdhsa_kernarg_size 360
		.amdhsa_user_sgpr_count 2
		.amdhsa_user_sgpr_dispatch_ptr 0
		.amdhsa_user_sgpr_queue_ptr 0
		.amdhsa_user_sgpr_kernarg_segment_ptr 1
		.amdhsa_user_sgpr_dispatch_id 0
		.amdhsa_user_sgpr_kernarg_preload_length 0
		.amdhsa_user_sgpr_kernarg_preload_offset 0
		.amdhsa_user_sgpr_private_segment_size 0
		.amdhsa_uses_dynamic_stack 0
		.amdhsa_enable_private_segment 1
		.amdhsa_system_sgpr_workgroup_id_x 1
		.amdhsa_system_sgpr_workgroup_id_y 0
		.amdhsa_system_sgpr_workgroup_id_z 1
		.amdhsa_system_sgpr_workgroup_info 0
		.amdhsa_system_vgpr_workitem_id 0
		.amdhsa_next_free_vgpr 74
		.amdhsa_next_free_sgpr 49
		.amdhsa_accum_offset 76
		.amdhsa_reserve_vcc 1
		.amdhsa_float_round_mode_32 0
		.amdhsa_float_round_mode_16_64 0
		.amdhsa_float_denorm_mode_32 3
		.amdhsa_float_denorm_mode_16_64 3
		.amdhsa_dx10_clamp 1
		.amdhsa_ieee_mode 1
		.amdhsa_fp16_overflow 0
		.amdhsa_tg_split 0
		.amdhsa_exception_fp_ieee_invalid_op 0
		.amdhsa_exception_fp_denorm_src 0
		.amdhsa_exception_fp_ieee_div_zero 0
		.amdhsa_exception_fp_ieee_overflow 0
		.amdhsa_exception_fp_ieee_underflow 0
		.amdhsa_exception_fp_ieee_inexact 0
		.amdhsa_exception_int_div_zero 0
	.end_amdhsa_kernel
	.section	.text._ZL23rocblas_gemvt_sn_kernelILb0ELi256ELi4EiPK19rocblas_complex_numIfES3_S1_EviiT4_lPKT3_lilS7_lilPT5_i,"axG",@progbits,_ZL23rocblas_gemvt_sn_kernelILb0ELi256ELi4EiPK19rocblas_complex_numIfES3_S1_EviiT4_lPKT3_lilS7_lilPT5_i,comdat
.Lfunc_end308:
	.size	_ZL23rocblas_gemvt_sn_kernelILb0ELi256ELi4EiPK19rocblas_complex_numIfES3_S1_EviiT4_lPKT3_lilS7_lilPT5_i, .Lfunc_end308-_ZL23rocblas_gemvt_sn_kernelILb0ELi256ELi4EiPK19rocblas_complex_numIfES3_S1_EviiT4_lPKT3_lilS7_lilPT5_i
                                        ; -- End function
	.section	.AMDGPU.csdata,"",@progbits
; Kernel info:
; codeLenInByte = 5332
; NumSgprs: 55
; NumVgprs: 74
; NumAgprs: 0
; TotalNumVgprs: 74
; ScratchSize: 48
; MemoryBound: 0
; FloatMode: 240
; IeeeMode: 1
; LDSByteSize: 512 bytes/workgroup (compile time only)
; SGPRBlocks: 6
; VGPRBlocks: 9
; NumSGPRsForWavesPerEU: 55
; NumVGPRsForWavesPerEU: 74
; AccumOffset: 76
; Occupancy: 6
; WaveLimiterHint : 0
; COMPUTE_PGM_RSRC2:SCRATCH_EN: 1
; COMPUTE_PGM_RSRC2:USER_SGPR: 2
; COMPUTE_PGM_RSRC2:TRAP_HANDLER: 0
; COMPUTE_PGM_RSRC2:TGID_X_EN: 1
; COMPUTE_PGM_RSRC2:TGID_Y_EN: 0
; COMPUTE_PGM_RSRC2:TGID_Z_EN: 1
; COMPUTE_PGM_RSRC2:TIDIG_COMP_CNT: 0
; COMPUTE_PGM_RSRC3_GFX90A:ACCUM_OFFSET: 18
; COMPUTE_PGM_RSRC3_GFX90A:TG_SPLIT: 0
	.section	.text._ZL23rocblas_gemvt_sn_kernelILb0ELi256ELi4ElPK19rocblas_complex_numIfES3_S1_EviiT4_lPKT3_lilS7_lilPT5_i,"axG",@progbits,_ZL23rocblas_gemvt_sn_kernelILb0ELi256ELi4ElPK19rocblas_complex_numIfES3_S1_EviiT4_lPKT3_lilS7_lilPT5_i,comdat
	.globl	_ZL23rocblas_gemvt_sn_kernelILb0ELi256ELi4ElPK19rocblas_complex_numIfES3_S1_EviiT4_lPKT3_lilS7_lilPT5_i ; -- Begin function _ZL23rocblas_gemvt_sn_kernelILb0ELi256ELi4ElPK19rocblas_complex_numIfES3_S1_EviiT4_lPKT3_lilS7_lilPT5_i
	.p2align	8
	.type	_ZL23rocblas_gemvt_sn_kernelILb0ELi256ELi4ElPK19rocblas_complex_numIfES3_S1_EviiT4_lPKT3_lilS7_lilPT5_i,@function
_ZL23rocblas_gemvt_sn_kernelILb0ELi256ELi4ElPK19rocblas_complex_numIfES3_S1_EviiT4_lPKT3_lilS7_lilPT5_i: ; @_ZL23rocblas_gemvt_sn_kernelILb0ELi256ELi4ElPK19rocblas_complex_numIfES3_S1_EviiT4_lPKT3_lilS7_lilPT5_i
; %bb.0:
	s_load_dwordx8 s[4:11], s[0:1], 0x8
	s_mov_b32 s12, s3
	s_mov_b32 s13, 0
	s_mov_b64 s[24:25], 0
	s_mov_b64 s[22:23], 0
	s_waitcnt lgkmcnt(0)
	s_mul_i32 s3, s3, s7
	s_mul_hi_u32 s7, s12, s6
	s_add_i32 s7, s7, s3
	s_mul_i32 s6, s12, s6
	s_lshl_b64 s[6:7], s[6:7], 3
	s_add_u32 s4, s4, s6
	s_addc_u32 s5, s5, s7
	s_load_dwordx2 s[14:15], s[4:5], 0x0
	s_waitcnt lgkmcnt(0)
	s_or_b32 s3, s14, s15
	s_bitset0_b32 s3, 31
	s_cmp_lg_u32 s3, 0
	s_cselect_b64 s[6:7], -1, 0
	s_cmp_eq_u32 s3, 0
	s_cselect_b64 s[4:5], -1, 0
	s_and_b64 vcc, exec, s[4:5]
	s_cbranch_vccnz .LBB309_2
; %bb.1:
	s_lshl_b64 s[16:17], s[12:13], 3
	s_add_u32 s8, s8, s16
	s_addc_u32 s9, s9, s17
	s_load_dwordx2 s[8:9], s[8:9], 0x0
	s_lshl_b64 s[10:11], s[10:11], 3
	s_waitcnt lgkmcnt(0)
	s_add_u32 s22, s8, s10
	s_addc_u32 s23, s9, s11
.LBB309_2:
	s_andn2_b64 vcc, exec, s[6:7]
	s_cbranch_vccnz .LBB309_4
; %bb.3:
	s_load_dwordx4 s[8:11], s[0:1], 0x38
	s_lshl_b64 s[6:7], s[12:13], 3
	s_waitcnt lgkmcnt(0)
	s_add_u32 s6, s8, s6
	s_addc_u32 s7, s9, s7
	s_load_dwordx2 s[6:7], s[6:7], 0x0
	s_lshl_b64 s[8:9], s[10:11], 3
	s_waitcnt lgkmcnt(0)
	s_add_u32 s24, s6, s8
	s_addc_u32 s25, s7, s9
.LBB309_4:
	s_load_dwordx2 s[16:17], s[0:1], 0x0
	s_load_dwordx2 s[6:7], s[0:1], 0x58
	s_load_dword s18, s[0:1], 0x68
	s_mov_b32 s19, 0
	s_waitcnt lgkmcnt(0)
	s_ashr_i32 s28, s17, 31
	s_mul_hi_u32 s3, s17, s12
	s_mul_i32 s8, s28, s12
	s_add_i32 s9, s3, s8
	s_mul_i32 s8, s17, s12
	s_mul_i32 s3, s9, s18
	s_mul_hi_u32 s10, s8, s18
	s_add_i32 s11, s10, s3
	s_mul_i32 s10, s8, s18
	s_lshl_b64 s[10:11], s[10:11], 3
	s_add_u32 s35, s6, s10
	s_addc_u32 s50, s7, s11
	s_mov_b64 s[10:11], -1
	s_andn2_b64 vcc, exec, s[4:5]
	v_cmp_eq_u32_e64 s[4:5], 0, v0
	s_cbranch_vccnz .LBB309_14
; %bb.5:
	s_cmp_gt_i32 s17, 0
	s_cselect_b64 s[10:11], -1, 0
	s_and_b64 s[10:11], s[4:5], s[10:11]
	s_and_saveexec_b64 s[4:5], s[10:11]
	s_cbranch_execz .LBB309_13
; %bb.6:
	s_cmp_gt_u32 s17, 3
	s_cselect_b64 s[10:11], -1, 0
	s_cmp_eq_u32 s18, 1
	s_cselect_b64 s[26:27], -1, 0
	s_mov_b32 s3, 0
	s_and_b64 s[10:11], s[10:11], s[26:27]
	s_mov_b32 s12, 1
	s_mov_b64 s[20:21], -1
	s_andn2_b64 vcc, exec, s[10:11]
	s_mov_b32 s10, s3
	s_cbranch_vccnz .LBB309_10
; %bb.7:
	s_lshl_b64 s[20:21], s[2:3], 3
	s_add_u32 s11, s35, s20
	s_addc_u32 s26, s50, s21
	s_mov_b32 s21, 0
	s_and_b32 s10, s17, 0x7ffffffc
	s_mov_b32 s20, s21
	v_mov_b32_e32 v1, 0
	v_mov_b64_e32 v[2:3], s[20:21]
	s_mov_b32 s27, s10
.LBB309_8:                              ; =>This Inner Loop Header: Depth=1
	s_add_i32 s30, s12, 2
	s_add_i32 s36, s20, 2
	s_lshl_b64 s[38:39], s[20:21], 3
	s_mov_b32 s13, s21
	s_add_u32 s38, s11, s38
	s_addc_u32 s39, s26, s39
	s_lshl_b64 s[40:41], s[12:13], 3
	s_mov_b32 s37, s21
	s_add_u32 s40, s11, s40
	s_addc_u32 s41, s26, s41
	;; [unrolled: 4-line block ×3, first 2 shown]
	s_lshl_b64 s[30:31], s[30:31], 3
	s_add_u32 s30, s11, s30
	s_addc_u32 s31, s26, s31
	s_add_i32 s20, s20, 4
	s_add_i32 s12, s12, 4
	s_add_i32 s27, s27, -4
	s_cmp_lg_u32 s27, 0
	global_store_dwordx2 v1, v[2:3], s[38:39]
	global_store_dwordx2 v1, v[2:3], s[40:41]
	;; [unrolled: 1-line block ×4, first 2 shown]
	s_cbranch_scc1 .LBB309_8
; %bb.9:
	s_cmp_lg_u32 s10, s17
	s_cselect_b64 s[20:21], -1, 0
.LBB309_10:
	s_and_b64 vcc, exec, s[20:21]
	s_cbranch_vccz .LBB309_13
; %bb.11:
	s_mov_b32 s11, 0
	s_sub_i32 s12, s17, s10
	s_lshl_b64 s[8:9], s[8:9], 3
	s_lshl_b64 s[10:11], s[10:11], 3
	s_add_u32 s8, s8, s10
	s_addc_u32 s9, s9, s11
	s_mul_i32 s9, s9, s18
	s_mul_hi_u32 s10, s8, s18
	s_add_i32 s10, s10, s9
	s_mul_i32 s11, s8, s18
	s_lshl_b64 s[8:9], s[2:3], 3
	s_add_u32 s3, s11, s8
	s_addc_u32 s8, s10, s9
	s_add_u32 s6, s6, s3
	v_mov_b32_e32 v2, 0
	s_addc_u32 s7, s7, s8
	s_lshl_b64 s[8:9], s[18:19], 3
	v_mov_b32_e32 v3, v2
.LBB309_12:                             ; =>This Inner Loop Header: Depth=1
	s_add_i32 s12, s12, -1
	global_store_dwordx2 v2, v[2:3], s[6:7]
	s_add_u32 s6, s6, s8
	s_addc_u32 s7, s7, s9
	s_cmp_eq_u32 s12, 0
	s_cbranch_scc0 .LBB309_12
.LBB309_13:
	s_or_b64 exec, exec, s[4:5]
	s_mov_b64 s[10:11], 0
.LBB309_14:
	s_andn2_b64 vcc, exec, s[10:11]
	s_cbranch_vccnz .LBB309_85
; %bb.15:
	s_load_dword s20, s[0:1], 0x28
	s_load_dword s26, s[0:1], 0x48
	s_lshl_b32 s0, s2, 10
	v_lshl_or_b32 v20, v0, 2, s0
	s_lshr_b32 s0, s28, 30
	s_add_i32 s0, s17, s0
	s_and_b32 s51, s0, -4
	s_ashr_i32 s0, s16, 31
	s_lshr_b32 s0, s0, 30
	s_add_i32 s0, s16, s0
	s_and_b32 s0, s0, -4
	s_waitcnt lgkmcnt(0)
	s_ashr_i32 s21, s20, 31
	s_ashr_i32 s27, s26, 31
	v_ashrrev_i32_e32 v21, 31, v20
	s_sub_i32 s19, s16, s0
	v_lshl_add_u64 v[18:19], v[20:21], 3, s[22:23]
	s_cmp_lt_i32 s51, 1
	v_add_u32_e32 v49, 4, v20
	v_add_u32_e32 v50, s19, v20
	v_and_b32_e32 v1, 63, v0
	v_cmp_gt_u32_e64 s[0:1], 64, v0
	v_mbcnt_lo_u32_b32 v48, -1, 0
	v_cmp_gt_u32_e64 s[4:5], 4, v0
	v_lshrrev_b32_e32 v47, 3, v0
	v_or_b32_e32 v46, 1, v20
	v_or_b32_e32 v45, 2, v20
	;; [unrolled: 1-line block ×3, first 2 shown]
	s_cbranch_scc1 .LBB309_62
; %bb.16:
	v_mbcnt_hi_u32_b32 v2, -1, v48
	v_and_b32_e32 v3, 63, v2
	v_cmp_gt_u32_e32 vcc, 32, v3
	s_mov_b32 s28, 0
	s_cmp_gt_i32 s19, 0
	v_cndmask_b32_e64 v4, 0, 1, vcc
	v_lshlrev_b32_e32 v4, 5, v4
	v_cmp_gt_u32_e32 vcc, 48, v3
	v_add_lshl_u32 v51, v4, v2, 2
	s_mov_b32 s3, s28
	v_cndmask_b32_e64 v4, 0, 1, vcc
	v_lshlrev_b32_e32 v4, 4, v4
	v_cmp_gt_u32_e32 vcc, 56, v3
	v_add_lshl_u32 v52, v4, v2, 2
	s_cselect_b64 s[30:31], -1, 0
	v_cndmask_b32_e64 v4, 0, 1, vcc
	v_lshlrev_b32_e32 v4, 3, v4
	v_cmp_gt_u32_e32 vcc, 60, v3
	v_add_lshl_u32 v53, v4, v2, 2
	s_lshl_b64 s[36:37], s[2:3], 3
	v_cndmask_b32_e64 v4, 0, 1, vcc
	v_lshlrev_b32_e32 v4, 2, v4
	v_cmp_gt_u32_e32 vcc, 62, v3
	v_add_lshl_u32 v54, v4, v2, 2
	s_add_u32 s3, s35, s36
	v_cndmask_b32_e64 v4, 0, 1, vcc
	v_lshlrev_b32_e32 v4, 1, v4
	v_cmp_ne_u32_e32 vcc, 63, v3
	v_add_lshl_u32 v55, v4, v2, 2
	s_addc_u32 s52, s50, s37
	v_addc_co_u32_e32 v2, vcc, 0, v2, vcc
	v_lshlrev_b32_e32 v56, 2, v2
	v_mad_i64_i32 v[2:3], s[36:37], s26, v20, 0
	v_lshl_add_u64 v[22:23], v[2:3], 3, s[24:25]
	v_mad_i64_i32 v[2:3], s[36:37], s26, v46, 0
	v_lshl_add_u64 v[24:25], v[2:3], 3, s[24:25]
	;; [unrolled: 2-line block ×3, first 2 shown]
	v_mad_i64_i32 v[2:3], s[36:37], s26, v44, 0
	v_cmp_ge_i32_e64 s[6:7], s16, v49
	v_cmp_ge_i32_e64 s[8:9], s16, v50
	v_cmp_eq_u32_e64 s[10:11], 0, v1
	v_lshlrev_b32_e32 v57, 3, v1
	v_and_b32_e32 v58, 24, v47
	v_cmp_eq_u32_e64 s[12:13], 0, v0
	v_lshl_add_u64 v[28:29], v[2:3], 3, s[24:25]
	s_mov_b32 s34, s15
	s_lshl_b64 s[36:37], s[26:27], 3
	s_mul_hi_i32 s39, s20, 24
	s_mul_i32 s38, s20, 24
	s_lshl_b64 s[40:41], s[20:21], 5
	s_lshl_b64 s[42:43], s[20:21], 4
	;; [unrolled: 1-line block ×3, first 2 shown]
	v_mov_b32_e32 v30, 0
	v_mov_b64_e32 v[32:33], v[18:19]
	s_mov_b32 s33, 0
	s_branch .LBB309_18
.LBB309_17:                             ;   in Loop: Header=BB309_18 Depth=1
	s_or_b64 exec, exec, s[46:47]
	s_add_i32 s33, s33, 4
	s_cmp_ge_i32 s33, s51
	v_lshl_add_u64 v[32:33], v[32:33], 0, s[40:41]
	s_cbranch_scc1 .LBB309_63
.LBB309_18:                             ; =>This Loop Header: Depth=1
                                        ;     Child Loop BB309_49 Depth 2
                                        ;     Child Loop BB309_51 Depth 2
                                        ; implicit-def: $vgpr15
                                        ; implicit-def: $vgpr11
                                        ; implicit-def: $vgpr7
                                        ; implicit-def: $vgpr3
	s_and_saveexec_b64 s[46:47], s[6:7]
	s_xor_b64 s[46:47], exec, s[46:47]
	s_cbranch_execnz .LBB309_45
; %bb.19:                               ;   in Loop: Header=BB309_18 Depth=1
	s_andn2_saveexec_b64 s[46:47], s[46:47]
	s_cbranch_execnz .LBB309_46
.LBB309_20:                             ;   in Loop: Header=BB309_18 Depth=1
	s_or_b64 exec, exec, s[46:47]
	s_and_saveexec_b64 s[46:47], s[0:1]
	s_cbranch_execz .LBB309_22
.LBB309_21:                             ;   in Loop: Header=BB309_18 Depth=1
	v_mov_b32_e32 v31, v30
	ds_write_b64 v57, v[30:31]
.LBB309_22:                             ;   in Loop: Header=BB309_18 Depth=1
	s_or_b64 exec, exec, s[46:47]
	ds_bpermute_b32 v4, v51, v14
	ds_bpermute_b32 v5, v51, v15
	s_waitcnt lgkmcnt(0)
	s_barrier
	v_pk_add_f32 v[4:5], v[14:15], v[4:5]
	ds_bpermute_b32 v8, v52, v4
	ds_bpermute_b32 v9, v52, v5
	s_waitcnt lgkmcnt(0)
	v_pk_add_f32 v[4:5], v[4:5], v[8:9]
	ds_bpermute_b32 v8, v53, v4
	ds_bpermute_b32 v9, v53, v5
	s_waitcnt lgkmcnt(0)
	;; [unrolled: 4-line block ×4, first 2 shown]
	v_pk_add_f32 v[4:5], v[4:5], v[8:9]
	ds_bpermute_b32 v8, v56, v4
	ds_bpermute_b32 v9, v56, v5
	s_and_saveexec_b64 s[46:47], s[10:11]
	s_cbranch_execz .LBB309_24
; %bb.23:                               ;   in Loop: Header=BB309_18 Depth=1
	s_waitcnt lgkmcnt(0)
	v_pk_add_f32 v[4:5], v[4:5], v[8:9]
	ds_write_b64 v58, v[4:5]
.LBB309_24:                             ;   in Loop: Header=BB309_18 Depth=1
	s_or_b64 exec, exec, s[46:47]
	s_mov_b32 s29, s28
	v_mov_b64_e32 v[4:5], s[28:29]
	s_waitcnt lgkmcnt(0)
	s_barrier
	s_and_saveexec_b64 s[46:47], s[4:5]
	s_cbranch_execnz .LBB309_53
; %bb.25:                               ;   in Loop: Header=BB309_18 Depth=1
	s_or_b64 exec, exec, s[46:47]
	s_and_saveexec_b64 s[46:47], s[0:1]
	s_cbranch_execnz .LBB309_54
.LBB309_26:                             ;   in Loop: Header=BB309_18 Depth=1
	s_or_b64 exec, exec, s[46:47]
	s_and_saveexec_b64 s[46:47], s[0:1]
	s_cbranch_execz .LBB309_28
.LBB309_27:                             ;   in Loop: Header=BB309_18 Depth=1
	v_mov_b32_e32 v31, v30
	ds_write_b64 v57, v[30:31]
.LBB309_28:                             ;   in Loop: Header=BB309_18 Depth=1
	s_or_b64 exec, exec, s[46:47]
	ds_bpermute_b32 v8, v51, v10
	ds_bpermute_b32 v9, v51, v11
	s_waitcnt lgkmcnt(0)
	s_barrier
	v_pk_add_f32 v[8:9], v[10:11], v[8:9]
	ds_bpermute_b32 v10, v52, v8
	ds_bpermute_b32 v11, v52, v9
	s_waitcnt lgkmcnt(0)
	v_pk_add_f32 v[8:9], v[8:9], v[10:11]
	ds_bpermute_b32 v10, v53, v8
	ds_bpermute_b32 v11, v53, v9
	s_waitcnt lgkmcnt(0)
	;; [unrolled: 4-line block ×4, first 2 shown]
	v_pk_add_f32 v[8:9], v[8:9], v[10:11]
	ds_bpermute_b32 v10, v56, v8
	ds_bpermute_b32 v11, v56, v9
	s_and_saveexec_b64 s[46:47], s[10:11]
	s_cbranch_execz .LBB309_30
; %bb.29:                               ;   in Loop: Header=BB309_18 Depth=1
	s_waitcnt lgkmcnt(0)
	v_pk_add_f32 v[8:9], v[8:9], v[10:11]
	ds_write_b64 v58, v[8:9]
.LBB309_30:                             ;   in Loop: Header=BB309_18 Depth=1
	s_or_b64 exec, exec, s[46:47]
	s_mov_b32 s29, s28
	v_mov_b64_e32 v[8:9], s[28:29]
	s_waitcnt lgkmcnt(0)
	s_barrier
	s_and_saveexec_b64 s[46:47], s[4:5]
	s_cbranch_execnz .LBB309_55
; %bb.31:                               ;   in Loop: Header=BB309_18 Depth=1
	s_or_b64 exec, exec, s[46:47]
	s_and_saveexec_b64 s[46:47], s[0:1]
	s_cbranch_execnz .LBB309_56
.LBB309_32:                             ;   in Loop: Header=BB309_18 Depth=1
	s_or_b64 exec, exec, s[46:47]
	s_and_saveexec_b64 s[46:47], s[0:1]
	s_cbranch_execz .LBB309_34
.LBB309_33:                             ;   in Loop: Header=BB309_18 Depth=1
	v_mov_b32_e32 v31, v30
	ds_write_b64 v57, v[30:31]
.LBB309_34:                             ;   in Loop: Header=BB309_18 Depth=1
	s_or_b64 exec, exec, s[46:47]
	ds_bpermute_b32 v10, v51, v6
	ds_bpermute_b32 v11, v51, v7
	s_waitcnt lgkmcnt(0)
	s_barrier
	v_pk_add_f32 v[6:7], v[6:7], v[10:11]
	ds_bpermute_b32 v10, v52, v6
	ds_bpermute_b32 v11, v52, v7
	s_waitcnt lgkmcnt(0)
	v_pk_add_f32 v[6:7], v[6:7], v[10:11]
	ds_bpermute_b32 v10, v53, v6
	ds_bpermute_b32 v11, v53, v7
	s_waitcnt lgkmcnt(0)
	;; [unrolled: 4-line block ×4, first 2 shown]
	v_pk_add_f32 v[6:7], v[6:7], v[10:11]
	ds_bpermute_b32 v10, v56, v6
	ds_bpermute_b32 v11, v56, v7
	s_and_saveexec_b64 s[46:47], s[10:11]
	s_cbranch_execz .LBB309_36
; %bb.35:                               ;   in Loop: Header=BB309_18 Depth=1
	s_waitcnt lgkmcnt(0)
	v_pk_add_f32 v[6:7], v[6:7], v[10:11]
	ds_write_b64 v58, v[6:7]
.LBB309_36:                             ;   in Loop: Header=BB309_18 Depth=1
	s_or_b64 exec, exec, s[46:47]
	s_mov_b32 s29, s28
	v_mov_b64_e32 v[6:7], s[28:29]
	s_waitcnt lgkmcnt(0)
	s_barrier
	s_and_saveexec_b64 s[46:47], s[4:5]
	s_cbranch_execnz .LBB309_57
; %bb.37:                               ;   in Loop: Header=BB309_18 Depth=1
	s_or_b64 exec, exec, s[46:47]
	s_and_saveexec_b64 s[46:47], s[0:1]
	s_cbranch_execnz .LBB309_58
.LBB309_38:                             ;   in Loop: Header=BB309_18 Depth=1
	s_or_b64 exec, exec, s[46:47]
	s_and_saveexec_b64 s[46:47], s[0:1]
	s_cbranch_execz .LBB309_40
.LBB309_39:                             ;   in Loop: Header=BB309_18 Depth=1
	v_mov_b32_e32 v31, v30
	ds_write_b64 v57, v[30:31]
.LBB309_40:                             ;   in Loop: Header=BB309_18 Depth=1
	s_or_b64 exec, exec, s[46:47]
	ds_bpermute_b32 v10, v51, v2
	ds_bpermute_b32 v11, v51, v3
	s_waitcnt lgkmcnt(0)
	s_barrier
	v_pk_add_f32 v[2:3], v[2:3], v[10:11]
	ds_bpermute_b32 v10, v52, v2
	ds_bpermute_b32 v11, v52, v3
	s_waitcnt lgkmcnt(0)
	v_pk_add_f32 v[2:3], v[2:3], v[10:11]
	ds_bpermute_b32 v10, v53, v2
	ds_bpermute_b32 v11, v53, v3
	s_waitcnt lgkmcnt(0)
	;; [unrolled: 4-line block ×4, first 2 shown]
	v_pk_add_f32 v[2:3], v[2:3], v[10:11]
	ds_bpermute_b32 v10, v56, v2
	ds_bpermute_b32 v11, v56, v3
	s_and_saveexec_b64 s[46:47], s[10:11]
	s_cbranch_execz .LBB309_42
; %bb.41:                               ;   in Loop: Header=BB309_18 Depth=1
	s_waitcnt lgkmcnt(0)
	v_pk_add_f32 v[2:3], v[2:3], v[10:11]
	ds_write_b64 v58, v[2:3]
.LBB309_42:                             ;   in Loop: Header=BB309_18 Depth=1
	s_or_b64 exec, exec, s[46:47]
	s_mov_b32 s29, s28
	v_mov_b64_e32 v[2:3], s[28:29]
	s_waitcnt lgkmcnt(0)
	s_barrier
	s_and_saveexec_b64 s[46:47], s[4:5]
	s_cbranch_execnz .LBB309_59
; %bb.43:                               ;   in Loop: Header=BB309_18 Depth=1
	s_or_b64 exec, exec, s[46:47]
	s_and_saveexec_b64 s[46:47], s[0:1]
	s_cbranch_execnz .LBB309_60
.LBB309_44:                             ;   in Loop: Header=BB309_18 Depth=1
	s_or_b64 exec, exec, s[46:47]
	s_and_saveexec_b64 s[46:47], s[12:13]
	s_cbranch_execz .LBB309_17
	s_branch .LBB309_61
.LBB309_45:                             ;   in Loop: Header=BB309_18 Depth=1
	flat_load_dwordx2 v[6:7], v[22:23]
	flat_load_dwordx2 v[8:9], v[24:25]
	s_mul_i32 s29, s33, s21
	s_mul_hi_u32 s48, s33, s20
	s_add_i32 s49, s48, s29
	s_mul_i32 s48, s33, s20
	v_lshl_add_u64 v[64:65], s[48:49], 3, v[18:19]
	s_or_b32 s29, s33, 1
	s_mul_i32 s48, s29, s21
	s_mul_hi_u32 s49, s29, s20
	s_add_i32 s49, s49, s48
	s_mul_i32 s48, s29, s20
	v_lshl_add_u64 v[68:69], s[48:49], 3, v[18:19]
	s_or_b32 s29, s33, 2
	s_mul_i32 s48, s29, s21
	s_mul_hi_u32 s49, s29, s20
	s_add_i32 s49, s49, s48
	s_mul_i32 s48, s29, s20
	s_or_b32 s29, s33, 3
	s_waitcnt vmcnt(0) lgkmcnt(0)
	scratch_store_dwordx4 off, v[6:9], off
	flat_load_dwordx2 v[2:3], v[26:27]
	flat_load_dwordx2 v[4:5], v[28:29]
	flat_load_dwordx4 v[10:13], v[64:65]
	s_waitcnt vmcnt(0) lgkmcnt(0)
	v_mul_f32_e32 v14, v7, v11
	v_fma_f32 v66, v6, v10, -v14
	flat_load_dwordx4 v[14:17], v[68:69]
	v_mul_f32_e32 v67, v6, v11
	v_fmac_f32_e32 v67, v7, v10
	scratch_store_dwordx4 off, v[2:5], off offset:16
	v_mul_f32_e32 v75, v8, v13
	v_fmac_f32_e32 v75, v9, v12
	s_waitcnt vmcnt(0) lgkmcnt(0)
	v_mul_f32_e32 v10, v7, v15
	v_mul_f32_e32 v37, v6, v15
	v_fma_f32 v36, v6, v14, -v10
	v_fmac_f32_e32 v37, v7, v14
	v_lshl_add_u64 v[14:15], s[48:49], 3, v[18:19]
	s_mul_i32 s48, s29, s21
	s_mul_hi_u32 s49, s29, s20
	s_add_i32 s49, s49, s48
	s_mul_i32 s48, s29, s20
	flat_load_dwordx4 v[40:43], v[14:15]
	v_lshl_add_u64 v[70:71], s[48:49], 3, v[18:19]
	flat_load_dwordx4 v[60:63], v[70:71]
	v_pk_add_f32 v[36:37], v[36:37], 0 op_sel_hi:[1,0]
	s_waitcnt vmcnt(0) lgkmcnt(0)
	v_mul_f32_e32 v10, v7, v41
	v_fma_f32 v34, v6, v40, -v10
	v_mul_f32_e32 v10, v7, v61
	v_mul_f32_e32 v35, v6, v41
	v_fma_f32 v72, v6, v60, -v10
	v_mul_f32_e32 v73, v6, v61
	;; [unrolled: 3-line block ×3, first 2 shown]
	v_fmac_f32_e32 v35, v7, v40
	v_fma_f32 v40, v8, v16, -v6
	v_mul_f32_e32 v6, v9, v43
	v_mul_f32_e32 v41, v8, v17
	v_fma_f32 v38, v8, v42, -v6
	v_mul_f32_e32 v39, v8, v43
	v_mul_f32_e32 v6, v9, v63
	;; [unrolled: 1-line block ×3, first 2 shown]
	v_fmac_f32_e32 v73, v7, v60
	v_fmac_f32_e32 v41, v9, v16
	;; [unrolled: 1-line block ×3, first 2 shown]
	v_fma_f32 v42, v8, v62, -v6
	v_fmac_f32_e32 v43, v9, v62
	flat_load_dwordx4 v[60:63], v[64:65] offset:16
	flat_load_dwordx4 v[10:13], v[68:69] offset:16
	flat_load_dwordx4 v[6:9], v[14:15] offset:16
                                        ; kill: killed $vgpr64_vgpr65
                                        ; kill: killed $vgpr14_vgpr15
                                        ; kill: killed $vgpr68_vgpr69
	s_nop 0
	flat_load_dwordx4 v[14:17], v[70:71] offset:16
	v_pk_add_f32 v[64:65], v[72:73], 0 op_sel_hi:[1,0]
	v_pk_add_f32 v[36:37], v[36:37], v[40:41]
	v_pk_add_f32 v[42:43], v[64:65], v[42:43]
	s_waitcnt vmcnt(0) lgkmcnt(0)
	v_pk_mul_f32 v[40:41], v[2:3], v[10:11] op_sel:[1,1] op_sel_hi:[0,1]
	v_pk_mul_f32 v[64:65], v[2:3], v[14:15] op_sel:[1,1] op_sel_hi:[0,1]
	v_pk_fma_f32 v[68:69], v[2:3], v[14:15], v[64:65] neg_lo:[0,0,1] neg_hi:[0,0,1]
	v_pk_fma_f32 v[14:15], v[2:3], v[14:15], v[64:65] op_sel_hi:[1,0,1]
	v_pk_mul_f32 v[64:65], v[2:3], v[60:61] op_sel:[1,1] op_sel_hi:[0,1]
	v_mov_b32_e32 v69, v15
	v_pk_add_f32 v[14:15], v[66:67], 0 op_sel_hi:[1,0]
	v_pk_fma_f32 v[66:67], v[2:3], v[60:61], v[64:65] neg_lo:[0,0,1] neg_hi:[0,0,1]
	v_pk_fma_f32 v[60:61], v[2:3], v[60:61], v[64:65] op_sel_hi:[1,0,1]
	v_pk_add_f32 v[14:15], v[14:15], v[74:75]
	v_mov_b32_e32 v60, v63
	v_mov_b32_e32 v67, v61
	v_pk_mul_f32 v[60:61], v[4:5], v[60:61] op_sel_hi:[1,0]
	v_pk_add_f32 v[42:43], v[42:43], v[68:69]
	v_pk_fma_f32 v[64:65], v[4:5], v[62:63], v[60:61] op_sel:[0,0,1] op_sel_hi:[1,1,0] neg_lo:[0,0,1] neg_hi:[0,0,1]
	v_pk_fma_f32 v[60:61], v[4:5], v[62:63], v[60:61] op_sel:[0,0,1] op_sel_hi:[1,0,0]
	v_pk_add_f32 v[14:15], v[14:15], v[66:67]
	v_mov_b32_e32 v65, v61
	v_pk_fma_f32 v[60:61], v[2:3], v[10:11], v[40:41] neg_lo:[0,0,1] neg_hi:[0,0,1]
	v_pk_fma_f32 v[10:11], v[2:3], v[10:11], v[40:41] op_sel_hi:[1,0,1]
	v_pk_add_f32 v[14:15], v[14:15], v[64:65]
	v_mov_b32_e32 v61, v11
	v_pk_add_f32 v[10:11], v[36:37], v[60:61]
	v_mov_b32_e32 v36, v13
	v_pk_mul_f32 v[36:37], v[4:5], v[36:37] op_sel_hi:[1,0]
	s_nop 0
	v_pk_fma_f32 v[40:41], v[4:5], v[12:13], v[36:37] op_sel:[0,0,1] op_sel_hi:[1,1,0] neg_lo:[0,0,1] neg_hi:[0,0,1]
	v_pk_fma_f32 v[12:13], v[4:5], v[12:13], v[36:37] op_sel:[0,0,1] op_sel_hi:[1,0,0]
	s_nop 0
	v_mov_b32_e32 v41, v13
	v_pk_add_f32 v[12:13], v[34:35], 0 op_sel_hi:[1,0]
	v_pk_mul_f32 v[34:35], v[2:3], v[6:7] op_sel:[1,1] op_sel_hi:[0,1]
	v_pk_fma_f32 v[36:37], v[2:3], v[6:7], v[34:35] neg_lo:[0,0,1] neg_hi:[0,0,1]
	v_pk_fma_f32 v[2:3], v[2:3], v[6:7], v[34:35] op_sel_hi:[1,0,1]
	v_mov_b32_e32 v6, v9
	v_pk_add_f32 v[12:13], v[12:13], v[38:39]
	v_mov_b32_e32 v37, v3
	v_pk_mul_f32 v[6:7], v[4:5], v[6:7] op_sel_hi:[1,0]
	v_pk_add_f32 v[2:3], v[12:13], v[36:37]
	v_pk_fma_f32 v[12:13], v[4:5], v[8:9], v[6:7] op_sel:[0,0,1] op_sel_hi:[1,1,0] neg_lo:[0,0,1] neg_hi:[0,0,1]
	v_pk_fma_f32 v[6:7], v[4:5], v[8:9], v[6:7] op_sel:[0,0,1] op_sel_hi:[1,0,0]
	v_pk_add_f32 v[10:11], v[10:11], v[40:41]
	v_mov_b32_e32 v13, v7
	v_pk_add_f32 v[6:7], v[2:3], v[12:13]
	v_mov_b32_e32 v2, v17
	v_pk_mul_f32 v[2:3], v[4:5], v[2:3] op_sel_hi:[1,0]
	s_nop 0
	v_pk_fma_f32 v[8:9], v[4:5], v[16:17], v[2:3] op_sel:[0,0,1] op_sel_hi:[1,1,0] neg_lo:[0,0,1] neg_hi:[0,0,1]
	v_pk_fma_f32 v[2:3], v[4:5], v[16:17], v[2:3] op_sel:[0,0,1] op_sel_hi:[1,0,0]
	s_nop 0
	v_mov_b32_e32 v9, v3
	v_pk_add_f32 v[2:3], v[42:43], v[8:9]
	s_andn2_saveexec_b64 s[46:47], s[46:47]
	s_cbranch_execz .LBB309_20
.LBB309_46:                             ;   in Loop: Header=BB309_18 Depth=1
	v_mov_b32_e32 v15, 0
	v_mov_b32_e32 v14, 0
	;; [unrolled: 1-line block ×6, first 2 shown]
	s_waitcnt lgkmcnt(0)
	v_mov_b32_e32 v3, 0
	v_mov_b32_e32 v2, 0
	s_and_saveexec_b64 s[48:49], s[8:9]
	s_cbranch_execz .LBB309_52
; %bb.47:                               ;   in Loop: Header=BB309_18 Depth=1
	v_mov_b32_e32 v15, 0
	s_andn2_b64 vcc, exec, s[30:31]
	v_mov_b32_e32 v14, v15
	v_mov_b32_e32 v11, v15
	;; [unrolled: 1-line block ×7, first 2 shown]
	s_cbranch_vccnz .LBB309_52
; %bb.48:                               ;   in Loop: Header=BB309_18 Depth=1
	v_mov_b32_e32 v4, 0
	v_mov_b64_e32 v[2:3], v[22:23]
	s_mov_b32 s29, s19
.LBB309_49:                             ;   Parent Loop BB309_18 Depth=1
                                        ; =>  This Inner Loop Header: Depth=2
	flat_load_dwordx2 v[6:7], v[2:3]
	s_add_i32 s29, s29, -1
	v_lshl_add_u64 v[2:3], v[2:3], 0, s[36:37]
	s_cmp_eq_u32 s29, 0
	s_waitcnt vmcnt(0) lgkmcnt(0)
	scratch_store_dwordx2 v4, v[6:7], off
	v_add_u32_e32 v4, 8, v4
	s_cbranch_scc0 .LBB309_49
; %bb.50:                               ;   in Loop: Header=BB309_18 Depth=1
	v_mov_b32_e32 v2, 0
	v_mov_b32_e32 v8, 0
	v_mov_b64_e32 v[4:5], v[32:33]
	s_mov_b32 s29, s19
	v_mov_b32_e32 v3, v2
	v_mov_b32_e32 v6, v2
	;; [unrolled: 1-line block ×7, first 2 shown]
.LBB309_51:                             ;   Parent Loop BB309_18 Depth=1
                                        ; =>  This Inner Loop Header: Depth=2
	flat_load_dwordx2 v[12:13], v[4:5]
	v_lshl_add_u64 v[16:17], v[4:5], 0, s[44:45]
	scratch_load_dwordx2 v[34:35], v8, off
	v_lshl_add_u64 v[36:37], v[4:5], 0, s[42:43]
	v_lshl_add_u64 v[38:39], v[4:5], 0, s[38:39]
	flat_load_dwordx2 v[16:17], v[16:17]
	s_nop 0
	flat_load_dwordx2 v[36:37], v[36:37]
	s_nop 0
	flat_load_dwordx2 v[38:39], v[38:39]
	s_add_i32 s29, s29, -1
	v_add_u32_e32 v8, 8, v8
	v_lshl_add_u64 v[4:5], v[4:5], 0, 8
	s_cmp_lg_u32 s29, 0
	s_waitcnt vmcnt(0) lgkmcnt(0)
	v_pk_mul_f32 v[40:41], v[34:35], v[12:13] op_sel:[0,1]
	s_nop 0
	v_pk_fma_f32 v[42:43], v[34:35], v[12:13], v[40:41] op_sel:[0,0,1] op_sel_hi:[1,1,0] neg_lo:[0,0,1] neg_hi:[0,0,1]
	v_pk_fma_f32 v[12:13], v[34:35], v[12:13], v[40:41] op_sel:[0,0,1] op_sel_hi:[1,0,0]
	v_pk_mul_f32 v[40:41], v[34:35], v[16:17] op_sel:[0,1]
	v_pk_mul_f32 v[60:61], v[34:35], v[36:37] op_sel:[0,1]
	;; [unrolled: 1-line block ×3, first 2 shown]
	v_mov_b32_e32 v43, v13
	v_pk_fma_f32 v[12:13], v[34:35], v[16:17], v[40:41] op_sel:[0,0,1] op_sel_hi:[1,1,0] neg_lo:[0,0,1] neg_hi:[0,0,1]
	v_pk_fma_f32 v[16:17], v[34:35], v[16:17], v[40:41] op_sel:[0,0,1] op_sel_hi:[1,0,0]
	v_pk_fma_f32 v[40:41], v[34:35], v[36:37], v[60:61] op_sel:[0,0,1] op_sel_hi:[1,1,0] neg_lo:[0,0,1] neg_hi:[0,0,1]
	v_pk_fma_f32 v[36:37], v[34:35], v[36:37], v[60:61] op_sel:[0,0,1] op_sel_hi:[1,0,0]
	;; [unrolled: 2-line block ×3, first 2 shown]
	v_mov_b32_e32 v13, v17
	v_mov_b32_e32 v41, v37
	;; [unrolled: 1-line block ×3, first 2 shown]
	v_pk_add_f32 v[14:15], v[14:15], v[42:43]
	v_pk_add_f32 v[10:11], v[10:11], v[12:13]
	;; [unrolled: 1-line block ×4, first 2 shown]
	s_cbranch_scc1 .LBB309_51
.LBB309_52:                             ;   in Loop: Header=BB309_18 Depth=1
	s_or_b64 exec, exec, s[48:49]
	s_or_b64 exec, exec, s[46:47]
	s_and_saveexec_b64 s[46:47], s[0:1]
	s_cbranch_execnz .LBB309_21
	s_branch .LBB309_22
.LBB309_53:                             ;   in Loop: Header=BB309_18 Depth=1
	ds_read_b64 v[4:5], v57
	s_or_b64 exec, exec, s[46:47]
	s_and_saveexec_b64 s[46:47], s[0:1]
	s_cbranch_execz .LBB309_26
.LBB309_54:                             ;   in Loop: Header=BB309_18 Depth=1
	s_waitcnt lgkmcnt(0)
	ds_bpermute_b32 v8, v55, v4
	ds_bpermute_b32 v9, v55, v5
	s_waitcnt lgkmcnt(0)
	v_pk_add_f32 v[4:5], v[4:5], v[8:9]
	ds_bpermute_b32 v8, v56, v4
	ds_bpermute_b32 v9, v56, v5
	s_waitcnt lgkmcnt(0)
	v_pk_add_f32 v[4:5], v[4:5], v[8:9]
	s_or_b64 exec, exec, s[46:47]
	s_and_saveexec_b64 s[46:47], s[0:1]
	s_cbranch_execnz .LBB309_27
	s_branch .LBB309_28
.LBB309_55:                             ;   in Loop: Header=BB309_18 Depth=1
	ds_read_b64 v[8:9], v57
	s_or_b64 exec, exec, s[46:47]
	s_and_saveexec_b64 s[46:47], s[0:1]
	s_cbranch_execz .LBB309_32
.LBB309_56:                             ;   in Loop: Header=BB309_18 Depth=1
	s_waitcnt lgkmcnt(0)
	ds_bpermute_b32 v10, v55, v8
	ds_bpermute_b32 v11, v55, v9
	s_waitcnt lgkmcnt(0)
	v_pk_add_f32 v[8:9], v[8:9], v[10:11]
	ds_bpermute_b32 v10, v56, v8
	ds_bpermute_b32 v11, v56, v9
	s_waitcnt lgkmcnt(0)
	v_pk_add_f32 v[8:9], v[8:9], v[10:11]
	s_or_b64 exec, exec, s[46:47]
	s_and_saveexec_b64 s[46:47], s[0:1]
	s_cbranch_execnz .LBB309_33
	s_branch .LBB309_34
.LBB309_57:                             ;   in Loop: Header=BB309_18 Depth=1
	ds_read_b64 v[6:7], v57
	s_or_b64 exec, exec, s[46:47]
	s_and_saveexec_b64 s[46:47], s[0:1]
	s_cbranch_execz .LBB309_38
.LBB309_58:                             ;   in Loop: Header=BB309_18 Depth=1
	s_waitcnt lgkmcnt(0)
	ds_bpermute_b32 v10, v55, v6
	ds_bpermute_b32 v11, v55, v7
	s_waitcnt lgkmcnt(0)
	v_pk_add_f32 v[6:7], v[6:7], v[10:11]
	ds_bpermute_b32 v10, v56, v6
	ds_bpermute_b32 v11, v56, v7
	s_waitcnt lgkmcnt(0)
	v_pk_add_f32 v[6:7], v[6:7], v[10:11]
	s_or_b64 exec, exec, s[46:47]
	s_and_saveexec_b64 s[46:47], s[0:1]
	s_cbranch_execnz .LBB309_39
	s_branch .LBB309_40
.LBB309_59:                             ;   in Loop: Header=BB309_18 Depth=1
	ds_read_b64 v[2:3], v57
	s_or_b64 exec, exec, s[46:47]
	s_and_saveexec_b64 s[46:47], s[0:1]
	s_cbranch_execz .LBB309_44
.LBB309_60:                             ;   in Loop: Header=BB309_18 Depth=1
	s_waitcnt lgkmcnt(0)
	ds_bpermute_b32 v10, v55, v2
	ds_bpermute_b32 v11, v55, v3
	s_waitcnt lgkmcnt(0)
	v_pk_add_f32 v[2:3], v[2:3], v[10:11]
	ds_bpermute_b32 v10, v56, v2
	ds_bpermute_b32 v11, v56, v3
	s_waitcnt lgkmcnt(0)
	v_pk_add_f32 v[2:3], v[2:3], v[10:11]
	s_or_b64 exec, exec, s[46:47]
	s_and_saveexec_b64 s[46:47], s[12:13]
	s_cbranch_execz .LBB309_17
.LBB309_61:                             ;   in Loop: Header=BB309_18 Depth=1
	v_pk_mul_f32 v[10:11], v[4:5], s[14:15]
	v_mov_b32_e32 v12, v5
	s_mul_hi_u32 s49, s33, s18
	s_mul_i32 s48, s33, s18
	v_mov_b32_e32 v10, v11
	v_pk_mul_f32 v[12:13], v[12:13], s[14:15]
	s_lshl_b64 s[48:49], s[48:49], 3
	v_pk_fma_f32 v[10:11], v[4:5], s[14:15], v[10:11] neg_lo:[0,0,1] neg_hi:[0,0,1]
	v_pk_fma_f32 v[4:5], v[4:5], s[34:35], v[12:13]
	s_add_u32 s48, s3, s48
	s_addc_u32 s49, s52, s49
	v_mov_b32_e32 v11, v4
	s_or_b32 s29, s33, 1
	global_store_dwordx2 v30, v[10:11], s[48:49]
	v_pk_mul_f32 v[4:5], v[8:9], s[14:15]
	v_mov_b32_e32 v10, v9
	s_mul_hi_u32 s49, s29, s18
	s_mul_i32 s48, s29, s18
	v_mov_b32_e32 v4, v5
	v_pk_mul_f32 v[10:11], v[10:11], s[14:15]
	s_lshl_b64 s[48:49], s[48:49], 3
	v_pk_fma_f32 v[4:5], v[8:9], s[14:15], v[4:5] neg_lo:[0,0,1] neg_hi:[0,0,1]
	v_pk_fma_f32 v[8:9], v[8:9], s[34:35], v[10:11]
	s_add_u32 s48, s3, s48
	s_addc_u32 s49, s52, s49
	v_mov_b32_e32 v5, v8
	s_or_b32 s29, s33, 2
	global_store_dwordx2 v30, v[4:5], s[48:49]
	v_pk_mul_f32 v[4:5], v[6:7], s[14:15]
	v_mov_b32_e32 v8, v7
	s_mul_hi_u32 s49, s29, s18
	s_mul_i32 s48, s29, s18
	v_mov_b32_e32 v4, v5
	v_pk_mul_f32 v[8:9], v[8:9], s[14:15]
	s_lshl_b64 s[48:49], s[48:49], 3
	v_pk_fma_f32 v[4:5], v[6:7], s[14:15], v[4:5] neg_lo:[0,0,1] neg_hi:[0,0,1]
	v_pk_fma_f32 v[6:7], v[6:7], s[34:35], v[8:9]
	s_add_u32 s48, s3, s48
	s_addc_u32 s49, s52, s49
	v_mov_b32_e32 v5, v6
	s_or_b32 s29, s33, 3
	global_store_dwordx2 v30, v[4:5], s[48:49]
	s_mul_hi_u32 s49, s29, s18
	s_mul_i32 s48, s29, s18
	s_waitcnt lgkmcnt(0)
	v_pk_mul_f32 v[4:5], v[2:3], s[14:15] op_sel:[1,0]
	s_lshl_b64 s[48:49], s[48:49], 3
	s_add_u32 s48, s3, s48
	v_pk_fma_f32 v[6:7], v[2:3], s[14:15], v[4:5] op_sel:[0,0,1] op_sel_hi:[1,1,0] neg_lo:[0,0,1] neg_hi:[0,0,1]
	v_pk_fma_f32 v[2:3], v[2:3], s[14:15], v[4:5] op_sel:[0,0,1] op_sel_hi:[0,1,0]
	s_addc_u32 s49, s52, s49
	v_mov_b32_e32 v7, v3
	global_store_dwordx2 v30, v[6:7], s[48:49]
	s_branch .LBB309_17
.LBB309_62:
	s_mov_b32 s33, 0
.LBB309_63:
	s_cmp_ge_i32 s33, s17
	s_cbranch_scc1 .LBB309_85
; %bb.64:
	s_waitcnt lgkmcnt(0)
	v_mbcnt_hi_u32_b32 v2, -1, v48
	v_and_b32_e32 v3, 63, v2
	v_cmp_gt_u32_e64 s[4:5], 32, v3
	s_mov_b32 s12, 0
	s_cmp_gt_i32 s19, 0
	v_cndmask_b32_e64 v4, 0, 1, s[4:5]
	v_lshlrev_b32_e32 v4, 5, v4
	v_cmp_gt_u32_e64 s[4:5], 48, v3
	v_add_lshl_u32 v17, v4, v2, 2
	s_mov_b32 s3, s12
	v_cndmask_b32_e64 v4, 0, 1, s[4:5]
	v_lshlrev_b32_e32 v4, 4, v4
	v_cmp_gt_u32_e64 s[4:5], 56, v3
	v_add_lshl_u32 v22, v4, v2, 2
	s_cselect_b64 s[30:31], -1, 0
	v_cndmask_b32_e64 v4, 0, 1, s[4:5]
	v_lshlrev_b32_e32 v4, 3, v4
	v_cmp_gt_u32_e64 s[4:5], 60, v3
	v_add_lshl_u32 v23, v4, v2, 2
	s_lshl_b64 s[2:3], s[2:3], 3
	v_cndmask_b32_e64 v4, 0, 1, s[4:5]
	v_lshlrev_b32_e32 v4, 2, v4
	v_cmp_gt_u32_e64 s[4:5], 62, v3
	v_add_lshl_u32 v24, v4, v2, 2
	v_cmp_ge_i32_e32 vcc, s16, v49
	v_cndmask_b32_e64 v4, 0, 1, s[4:5]
	v_lshlrev_b32_e32 v4, 1, v4
	v_cmp_ne_u32_e64 s[4:5], 63, v3
	v_cmp_ge_i32_e64 s[10:11], s16, v50
	v_add_lshl_u32 v25, v4, v2, 2
	v_addc_co_u32_e64 v2, s[4:5], 0, v2, s[4:5]
	s_add_u32 s16, s35, s2
	v_cmp_gt_u32_e64 s[0:1], 64, v0
	v_lshlrev_b32_e32 v16, 3, v1
	v_lshlrev_b32_e32 v26, 2, v2
	v_cmp_eq_u32_e64 s[4:5], 0, v1
	v_cmp_gt_u32_e64 s[6:7], 4, v0
	v_cmp_eq_u32_e64 s[8:9], 0, v0
	s_addc_u32 s28, s50, s3
	v_mad_i64_i32 v[0:1], s[2:3], s26, v20, 0
	v_mad_i64_i32 v[2:3], s[2:3], s26, v46, 0
	;; [unrolled: 1-line block ×4, first 2 shown]
	v_lshl_add_u64 v[0:1], v[0:1], 3, s[24:25]
	v_lshl_add_u64 v[2:3], v[2:3], 3, s[24:25]
	v_lshl_add_u64 v[4:5], v[4:5], 3, s[24:25]
	v_lshl_add_u64 v[6:7], v[6:7], 3, s[24:25]
	s_mul_i32 s13, s21, s33
	s_mul_hi_u32 s24, s20, s33
	s_add_i32 s25, s24, s13
	s_mul_i32 s24, s20, s33
	s_and_b64 s[2:3], s[30:31], s[10:11]
	s_lshl_b64 s[10:11], s[26:27], 3
	s_lshl_b64 s[24:25], s[24:25], 3
	s_add_u32 s22, s22, s24
	s_addc_u32 s23, s23, s25
	v_and_b32_e32 v27, 24, v47
	v_lshl_add_u64 v[8:9], v[20:21], 3, s[22:23]
	s_lshl_b64 s[22:23], s[20:21], 3
	v_mov_b32_e32 v10, 0
	s_branch .LBB309_66
.LBB309_65:                             ;   in Loop: Header=BB309_66 Depth=1
	s_or_b64 exec, exec, s[24:25]
	s_add_i32 s33, s33, 1
	s_cmp_lt_i32 s33, s17
	v_lshl_add_u64 v[8:9], v[8:9], 0, s[22:23]
	s_cbranch_scc0 .LBB309_85
.LBB309_66:                             ; =>This Loop Header: Depth=1
                                        ;     Child Loop BB309_78 Depth 2
                                        ;     Child Loop BB309_80 Depth 2
                                        ; implicit-def: $vgpr13
	s_and_saveexec_b64 s[24:25], vcc
	s_xor_b64 s[24:25], exec, s[24:25]
	s_cbranch_execnz .LBB309_75
; %bb.67:                               ;   in Loop: Header=BB309_66 Depth=1
	s_andn2_saveexec_b64 s[24:25], s[24:25]
	s_cbranch_execnz .LBB309_76
.LBB309_68:                             ;   in Loop: Header=BB309_66 Depth=1
	s_or_b64 exec, exec, s[24:25]
	s_and_saveexec_b64 s[24:25], s[0:1]
	s_cbranch_execz .LBB309_70
.LBB309_69:                             ;   in Loop: Header=BB309_66 Depth=1
	v_mov_b32_e32 v11, v10
	ds_write_b64 v16, v[10:11]
.LBB309_70:                             ;   in Loop: Header=BB309_66 Depth=1
	s_or_b64 exec, exec, s[24:25]
	s_waitcnt lgkmcnt(0)
	ds_bpermute_b32 v14, v17, v12
	ds_bpermute_b32 v15, v17, v13
	s_waitcnt lgkmcnt(0)
	s_barrier
	v_pk_add_f32 v[12:13], v[12:13], v[14:15]
	ds_bpermute_b32 v14, v22, v12
	ds_bpermute_b32 v15, v22, v13
	s_waitcnt lgkmcnt(0)
	v_pk_add_f32 v[12:13], v[12:13], v[14:15]
	ds_bpermute_b32 v14, v23, v12
	ds_bpermute_b32 v15, v23, v13
	s_waitcnt lgkmcnt(0)
	;; [unrolled: 4-line block ×4, first 2 shown]
	v_pk_add_f32 v[12:13], v[12:13], v[14:15]
	ds_bpermute_b32 v14, v26, v12
	ds_bpermute_b32 v15, v26, v13
	s_and_saveexec_b64 s[24:25], s[4:5]
	s_cbranch_execz .LBB309_72
; %bb.71:                               ;   in Loop: Header=BB309_66 Depth=1
	s_waitcnt lgkmcnt(0)
	v_pk_add_f32 v[12:13], v[12:13], v[14:15]
	ds_write_b64 v27, v[12:13]
.LBB309_72:                             ;   in Loop: Header=BB309_66 Depth=1
	s_or_b64 exec, exec, s[24:25]
	s_mov_b32 s13, s12
	v_mov_b64_e32 v[12:13], s[12:13]
	s_waitcnt lgkmcnt(0)
	s_barrier
	s_and_saveexec_b64 s[24:25], s[6:7]
	s_cbranch_execnz .LBB309_82
; %bb.73:                               ;   in Loop: Header=BB309_66 Depth=1
	s_or_b64 exec, exec, s[24:25]
	s_and_saveexec_b64 s[24:25], s[0:1]
	s_cbranch_execnz .LBB309_83
.LBB309_74:                             ;   in Loop: Header=BB309_66 Depth=1
	s_or_b64 exec, exec, s[24:25]
	s_and_saveexec_b64 s[24:25], s[8:9]
	s_cbranch_execz .LBB309_65
	s_branch .LBB309_84
.LBB309_75:                             ;   in Loop: Header=BB309_66 Depth=1
	s_mul_i32 s13, s33, s21
	s_mul_hi_u32 s26, s33, s20
	s_add_i32 s27, s26, s13
	s_mul_i32 s26, s33, s20
	v_lshl_add_u64 v[20:21], s[26:27], 3, v[18:19]
	flat_load_dwordx2 v[14:15], v[2:3]
	flat_load_dwordx2 v[28:29], v[4:5]
	s_waitcnt lgkmcnt(0)
	flat_load_dwordx2 v[12:13], v[0:1]
	flat_load_dwordx2 v[30:31], v[6:7]
	flat_load_dwordx4 v[32:35], v[20:21]
	flat_load_dwordx4 v[36:39], v[20:21] offset:16
	s_waitcnt vmcnt(0) lgkmcnt(0)
	scratch_store_dwordx4 off, v[12:15], off
	scratch_store_dwordx4 off, v[28:31], off offset:16
	v_mul_f32_e32 v11, v13, v33
	v_mul_f32_e32 v21, v12, v33
	;; [unrolled: 1-line block ×4, first 2 shown]
	v_pk_mul_f32 v[40:41], v[28:29], v[36:37] op_sel:[1,0]
	v_fma_f32 v20, v12, v32, -v11
	v_fmac_f32_e32 v21, v13, v32
	v_pk_mul_f32 v[42:43], v[30:31], v[38:39] op_sel:[1,0]
	v_fma_f32 v32, v14, v34, -v44
	v_fmac_f32_e32 v33, v15, v34
	v_pk_fma_f32 v[12:13], v[28:29], v[36:37], v[40:41] op_sel:[0,0,1] op_sel_hi:[1,1,0] neg_lo:[0,0,1] neg_hi:[0,0,1]
	v_pk_fma_f32 v[14:15], v[28:29], v[36:37], v[40:41] op_sel:[0,0,1] op_sel_hi:[0,1,0]
	v_pk_add_f32 v[20:21], v[20:21], 0 op_sel_hi:[1,0]
	v_pk_fma_f32 v[28:29], v[30:31], v[38:39], v[42:43] op_sel:[0,0,1] op_sel_hi:[1,1,0] neg_lo:[0,0,1] neg_hi:[0,0,1]
	v_pk_fma_f32 v[30:31], v[30:31], v[38:39], v[42:43] op_sel:[0,0,1] op_sel_hi:[0,1,0]
	v_mov_b32_e32 v13, v15
	v_pk_add_f32 v[14:15], v[20:21], v[32:33]
	v_mov_b32_e32 v29, v31
	v_pk_add_f32 v[12:13], v[14:15], v[12:13]
	s_nop 0
	v_pk_add_f32 v[12:13], v[12:13], v[28:29]
	s_andn2_saveexec_b64 s[24:25], s[24:25]
	s_cbranch_execz .LBB309_68
.LBB309_76:                             ;   in Loop: Header=BB309_66 Depth=1
	s_waitcnt lgkmcnt(0)
	v_mov_b32_e32 v13, 0
	v_mov_b32_e32 v12, v13
	s_and_saveexec_b64 s[26:27], s[2:3]
	s_cbranch_execz .LBB309_81
; %bb.77:                               ;   in Loop: Header=BB309_66 Depth=1
	v_mov_b32_e32 v11, 0
	v_mov_b64_e32 v[12:13], v[0:1]
	s_mov_b32 s13, s19
.LBB309_78:                             ;   Parent Loop BB309_66 Depth=1
                                        ; =>  This Inner Loop Header: Depth=2
	flat_load_dwordx2 v[14:15], v[12:13]
	s_add_i32 s13, s13, -1
	v_lshl_add_u64 v[12:13], v[12:13], 0, s[10:11]
	s_cmp_eq_u32 s13, 0
	s_waitcnt vmcnt(0) lgkmcnt(0)
	scratch_store_dwordx2 v11, v[14:15], off
	v_add_u32_e32 v11, 8, v11
	s_cbranch_scc0 .LBB309_78
; %bb.79:                               ;   in Loop: Header=BB309_66 Depth=1
	v_mov_b32_e32 v12, 0
	v_mov_b32_e32 v11, 0
	v_mov_b64_e32 v[14:15], v[8:9]
	s_mov_b32 s13, s19
	v_mov_b32_e32 v13, v12
.LBB309_80:                             ;   Parent Loop BB309_66 Depth=1
                                        ; =>  This Inner Loop Header: Depth=2
	flat_load_dwordx2 v[20:21], v[14:15]
	scratch_load_dwordx2 v[28:29], v11, off
	s_add_i32 s13, s13, -1
	v_add_u32_e32 v11, 8, v11
	v_lshl_add_u64 v[14:15], v[14:15], 0, 8
	s_cmp_lg_u32 s13, 0
	s_waitcnt vmcnt(0) lgkmcnt(0)
	v_pk_mul_f32 v[30:31], v[28:29], v[20:21] op_sel:[0,1]
	s_nop 0
	v_pk_fma_f32 v[32:33], v[28:29], v[20:21], v[30:31] op_sel:[0,0,1] op_sel_hi:[1,1,0] neg_lo:[0,0,1] neg_hi:[0,0,1]
	v_pk_fma_f32 v[20:21], v[28:29], v[20:21], v[30:31] op_sel:[0,0,1] op_sel_hi:[1,0,0]
	s_nop 0
	v_mov_b32_e32 v33, v21
	v_pk_add_f32 v[12:13], v[12:13], v[32:33]
	s_cbranch_scc1 .LBB309_80
.LBB309_81:                             ;   in Loop: Header=BB309_66 Depth=1
	s_or_b64 exec, exec, s[26:27]
	s_or_b64 exec, exec, s[24:25]
	s_and_saveexec_b64 s[24:25], s[0:1]
	s_cbranch_execnz .LBB309_69
	s_branch .LBB309_70
.LBB309_82:                             ;   in Loop: Header=BB309_66 Depth=1
	ds_read_b64 v[12:13], v16
	s_or_b64 exec, exec, s[24:25]
	s_and_saveexec_b64 s[24:25], s[0:1]
	s_cbranch_execz .LBB309_74
.LBB309_83:                             ;   in Loop: Header=BB309_66 Depth=1
	s_waitcnt lgkmcnt(0)
	ds_bpermute_b32 v14, v25, v12
	ds_bpermute_b32 v15, v25, v13
	s_waitcnt lgkmcnt(0)
	v_pk_add_f32 v[12:13], v[12:13], v[14:15]
	ds_bpermute_b32 v14, v26, v12
	ds_bpermute_b32 v15, v26, v13
	s_waitcnt lgkmcnt(0)
	v_pk_add_f32 v[12:13], v[12:13], v[14:15]
	s_or_b64 exec, exec, s[24:25]
	s_and_saveexec_b64 s[24:25], s[8:9]
	s_cbranch_execz .LBB309_65
.LBB309_84:                             ;   in Loop: Header=BB309_66 Depth=1
	s_mul_hi_u32 s27, s33, s18
	s_mul_i32 s26, s33, s18
	s_waitcnt lgkmcnt(0)
	v_pk_mul_f32 v[14:15], v[12:13], s[14:15] op_sel:[1,0]
	s_lshl_b64 s[26:27], s[26:27], 3
	s_add_u32 s26, s16, s26
	v_pk_fma_f32 v[20:21], v[12:13], s[14:15], v[14:15] op_sel:[0,0,1] op_sel_hi:[1,1,0] neg_lo:[0,0,1] neg_hi:[0,0,1]
	v_pk_fma_f32 v[12:13], v[12:13], s[14:15], v[14:15] op_sel:[0,0,1] op_sel_hi:[0,1,0]
	s_addc_u32 s27, s28, s27
	v_mov_b32_e32 v21, v13
	global_store_dwordx2 v10, v[20:21], s[26:27]
	s_branch .LBB309_65
.LBB309_85:
	s_endpgm
	.section	.rodata,"a",@progbits
	.p2align	6, 0x0
	.amdhsa_kernel _ZL23rocblas_gemvt_sn_kernelILb0ELi256ELi4ElPK19rocblas_complex_numIfES3_S1_EviiT4_lPKT3_lilS7_lilPT5_i
		.amdhsa_group_segment_fixed_size 512
		.amdhsa_private_segment_fixed_size 48
		.amdhsa_kernarg_size 360
		.amdhsa_user_sgpr_count 2
		.amdhsa_user_sgpr_dispatch_ptr 0
		.amdhsa_user_sgpr_queue_ptr 0
		.amdhsa_user_sgpr_kernarg_segment_ptr 1
		.amdhsa_user_sgpr_dispatch_id 0
		.amdhsa_user_sgpr_kernarg_preload_length 0
		.amdhsa_user_sgpr_kernarg_preload_offset 0
		.amdhsa_user_sgpr_private_segment_size 0
		.amdhsa_uses_dynamic_stack 0
		.amdhsa_enable_private_segment 1
		.amdhsa_system_sgpr_workgroup_id_x 1
		.amdhsa_system_sgpr_workgroup_id_y 0
		.amdhsa_system_sgpr_workgroup_id_z 1
		.amdhsa_system_sgpr_workgroup_info 0
		.amdhsa_system_vgpr_workitem_id 0
		.amdhsa_next_free_vgpr 76
		.amdhsa_next_free_sgpr 53
		.amdhsa_accum_offset 76
		.amdhsa_reserve_vcc 1
		.amdhsa_float_round_mode_32 0
		.amdhsa_float_round_mode_16_64 0
		.amdhsa_float_denorm_mode_32 3
		.amdhsa_float_denorm_mode_16_64 3
		.amdhsa_dx10_clamp 1
		.amdhsa_ieee_mode 1
		.amdhsa_fp16_overflow 0
		.amdhsa_tg_split 0
		.amdhsa_exception_fp_ieee_invalid_op 0
		.amdhsa_exception_fp_denorm_src 0
		.amdhsa_exception_fp_ieee_div_zero 0
		.amdhsa_exception_fp_ieee_overflow 0
		.amdhsa_exception_fp_ieee_underflow 0
		.amdhsa_exception_fp_ieee_inexact 0
		.amdhsa_exception_int_div_zero 0
	.end_amdhsa_kernel
	.section	.text._ZL23rocblas_gemvt_sn_kernelILb0ELi256ELi4ElPK19rocblas_complex_numIfES3_S1_EviiT4_lPKT3_lilS7_lilPT5_i,"axG",@progbits,_ZL23rocblas_gemvt_sn_kernelILb0ELi256ELi4ElPK19rocblas_complex_numIfES3_S1_EviiT4_lPKT3_lilS7_lilPT5_i,comdat
.Lfunc_end309:
	.size	_ZL23rocblas_gemvt_sn_kernelILb0ELi256ELi4ElPK19rocblas_complex_numIfES3_S1_EviiT4_lPKT3_lilS7_lilPT5_i, .Lfunc_end309-_ZL23rocblas_gemvt_sn_kernelILb0ELi256ELi4ElPK19rocblas_complex_numIfES3_S1_EviiT4_lPKT3_lilS7_lilPT5_i
                                        ; -- End function
	.section	.AMDGPU.csdata,"",@progbits
; Kernel info:
; codeLenInByte = 5424
; NumSgprs: 59
; NumVgprs: 76
; NumAgprs: 0
; TotalNumVgprs: 76
; ScratchSize: 48
; MemoryBound: 0
; FloatMode: 240
; IeeeMode: 1
; LDSByteSize: 512 bytes/workgroup (compile time only)
; SGPRBlocks: 7
; VGPRBlocks: 9
; NumSGPRsForWavesPerEU: 59
; NumVGPRsForWavesPerEU: 76
; AccumOffset: 76
; Occupancy: 6
; WaveLimiterHint : 0
; COMPUTE_PGM_RSRC2:SCRATCH_EN: 1
; COMPUTE_PGM_RSRC2:USER_SGPR: 2
; COMPUTE_PGM_RSRC2:TRAP_HANDLER: 0
; COMPUTE_PGM_RSRC2:TGID_X_EN: 1
; COMPUTE_PGM_RSRC2:TGID_Y_EN: 0
; COMPUTE_PGM_RSRC2:TGID_Z_EN: 1
; COMPUTE_PGM_RSRC2:TIDIG_COMP_CNT: 0
; COMPUTE_PGM_RSRC3_GFX90A:ACCUM_OFFSET: 18
; COMPUTE_PGM_RSRC3_GFX90A:TG_SPLIT: 0
	.section	.text._ZL23rocblas_gemvt_sn_reduceILi256ELi8E19rocblas_complex_numIfEPKS1_KPS1_EviT2_lPT3_lilPT1_i,"axG",@progbits,_ZL23rocblas_gemvt_sn_reduceILi256ELi8E19rocblas_complex_numIfEPKS1_KPS1_EviT2_lPT3_lilPT1_i,comdat
	.globl	_ZL23rocblas_gemvt_sn_reduceILi256ELi8E19rocblas_complex_numIfEPKS1_KPS1_EviT2_lPT3_lilPT1_i ; -- Begin function _ZL23rocblas_gemvt_sn_reduceILi256ELi8E19rocblas_complex_numIfEPKS1_KPS1_EviT2_lPT3_lilPT1_i
	.p2align	8
	.type	_ZL23rocblas_gemvt_sn_reduceILi256ELi8E19rocblas_complex_numIfEPKS1_KPS1_EviT2_lPT3_lilPT1_i,@function
_ZL23rocblas_gemvt_sn_reduceILi256ELi8E19rocblas_complex_numIfEPKS1_KPS1_EviT2_lPT3_lilPT1_i: ; @_ZL23rocblas_gemvt_sn_reduceILi256ELi8E19rocblas_complex_numIfEPKS1_KPS1_EviT2_lPT3_lilPT1_i
; %bb.0:
	s_load_dword s2, s[0:1], 0x0
	s_load_dwordx8 s[8:15], s[0:1], 0x8
	s_mov_b32 s5, 0
	s_lshl_b64 s[6:7], s[4:5], 3
	v_lshlrev_b32_e32 v1, 3, v0
	s_waitcnt lgkmcnt(0)
	s_ashr_i32 s16, s2, 31
	s_add_u32 s6, s12, s6
	s_addc_u32 s7, s13, s7
	s_load_dwordx2 s[12:13], s[6:7], 0x0
	s_mul_i32 s6, s4, s11
	s_mul_hi_u32 s7, s4, s10
	s_add_i32 s7, s7, s6
	s_mul_i32 s6, s4, s10
	s_lshl_b64 s[6:7], s[6:7], 3
	s_add_u32 s6, s8, s6
	s_load_dwordx2 s[10:11], s[0:1], 0x38
	s_load_dword s8, s[0:1], 0x4c
	s_addc_u32 s7, s9, s7
	s_add_u32 s18, s0, 0x48
	s_addc_u32 s19, s1, 0
	s_load_dwordx2 s[6:7], s[6:7], 0x0
	s_waitcnt lgkmcnt(0)
	s_mul_i32 s4, s8, s4
	s_add_i32 s4, s4, s3
	s_mul_i32 s8, s4, s16
	s_mul_hi_u32 s9, s4, s2
	s_add_i32 s9, s9, s8
	s_mul_i32 s8, s4, s2
	s_lshr_b32 s4, s16, 29
	s_add_i32 s4, s2, s4
	s_and_b32 s20, s4, -8
	s_mov_b32 s4, s5
	v_cmp_gt_i32_e32 vcc, s20, v1
	v_mov_b64_e32 v[2:3], s[4:5]
	s_and_saveexec_b64 s[16:17], vcc
	s_cbranch_execz .LBB310_4
; %bb.1:
	s_load_dword s4, s[18:19], 0xc
	s_lshl_b64 s[18:19], s[8:9], 3
	v_lshlrev_b32_e32 v2, 6, v0
	v_mov_b32_e32 v3, 0
	s_waitcnt lgkmcnt(0)
	s_and_b32 s4, s4, 0xffff
	s_lshl_b32 s21, s4, 3
	s_add_u32 s18, s10, s18
	s_addc_u32 s19, s11, s19
	v_lshl_add_u64 v[4:5], s[18:19], 0, v[2:3]
	s_lshl_b32 s4, s4, 6
	v_lshl_add_u64 v[4:5], v[4:5], 0, 56
	s_mov_b64 s[18:19], 0
	v_mov_b32_e32 v2, v3
.LBB310_2:                              ; =>This Inner Loop Header: Depth=1
	global_load_dwordx4 v[6:9], v[4:5], off offset:-56
	global_load_dwordx4 v[10:13], v[4:5], off offset:-40
	;; [unrolled: 1-line block ×4, first 2 shown]
	v_add_u32_e32 v1, s21, v1
	v_cmp_le_i32_e32 vcc, s20, v1
	v_lshl_add_u64 v[4:5], v[4:5], 0, s[4:5]
	s_or_b64 s[18:19], vcc, s[18:19]
	s_waitcnt vmcnt(3)
	v_pk_add_f32 v[2:3], v[2:3], v[6:7]
	s_nop 0
	v_pk_add_f32 v[2:3], v[2:3], v[8:9]
	s_waitcnt vmcnt(2)
	v_pk_add_f32 v[2:3], v[2:3], v[10:11]
	s_nop 0
	v_pk_add_f32 v[2:3], v[2:3], v[12:13]
	;; [unrolled: 4-line block ×4, first 2 shown]
	s_andn2_b64 exec, exec, s[18:19]
	s_cbranch_execnz .LBB310_2
; %bb.3:
	s_or_b64 exec, exec, s[18:19]
.LBB310_4:
	s_or_b64 exec, exec, s[16:17]
	s_sub_i32 s4, s2, s20
	v_cmp_gt_u32_e32 vcc, s4, v0
	s_and_saveexec_b64 s[4:5], vcc
	s_cbranch_execz .LBB310_6
; %bb.5:
	s_lshl_b64 s[8:9], s[8:9], 3
	s_add_u32 s8, s10, s8
	s_addc_u32 s9, s11, s9
	v_xad_u32 v4, v0, -1, s2
	v_mov_b32_e32 v5, 0
	v_lshl_add_u64 v[4:5], v[4:5], 3, s[8:9]
	global_load_dwordx2 v[4:5], v[4:5], off
	s_waitcnt vmcnt(0)
	v_pk_add_f32 v[2:3], v[2:3], v[4:5]
.LBB310_6:
	s_or_b64 exec, exec, s[4:5]
	v_and_b32_e32 v6, 63, v0
	v_cmp_gt_u32_e32 vcc, 64, v0
	v_lshlrev_b32_e32 v1, 3, v6
	s_and_saveexec_b64 s[4:5], vcc
	s_cbranch_execz .LBB310_8
; %bb.7:
	v_mov_b32_e32 v4, 0
	v_mov_b32_e32 v5, v4
	ds_write_b64 v1, v[4:5]
.LBB310_8:
	s_or_b64 exec, exec, s[4:5]
	v_mbcnt_lo_u32_b32 v4, -1, 0
	v_mbcnt_hi_u32_b32 v8, -1, v4
	v_and_b32_e32 v9, 63, v8
	v_cmp_gt_u32_e64 s[4:5], 32, v9
	s_waitcnt lgkmcnt(0)
	s_barrier
	v_cndmask_b32_e64 v4, 0, 1, s[4:5]
	v_lshlrev_b32_e32 v4, 5, v4
	v_add_lshl_u32 v5, v4, v8, 2
	ds_bpermute_b32 v4, v5, v2
	ds_bpermute_b32 v5, v5, v3
	v_cmp_gt_u32_e64 s[4:5], 48, v9
	s_waitcnt lgkmcnt(0)
	v_pk_add_f32 v[2:3], v[2:3], v[4:5]
	v_cndmask_b32_e64 v7, 0, 1, s[4:5]
	v_lshlrev_b32_e32 v7, 4, v7
	v_add_lshl_u32 v7, v7, v8, 2
	ds_bpermute_b32 v4, v7, v2
	ds_bpermute_b32 v5, v7, v3
	v_cmp_gt_u32_e64 s[4:5], 56, v9
	s_waitcnt lgkmcnt(0)
	v_pk_add_f32 v[2:3], v[2:3], v[4:5]
	;; [unrolled: 8-line block ×4, first 2 shown]
	v_cndmask_b32_e64 v7, 0, 1, s[4:5]
	v_lshlrev_b32_e32 v7, 1, v7
	v_add_lshl_u32 v7, v7, v8, 2
	ds_bpermute_b32 v4, v7, v2
	ds_bpermute_b32 v5, v7, v3
	v_cmp_ne_u32_e64 s[4:5], 63, v9
	s_waitcnt lgkmcnt(0)
	v_pk_add_f32 v[2:3], v[2:3], v[4:5]
	v_addc_co_u32_e64 v4, s[4:5], 0, v8, s[4:5]
	v_lshlrev_b32_e32 v8, 2, v4
	ds_bpermute_b32 v4, v8, v2
	ds_bpermute_b32 v5, v8, v3
	v_cmp_eq_u32_e64 s[4:5], 0, v6
	s_and_saveexec_b64 s[8:9], s[4:5]
	s_cbranch_execz .LBB310_10
; %bb.9:
	v_lshrrev_b32_e32 v6, 3, v0
	v_and_b32_e32 v6, 24, v6
	s_waitcnt lgkmcnt(0)
	v_pk_add_f32 v[2:3], v[2:3], v[4:5]
	ds_write_b64 v6, v[2:3]
.LBB310_10:
	s_or_b64 exec, exec, s[8:9]
	v_cmp_gt_u32_e64 s[4:5], 4, v0
	v_mov_b32_e32 v2, 0
	v_mov_b32_e32 v3, 0
	s_waitcnt lgkmcnt(0)
	s_barrier
	s_and_saveexec_b64 s[8:9], s[4:5]
	s_cbranch_execnz .LBB310_14
; %bb.11:
	s_or_b64 exec, exec, s[8:9]
	s_and_saveexec_b64 s[4:5], vcc
	s_cbranch_execnz .LBB310_15
.LBB310_12:
	s_or_b64 exec, exec, s[4:5]
	v_cmp_eq_u32_e32 vcc, 0, v0
	s_and_saveexec_b64 s[4:5], vcc
	s_cbranch_execnz .LBB310_16
.LBB310_13:
	s_endpgm
.LBB310_14:
	ds_read_b64 v[2:3], v1
	s_or_b64 exec, exec, s[8:9]
	s_and_saveexec_b64 s[4:5], vcc
	s_cbranch_execz .LBB310_12
.LBB310_15:
	s_waitcnt lgkmcnt(0)
	ds_bpermute_b32 v4, v7, v2
	ds_bpermute_b32 v5, v7, v3
	s_waitcnt lgkmcnt(0)
	v_pk_add_f32 v[2:3], v[2:3], v[4:5]
	ds_bpermute_b32 v4, v8, v2
	ds_bpermute_b32 v5, v8, v3
	s_waitcnt lgkmcnt(0)
	v_pk_add_f32 v[2:3], v[2:3], v[4:5]
	s_or_b64 exec, exec, s[4:5]
	v_cmp_eq_u32_e32 vcc, 0, v0
	s_and_saveexec_b64 s[4:5], vcc
	s_cbranch_execz .LBB310_13
.LBB310_16:
	s_load_dword s5, s[0:1], 0x28
	s_lshl_b64 s[0:1], s[14:15], 3
	v_cmp_neq_f32_e64 s[8:9], s6, 0
	v_cmp_neq_f32_e64 s[10:11], s7, 0
	s_waitcnt lgkmcnt(0)
	s_ashr_i32 s14, s5, 31
	s_add_u32 s2, s12, s0
	s_mul_hi_u32 s15, s5, s3
	s_addc_u32 s4, s13, s1
	s_mul_i32 s14, s14, s3
	s_or_b64 s[8:9], s[8:9], s[10:11]
	s_add_i32 s1, s15, s14
	s_andn2_b64 vcc, exec, s[8:9]
	s_mul_i32 s0, s5, s3
	s_cbranch_vccnz .LBB310_18
; %bb.17:
	s_lshl_b64 s[8:9], s[0:1], 3
	s_add_u32 s8, s2, s8
	s_addc_u32 s9, s4, s9
	s_load_dwordx2 s[8:9], s[8:9], 0x0
	s_waitcnt lgkmcnt(0)
	v_mov_b64_e32 v[0:1], s[8:9]
	v_pk_mul_f32 v[4:5], s[6:7], v[0:1] op_sel:[0,1]
	s_nop 0
	v_pk_fma_f32 v[6:7], s[6:7], v[0:1], v[4:5] op_sel:[0,0,1] op_sel_hi:[1,1,0] neg_lo:[0,0,1] neg_hi:[0,0,1]
	v_pk_fma_f32 v[0:1], s[6:7], v[0:1], v[4:5] op_sel:[0,0,1] op_sel_hi:[1,0,0]
	s_nop 0
	v_mov_b32_e32 v7, v1
	v_pk_add_f32 v[2:3], v[6:7], v[2:3]
.LBB310_18:
	s_lshl_b64 s[0:1], s[0:1], 3
	s_add_u32 s0, s2, s0
	s_addc_u32 s1, s4, s1
	v_mov_b32_e32 v0, 0
	global_store_dwordx2 v0, v[2:3], s[0:1]
	s_endpgm
	.section	.rodata,"a",@progbits
	.p2align	6, 0x0
	.amdhsa_kernel _ZL23rocblas_gemvt_sn_reduceILi256ELi8E19rocblas_complex_numIfEPKS1_KPS1_EviT2_lPT3_lilPT1_i
		.amdhsa_group_segment_fixed_size 512
		.amdhsa_private_segment_fixed_size 0
		.amdhsa_kernarg_size 328
		.amdhsa_user_sgpr_count 2
		.amdhsa_user_sgpr_dispatch_ptr 0
		.amdhsa_user_sgpr_queue_ptr 0
		.amdhsa_user_sgpr_kernarg_segment_ptr 1
		.amdhsa_user_sgpr_dispatch_id 0
		.amdhsa_user_sgpr_kernarg_preload_length 0
		.amdhsa_user_sgpr_kernarg_preload_offset 0
		.amdhsa_user_sgpr_private_segment_size 0
		.amdhsa_uses_dynamic_stack 0
		.amdhsa_enable_private_segment 0
		.amdhsa_system_sgpr_workgroup_id_x 1
		.amdhsa_system_sgpr_workgroup_id_y 1
		.amdhsa_system_sgpr_workgroup_id_z 1
		.amdhsa_system_sgpr_workgroup_info 0
		.amdhsa_system_vgpr_workitem_id 0
		.amdhsa_next_free_vgpr 22
		.amdhsa_next_free_sgpr 22
		.amdhsa_accum_offset 24
		.amdhsa_reserve_vcc 1
		.amdhsa_float_round_mode_32 0
		.amdhsa_float_round_mode_16_64 0
		.amdhsa_float_denorm_mode_32 3
		.amdhsa_float_denorm_mode_16_64 3
		.amdhsa_dx10_clamp 1
		.amdhsa_ieee_mode 1
		.amdhsa_fp16_overflow 0
		.amdhsa_tg_split 0
		.amdhsa_exception_fp_ieee_invalid_op 0
		.amdhsa_exception_fp_denorm_src 0
		.amdhsa_exception_fp_ieee_div_zero 0
		.amdhsa_exception_fp_ieee_overflow 0
		.amdhsa_exception_fp_ieee_underflow 0
		.amdhsa_exception_fp_ieee_inexact 0
		.amdhsa_exception_int_div_zero 0
	.end_amdhsa_kernel
	.section	.text._ZL23rocblas_gemvt_sn_reduceILi256ELi8E19rocblas_complex_numIfEPKS1_KPS1_EviT2_lPT3_lilPT1_i,"axG",@progbits,_ZL23rocblas_gemvt_sn_reduceILi256ELi8E19rocblas_complex_numIfEPKS1_KPS1_EviT2_lPT3_lilPT1_i,comdat
.Lfunc_end310:
	.size	_ZL23rocblas_gemvt_sn_reduceILi256ELi8E19rocblas_complex_numIfEPKS1_KPS1_EviT2_lPT3_lilPT1_i, .Lfunc_end310-_ZL23rocblas_gemvt_sn_reduceILi256ELi8E19rocblas_complex_numIfEPKS1_KPS1_EviT2_lPT3_lilPT1_i
                                        ; -- End function
	.section	.AMDGPU.csdata,"",@progbits
; Kernel info:
; codeLenInByte = 1248
; NumSgprs: 28
; NumVgprs: 22
; NumAgprs: 0
; TotalNumVgprs: 22
; ScratchSize: 0
; MemoryBound: 0
; FloatMode: 240
; IeeeMode: 1
; LDSByteSize: 512 bytes/workgroup (compile time only)
; SGPRBlocks: 3
; VGPRBlocks: 2
; NumSGPRsForWavesPerEU: 28
; NumVGPRsForWavesPerEU: 22
; AccumOffset: 24
; Occupancy: 8
; WaveLimiterHint : 1
; COMPUTE_PGM_RSRC2:SCRATCH_EN: 0
; COMPUTE_PGM_RSRC2:USER_SGPR: 2
; COMPUTE_PGM_RSRC2:TRAP_HANDLER: 0
; COMPUTE_PGM_RSRC2:TGID_X_EN: 1
; COMPUTE_PGM_RSRC2:TGID_Y_EN: 1
; COMPUTE_PGM_RSRC2:TGID_Z_EN: 1
; COMPUTE_PGM_RSRC2:TIDIG_COMP_CNT: 0
; COMPUTE_PGM_RSRC3_GFX90A:ACCUM_OFFSET: 5
; COMPUTE_PGM_RSRC3_GFX90A:TG_SPLIT: 0
	.section	.text._ZL23rocblas_gemvt_sn_kernelILb0ELi256ELi4EiPK19rocblas_complex_numIfES1_S1_EviiT4_lPKT3_lilS7_lilPT5_i,"axG",@progbits,_ZL23rocblas_gemvt_sn_kernelILb0ELi256ELi4EiPK19rocblas_complex_numIfES1_S1_EviiT4_lPKT3_lilS7_lilPT5_i,comdat
	.globl	_ZL23rocblas_gemvt_sn_kernelILb0ELi256ELi4EiPK19rocblas_complex_numIfES1_S1_EviiT4_lPKT3_lilS7_lilPT5_i ; -- Begin function _ZL23rocblas_gemvt_sn_kernelILb0ELi256ELi4EiPK19rocblas_complex_numIfES1_S1_EviiT4_lPKT3_lilS7_lilPT5_i
	.p2align	8
	.type	_ZL23rocblas_gemvt_sn_kernelILb0ELi256ELi4EiPK19rocblas_complex_numIfES1_S1_EviiT4_lPKT3_lilS7_lilPT5_i,@function
_ZL23rocblas_gemvt_sn_kernelILb0ELi256ELi4EiPK19rocblas_complex_numIfES1_S1_EviiT4_lPKT3_lilS7_lilPT5_i: ; @_ZL23rocblas_gemvt_sn_kernelILb0ELi256ELi4EiPK19rocblas_complex_numIfES1_S1_EviiT4_lPKT3_lilS7_lilPT5_i
; %bb.0:
	s_load_dwordx4 s[16:19], s[0:1], 0x0
	s_mov_b32 s4, s3
	s_mov_b32 s5, 0
	s_waitcnt lgkmcnt(0)
	s_or_b32 s3, s18, s19
	s_bitset0_b32 s3, 31
	s_cmp_lg_u32 s3, 0
	s_cselect_b64 s[8:9], -1, 0
	s_cmp_eq_u32 s3, 0
	s_cselect_b64 s[12:13], -1, 0
	s_and_b64 vcc, exec, s[8:9]
	s_cbranch_vccnz .LBB311_2
; %bb.1:
	s_mov_b64 s[6:7], 0
	s_cbranch_execz .LBB311_3
	s_branch .LBB311_4
.LBB311_2:
                                        ; implicit-def: $sgpr6_sgpr7
.LBB311_3:
	s_load_dwordx4 s[20:23], s[0:1], 0x18
	s_lshl_b64 s[6:7], s[4:5], 3
	s_waitcnt lgkmcnt(0)
	s_add_u32 s6, s20, s6
	s_addc_u32 s7, s21, s7
	s_load_dwordx2 s[6:7], s[6:7], 0x0
	s_lshl_b64 s[10:11], s[22:23], 3
	s_waitcnt lgkmcnt(0)
	s_add_u32 s6, s6, s10
	s_addc_u32 s7, s7, s11
.LBB311_4:
	s_andn2_b64 vcc, exec, s[8:9]
	s_mov_b64 s[14:15], 0
	s_cbranch_vccnz .LBB311_6
; %bb.5:
	s_load_dwordx4 s[8:11], s[0:1], 0x38
	s_lshl_b64 s[14:15], s[4:5], 3
	s_waitcnt lgkmcnt(0)
	s_add_u32 s8, s8, s14
	s_addc_u32 s9, s9, s15
	s_load_dwordx2 s[8:9], s[8:9], 0x0
	s_lshl_b64 s[10:11], s[10:11], 3
	s_waitcnt lgkmcnt(0)
	s_add_u32 s14, s8, s10
	s_addc_u32 s15, s9, s11
.LBB311_6:
	s_load_dwordx2 s[8:9], s[0:1], 0x58
	s_load_dword s20, s[0:1], 0x68
	s_ashr_i32 s26, s17, 31
	s_mul_hi_u32 s3, s4, s17
	s_mul_i32 s10, s4, s26
	s_add_i32 s3, s3, s10
	s_mul_i32 s5, s5, s17
	s_add_i32 s11, s3, s5
	s_mul_i32 s10, s4, s17
	s_waitcnt lgkmcnt(0)
	s_mul_i32 s3, s11, s20
	s_mul_hi_u32 s4, s10, s20
	s_add_i32 s5, s4, s3
	s_mul_i32 s4, s10, s20
	s_lshl_b64 s[4:5], s[4:5], 3
	s_add_u32 s43, s8, s4
	s_mov_b32 s21, 0
	s_addc_u32 s44, s9, s5
	s_mov_b64 s[22:23], -1
	s_andn2_b64 vcc, exec, s[12:13]
	v_cmp_eq_u32_e64 s[4:5], 0, v0
	s_cbranch_vccnz .LBB311_16
; %bb.7:
	s_cmp_gt_i32 s17, 0
	s_cselect_b64 s[12:13], -1, 0
	s_and_b64 s[12:13], s[4:5], s[12:13]
	s_and_saveexec_b64 s[4:5], s[12:13]
	s_cbranch_execz .LBB311_15
; %bb.8:
	s_cmp_gt_u32 s17, 3
	s_cselect_b64 s[12:13], -1, 0
	s_cmp_eq_u32 s20, 1
	s_cselect_b64 s[28:29], -1, 0
	s_mov_b32 s3, 0
	s_and_b64 s[12:13], s[12:13], s[28:29]
	s_mov_b32 s22, 1
	s_mov_b64 s[24:25], -1
	s_andn2_b64 vcc, exec, s[12:13]
	s_mov_b32 s12, s3
	s_cbranch_vccnz .LBB311_12
; %bb.9:
	s_lshl_b64 s[24:25], s[2:3], 3
	s_add_u32 s13, s43, s24
	s_addc_u32 s27, s44, s25
	s_mov_b32 s25, 0
	s_and_b32 s12, s17, 0x7ffffffc
	s_mov_b32 s24, s25
	v_mov_b32_e32 v1, 0
	v_mov_b64_e32 v[2:3], s[24:25]
	s_mov_b32 s28, s12
.LBB311_10:                             ; =>This Inner Loop Header: Depth=1
	s_add_i32 s30, s22, 2
	s_add_i32 s34, s24, 2
	s_lshl_b64 s[36:37], s[24:25], 3
	s_mov_b32 s23, s25
	s_add_u32 s36, s13, s36
	s_addc_u32 s37, s27, s37
	s_lshl_b64 s[38:39], s[22:23], 3
	s_mov_b32 s35, s25
	s_add_u32 s38, s13, s38
	s_addc_u32 s39, s27, s39
	;; [unrolled: 4-line block ×3, first 2 shown]
	s_lshl_b64 s[30:31], s[30:31], 3
	s_add_u32 s30, s13, s30
	s_addc_u32 s31, s27, s31
	s_add_i32 s24, s24, 4
	s_add_i32 s22, s22, 4
	s_add_i32 s28, s28, -4
	s_cmp_lg_u32 s28, 0
	global_store_dwordx2 v1, v[2:3], s[36:37]
	global_store_dwordx2 v1, v[2:3], s[38:39]
	;; [unrolled: 1-line block ×4, first 2 shown]
	s_cbranch_scc1 .LBB311_10
; %bb.11:
	s_cmp_lg_u32 s12, s17
	s_cselect_b64 s[24:25], -1, 0
.LBB311_12:
	s_and_b64 vcc, exec, s[24:25]
	s_cbranch_vccz .LBB311_15
; %bb.13:
	s_mov_b32 s13, 0
	s_sub_i32 s22, s17, s12
	s_lshl_b64 s[10:11], s[10:11], 3
	s_lshl_b64 s[12:13], s[12:13], 3
	s_add_u32 s10, s10, s12
	s_addc_u32 s11, s11, s13
	s_mul_i32 s11, s11, s20
	s_mul_hi_u32 s12, s10, s20
	s_add_i32 s12, s12, s11
	s_mul_i32 s13, s10, s20
	s_lshl_b64 s[10:11], s[2:3], 3
	s_add_u32 s3, s13, s10
	s_addc_u32 s10, s12, s11
	s_add_u32 s8, s8, s3
	v_mov_b32_e32 v2, 0
	s_addc_u32 s9, s9, s10
	s_lshl_b64 s[10:11], s[20:21], 3
	v_mov_b32_e32 v3, v2
.LBB311_14:                             ; =>This Inner Loop Header: Depth=1
	s_add_i32 s22, s22, -1
	global_store_dwordx2 v2, v[2:3], s[8:9]
	s_add_u32 s8, s8, s10
	s_addc_u32 s9, s9, s11
	s_cmp_eq_u32 s22, 0
	s_cbranch_scc0 .LBB311_14
.LBB311_15:
	s_or_b64 exec, exec, s[4:5]
	s_mov_b64 s[22:23], 0
.LBB311_16:
	s_andn2_b64 vcc, exec, s[22:23]
	s_cbranch_vccnz .LBB311_87
; %bb.17:
	s_load_dword s21, s[0:1], 0x28
	s_load_dword s27, s[0:1], 0x48
	s_lshl_b32 s0, s2, 10
	v_lshl_or_b32 v2, v0, 2, s0
	s_lshr_b32 s0, s26, 30
	s_add_i32 s0, s17, s0
	s_and_b32 s3, s0, -4
	s_ashr_i32 s0, s16, 31
	s_lshr_b32 s0, s0, 30
	s_add_i32 s0, s16, s0
	s_and_b32 s0, s0, -4
	v_ashrrev_i32_e32 v3, 31, v2
	s_sub_i32 s33, s16, s0
	v_lshl_add_u64 v[6:7], v[2:3], 3, s[6:7]
	s_cmp_lt_i32 s3, 1
	v_add_u32_e32 v59, 4, v2
	v_add_u32_e32 v60, s33, v2
	v_and_b32_e32 v1, 63, v0
	v_cmp_gt_u32_e64 s[0:1], 64, v0
	v_mbcnt_lo_u32_b32 v58, -1, 0
	v_cmp_gt_u32_e64 s[4:5], 4, v0
	v_lshrrev_b32_e32 v9, 3, v0
	s_waitcnt lgkmcnt(0)
	v_mul_lo_u32 v8, v2, s27
	s_cbranch_scc1 .LBB311_64
; %bb.18:
	v_mbcnt_hi_u32_b32 v3, -1, v58
	v_and_b32_e32 v4, 63, v3
	v_cmp_gt_u32_e32 vcc, 32, v4
	v_mul_lo_u32 v10, v2, s27
	v_add_u32_e32 v2, s27, v10
	v_cndmask_b32_e64 v5, 0, 1, vcc
	v_lshlrev_b32_e32 v5, 5, v5
	v_cmp_gt_u32_e32 vcc, 48, v4
	v_add_lshl_u32 v61, v5, v3, 2
	s_cmp_gt_i32 s33, 0
	v_cndmask_b32_e64 v5, 0, 1, vcc
	v_lshlrev_b32_e32 v5, 4, v5
	v_cmp_gt_u32_e32 vcc, 56, v4
	v_add_lshl_u32 v62, v5, v3, 2
	v_ashrrev_i32_e32 v11, 31, v10
	v_cndmask_b32_e64 v5, 0, 1, vcc
	v_lshlrev_b32_e32 v5, 3, v5
	v_cmp_gt_u32_e32 vcc, 60, v4
	v_add_lshl_u32 v63, v5, v3, 2
	v_cmp_ge_i32_e64 s[6:7], s16, v59
	v_cndmask_b32_e64 v5, 0, 1, vcc
	v_lshlrev_b32_e32 v5, 2, v5
	v_cmp_gt_u32_e32 vcc, 62, v4
	v_add_lshl_u32 v64, v5, v3, 2
	v_cmp_ge_i32_e64 s[8:9], s16, v60
	v_cndmask_b32_e64 v5, 0, 1, vcc
	v_lshlrev_b32_e32 v5, 1, v5
	v_cmp_ne_u32_e32 vcc, 63, v4
	v_add_lshl_u32 v65, v5, v3, 2
	s_mov_b32 s22, 0
	v_addc_co_u32_e32 v3, vcc, 0, v3, vcc
	v_lshlrev_b32_e32 v66, 2, v3
	v_ashrrev_i32_e32 v3, 31, v2
	v_lshl_add_u64 v[14:15], v[2:3], 3, s[14:15]
	v_add_u32_e32 v2, s27, v2
	v_ashrrev_i32_e32 v3, 31, v2
	v_lshl_add_u64 v[16:17], v[2:3], 3, s[14:15]
	v_add_u32_e32 v2, s27, v2
	v_ashrrev_i32_e32 v3, 31, v2
	s_cselect_b64 s[24:25], -1, 0
	v_cmp_eq_u32_e64 s[10:11], 0, v1
	v_lshlrev_b32_e32 v67, 3, v1
	v_and_b32_e32 v68, 24, v9
	v_cmp_eq_u32_e64 s[12:13], 0, v0
	v_lshl_add_u64 v[12:13], v[10:11], 3, s[14:15]
	v_lshl_add_u64 v[18:19], v[2:3], 3, s[14:15]
	s_mov_b32 s26, s19
	s_lshl_b32 s45, s21, 2
	s_lshl_b32 s46, s21, 1
	s_mul_i32 s47, s21, 3
	v_mov_b32_e32 v20, 0
	s_mov_b32 s28, 0
	s_mov_b32 s48, s21
	;; [unrolled: 1-line block ×3, first 2 shown]
	s_branch .LBB311_20
.LBB311_19:                             ;   in Loop: Header=BB311_20 Depth=1
	s_or_b64 exec, exec, s[30:31]
	s_add_i32 s42, s42, 4
	s_add_i32 s48, s48, s45
	;; [unrolled: 1-line block ×5, first 2 shown]
	s_cmp_ge_i32 s42, s3
	s_cbranch_scc1 .LBB311_65
.LBB311_20:                             ; =>This Loop Header: Depth=1
                                        ;     Child Loop BB311_51 Depth 2
                                        ;     Child Loop BB311_53 Depth 2
                                        ; implicit-def: $vgpr25
                                        ; implicit-def: $vgpr23
                                        ; implicit-def: $vgpr5
                                        ; implicit-def: $vgpr3
	s_and_saveexec_b64 s[30:31], s[6:7]
	s_xor_b64 s[30:31], exec, s[30:31]
	s_cbranch_execnz .LBB311_47
; %bb.21:                               ;   in Loop: Header=BB311_20 Depth=1
	s_andn2_saveexec_b64 s[30:31], s[30:31]
	s_cbranch_execnz .LBB311_48
.LBB311_22:                             ;   in Loop: Header=BB311_20 Depth=1
	s_or_b64 exec, exec, s[30:31]
	s_and_saveexec_b64 s[30:31], s[0:1]
	s_cbranch_execz .LBB311_24
.LBB311_23:                             ;   in Loop: Header=BB311_20 Depth=1
	v_mov_b32_e32 v21, v20
	ds_write_b64 v67, v[20:21]
.LBB311_24:                             ;   in Loop: Header=BB311_20 Depth=1
	s_or_b64 exec, exec, s[30:31]
	ds_bpermute_b32 v26, v61, v24
	ds_bpermute_b32 v27, v61, v25
	s_waitcnt lgkmcnt(0)
	s_barrier
	v_pk_add_f32 v[24:25], v[24:25], v[26:27]
	ds_bpermute_b32 v26, v62, v24
	ds_bpermute_b32 v27, v62, v25
	s_waitcnt lgkmcnt(0)
	v_pk_add_f32 v[24:25], v[24:25], v[26:27]
	ds_bpermute_b32 v26, v63, v24
	ds_bpermute_b32 v27, v63, v25
	s_waitcnt lgkmcnt(0)
	;; [unrolled: 4-line block ×4, first 2 shown]
	v_pk_add_f32 v[24:25], v[24:25], v[26:27]
	ds_bpermute_b32 v26, v66, v24
	ds_bpermute_b32 v27, v66, v25
	s_and_saveexec_b64 s[30:31], s[10:11]
	s_cbranch_execz .LBB311_26
; %bb.25:                               ;   in Loop: Header=BB311_20 Depth=1
	s_waitcnt lgkmcnt(0)
	v_pk_add_f32 v[24:25], v[24:25], v[26:27]
	ds_write_b64 v68, v[24:25]
.LBB311_26:                             ;   in Loop: Header=BB311_20 Depth=1
	s_or_b64 exec, exec, s[30:31]
	s_mov_b32 s23, s22
	v_mov_b64_e32 v[24:25], s[22:23]
	s_waitcnt lgkmcnt(0)
	s_barrier
	s_and_saveexec_b64 s[30:31], s[4:5]
	s_cbranch_execnz .LBB311_55
; %bb.27:                               ;   in Loop: Header=BB311_20 Depth=1
	s_or_b64 exec, exec, s[30:31]
	s_and_saveexec_b64 s[30:31], s[0:1]
	s_cbranch_execnz .LBB311_56
.LBB311_28:                             ;   in Loop: Header=BB311_20 Depth=1
	s_or_b64 exec, exec, s[30:31]
	s_and_saveexec_b64 s[30:31], s[0:1]
	s_cbranch_execz .LBB311_30
.LBB311_29:                             ;   in Loop: Header=BB311_20 Depth=1
	v_mov_b32_e32 v21, v20
	ds_write_b64 v67, v[20:21]
.LBB311_30:                             ;   in Loop: Header=BB311_20 Depth=1
	s_or_b64 exec, exec, s[30:31]
	ds_bpermute_b32 v26, v61, v22
	ds_bpermute_b32 v27, v61, v23
	s_waitcnt lgkmcnt(0)
	s_barrier
	v_pk_add_f32 v[22:23], v[22:23], v[26:27]
	ds_bpermute_b32 v26, v62, v22
	ds_bpermute_b32 v27, v62, v23
	s_waitcnt lgkmcnt(0)
	v_pk_add_f32 v[22:23], v[22:23], v[26:27]
	ds_bpermute_b32 v26, v63, v22
	ds_bpermute_b32 v27, v63, v23
	s_waitcnt lgkmcnt(0)
	;; [unrolled: 4-line block ×4, first 2 shown]
	v_pk_add_f32 v[22:23], v[22:23], v[26:27]
	ds_bpermute_b32 v26, v66, v22
	ds_bpermute_b32 v27, v66, v23
	s_and_saveexec_b64 s[30:31], s[10:11]
	s_cbranch_execz .LBB311_32
; %bb.31:                               ;   in Loop: Header=BB311_20 Depth=1
	s_waitcnt lgkmcnt(0)
	v_pk_add_f32 v[22:23], v[22:23], v[26:27]
	ds_write_b64 v68, v[22:23]
.LBB311_32:                             ;   in Loop: Header=BB311_20 Depth=1
	s_or_b64 exec, exec, s[30:31]
	s_mov_b32 s23, s22
	v_mov_b64_e32 v[22:23], s[22:23]
	s_waitcnt lgkmcnt(0)
	s_barrier
	s_and_saveexec_b64 s[30:31], s[4:5]
	s_cbranch_execnz .LBB311_57
; %bb.33:                               ;   in Loop: Header=BB311_20 Depth=1
	s_or_b64 exec, exec, s[30:31]
	s_and_saveexec_b64 s[30:31], s[0:1]
	s_cbranch_execnz .LBB311_58
.LBB311_34:                             ;   in Loop: Header=BB311_20 Depth=1
	s_or_b64 exec, exec, s[30:31]
	s_and_saveexec_b64 s[30:31], s[0:1]
	s_cbranch_execz .LBB311_36
.LBB311_35:                             ;   in Loop: Header=BB311_20 Depth=1
	v_mov_b32_e32 v21, v20
	ds_write_b64 v67, v[20:21]
.LBB311_36:                             ;   in Loop: Header=BB311_20 Depth=1
	s_or_b64 exec, exec, s[30:31]
	ds_bpermute_b32 v26, v61, v4
	ds_bpermute_b32 v27, v61, v5
	s_waitcnt lgkmcnt(0)
	s_barrier
	v_pk_add_f32 v[4:5], v[4:5], v[26:27]
	ds_bpermute_b32 v26, v62, v4
	ds_bpermute_b32 v27, v62, v5
	s_waitcnt lgkmcnt(0)
	v_pk_add_f32 v[4:5], v[4:5], v[26:27]
	ds_bpermute_b32 v26, v63, v4
	ds_bpermute_b32 v27, v63, v5
	s_waitcnt lgkmcnt(0)
	;; [unrolled: 4-line block ×4, first 2 shown]
	v_pk_add_f32 v[4:5], v[4:5], v[26:27]
	ds_bpermute_b32 v26, v66, v4
	ds_bpermute_b32 v27, v66, v5
	s_and_saveexec_b64 s[30:31], s[10:11]
	s_cbranch_execz .LBB311_38
; %bb.37:                               ;   in Loop: Header=BB311_20 Depth=1
	s_waitcnt lgkmcnt(0)
	v_pk_add_f32 v[4:5], v[4:5], v[26:27]
	ds_write_b64 v68, v[4:5]
.LBB311_38:                             ;   in Loop: Header=BB311_20 Depth=1
	s_or_b64 exec, exec, s[30:31]
	s_mov_b32 s23, s22
	v_mov_b64_e32 v[4:5], s[22:23]
	s_waitcnt lgkmcnt(0)
	s_barrier
	s_and_saveexec_b64 s[30:31], s[4:5]
	s_cbranch_execnz .LBB311_59
; %bb.39:                               ;   in Loop: Header=BB311_20 Depth=1
	s_or_b64 exec, exec, s[30:31]
	s_and_saveexec_b64 s[30:31], s[0:1]
	s_cbranch_execnz .LBB311_60
.LBB311_40:                             ;   in Loop: Header=BB311_20 Depth=1
	s_or_b64 exec, exec, s[30:31]
	s_and_saveexec_b64 s[30:31], s[0:1]
	s_cbranch_execz .LBB311_42
.LBB311_41:                             ;   in Loop: Header=BB311_20 Depth=1
	v_mov_b32_e32 v21, v20
	ds_write_b64 v67, v[20:21]
.LBB311_42:                             ;   in Loop: Header=BB311_20 Depth=1
	s_or_b64 exec, exec, s[30:31]
	ds_bpermute_b32 v26, v61, v2
	ds_bpermute_b32 v27, v61, v3
	s_waitcnt lgkmcnt(0)
	s_barrier
	v_pk_add_f32 v[2:3], v[2:3], v[26:27]
	ds_bpermute_b32 v26, v62, v2
	ds_bpermute_b32 v27, v62, v3
	s_waitcnt lgkmcnt(0)
	v_pk_add_f32 v[2:3], v[2:3], v[26:27]
	ds_bpermute_b32 v26, v63, v2
	ds_bpermute_b32 v27, v63, v3
	s_waitcnt lgkmcnt(0)
	;; [unrolled: 4-line block ×4, first 2 shown]
	v_pk_add_f32 v[2:3], v[2:3], v[26:27]
	ds_bpermute_b32 v26, v66, v2
	ds_bpermute_b32 v27, v66, v3
	s_and_saveexec_b64 s[30:31], s[10:11]
	s_cbranch_execz .LBB311_44
; %bb.43:                               ;   in Loop: Header=BB311_20 Depth=1
	s_waitcnt lgkmcnt(0)
	v_pk_add_f32 v[2:3], v[2:3], v[26:27]
	ds_write_b64 v68, v[2:3]
.LBB311_44:                             ;   in Loop: Header=BB311_20 Depth=1
	s_or_b64 exec, exec, s[30:31]
	s_mov_b32 s23, s22
	v_mov_b64_e32 v[2:3], s[22:23]
	s_waitcnt lgkmcnt(0)
	s_barrier
	s_and_saveexec_b64 s[30:31], s[4:5]
	s_cbranch_execnz .LBB311_61
; %bb.45:                               ;   in Loop: Header=BB311_20 Depth=1
	s_or_b64 exec, exec, s[30:31]
	s_and_saveexec_b64 s[30:31], s[0:1]
	s_cbranch_execnz .LBB311_62
.LBB311_46:                             ;   in Loop: Header=BB311_20 Depth=1
	s_or_b64 exec, exec, s[30:31]
	s_and_saveexec_b64 s[30:31], s[12:13]
	s_cbranch_execz .LBB311_19
	s_branch .LBB311_63
.LBB311_47:                             ;   in Loop: Header=BB311_20 Depth=1
	flat_load_dwordx2 v[34:35], v[12:13]
	flat_load_dwordx2 v[36:37], v[14:15]
	s_waitcnt lgkmcnt(0)
	flat_load_dwordx2 v[2:3], v[16:17]
	flat_load_dwordx2 v[4:5], v[18:19]
	s_mul_i32 s34, s42, s21
	s_ashr_i32 s35, s34, 31
	s_add_i32 s36, s34, s21
	v_lshl_add_u64 v[22:23], s[34:35], 3, v[6:7]
	s_ashr_i32 s37, s36, 31
	s_add_i32 s34, s36, s21
	v_lshl_add_u64 v[24:25], s[36:37], 3, v[6:7]
	s_ashr_i32 s35, s34, 31
	v_lshl_add_u64 v[56:57], s[34:35], 3, v[6:7]
	s_add_i32 s34, s34, s21
	s_ashr_i32 s35, s34, 31
	v_lshl_add_u64 v[54:55], s[34:35], 3, v[6:7]
	s_waitcnt vmcnt(0) lgkmcnt(0)
	scratch_store_dwordx4 off, v[34:37], off
	scratch_store_dwordx4 off, v[2:5], off offset:16
	flat_load_dwordx4 v[26:29], v[22:23]
	flat_load_dwordx4 v[30:33], v[24:25]
	flat_load_dwordx4 v[38:41], v[56:57]
	flat_load_dwordx4 v[44:47], v[54:55]
	flat_load_dwordx4 v[50:53], v[22:23] offset:16
	flat_load_dwordx4 v[70:73], v[24:25] offset:16
	s_waitcnt vmcnt(0) lgkmcnt(0)
	v_mul_f32_e32 v11, v35, v27
	v_mul_f32_e32 v25, v34, v27
	;; [unrolled: 1-line block ×6, first 2 shown]
	v_fma_f32 v24, v34, v26, -v11
	v_fma_f32 v22, v36, v28, -v22
	v_fmac_f32_e32 v25, v35, v26
	v_fmac_f32_e32 v23, v37, v28
	v_mul_f32_e32 v11, v35, v39
	v_mul_f32_e32 v31, v34, v39
	;; [unrolled: 1-line block ×3, first 2 shown]
	v_fma_f32 v26, v34, v30, -v21
	v_mul_f32_e32 v29, v36, v33
	v_mul_f32_e32 v21, v35, v45
	v_fma_f32 v28, v36, v32, -v28
	v_fmac_f32_e32 v27, v35, v30
	v_fmac_f32_e32 v29, v37, v32
	v_mul_f32_e32 v43, v34, v45
	v_mul_f32_e32 v32, v37, v41
	v_fma_f32 v30, v34, v38, -v11
	v_mul_f32_e32 v33, v36, v41
	v_fmac_f32_e32 v31, v35, v38
	v_mul_f32_e32 v11, v37, v47
	v_mul_f32_e32 v45, v36, v47
	v_fma_f32 v42, v34, v44, -v21
	v_pk_mul_f32 v[38:39], v[2:3], v[50:51] op_sel:[1,1] op_sel_hi:[0,1]
	v_mov_b32_e32 v34, v53
	v_fma_f32 v32, v36, v40, -v32
	v_fmac_f32_e32 v33, v37, v40
	v_fmac_f32_e32 v43, v35, v44
	v_fma_f32 v44, v36, v46, -v11
	v_fmac_f32_e32 v45, v37, v46
	v_pk_fma_f32 v[36:37], v[2:3], v[50:51], v[38:39] neg_lo:[0,0,1] neg_hi:[0,0,1]
	v_pk_fma_f32 v[50:51], v[2:3], v[50:51], v[38:39] op_sel_hi:[1,0,1]
	v_pk_mul_f32 v[38:39], v[4:5], v[34:35] op_sel_hi:[1,0]
	v_pk_mul_f32 v[48:49], v[2:3], v[70:71] op_sel:[1,1] op_sel_hi:[0,1]
	v_pk_fma_f32 v[34:35], v[4:5], v[52:53], v[38:39] op_sel:[0,0,1] op_sel_hi:[1,1,0] neg_lo:[0,0,1] neg_hi:[0,0,1]
	v_pk_fma_f32 v[46:47], v[4:5], v[52:53], v[38:39] op_sel:[0,0,1] op_sel_hi:[1,0,0]
	v_mov_b32_e32 v38, v73
	v_pk_fma_f32 v[40:41], v[2:3], v[70:71], v[48:49] neg_lo:[0,0,1] neg_hi:[0,0,1]
	v_pk_fma_f32 v[52:53], v[2:3], v[70:71], v[48:49] op_sel_hi:[1,0,1]
	v_pk_mul_f32 v[48:49], v[4:5], v[38:39] op_sel_hi:[1,0]
	v_pk_add_f32 v[24:25], v[24:25], 0 op_sel_hi:[1,0]
	v_pk_fma_f32 v[38:39], v[4:5], v[72:73], v[48:49] op_sel:[0,0,1] op_sel_hi:[1,1,0] neg_lo:[0,0,1] neg_hi:[0,0,1]
	v_pk_fma_f32 v[48:49], v[4:5], v[72:73], v[48:49] op_sel:[0,0,1] op_sel_hi:[1,0,0]
	flat_load_dwordx4 v[70:73], v[56:57] offset:16
	v_pk_add_f32 v[26:27], v[26:27], 0 op_sel_hi:[1,0]
	v_pk_add_f32 v[30:31], v[30:31], 0 op_sel_hi:[1,0]
	v_mov_b32_e32 v37, v51
	v_mov_b32_e32 v41, v53
	v_pk_add_f32 v[22:23], v[24:25], v[22:23]
	v_pk_add_f32 v[24:25], v[26:27], v[28:29]
	;; [unrolled: 1-line block ×3, first 2 shown]
	v_mov_b32_e32 v35, v47
	v_mov_b32_e32 v39, v49
	s_waitcnt vmcnt(0) lgkmcnt(0)
	v_pk_mul_f32 v[56:57], v[2:3], v[70:71] op_sel:[1,1] op_sel_hi:[0,1]
	v_mov_b32_e32 v46, v73
	v_pk_fma_f32 v[74:75], v[2:3], v[70:71], v[56:57] neg_lo:[0,0,1] neg_hi:[0,0,1]
	v_pk_fma_f32 v[70:71], v[2:3], v[70:71], v[56:57] op_sel_hi:[1,0,1]
	v_pk_mul_f32 v[56:57], v[4:5], v[46:47] op_sel_hi:[1,0]
	v_mov_b32_e32 v75, v71
	v_pk_fma_f32 v[76:77], v[4:5], v[72:73], v[56:57] op_sel:[0,0,1] op_sel_hi:[1,1,0] neg_lo:[0,0,1] neg_hi:[0,0,1]
	v_pk_fma_f32 v[72:73], v[4:5], v[72:73], v[56:57] op_sel:[0,0,1] op_sel_hi:[1,0,0]
	flat_load_dwordx4 v[54:57], v[54:55] offset:16
	v_mov_b32_e32 v77, v73
	v_pk_add_f32 v[26:27], v[26:27], v[74:75]
	s_waitcnt vmcnt(0) lgkmcnt(0)
	v_pk_mul_f32 v[78:79], v[2:3], v[54:55] op_sel:[1,1] op_sel_hi:[0,1]
	v_pk_fma_f32 v[80:81], v[2:3], v[54:55], v[78:79] neg_lo:[0,0,1] neg_hi:[0,0,1]
	v_pk_fma_f32 v[2:3], v[2:3], v[54:55], v[78:79] op_sel_hi:[1,0,1]
	s_nop 0
	v_mov_b32_e32 v2, v57
	v_pk_mul_f32 v[54:55], v[4:5], v[2:3] op_sel_hi:[1,0]
	v_mov_b32_e32 v81, v3
	v_pk_add_f32 v[2:3], v[42:43], 0 op_sel_hi:[1,0]
	v_pk_fma_f32 v[78:79], v[4:5], v[56:57], v[54:55] op_sel:[0,0,1] op_sel_hi:[1,1,0] neg_lo:[0,0,1] neg_hi:[0,0,1]
	v_pk_fma_f32 v[4:5], v[4:5], v[56:57], v[54:55] op_sel:[0,0,1] op_sel_hi:[1,0,0]
	v_pk_add_f32 v[2:3], v[2:3], v[44:45]
	v_mov_b32_e32 v79, v5
	v_pk_add_f32 v[2:3], v[2:3], v[80:81]
	v_pk_add_f32 v[4:5], v[22:23], v[36:37]
	;; [unrolled: 1-line block ×7, first 2 shown]
	s_andn2_saveexec_b64 s[30:31], s[30:31]
	s_cbranch_execz .LBB311_22
.LBB311_48:                             ;   in Loop: Header=BB311_20 Depth=1
	v_mov_b32_e32 v25, 0
	v_mov_b32_e32 v24, 0
	;; [unrolled: 1-line block ×6, first 2 shown]
	s_waitcnt lgkmcnt(0)
	v_mov_b32_e32 v3, 0
	v_mov_b32_e32 v2, 0
	s_and_saveexec_b64 s[34:35], s[8:9]
	s_cbranch_execz .LBB311_54
; %bb.49:                               ;   in Loop: Header=BB311_20 Depth=1
	v_mov_b32_e32 v25, 0
	s_andn2_b64 vcc, exec, s[24:25]
	v_mov_b32_e32 v24, v25
	v_mov_b32_e32 v23, v25
	;; [unrolled: 1-line block ×7, first 2 shown]
	s_cbranch_vccnz .LBB311_54
; %bb.50:                               ;   in Loop: Header=BB311_20 Depth=1
	v_mov_b32_e32 v4, 0
	v_mov_b32_e32 v2, v10
	s_mov_b32 s23, s33
.LBB311_51:                             ;   Parent Loop BB311_20 Depth=1
                                        ; =>  This Inner Loop Header: Depth=2
	v_ashrrev_i32_e32 v3, 31, v2
	v_lshl_add_u64 v[22:23], v[2:3], 3, s[14:15]
	flat_load_dwordx2 v[22:23], v[22:23]
	s_add_i32 s23, s23, -1
	v_add_u32_e32 v2, s27, v2
	s_cmp_eq_u32 s23, 0
	s_waitcnt vmcnt(0) lgkmcnt(0)
	scratch_store_dwordx2 v4, v[22:23], off
	v_add_u32_e32 v4, 8, v4
	s_cbranch_scc0 .LBB311_51
; %bb.52:                               ;   in Loop: Header=BB311_20 Depth=1
	s_ashr_i32 s29, s28, 31
	v_mov_b32_e32 v2, 0
	v_lshl_add_u64 v[26:27], s[28:29], 3, v[6:7]
	v_mov_b32_e32 v11, 0
	s_mov_b32 s36, s47
	s_mov_b32 s38, s46
	;; [unrolled: 1-line block ×4, first 2 shown]
	v_mov_b32_e32 v3, v2
	v_mov_b32_e32 v4, v2
	;; [unrolled: 1-line block ×7, first 2 shown]
.LBB311_53:                             ;   Parent Loop BB311_20 Depth=1
                                        ; =>  This Inner Loop Header: Depth=2
	flat_load_dwordx2 v[28:29], v[26:27]
	s_ashr_i32 s41, s40, 31
	scratch_load_dwordx2 v[30:31], v11, off
	s_ashr_i32 s39, s38, 31
	s_ashr_i32 s37, s36, 31
	v_lshl_add_u64 v[32:33], s[40:41], 3, v[6:7]
	v_lshl_add_u64 v[34:35], s[38:39], 3, v[6:7]
	;; [unrolled: 1-line block ×3, first 2 shown]
	flat_load_dwordx2 v[38:39], v[32:33]
	flat_load_dwordx2 v[40:41], v[34:35]
	;; [unrolled: 1-line block ×3, first 2 shown]
	s_add_i32 s23, s23, -1
	s_add_i32 s40, s40, 1
	s_add_i32 s38, s38, 1
	;; [unrolled: 1-line block ×3, first 2 shown]
	v_lshl_add_u64 v[26:27], v[26:27], 0, 8
	v_add_u32_e32 v11, 8, v11
	s_cmp_lg_u32 s23, 0
	s_waitcnt vmcnt(0) lgkmcnt(0)
	v_pk_mul_f32 v[32:33], v[30:31], v[28:29] op_sel:[0,1]
	s_nop 0
	v_pk_fma_f32 v[34:35], v[30:31], v[28:29], v[32:33] op_sel:[0,0,1] op_sel_hi:[1,1,0] neg_lo:[0,0,1] neg_hi:[0,0,1]
	v_pk_fma_f32 v[28:29], v[30:31], v[28:29], v[32:33] op_sel:[0,0,1] op_sel_hi:[1,0,0]
	v_pk_mul_f32 v[32:33], v[30:31], v[40:41] op_sel:[0,1]
	v_mov_b32_e32 v35, v29
	v_pk_mul_f32 v[28:29], v[30:31], v[38:39] op_sel:[0,1]
	v_pk_mul_f32 v[36:37], v[30:31], v[42:43] op_sel:[0,1]
	v_pk_add_f32 v[24:25], v[24:25], v[34:35]
	v_pk_fma_f32 v[34:35], v[30:31], v[38:39], v[28:29] op_sel:[0,0,1] op_sel_hi:[1,1,0] neg_lo:[0,0,1] neg_hi:[0,0,1]
	v_pk_fma_f32 v[28:29], v[30:31], v[38:39], v[28:29] op_sel:[0,0,1] op_sel_hi:[1,0,0]
	v_pk_fma_f32 v[38:39], v[30:31], v[40:41], v[32:33] op_sel:[0,0,1] op_sel_hi:[1,1,0] neg_lo:[0,0,1] neg_hi:[0,0,1]
	v_pk_fma_f32 v[32:33], v[30:31], v[40:41], v[32:33] op_sel:[0,0,1] op_sel_hi:[1,0,0]
	;; [unrolled: 2-line block ×3, first 2 shown]
	v_mov_b32_e32 v35, v29
	v_mov_b32_e32 v39, v33
	;; [unrolled: 1-line block ×3, first 2 shown]
	v_pk_add_f32 v[22:23], v[22:23], v[34:35]
	v_pk_add_f32 v[4:5], v[4:5], v[38:39]
	v_pk_add_f32 v[2:3], v[2:3], v[40:41]
	s_cbranch_scc1 .LBB311_53
.LBB311_54:                             ;   in Loop: Header=BB311_20 Depth=1
	s_or_b64 exec, exec, s[34:35]
	s_or_b64 exec, exec, s[30:31]
	s_and_saveexec_b64 s[30:31], s[0:1]
	s_cbranch_execnz .LBB311_23
	s_branch .LBB311_24
.LBB311_55:                             ;   in Loop: Header=BB311_20 Depth=1
	ds_read_b64 v[24:25], v67
	s_or_b64 exec, exec, s[30:31]
	s_and_saveexec_b64 s[30:31], s[0:1]
	s_cbranch_execz .LBB311_28
.LBB311_56:                             ;   in Loop: Header=BB311_20 Depth=1
	s_waitcnt lgkmcnt(0)
	ds_bpermute_b32 v26, v65, v24
	ds_bpermute_b32 v27, v65, v25
	s_waitcnt lgkmcnt(0)
	v_pk_add_f32 v[24:25], v[24:25], v[26:27]
	ds_bpermute_b32 v26, v66, v24
	ds_bpermute_b32 v27, v66, v25
	s_waitcnt lgkmcnt(0)
	v_pk_add_f32 v[24:25], v[24:25], v[26:27]
	s_or_b64 exec, exec, s[30:31]
	s_and_saveexec_b64 s[30:31], s[0:1]
	s_cbranch_execnz .LBB311_29
	s_branch .LBB311_30
.LBB311_57:                             ;   in Loop: Header=BB311_20 Depth=1
	ds_read_b64 v[22:23], v67
	s_or_b64 exec, exec, s[30:31]
	s_and_saveexec_b64 s[30:31], s[0:1]
	s_cbranch_execz .LBB311_34
.LBB311_58:                             ;   in Loop: Header=BB311_20 Depth=1
	s_waitcnt lgkmcnt(0)
	ds_bpermute_b32 v26, v65, v22
	ds_bpermute_b32 v27, v65, v23
	s_waitcnt lgkmcnt(0)
	v_pk_add_f32 v[22:23], v[22:23], v[26:27]
	ds_bpermute_b32 v26, v66, v22
	ds_bpermute_b32 v27, v66, v23
	s_waitcnt lgkmcnt(0)
	v_pk_add_f32 v[22:23], v[22:23], v[26:27]
	s_or_b64 exec, exec, s[30:31]
	s_and_saveexec_b64 s[30:31], s[0:1]
	s_cbranch_execnz .LBB311_35
	s_branch .LBB311_36
.LBB311_59:                             ;   in Loop: Header=BB311_20 Depth=1
	ds_read_b64 v[4:5], v67
	s_or_b64 exec, exec, s[30:31]
	s_and_saveexec_b64 s[30:31], s[0:1]
	s_cbranch_execz .LBB311_40
.LBB311_60:                             ;   in Loop: Header=BB311_20 Depth=1
	s_waitcnt lgkmcnt(0)
	ds_bpermute_b32 v26, v65, v4
	ds_bpermute_b32 v27, v65, v5
	s_waitcnt lgkmcnt(0)
	v_pk_add_f32 v[4:5], v[4:5], v[26:27]
	ds_bpermute_b32 v26, v66, v4
	ds_bpermute_b32 v27, v66, v5
	s_waitcnt lgkmcnt(0)
	v_pk_add_f32 v[4:5], v[4:5], v[26:27]
	s_or_b64 exec, exec, s[30:31]
	s_and_saveexec_b64 s[30:31], s[0:1]
	s_cbranch_execnz .LBB311_41
	s_branch .LBB311_42
.LBB311_61:                             ;   in Loop: Header=BB311_20 Depth=1
	ds_read_b64 v[2:3], v67
	s_or_b64 exec, exec, s[30:31]
	s_and_saveexec_b64 s[30:31], s[0:1]
	s_cbranch_execz .LBB311_46
.LBB311_62:                             ;   in Loop: Header=BB311_20 Depth=1
	s_waitcnt lgkmcnt(0)
	ds_bpermute_b32 v26, v65, v2
	ds_bpermute_b32 v27, v65, v3
	s_waitcnt lgkmcnt(0)
	v_pk_add_f32 v[2:3], v[2:3], v[26:27]
	ds_bpermute_b32 v26, v66, v2
	ds_bpermute_b32 v27, v66, v3
	s_waitcnt lgkmcnt(0)
	v_pk_add_f32 v[2:3], v[2:3], v[26:27]
	s_or_b64 exec, exec, s[30:31]
	s_and_saveexec_b64 s[30:31], s[12:13]
	s_cbranch_execz .LBB311_19
.LBB311_63:                             ;   in Loop: Header=BB311_20 Depth=1
	s_mul_i32 s23, s42, s20
	v_pk_mul_f32 v[26:27], v[24:25], s[18:19]
	v_mov_b32_e32 v28, v25
	s_add_i32 s34, s23, s2
	s_mov_b32 s35, s22
	v_mov_b32_e32 v26, v27
	v_pk_mul_f32 v[28:29], v[28:29], s[18:19]
	s_lshl_b64 s[36:37], s[34:35], 3
	v_pk_fma_f32 v[26:27], v[24:25], s[18:19], v[26:27] neg_lo:[0,0,1] neg_hi:[0,0,1]
	v_pk_fma_f32 v[24:25], v[24:25], s[26:27], v[28:29]
	s_add_u32 s36, s43, s36
	s_addc_u32 s37, s44, s37
	v_mov_b32_e32 v27, v24
	global_store_dwordx2 v20, v[26:27], s[36:37]
	v_pk_mul_f32 v[24:25], v[22:23], s[18:19]
	v_mov_b32_e32 v26, v23
	s_add_i32 s34, s34, s20
	v_mov_b32_e32 v24, v25
	v_pk_mul_f32 v[26:27], v[26:27], s[18:19]
	s_lshl_b64 s[36:37], s[34:35], 3
	v_pk_fma_f32 v[24:25], v[22:23], s[18:19], v[24:25] neg_lo:[0,0,1] neg_hi:[0,0,1]
	v_pk_fma_f32 v[22:23], v[22:23], s[26:27], v[26:27]
	s_add_u32 s36, s43, s36
	s_addc_u32 s37, s44, s37
	v_mov_b32_e32 v25, v22
	s_add_i32 s34, s34, s20
	global_store_dwordx2 v20, v[24:25], s[36:37]
	v_pk_mul_f32 v[22:23], v[4:5], s[18:19]
	v_mov_b32_e32 v24, v5
	s_lshl_b64 s[36:37], s[34:35], 3
	v_mov_b32_e32 v22, v23
	v_pk_mul_f32 v[24:25], v[24:25], s[18:19]
	s_add_u32 s36, s43, s36
	v_pk_fma_f32 v[22:23], v[4:5], s[18:19], v[22:23] neg_lo:[0,0,1] neg_hi:[0,0,1]
	v_pk_fma_f32 v[4:5], v[4:5], s[26:27], v[24:25]
	s_addc_u32 s37, s44, s37
	s_add_i32 s34, s34, s20
	v_mov_b32_e32 v23, v4
	s_waitcnt lgkmcnt(0)
	v_pk_mul_f32 v[4:5], v[2:3], s[18:19] op_sel:[1,0]
	s_lshl_b64 s[34:35], s[34:35], 3
	global_store_dwordx2 v20, v[22:23], s[36:37]
	s_add_u32 s34, s43, s34
	v_pk_fma_f32 v[22:23], v[2:3], s[18:19], v[4:5] op_sel:[0,0,1] op_sel_hi:[1,1,0] neg_lo:[0,0,1] neg_hi:[0,0,1]
	v_pk_fma_f32 v[2:3], v[2:3], s[18:19], v[4:5] op_sel:[0,0,1] op_sel_hi:[0,1,0]
	s_addc_u32 s35, s44, s35
	v_mov_b32_e32 v23, v3
	global_store_dwordx2 v20, v[22:23], s[34:35]
	s_branch .LBB311_19
.LBB311_64:
	s_mov_b32 s42, 0
.LBB311_65:
	s_cmp_ge_i32 s42, s17
	s_cbranch_scc1 .LBB311_87
; %bb.66:
	s_waitcnt lgkmcnt(0)
	v_mbcnt_hi_u32_b32 v2, -1, v58
	v_and_b32_e32 v3, 63, v2
	v_cmp_gt_u32_e64 s[4:5], 32, v3
	s_mov_b32 s12, 0
	s_cmp_gt_i32 s33, 0
	v_cndmask_b32_e64 v4, 0, 1, s[4:5]
	v_lshlrev_b32_e32 v4, 5, v4
	v_cmp_gt_u32_e64 s[4:5], 48, v3
	v_add_lshl_u32 v19, v4, v2, 2
	s_mov_b32 s3, s12
	v_cndmask_b32_e64 v4, 0, 1, s[4:5]
	v_lshlrev_b32_e32 v4, 4, v4
	v_cmp_gt_u32_e64 s[4:5], 56, v3
	v_add_lshl_u32 v20, v4, v2, 2
	s_cselect_b64 s[22:23], -1, 0
	v_cndmask_b32_e64 v4, 0, 1, s[4:5]
	v_lshlrev_b32_e32 v4, 3, v4
	v_cmp_gt_u32_e64 s[4:5], 60, v3
	v_add_lshl_u32 v21, v4, v2, 2
	s_lshl_b64 s[2:3], s[2:3], 3
	v_cndmask_b32_e64 v4, 0, 1, s[4:5]
	v_lshlrev_b32_e32 v4, 2, v4
	v_cmp_gt_u32_e64 s[4:5], 62, v3
	v_add_lshl_u32 v22, v4, v2, 2
	v_cmp_ge_i32_e32 vcc, s16, v59
	v_cndmask_b32_e64 v4, 0, 1, s[4:5]
	v_lshlrev_b32_e32 v4, 1, v4
	v_add_lshl_u32 v23, v4, v2, 2
	v_add_u32_e32 v4, s27, v8
	v_cmp_ne_u32_e64 s[4:5], 63, v3
	v_add_u32_e32 v10, s27, v4
	v_ashrrev_i32_e32 v5, 31, v4
	v_addc_co_u32_e64 v2, s[4:5], 0, v2, s[4:5]
	v_ashrrev_i32_e32 v11, 31, v10
	v_lshlrev_b32_e32 v24, 2, v2
	v_lshl_add_u64 v[2:3], v[4:5], 3, s[14:15]
	v_lshl_add_u64 v[4:5], v[10:11], 3, s[14:15]
	v_add_u32_e32 v10, s27, v10
	v_cmp_ge_i32_e64 s[10:11], s16, v60
	v_and_b32_e32 v25, 24, v9
	s_add_u32 s16, s43, s2
	v_ashrrev_i32_e32 v9, 31, v8
	v_ashrrev_i32_e32 v11, 31, v10
	v_cmp_gt_u32_e64 s[0:1], 64, v0
	v_lshlrev_b32_e32 v18, 3, v1
	v_cmp_eq_u32_e64 s[4:5], 0, v1
	v_cmp_gt_u32_e64 s[6:7], 4, v0
	v_cmp_eq_u32_e64 s[8:9], 0, v0
	s_addc_u32 s26, s44, s3
	v_lshl_add_u64 v[0:1], v[8:9], 3, s[14:15]
	v_lshl_add_u64 v[10:11], v[10:11], 3, s[14:15]
	s_and_b64 s[2:3], s[22:23], s[10:11]
	s_mul_i32 s10, s42, s21
	v_mov_b32_e32 v12, 0
	s_branch .LBB311_68
.LBB311_67:                             ;   in Loop: Header=BB311_68 Depth=1
	s_or_b64 exec, exec, s[22:23]
	s_add_i32 s42, s42, 1
	s_add_i32 s10, s10, s21
	s_cmp_lt_i32 s42, s17
	s_cbranch_scc0 .LBB311_87
.LBB311_68:                             ; =>This Loop Header: Depth=1
                                        ;     Child Loop BB311_80 Depth 2
                                        ;     Child Loop BB311_82 Depth 2
                                        ; implicit-def: $vgpr15
	s_and_saveexec_b64 s[22:23], vcc
	s_xor_b64 s[22:23], exec, s[22:23]
	s_cbranch_execnz .LBB311_77
; %bb.69:                               ;   in Loop: Header=BB311_68 Depth=1
	s_andn2_saveexec_b64 s[22:23], s[22:23]
	s_cbranch_execnz .LBB311_78
.LBB311_70:                             ;   in Loop: Header=BB311_68 Depth=1
	s_or_b64 exec, exec, s[22:23]
	s_and_saveexec_b64 s[22:23], s[0:1]
	s_cbranch_execz .LBB311_72
.LBB311_71:                             ;   in Loop: Header=BB311_68 Depth=1
	v_mov_b32_e32 v13, v12
	ds_write_b64 v18, v[12:13]
.LBB311_72:                             ;   in Loop: Header=BB311_68 Depth=1
	s_or_b64 exec, exec, s[22:23]
	s_waitcnt lgkmcnt(0)
	ds_bpermute_b32 v16, v19, v14
	ds_bpermute_b32 v17, v19, v15
	s_waitcnt lgkmcnt(0)
	s_barrier
	v_pk_add_f32 v[14:15], v[14:15], v[16:17]
	ds_bpermute_b32 v16, v20, v14
	ds_bpermute_b32 v17, v20, v15
	s_waitcnt lgkmcnt(0)
	v_pk_add_f32 v[14:15], v[14:15], v[16:17]
	ds_bpermute_b32 v16, v21, v14
	ds_bpermute_b32 v17, v21, v15
	s_waitcnt lgkmcnt(0)
	;; [unrolled: 4-line block ×4, first 2 shown]
	v_pk_add_f32 v[14:15], v[14:15], v[16:17]
	ds_bpermute_b32 v16, v24, v14
	ds_bpermute_b32 v17, v24, v15
	s_and_saveexec_b64 s[22:23], s[4:5]
	s_cbranch_execz .LBB311_74
; %bb.73:                               ;   in Loop: Header=BB311_68 Depth=1
	s_waitcnt lgkmcnt(0)
	v_pk_add_f32 v[14:15], v[14:15], v[16:17]
	ds_write_b64 v25, v[14:15]
.LBB311_74:                             ;   in Loop: Header=BB311_68 Depth=1
	s_or_b64 exec, exec, s[22:23]
	s_mov_b32 s13, s12
	v_mov_b64_e32 v[14:15], s[12:13]
	s_waitcnt lgkmcnt(0)
	s_barrier
	s_and_saveexec_b64 s[22:23], s[6:7]
	s_cbranch_execnz .LBB311_84
; %bb.75:                               ;   in Loop: Header=BB311_68 Depth=1
	s_or_b64 exec, exec, s[22:23]
	s_and_saveexec_b64 s[22:23], s[0:1]
	s_cbranch_execnz .LBB311_85
.LBB311_76:                             ;   in Loop: Header=BB311_68 Depth=1
	s_or_b64 exec, exec, s[22:23]
	s_and_saveexec_b64 s[22:23], s[8:9]
	s_cbranch_execz .LBB311_67
	s_branch .LBB311_86
.LBB311_77:                             ;   in Loop: Header=BB311_68 Depth=1
	s_waitcnt lgkmcnt(0)
	flat_load_dwordx2 v[14:15], v[0:1]
	flat_load_dwordx2 v[16:17], v[2:3]
	flat_load_dwordx2 v[26:27], v[4:5]
	flat_load_dwordx2 v[28:29], v[10:11]
	s_mul_i32 s24, s42, s21
	s_ashr_i32 s25, s24, 31
	v_lshl_add_u64 v[38:39], s[24:25], 3, v[6:7]
	s_waitcnt vmcnt(0) lgkmcnt(0)
	scratch_store_dwordx4 off, v[14:17], off
	scratch_store_dwordx4 off, v[26:29], off offset:16
	flat_load_dwordx4 v[30:33], v[38:39]
	flat_load_dwordx4 v[34:37], v[38:39] offset:16
	s_waitcnt vmcnt(0) lgkmcnt(0)
	v_mul_f32_e32 v9, v15, v31
	v_mul_f32_e32 v39, v14, v31
	;; [unrolled: 1-line block ×4, first 2 shown]
	v_pk_mul_f32 v[40:41], v[26:27], v[34:35] op_sel:[1,0]
	v_fma_f32 v38, v14, v30, -v9
	v_fmac_f32_e32 v39, v15, v30
	v_pk_mul_f32 v[42:43], v[28:29], v[36:37] op_sel:[1,0]
	v_fma_f32 v30, v16, v32, -v13
	v_fmac_f32_e32 v31, v17, v32
	v_pk_fma_f32 v[14:15], v[26:27], v[34:35], v[40:41] op_sel:[0,0,1] op_sel_hi:[1,1,0] neg_lo:[0,0,1] neg_hi:[0,0,1]
	v_pk_fma_f32 v[16:17], v[26:27], v[34:35], v[40:41] op_sel:[0,0,1] op_sel_hi:[0,1,0]
	v_pk_add_f32 v[32:33], v[38:39], 0 op_sel_hi:[1,0]
	v_pk_fma_f32 v[26:27], v[28:29], v[36:37], v[42:43] op_sel:[0,0,1] op_sel_hi:[1,1,0] neg_lo:[0,0,1] neg_hi:[0,0,1]
	v_pk_fma_f32 v[28:29], v[28:29], v[36:37], v[42:43] op_sel:[0,0,1] op_sel_hi:[0,1,0]
	v_mov_b32_e32 v15, v17
	v_pk_add_f32 v[16:17], v[32:33], v[30:31]
	v_mov_b32_e32 v27, v29
	v_pk_add_f32 v[14:15], v[16:17], v[14:15]
	s_nop 0
	v_pk_add_f32 v[14:15], v[14:15], v[26:27]
	s_andn2_saveexec_b64 s[22:23], s[22:23]
	s_cbranch_execz .LBB311_70
.LBB311_78:                             ;   in Loop: Header=BB311_68 Depth=1
	s_waitcnt lgkmcnt(0)
	v_mov_b32_e32 v15, 0
	v_mov_b32_e32 v14, v15
	s_and_saveexec_b64 s[24:25], s[2:3]
	s_cbranch_execz .LBB311_83
; %bb.79:                               ;   in Loop: Header=BB311_68 Depth=1
	v_mov_b32_e32 v9, 0
	v_mov_b32_e32 v14, v8
	s_mov_b32 s11, s33
.LBB311_80:                             ;   Parent Loop BB311_68 Depth=1
                                        ; =>  This Inner Loop Header: Depth=2
	v_ashrrev_i32_e32 v15, 31, v14
	v_lshl_add_u64 v[16:17], v[14:15], 3, s[14:15]
	flat_load_dwordx2 v[16:17], v[16:17]
	s_add_i32 s11, s11, -1
	v_add_u32_e32 v14, s27, v14
	s_cmp_eq_u32 s11, 0
	s_waitcnt vmcnt(0) lgkmcnt(0)
	scratch_store_dwordx2 v9, v[16:17], off
	v_add_u32_e32 v9, 8, v9
	s_cbranch_scc0 .LBB311_80
; %bb.81:                               ;   in Loop: Header=BB311_68 Depth=1
	s_ashr_i32 s11, s10, 31
	v_mov_b32_e32 v14, 0
	v_lshl_add_u64 v[16:17], s[10:11], 3, v[6:7]
	v_mov_b32_e32 v9, 0
	s_mov_b32 s11, s33
	v_mov_b32_e32 v15, v14
.LBB311_82:                             ;   Parent Loop BB311_68 Depth=1
                                        ; =>  This Inner Loop Header: Depth=2
	flat_load_dwordx2 v[26:27], v[16:17]
	scratch_load_dwordx2 v[28:29], v9, off
	s_add_i32 s11, s11, -1
	v_add_u32_e32 v9, 8, v9
	v_lshl_add_u64 v[16:17], v[16:17], 0, 8
	s_cmp_lg_u32 s11, 0
	s_waitcnt vmcnt(0) lgkmcnt(0)
	v_pk_mul_f32 v[30:31], v[28:29], v[26:27] op_sel:[0,1]
	s_nop 0
	v_pk_fma_f32 v[32:33], v[28:29], v[26:27], v[30:31] op_sel:[0,0,1] op_sel_hi:[1,1,0] neg_lo:[0,0,1] neg_hi:[0,0,1]
	v_pk_fma_f32 v[26:27], v[28:29], v[26:27], v[30:31] op_sel:[0,0,1] op_sel_hi:[1,0,0]
	s_nop 0
	v_mov_b32_e32 v33, v27
	v_pk_add_f32 v[14:15], v[14:15], v[32:33]
	s_cbranch_scc1 .LBB311_82
.LBB311_83:                             ;   in Loop: Header=BB311_68 Depth=1
	s_or_b64 exec, exec, s[24:25]
	s_or_b64 exec, exec, s[22:23]
	s_and_saveexec_b64 s[22:23], s[0:1]
	s_cbranch_execnz .LBB311_71
	s_branch .LBB311_72
.LBB311_84:                             ;   in Loop: Header=BB311_68 Depth=1
	ds_read_b64 v[14:15], v18
	s_or_b64 exec, exec, s[22:23]
	s_and_saveexec_b64 s[22:23], s[0:1]
	s_cbranch_execz .LBB311_76
.LBB311_85:                             ;   in Loop: Header=BB311_68 Depth=1
	s_waitcnt lgkmcnt(0)
	ds_bpermute_b32 v16, v23, v14
	ds_bpermute_b32 v17, v23, v15
	s_waitcnt lgkmcnt(0)
	v_pk_add_f32 v[14:15], v[14:15], v[16:17]
	ds_bpermute_b32 v16, v24, v14
	ds_bpermute_b32 v17, v24, v15
	s_waitcnt lgkmcnt(0)
	v_pk_add_f32 v[14:15], v[14:15], v[16:17]
	s_or_b64 exec, exec, s[22:23]
	s_and_saveexec_b64 s[22:23], s[8:9]
	s_cbranch_execz .LBB311_67
.LBB311_86:                             ;   in Loop: Header=BB311_68 Depth=1
	s_mul_hi_u32 s25, s42, s20
	s_mul_i32 s24, s42, s20
	s_waitcnt lgkmcnt(0)
	v_pk_mul_f32 v[16:17], v[14:15], s[18:19] op_sel:[1,0]
	s_lshl_b64 s[24:25], s[24:25], 3
	s_add_u32 s24, s16, s24
	v_pk_fma_f32 v[26:27], v[14:15], s[18:19], v[16:17] op_sel:[0,0,1] op_sel_hi:[1,1,0] neg_lo:[0,0,1] neg_hi:[0,0,1]
	v_pk_fma_f32 v[14:15], v[14:15], s[18:19], v[16:17] op_sel:[0,0,1] op_sel_hi:[0,1,0]
	s_addc_u32 s25, s26, s25
	v_mov_b32_e32 v27, v15
	global_store_dwordx2 v12, v[26:27], s[24:25]
	s_branch .LBB311_67
.LBB311_87:
	s_endpgm
	.section	.rodata,"a",@progbits
	.p2align	6, 0x0
	.amdhsa_kernel _ZL23rocblas_gemvt_sn_kernelILb0ELi256ELi4EiPK19rocblas_complex_numIfES1_S1_EviiT4_lPKT3_lilS7_lilPT5_i
		.amdhsa_group_segment_fixed_size 512
		.amdhsa_private_segment_fixed_size 48
		.amdhsa_kernarg_size 360
		.amdhsa_user_sgpr_count 2
		.amdhsa_user_sgpr_dispatch_ptr 0
		.amdhsa_user_sgpr_queue_ptr 0
		.amdhsa_user_sgpr_kernarg_segment_ptr 1
		.amdhsa_user_sgpr_dispatch_id 0
		.amdhsa_user_sgpr_kernarg_preload_length 0
		.amdhsa_user_sgpr_kernarg_preload_offset 0
		.amdhsa_user_sgpr_private_segment_size 0
		.amdhsa_uses_dynamic_stack 0
		.amdhsa_enable_private_segment 1
		.amdhsa_system_sgpr_workgroup_id_x 1
		.amdhsa_system_sgpr_workgroup_id_y 0
		.amdhsa_system_sgpr_workgroup_id_z 1
		.amdhsa_system_sgpr_workgroup_info 0
		.amdhsa_system_vgpr_workitem_id 0
		.amdhsa_next_free_vgpr 82
		.amdhsa_next_free_sgpr 49
		.amdhsa_accum_offset 84
		.amdhsa_reserve_vcc 1
		.amdhsa_float_round_mode_32 0
		.amdhsa_float_round_mode_16_64 0
		.amdhsa_float_denorm_mode_32 3
		.amdhsa_float_denorm_mode_16_64 3
		.amdhsa_dx10_clamp 1
		.amdhsa_ieee_mode 1
		.amdhsa_fp16_overflow 0
		.amdhsa_tg_split 0
		.amdhsa_exception_fp_ieee_invalid_op 0
		.amdhsa_exception_fp_denorm_src 0
		.amdhsa_exception_fp_ieee_div_zero 0
		.amdhsa_exception_fp_ieee_overflow 0
		.amdhsa_exception_fp_ieee_underflow 0
		.amdhsa_exception_fp_ieee_inexact 0
		.amdhsa_exception_int_div_zero 0
	.end_amdhsa_kernel
	.section	.text._ZL23rocblas_gemvt_sn_kernelILb0ELi256ELi4EiPK19rocblas_complex_numIfES1_S1_EviiT4_lPKT3_lilS7_lilPT5_i,"axG",@progbits,_ZL23rocblas_gemvt_sn_kernelILb0ELi256ELi4EiPK19rocblas_complex_numIfES1_S1_EviiT4_lPKT3_lilS7_lilPT5_i,comdat
.Lfunc_end311:
	.size	_ZL23rocblas_gemvt_sn_kernelILb0ELi256ELi4EiPK19rocblas_complex_numIfES1_S1_EviiT4_lPKT3_lilS7_lilPT5_i, .Lfunc_end311-_ZL23rocblas_gemvt_sn_kernelILb0ELi256ELi4EiPK19rocblas_complex_numIfES1_S1_EviiT4_lPKT3_lilS7_lilPT5_i
                                        ; -- End function
	.section	.AMDGPU.csdata,"",@progbits
; Kernel info:
; codeLenInByte = 5308
; NumSgprs: 55
; NumVgprs: 82
; NumAgprs: 0
; TotalNumVgprs: 82
; ScratchSize: 48
; MemoryBound: 0
; FloatMode: 240
; IeeeMode: 1
; LDSByteSize: 512 bytes/workgroup (compile time only)
; SGPRBlocks: 6
; VGPRBlocks: 10
; NumSGPRsForWavesPerEU: 55
; NumVGPRsForWavesPerEU: 82
; AccumOffset: 84
; Occupancy: 5
; WaveLimiterHint : 0
; COMPUTE_PGM_RSRC2:SCRATCH_EN: 1
; COMPUTE_PGM_RSRC2:USER_SGPR: 2
; COMPUTE_PGM_RSRC2:TRAP_HANDLER: 0
; COMPUTE_PGM_RSRC2:TGID_X_EN: 1
; COMPUTE_PGM_RSRC2:TGID_Y_EN: 0
; COMPUTE_PGM_RSRC2:TGID_Z_EN: 1
; COMPUTE_PGM_RSRC2:TIDIG_COMP_CNT: 0
; COMPUTE_PGM_RSRC3_GFX90A:ACCUM_OFFSET: 20
; COMPUTE_PGM_RSRC3_GFX90A:TG_SPLIT: 0
	.section	.text._ZL23rocblas_gemvt_sn_kernelILb0ELi256ELi4ElPK19rocblas_complex_numIfES1_S1_EviiT4_lPKT3_lilS7_lilPT5_i,"axG",@progbits,_ZL23rocblas_gemvt_sn_kernelILb0ELi256ELi4ElPK19rocblas_complex_numIfES1_S1_EviiT4_lPKT3_lilS7_lilPT5_i,comdat
	.globl	_ZL23rocblas_gemvt_sn_kernelILb0ELi256ELi4ElPK19rocblas_complex_numIfES1_S1_EviiT4_lPKT3_lilS7_lilPT5_i ; -- Begin function _ZL23rocblas_gemvt_sn_kernelILb0ELi256ELi4ElPK19rocblas_complex_numIfES1_S1_EviiT4_lPKT3_lilS7_lilPT5_i
	.p2align	8
	.type	_ZL23rocblas_gemvt_sn_kernelILb0ELi256ELi4ElPK19rocblas_complex_numIfES1_S1_EviiT4_lPKT3_lilS7_lilPT5_i,@function
_ZL23rocblas_gemvt_sn_kernelILb0ELi256ELi4ElPK19rocblas_complex_numIfES1_S1_EviiT4_lPKT3_lilS7_lilPT5_i: ; @_ZL23rocblas_gemvt_sn_kernelILb0ELi256ELi4ElPK19rocblas_complex_numIfES1_S1_EviiT4_lPKT3_lilS7_lilPT5_i
; %bb.0:
	s_load_dwordx4 s[16:19], s[0:1], 0x0
	s_mov_b32 s4, s3
	s_mov_b32 s5, 0
	s_waitcnt lgkmcnt(0)
	s_or_b32 s3, s18, s19
	s_bitset0_b32 s3, 31
	s_cmp_lg_u32 s3, 0
	s_cselect_b64 s[6:7], -1, 0
	s_cmp_eq_u32 s3, 0
	s_cselect_b64 s[10:11], -1, 0
	s_and_b64 vcc, exec, s[6:7]
	s_cbranch_vccnz .LBB312_2
; %bb.1:
	s_mov_b64 s[22:23], 0
	s_cbranch_execz .LBB312_3
	s_branch .LBB312_4
.LBB312_2:
                                        ; implicit-def: $sgpr22_sgpr23
.LBB312_3:
	s_load_dwordx4 s[12:15], s[0:1], 0x18
	s_lshl_b64 s[8:9], s[4:5], 3
	s_waitcnt lgkmcnt(0)
	s_add_u32 s8, s12, s8
	s_addc_u32 s9, s13, s9
	s_load_dwordx2 s[8:9], s[8:9], 0x0
	s_lshl_b64 s[12:13], s[14:15], 3
	s_waitcnt lgkmcnt(0)
	s_add_u32 s22, s8, s12
	s_addc_u32 s23, s9, s13
.LBB312_4:
	s_andn2_b64 vcc, exec, s[6:7]
	s_mov_b64 s[24:25], 0
	s_cbranch_vccnz .LBB312_6
; %bb.5:
	s_load_dwordx4 s[12:15], s[0:1], 0x38
	s_lshl_b64 s[6:7], s[4:5], 3
	s_waitcnt lgkmcnt(0)
	s_add_u32 s6, s12, s6
	s_addc_u32 s7, s13, s7
	s_load_dwordx2 s[6:7], s[6:7], 0x0
	s_lshl_b64 s[8:9], s[14:15], 3
	s_waitcnt lgkmcnt(0)
	s_add_u32 s24, s6, s8
	s_addc_u32 s25, s7, s9
.LBB312_6:
	s_load_dwordx2 s[6:7], s[0:1], 0x58
	s_load_dword s14, s[0:1], 0x68
	s_ashr_i32 s28, s17, 31
	s_mul_hi_u32 s3, s4, s17
	s_mul_i32 s8, s4, s28
	s_add_i32 s3, s3, s8
	s_mul_i32 s5, s5, s17
	s_add_i32 s9, s3, s5
	s_mul_i32 s8, s4, s17
	s_waitcnt lgkmcnt(0)
	s_mul_i32 s3, s9, s14
	s_mul_hi_u32 s4, s8, s14
	s_add_i32 s5, s4, s3
	s_mul_i32 s4, s8, s14
	s_lshl_b64 s[4:5], s[4:5], 3
	s_add_u32 s35, s6, s4
	s_mov_b32 s15, 0
	s_addc_u32 s50, s7, s5
	s_mov_b64 s[12:13], -1
	s_andn2_b64 vcc, exec, s[10:11]
	v_cmp_eq_u32_e64 s[4:5], 0, v0
	s_cbranch_vccnz .LBB312_16
; %bb.7:
	s_cmp_gt_i32 s17, 0
	s_cselect_b64 s[10:11], -1, 0
	s_and_b64 s[10:11], s[4:5], s[10:11]
	s_and_saveexec_b64 s[4:5], s[10:11]
	s_cbranch_execz .LBB312_15
; %bb.8:
	s_cmp_gt_u32 s17, 3
	s_cselect_b64 s[10:11], -1, 0
	s_cmp_eq_u32 s14, 1
	s_cselect_b64 s[26:27], -1, 0
	s_mov_b32 s3, 0
	s_and_b64 s[10:11], s[10:11], s[26:27]
	s_mov_b32 s12, 1
	s_mov_b64 s[20:21], -1
	s_andn2_b64 vcc, exec, s[10:11]
	s_mov_b32 s10, s3
	s_cbranch_vccnz .LBB312_12
; %bb.9:
	s_lshl_b64 s[20:21], s[2:3], 3
	s_add_u32 s11, s35, s20
	s_addc_u32 s26, s50, s21
	s_mov_b32 s21, 0
	s_and_b32 s10, s17, 0x7ffffffc
	s_mov_b32 s20, s21
	v_mov_b32_e32 v1, 0
	v_mov_b64_e32 v[2:3], s[20:21]
	s_mov_b32 s27, s10
.LBB312_10:                             ; =>This Inner Loop Header: Depth=1
	s_add_i32 s30, s12, 2
	s_add_i32 s36, s20, 2
	s_lshl_b64 s[38:39], s[20:21], 3
	s_mov_b32 s13, s21
	s_add_u32 s38, s11, s38
	s_addc_u32 s39, s26, s39
	s_lshl_b64 s[40:41], s[12:13], 3
	s_mov_b32 s37, s21
	s_add_u32 s40, s11, s40
	s_addc_u32 s41, s26, s41
	;; [unrolled: 4-line block ×3, first 2 shown]
	s_lshl_b64 s[30:31], s[30:31], 3
	s_add_u32 s30, s11, s30
	s_addc_u32 s31, s26, s31
	s_add_i32 s20, s20, 4
	s_add_i32 s12, s12, 4
	s_add_i32 s27, s27, -4
	s_cmp_lg_u32 s27, 0
	global_store_dwordx2 v1, v[2:3], s[38:39]
	global_store_dwordx2 v1, v[2:3], s[40:41]
	;; [unrolled: 1-line block ×4, first 2 shown]
	s_cbranch_scc1 .LBB312_10
; %bb.11:
	s_cmp_lg_u32 s10, s17
	s_cselect_b64 s[20:21], -1, 0
.LBB312_12:
	s_and_b64 vcc, exec, s[20:21]
	s_cbranch_vccz .LBB312_15
; %bb.13:
	s_mov_b32 s11, 0
	s_sub_i32 s12, s17, s10
	s_lshl_b64 s[8:9], s[8:9], 3
	s_lshl_b64 s[10:11], s[10:11], 3
	s_add_u32 s8, s8, s10
	s_addc_u32 s9, s9, s11
	s_mul_i32 s9, s9, s14
	s_mul_hi_u32 s10, s8, s14
	s_add_i32 s10, s10, s9
	s_mul_i32 s11, s8, s14
	s_lshl_b64 s[8:9], s[2:3], 3
	s_add_u32 s3, s11, s8
	s_addc_u32 s8, s10, s9
	s_add_u32 s6, s6, s3
	v_mov_b32_e32 v2, 0
	s_addc_u32 s7, s7, s8
	s_lshl_b64 s[8:9], s[14:15], 3
	v_mov_b32_e32 v3, v2
.LBB312_14:                             ; =>This Inner Loop Header: Depth=1
	s_add_i32 s12, s12, -1
	global_store_dwordx2 v2, v[2:3], s[6:7]
	s_add_u32 s6, s6, s8
	s_addc_u32 s7, s7, s9
	s_cmp_eq_u32 s12, 0
	s_cbranch_scc0 .LBB312_14
.LBB312_15:
	s_or_b64 exec, exec, s[4:5]
	s_mov_b64 s[12:13], 0
.LBB312_16:
	s_andn2_b64 vcc, exec, s[12:13]
	s_cbranch_vccnz .LBB312_87
; %bb.17:
	s_load_dword s20, s[0:1], 0x28
	s_load_dword s26, s[0:1], 0x48
	s_lshl_b32 s0, s2, 10
	v_lshl_or_b32 v20, v0, 2, s0
	s_lshr_b32 s0, s28, 30
	s_add_i32 s0, s17, s0
	s_and_b32 s51, s0, -4
	s_ashr_i32 s0, s16, 31
	s_lshr_b32 s0, s0, 30
	s_add_i32 s0, s16, s0
	s_and_b32 s0, s0, -4
	s_waitcnt lgkmcnt(0)
	s_ashr_i32 s21, s20, 31
	s_ashr_i32 s27, s26, 31
	v_ashrrev_i32_e32 v21, 31, v20
	s_sub_i32 s15, s16, s0
	v_lshl_add_u64 v[18:19], v[20:21], 3, s[22:23]
	s_cmp_lt_i32 s51, 1
	v_add_u32_e32 v51, 4, v20
	v_add_u32_e32 v52, s15, v20
	v_and_b32_e32 v1, 63, v0
	v_cmp_gt_u32_e64 s[0:1], 64, v0
	v_mbcnt_lo_u32_b32 v50, -1, 0
	v_cmp_gt_u32_e64 s[4:5], 4, v0
	v_lshrrev_b32_e32 v49, 3, v0
	v_or_b32_e32 v48, 1, v20
	v_or_b32_e32 v47, 2, v20
	;; [unrolled: 1-line block ×3, first 2 shown]
	s_cbranch_scc1 .LBB312_64
; %bb.18:
	v_mbcnt_hi_u32_b32 v2, -1, v50
	v_and_b32_e32 v3, 63, v2
	v_cmp_gt_u32_e32 vcc, 32, v3
	s_mov_b32 s28, 0
	s_cmp_gt_i32 s15, 0
	v_cndmask_b32_e64 v4, 0, 1, vcc
	v_lshlrev_b32_e32 v4, 5, v4
	v_cmp_gt_u32_e32 vcc, 48, v3
	v_add_lshl_u32 v53, v4, v2, 2
	s_mov_b32 s3, s28
	v_cndmask_b32_e64 v4, 0, 1, vcc
	v_lshlrev_b32_e32 v4, 4, v4
	v_cmp_gt_u32_e32 vcc, 56, v3
	v_add_lshl_u32 v54, v4, v2, 2
	s_cselect_b64 s[30:31], -1, 0
	v_cndmask_b32_e64 v4, 0, 1, vcc
	v_lshlrev_b32_e32 v4, 3, v4
	v_cmp_gt_u32_e32 vcc, 60, v3
	v_add_lshl_u32 v55, v4, v2, 2
	s_lshl_b64 s[36:37], s[2:3], 3
	v_cndmask_b32_e64 v4, 0, 1, vcc
	v_lshlrev_b32_e32 v4, 2, v4
	v_cmp_gt_u32_e32 vcc, 62, v3
	v_add_lshl_u32 v56, v4, v2, 2
	s_add_u32 s3, s35, s36
	v_cndmask_b32_e64 v4, 0, 1, vcc
	v_lshlrev_b32_e32 v4, 1, v4
	v_cmp_ne_u32_e32 vcc, 63, v3
	v_add_lshl_u32 v57, v4, v2, 2
	s_addc_u32 s52, s50, s37
	v_addc_co_u32_e32 v2, vcc, 0, v2, vcc
	v_lshlrev_b32_e32 v58, 2, v2
	v_mad_i64_i32 v[2:3], s[36:37], s26, v20, 0
	v_lshl_add_u64 v[22:23], v[2:3], 3, s[24:25]
	v_mad_i64_i32 v[2:3], s[36:37], s26, v48, 0
	v_lshl_add_u64 v[24:25], v[2:3], 3, s[24:25]
	;; [unrolled: 2-line block ×3, first 2 shown]
	v_mad_i64_i32 v[2:3], s[36:37], s26, v46, 0
	v_cmp_ge_i32_e64 s[6:7], s16, v51
	v_cmp_ge_i32_e64 s[8:9], s16, v52
	v_cmp_eq_u32_e64 s[10:11], 0, v1
	v_lshlrev_b32_e32 v59, 3, v1
	v_and_b32_e32 v60, 24, v49
	v_cmp_eq_u32_e64 s[12:13], 0, v0
	v_lshl_add_u64 v[28:29], v[2:3], 3, s[24:25]
	s_mov_b32 s34, s19
	s_lshl_b64 s[36:37], s[26:27], 3
	s_mul_hi_i32 s39, s20, 24
	s_mul_i32 s38, s20, 24
	s_lshl_b64 s[40:41], s[20:21], 5
	s_lshl_b64 s[42:43], s[20:21], 4
	;; [unrolled: 1-line block ×3, first 2 shown]
	v_mov_b32_e32 v30, 0
	v_mov_b64_e32 v[32:33], v[18:19]
	s_mov_b32 s33, 0
	s_branch .LBB312_20
.LBB312_19:                             ;   in Loop: Header=BB312_20 Depth=1
	s_or_b64 exec, exec, s[46:47]
	s_add_i32 s33, s33, 4
	s_cmp_ge_i32 s33, s51
	v_lshl_add_u64 v[32:33], v[32:33], 0, s[40:41]
	s_cbranch_scc1 .LBB312_65
.LBB312_20:                             ; =>This Loop Header: Depth=1
                                        ;     Child Loop BB312_51 Depth 2
                                        ;     Child Loop BB312_53 Depth 2
                                        ; implicit-def: $vgpr35
                                        ; implicit-def: $vgpr7
                                        ; implicit-def: $vgpr3
                                        ; implicit-def: $vgpr5
	s_and_saveexec_b64 s[46:47], s[6:7]
	s_xor_b64 s[46:47], exec, s[46:47]
	s_cbranch_execnz .LBB312_47
; %bb.21:                               ;   in Loop: Header=BB312_20 Depth=1
	s_andn2_saveexec_b64 s[46:47], s[46:47]
	s_cbranch_execnz .LBB312_48
.LBB312_22:                             ;   in Loop: Header=BB312_20 Depth=1
	s_or_b64 exec, exec, s[46:47]
	s_and_saveexec_b64 s[46:47], s[0:1]
	s_cbranch_execz .LBB312_24
.LBB312_23:                             ;   in Loop: Header=BB312_20 Depth=1
	v_mov_b32_e32 v31, v30
	ds_write_b64 v59, v[30:31]
.LBB312_24:                             ;   in Loop: Header=BB312_20 Depth=1
	s_or_b64 exec, exec, s[46:47]
	ds_bpermute_b32 v8, v53, v34
	ds_bpermute_b32 v9, v53, v35
	s_waitcnt lgkmcnt(0)
	s_barrier
	v_pk_add_f32 v[8:9], v[34:35], v[8:9]
	ds_bpermute_b32 v10, v54, v8
	ds_bpermute_b32 v11, v54, v9
	s_waitcnt lgkmcnt(0)
	v_pk_add_f32 v[8:9], v[8:9], v[10:11]
	ds_bpermute_b32 v10, v55, v8
	ds_bpermute_b32 v11, v55, v9
	s_waitcnt lgkmcnt(0)
	;; [unrolled: 4-line block ×4, first 2 shown]
	v_pk_add_f32 v[8:9], v[8:9], v[10:11]
	ds_bpermute_b32 v10, v58, v8
	ds_bpermute_b32 v11, v58, v9
	s_and_saveexec_b64 s[46:47], s[10:11]
	s_cbranch_execz .LBB312_26
; %bb.25:                               ;   in Loop: Header=BB312_20 Depth=1
	s_waitcnt lgkmcnt(0)
	v_pk_add_f32 v[8:9], v[8:9], v[10:11]
	ds_write_b64 v60, v[8:9]
.LBB312_26:                             ;   in Loop: Header=BB312_20 Depth=1
	s_or_b64 exec, exec, s[46:47]
	s_mov_b32 s29, s28
	v_mov_b64_e32 v[8:9], s[28:29]
	s_waitcnt lgkmcnt(0)
	s_barrier
	s_and_saveexec_b64 s[46:47], s[4:5]
	s_cbranch_execnz .LBB312_55
; %bb.27:                               ;   in Loop: Header=BB312_20 Depth=1
	s_or_b64 exec, exec, s[46:47]
	s_and_saveexec_b64 s[46:47], s[0:1]
	s_cbranch_execnz .LBB312_56
.LBB312_28:                             ;   in Loop: Header=BB312_20 Depth=1
	s_or_b64 exec, exec, s[46:47]
	s_and_saveexec_b64 s[46:47], s[0:1]
	s_cbranch_execz .LBB312_30
.LBB312_29:                             ;   in Loop: Header=BB312_20 Depth=1
	v_mov_b32_e32 v31, v30
	ds_write_b64 v59, v[30:31]
.LBB312_30:                             ;   in Loop: Header=BB312_20 Depth=1
	s_or_b64 exec, exec, s[46:47]
	ds_bpermute_b32 v10, v53, v6
	ds_bpermute_b32 v11, v53, v7
	s_waitcnt lgkmcnt(0)
	s_barrier
	v_pk_add_f32 v[6:7], v[6:7], v[10:11]
	ds_bpermute_b32 v10, v54, v6
	ds_bpermute_b32 v11, v54, v7
	s_waitcnt lgkmcnt(0)
	v_pk_add_f32 v[6:7], v[6:7], v[10:11]
	ds_bpermute_b32 v10, v55, v6
	ds_bpermute_b32 v11, v55, v7
	s_waitcnt lgkmcnt(0)
	;; [unrolled: 4-line block ×4, first 2 shown]
	v_pk_add_f32 v[6:7], v[6:7], v[10:11]
	ds_bpermute_b32 v10, v58, v6
	ds_bpermute_b32 v11, v58, v7
	s_and_saveexec_b64 s[46:47], s[10:11]
	s_cbranch_execz .LBB312_32
; %bb.31:                               ;   in Loop: Header=BB312_20 Depth=1
	s_waitcnt lgkmcnt(0)
	v_pk_add_f32 v[6:7], v[6:7], v[10:11]
	ds_write_b64 v60, v[6:7]
.LBB312_32:                             ;   in Loop: Header=BB312_20 Depth=1
	s_or_b64 exec, exec, s[46:47]
	s_mov_b32 s29, s28
	v_mov_b64_e32 v[6:7], s[28:29]
	s_waitcnt lgkmcnt(0)
	s_barrier
	s_and_saveexec_b64 s[46:47], s[4:5]
	s_cbranch_execnz .LBB312_57
; %bb.33:                               ;   in Loop: Header=BB312_20 Depth=1
	s_or_b64 exec, exec, s[46:47]
	s_and_saveexec_b64 s[46:47], s[0:1]
	s_cbranch_execnz .LBB312_58
.LBB312_34:                             ;   in Loop: Header=BB312_20 Depth=1
	s_or_b64 exec, exec, s[46:47]
	s_and_saveexec_b64 s[46:47], s[0:1]
	s_cbranch_execz .LBB312_36
.LBB312_35:                             ;   in Loop: Header=BB312_20 Depth=1
	v_mov_b32_e32 v31, v30
	ds_write_b64 v59, v[30:31]
.LBB312_36:                             ;   in Loop: Header=BB312_20 Depth=1
	s_or_b64 exec, exec, s[46:47]
	ds_bpermute_b32 v10, v53, v2
	ds_bpermute_b32 v11, v53, v3
	s_waitcnt lgkmcnt(0)
	s_barrier
	v_pk_add_f32 v[2:3], v[2:3], v[10:11]
	ds_bpermute_b32 v10, v54, v2
	ds_bpermute_b32 v11, v54, v3
	s_waitcnt lgkmcnt(0)
	v_pk_add_f32 v[2:3], v[2:3], v[10:11]
	ds_bpermute_b32 v10, v55, v2
	ds_bpermute_b32 v11, v55, v3
	s_waitcnt lgkmcnt(0)
	;; [unrolled: 4-line block ×4, first 2 shown]
	v_pk_add_f32 v[2:3], v[2:3], v[10:11]
	ds_bpermute_b32 v10, v58, v2
	ds_bpermute_b32 v11, v58, v3
	s_and_saveexec_b64 s[46:47], s[10:11]
	s_cbranch_execz .LBB312_38
; %bb.37:                               ;   in Loop: Header=BB312_20 Depth=1
	s_waitcnt lgkmcnt(0)
	v_pk_add_f32 v[2:3], v[2:3], v[10:11]
	ds_write_b64 v60, v[2:3]
.LBB312_38:                             ;   in Loop: Header=BB312_20 Depth=1
	s_or_b64 exec, exec, s[46:47]
	s_mov_b32 s29, s28
	v_mov_b64_e32 v[2:3], s[28:29]
	s_waitcnt lgkmcnt(0)
	s_barrier
	s_and_saveexec_b64 s[46:47], s[4:5]
	s_cbranch_execnz .LBB312_59
; %bb.39:                               ;   in Loop: Header=BB312_20 Depth=1
	s_or_b64 exec, exec, s[46:47]
	s_and_saveexec_b64 s[46:47], s[0:1]
	s_cbranch_execnz .LBB312_60
.LBB312_40:                             ;   in Loop: Header=BB312_20 Depth=1
	s_or_b64 exec, exec, s[46:47]
	s_and_saveexec_b64 s[46:47], s[0:1]
	s_cbranch_execz .LBB312_42
.LBB312_41:                             ;   in Loop: Header=BB312_20 Depth=1
	v_mov_b32_e32 v31, v30
	ds_write_b64 v59, v[30:31]
.LBB312_42:                             ;   in Loop: Header=BB312_20 Depth=1
	s_or_b64 exec, exec, s[46:47]
	ds_bpermute_b32 v10, v53, v4
	ds_bpermute_b32 v11, v53, v5
	s_waitcnt lgkmcnt(0)
	s_barrier
	v_pk_add_f32 v[4:5], v[4:5], v[10:11]
	ds_bpermute_b32 v10, v54, v4
	ds_bpermute_b32 v11, v54, v5
	s_waitcnt lgkmcnt(0)
	v_pk_add_f32 v[4:5], v[4:5], v[10:11]
	ds_bpermute_b32 v10, v55, v4
	ds_bpermute_b32 v11, v55, v5
	s_waitcnt lgkmcnt(0)
	;; [unrolled: 4-line block ×4, first 2 shown]
	v_pk_add_f32 v[4:5], v[4:5], v[10:11]
	ds_bpermute_b32 v10, v58, v4
	ds_bpermute_b32 v11, v58, v5
	s_and_saveexec_b64 s[46:47], s[10:11]
	s_cbranch_execz .LBB312_44
; %bb.43:                               ;   in Loop: Header=BB312_20 Depth=1
	s_waitcnt lgkmcnt(0)
	v_pk_add_f32 v[4:5], v[4:5], v[10:11]
	ds_write_b64 v60, v[4:5]
.LBB312_44:                             ;   in Loop: Header=BB312_20 Depth=1
	s_or_b64 exec, exec, s[46:47]
	s_mov_b32 s29, s28
	v_mov_b64_e32 v[4:5], s[28:29]
	s_waitcnt lgkmcnt(0)
	s_barrier
	s_and_saveexec_b64 s[46:47], s[4:5]
	s_cbranch_execnz .LBB312_61
; %bb.45:                               ;   in Loop: Header=BB312_20 Depth=1
	s_or_b64 exec, exec, s[46:47]
	s_and_saveexec_b64 s[46:47], s[0:1]
	s_cbranch_execnz .LBB312_62
.LBB312_46:                             ;   in Loop: Header=BB312_20 Depth=1
	s_or_b64 exec, exec, s[46:47]
	s_and_saveexec_b64 s[46:47], s[12:13]
	s_cbranch_execz .LBB312_19
	s_branch .LBB312_63
.LBB312_47:                             ;   in Loop: Header=BB312_20 Depth=1
	flat_load_dwordx2 v[6:7], v[22:23]
	flat_load_dwordx2 v[8:9], v[24:25]
	s_mul_i32 s29, s33, s21
	s_mul_hi_u32 s48, s33, s20
	s_add_i32 s49, s48, s29
	s_mul_i32 s48, s33, s20
	v_lshl_add_u64 v[66:67], s[48:49], 3, v[18:19]
	s_or_b32 s29, s33, 1
	s_mul_i32 s48, s29, s21
	s_mul_hi_u32 s49, s29, s20
	s_add_i32 s49, s49, s48
	s_mul_i32 s48, s29, s20
	s_or_b32 s29, s33, 2
	v_lshl_add_u64 v[70:71], s[48:49], 3, v[18:19]
	s_mul_i32 s48, s29, s21
	s_mul_hi_u32 s49, s29, s20
	s_add_i32 s49, s49, s48
	s_mul_i32 s48, s29, s20
	v_lshl_add_u64 v[72:73], s[48:49], 3, v[18:19]
	s_or_b32 s29, s33, 3
	s_mul_i32 s48, s29, s21
	s_mul_hi_u32 s49, s29, s20
	s_add_i32 s49, s49, s48
	s_mul_i32 s48, s29, s20
	s_waitcnt vmcnt(0) lgkmcnt(0)
	scratch_store_dwordx4 off, v[6:9], off
	flat_load_dwordx2 v[2:3], v[26:27]
	flat_load_dwordx2 v[4:5], v[28:29]
	s_waitcnt vmcnt(0) lgkmcnt(0)
	scratch_store_dwordx4 off, v[2:5], off offset:16
	flat_load_dwordx4 v[10:13], v[66:67]
	flat_load_dwordx4 v[34:37], v[72:73]
	s_waitcnt vmcnt(0) lgkmcnt(0)
	v_mul_f32_e32 v14, v7, v11
	v_fma_f32 v68, v6, v10, -v14
	flat_load_dwordx4 v[14:17], v[70:71]
	v_mul_f32_e32 v69, v6, v11
	v_fmac_f32_e32 v69, v7, v10
	v_mul_f32_e32 v39, v6, v35
	v_fmac_f32_e32 v39, v7, v34
	v_mul_f32_e32 v77, v8, v13
	v_mul_f32_e32 v43, v8, v37
	v_fmac_f32_e32 v77, v9, v12
	v_fmac_f32_e32 v43, v9, v36
	s_waitcnt vmcnt(0) lgkmcnt(0)
	v_mul_f32_e32 v10, v7, v15
	v_fma_f32 v40, v6, v14, -v10
	v_mul_f32_e32 v10, v7, v35
	v_fma_f32 v38, v6, v34, -v10
	v_lshl_add_u64 v[34:35], s[48:49], 3, v[18:19]
	flat_load_dwordx4 v[62:65], v[34:35]
	v_mul_f32_e32 v41, v6, v15
	v_mul_f32_e32 v45, v8, v17
	v_fmac_f32_e32 v41, v7, v14
	v_fmac_f32_e32 v45, v9, v16
	s_waitcnt vmcnt(0) lgkmcnt(0)
	v_mul_f32_e32 v10, v7, v63
	v_fma_f32 v74, v6, v62, -v10
	v_mul_f32_e32 v75, v6, v63
	v_mul_f32_e32 v6, v9, v13
	v_fma_f32 v76, v8, v12, -v6
	v_mul_f32_e32 v6, v9, v17
	v_fma_f32 v44, v8, v16, -v6
	;; [unrolled: 2-line block ×3, first 2 shown]
	v_mul_f32_e32 v6, v9, v65
	v_mul_f32_e32 v37, v8, v65
	v_fmac_f32_e32 v75, v7, v62
	v_fma_f32 v36, v8, v64, -v6
	v_fmac_f32_e32 v37, v9, v64
	flat_load_dwordx4 v[62:65], v[66:67] offset:16
	flat_load_dwordx4 v[14:17], v[70:71] offset:16
	;; [unrolled: 1-line block ×3, first 2 shown]
                                        ; kill: killed $vgpr66_vgpr67
                                        ; kill: killed $vgpr72_vgpr73
                                        ; kill: killed $vgpr70_vgpr71
	flat_load_dwordx4 v[6:9], v[34:35] offset:16
	v_pk_add_f32 v[34:35], v[74:75], 0 op_sel_hi:[1,0]
	s_nop 0
	v_pk_add_f32 v[34:35], v[34:35], v[36:37]
	s_waitcnt vmcnt(0) lgkmcnt(0)
	v_pk_mul_f32 v[36:37], v[2:3], v[6:7] op_sel:[1,1] op_sel_hi:[0,1]
	v_pk_fma_f32 v[66:67], v[2:3], v[6:7], v[36:37] neg_lo:[0,0,1] neg_hi:[0,0,1]
	v_pk_fma_f32 v[6:7], v[2:3], v[6:7], v[36:37] op_sel_hi:[1,0,1]
	s_nop 0
	v_mov_b32_e32 v67, v7
	v_pk_add_f32 v[36:37], v[34:35], v[66:67]
	v_pk_mul_f32 v[34:35], v[2:3], v[62:63] op_sel:[1,1] op_sel_hi:[0,1]
	v_pk_fma_f32 v[66:67], v[2:3], v[62:63], v[34:35] neg_lo:[0,0,1] neg_hi:[0,0,1]
	v_pk_fma_f32 v[34:35], v[2:3], v[62:63], v[34:35] op_sel_hi:[1,0,1]
	v_pk_add_f32 v[6:7], v[68:69], 0 op_sel_hi:[1,0]
	v_mov_b32_e32 v34, v65
	v_mov_b32_e32 v67, v35
	v_pk_mul_f32 v[34:35], v[4:5], v[34:35] op_sel_hi:[1,0]
	v_pk_add_f32 v[6:7], v[6:7], v[76:77]
	v_pk_fma_f32 v[62:63], v[4:5], v[64:65], v[34:35] op_sel:[0,0,1] op_sel_hi:[1,1,0] neg_lo:[0,0,1] neg_hi:[0,0,1]
	v_pk_fma_f32 v[34:35], v[4:5], v[64:65], v[34:35] op_sel:[0,0,1] op_sel_hi:[1,0,0]
	v_pk_add_f32 v[6:7], v[6:7], v[66:67]
	v_mov_b32_e32 v63, v35
	v_pk_add_f32 v[34:35], v[6:7], v[62:63]
	v_pk_add_f32 v[6:7], v[40:41], 0 op_sel_hi:[1,0]
	v_pk_mul_f32 v[40:41], v[2:3], v[14:15] op_sel:[1,1] op_sel_hi:[0,1]
	v_pk_add_f32 v[6:7], v[6:7], v[44:45]
	v_pk_fma_f32 v[44:45], v[2:3], v[14:15], v[40:41] neg_lo:[0,0,1] neg_hi:[0,0,1]
	v_pk_fma_f32 v[14:15], v[2:3], v[14:15], v[40:41] op_sel_hi:[1,0,1]
	s_nop 0
	v_mov_b32_e32 v14, v17
	v_mov_b32_e32 v45, v15
	v_pk_mul_f32 v[14:15], v[4:5], v[14:15] op_sel_hi:[1,0]
	v_pk_add_f32 v[6:7], v[6:7], v[44:45]
	v_pk_fma_f32 v[40:41], v[4:5], v[16:17], v[14:15] op_sel:[0,0,1] op_sel_hi:[1,1,0] neg_lo:[0,0,1] neg_hi:[0,0,1]
	v_pk_fma_f32 v[14:15], v[4:5], v[16:17], v[14:15] op_sel:[0,0,1] op_sel_hi:[1,0,0]
	v_pk_mul_f32 v[16:17], v[2:3], v[10:11] op_sel:[1,1] op_sel_hi:[0,1]
	v_mov_b32_e32 v41, v15
	v_pk_add_f32 v[14:15], v[38:39], 0 op_sel_hi:[1,0]
	v_pk_fma_f32 v[38:39], v[2:3], v[10:11], v[16:17] neg_lo:[0,0,1] neg_hi:[0,0,1]
	v_pk_fma_f32 v[2:3], v[2:3], v[10:11], v[16:17] op_sel_hi:[1,0,1]
	v_mov_b32_e32 v10, v13
	v_pk_add_f32 v[14:15], v[14:15], v[42:43]
	v_mov_b32_e32 v39, v3
	v_pk_mul_f32 v[10:11], v[4:5], v[10:11] op_sel_hi:[1,0]
	v_pk_add_f32 v[2:3], v[14:15], v[38:39]
	v_pk_fma_f32 v[14:15], v[4:5], v[12:13], v[10:11] op_sel:[0,0,1] op_sel_hi:[1,1,0] neg_lo:[0,0,1] neg_hi:[0,0,1]
	v_pk_fma_f32 v[10:11], v[4:5], v[12:13], v[10:11] op_sel:[0,0,1] op_sel_hi:[1,0,0]
	v_pk_add_f32 v[6:7], v[6:7], v[40:41]
	v_mov_b32_e32 v10, v9
	v_mov_b32_e32 v15, v11
	v_pk_mul_f32 v[10:11], v[4:5], v[10:11] op_sel_hi:[1,0]
	v_pk_add_f32 v[2:3], v[2:3], v[14:15]
	v_pk_fma_f32 v[12:13], v[4:5], v[8:9], v[10:11] op_sel:[0,0,1] op_sel_hi:[1,1,0] neg_lo:[0,0,1] neg_hi:[0,0,1]
	v_pk_fma_f32 v[4:5], v[4:5], v[8:9], v[10:11] op_sel:[0,0,1] op_sel_hi:[1,0,0]
	s_nop 0
	v_mov_b32_e32 v13, v5
	v_pk_add_f32 v[4:5], v[36:37], v[12:13]
	s_andn2_saveexec_b64 s[46:47], s[46:47]
	s_cbranch_execz .LBB312_22
.LBB312_48:                             ;   in Loop: Header=BB312_20 Depth=1
	v_mov_b32_e32 v35, 0
	v_mov_b32_e32 v34, 0
	;; [unrolled: 1-line block ×6, first 2 shown]
	s_waitcnt lgkmcnt(0)
	v_mov_b32_e32 v5, 0
	v_mov_b32_e32 v4, 0
	s_and_saveexec_b64 s[48:49], s[8:9]
	s_cbranch_execz .LBB312_54
; %bb.49:                               ;   in Loop: Header=BB312_20 Depth=1
	v_mov_b32_e32 v35, 0
	s_andn2_b64 vcc, exec, s[30:31]
	v_mov_b32_e32 v34, v35
	v_mov_b32_e32 v7, v35
	;; [unrolled: 1-line block ×7, first 2 shown]
	s_cbranch_vccnz .LBB312_54
; %bb.50:                               ;   in Loop: Header=BB312_20 Depth=1
	v_mov_b32_e32 v4, 0
	v_mov_b64_e32 v[2:3], v[22:23]
	s_mov_b32 s29, s15
.LBB312_51:                             ;   Parent Loop BB312_20 Depth=1
                                        ; =>  This Inner Loop Header: Depth=2
	flat_load_dwordx2 v[6:7], v[2:3]
	s_add_i32 s29, s29, -1
	v_lshl_add_u64 v[2:3], v[2:3], 0, s[36:37]
	s_cmp_eq_u32 s29, 0
	s_waitcnt vmcnt(0) lgkmcnt(0)
	scratch_store_dwordx2 v4, v[6:7], off
	v_add_u32_e32 v4, 8, v4
	s_cbranch_scc0 .LBB312_51
; %bb.52:                               ;   in Loop: Header=BB312_20 Depth=1
	v_mov_b32_e32 v4, 0
	v_mov_b32_e32 v10, 0
	v_mov_b64_e32 v[8:9], v[32:33]
	s_mov_b32 s29, s15
	v_mov_b32_e32 v5, v4
	v_mov_b32_e32 v2, v4
	;; [unrolled: 1-line block ×7, first 2 shown]
.LBB312_53:                             ;   Parent Loop BB312_20 Depth=1
                                        ; =>  This Inner Loop Header: Depth=2
	flat_load_dwordx2 v[12:13], v[8:9]
	v_lshl_add_u64 v[14:15], v[8:9], 0, s[44:45]
	scratch_load_dwordx2 v[16:17], v10, off
	v_lshl_add_u64 v[36:37], v[8:9], 0, s[42:43]
	v_lshl_add_u64 v[38:39], v[8:9], 0, s[38:39]
	flat_load_dwordx2 v[14:15], v[14:15]
	s_nop 0
	flat_load_dwordx2 v[36:37], v[36:37]
	s_nop 0
	flat_load_dwordx2 v[38:39], v[38:39]
	s_add_i32 s29, s29, -1
	v_add_u32_e32 v10, 8, v10
	v_lshl_add_u64 v[8:9], v[8:9], 0, 8
	s_cmp_lg_u32 s29, 0
	s_waitcnt vmcnt(0) lgkmcnt(0)
	v_pk_mul_f32 v[40:41], v[16:17], v[12:13] op_sel:[0,1]
	s_nop 0
	v_pk_fma_f32 v[42:43], v[16:17], v[12:13], v[40:41] op_sel:[0,0,1] op_sel_hi:[1,1,0] neg_lo:[0,0,1] neg_hi:[0,0,1]
	v_pk_fma_f32 v[12:13], v[16:17], v[12:13], v[40:41] op_sel:[0,0,1] op_sel_hi:[1,0,0]
	v_pk_mul_f32 v[40:41], v[16:17], v[14:15] op_sel:[0,1]
	v_pk_mul_f32 v[44:45], v[16:17], v[36:37] op_sel:[0,1]
	;; [unrolled: 1-line block ×3, first 2 shown]
	v_mov_b32_e32 v43, v13
	v_pk_fma_f32 v[12:13], v[16:17], v[14:15], v[40:41] op_sel:[0,0,1] op_sel_hi:[1,1,0] neg_lo:[0,0,1] neg_hi:[0,0,1]
	v_pk_fma_f32 v[14:15], v[16:17], v[14:15], v[40:41] op_sel:[0,0,1] op_sel_hi:[1,0,0]
	v_pk_fma_f32 v[40:41], v[16:17], v[36:37], v[44:45] op_sel:[0,0,1] op_sel_hi:[1,1,0] neg_lo:[0,0,1] neg_hi:[0,0,1]
	v_pk_fma_f32 v[36:37], v[16:17], v[36:37], v[44:45] op_sel:[0,0,1] op_sel_hi:[1,0,0]
	;; [unrolled: 2-line block ×3, first 2 shown]
	v_mov_b32_e32 v13, v15
	v_mov_b32_e32 v41, v37
	;; [unrolled: 1-line block ×3, first 2 shown]
	v_pk_add_f32 v[34:35], v[34:35], v[42:43]
	v_pk_add_f32 v[6:7], v[6:7], v[12:13]
	;; [unrolled: 1-line block ×4, first 2 shown]
	s_cbranch_scc1 .LBB312_53
.LBB312_54:                             ;   in Loop: Header=BB312_20 Depth=1
	s_or_b64 exec, exec, s[48:49]
	s_or_b64 exec, exec, s[46:47]
	s_and_saveexec_b64 s[46:47], s[0:1]
	s_cbranch_execnz .LBB312_23
	s_branch .LBB312_24
.LBB312_55:                             ;   in Loop: Header=BB312_20 Depth=1
	ds_read_b64 v[8:9], v59
	s_or_b64 exec, exec, s[46:47]
	s_and_saveexec_b64 s[46:47], s[0:1]
	s_cbranch_execz .LBB312_28
.LBB312_56:                             ;   in Loop: Header=BB312_20 Depth=1
	s_waitcnt lgkmcnt(0)
	ds_bpermute_b32 v10, v57, v8
	ds_bpermute_b32 v11, v57, v9
	s_waitcnt lgkmcnt(0)
	v_pk_add_f32 v[8:9], v[8:9], v[10:11]
	ds_bpermute_b32 v10, v58, v8
	ds_bpermute_b32 v11, v58, v9
	s_waitcnt lgkmcnt(0)
	v_pk_add_f32 v[8:9], v[8:9], v[10:11]
	s_or_b64 exec, exec, s[46:47]
	s_and_saveexec_b64 s[46:47], s[0:1]
	s_cbranch_execnz .LBB312_29
	s_branch .LBB312_30
.LBB312_57:                             ;   in Loop: Header=BB312_20 Depth=1
	ds_read_b64 v[6:7], v59
	s_or_b64 exec, exec, s[46:47]
	s_and_saveexec_b64 s[46:47], s[0:1]
	s_cbranch_execz .LBB312_34
.LBB312_58:                             ;   in Loop: Header=BB312_20 Depth=1
	s_waitcnt lgkmcnt(0)
	ds_bpermute_b32 v10, v57, v6
	ds_bpermute_b32 v11, v57, v7
	s_waitcnt lgkmcnt(0)
	v_pk_add_f32 v[6:7], v[6:7], v[10:11]
	ds_bpermute_b32 v10, v58, v6
	ds_bpermute_b32 v11, v58, v7
	s_waitcnt lgkmcnt(0)
	v_pk_add_f32 v[6:7], v[6:7], v[10:11]
	s_or_b64 exec, exec, s[46:47]
	s_and_saveexec_b64 s[46:47], s[0:1]
	s_cbranch_execnz .LBB312_35
	s_branch .LBB312_36
.LBB312_59:                             ;   in Loop: Header=BB312_20 Depth=1
	ds_read_b64 v[2:3], v59
	s_or_b64 exec, exec, s[46:47]
	s_and_saveexec_b64 s[46:47], s[0:1]
	s_cbranch_execz .LBB312_40
.LBB312_60:                             ;   in Loop: Header=BB312_20 Depth=1
	s_waitcnt lgkmcnt(0)
	ds_bpermute_b32 v10, v57, v2
	ds_bpermute_b32 v11, v57, v3
	s_waitcnt lgkmcnt(0)
	v_pk_add_f32 v[2:3], v[2:3], v[10:11]
	ds_bpermute_b32 v10, v58, v2
	ds_bpermute_b32 v11, v58, v3
	s_waitcnt lgkmcnt(0)
	v_pk_add_f32 v[2:3], v[2:3], v[10:11]
	s_or_b64 exec, exec, s[46:47]
	s_and_saveexec_b64 s[46:47], s[0:1]
	s_cbranch_execnz .LBB312_41
	s_branch .LBB312_42
.LBB312_61:                             ;   in Loop: Header=BB312_20 Depth=1
	ds_read_b64 v[4:5], v59
	s_or_b64 exec, exec, s[46:47]
	s_and_saveexec_b64 s[46:47], s[0:1]
	s_cbranch_execz .LBB312_46
.LBB312_62:                             ;   in Loop: Header=BB312_20 Depth=1
	s_waitcnt lgkmcnt(0)
	ds_bpermute_b32 v10, v57, v4
	ds_bpermute_b32 v11, v57, v5
	s_waitcnt lgkmcnt(0)
	v_pk_add_f32 v[4:5], v[4:5], v[10:11]
	ds_bpermute_b32 v10, v58, v4
	ds_bpermute_b32 v11, v58, v5
	s_waitcnt lgkmcnt(0)
	v_pk_add_f32 v[4:5], v[4:5], v[10:11]
	s_or_b64 exec, exec, s[46:47]
	s_and_saveexec_b64 s[46:47], s[12:13]
	s_cbranch_execz .LBB312_19
.LBB312_63:                             ;   in Loop: Header=BB312_20 Depth=1
	v_pk_mul_f32 v[10:11], v[8:9], s[18:19]
	v_mov_b32_e32 v12, v9
	s_mul_hi_u32 s49, s33, s14
	s_mul_i32 s48, s33, s14
	v_mov_b32_e32 v10, v11
	v_pk_mul_f32 v[12:13], v[12:13], s[18:19]
	s_lshl_b64 s[48:49], s[48:49], 3
	v_pk_fma_f32 v[10:11], v[8:9], s[18:19], v[10:11] neg_lo:[0,0,1] neg_hi:[0,0,1]
	v_pk_fma_f32 v[8:9], v[8:9], s[34:35], v[12:13]
	s_add_u32 s48, s3, s48
	s_addc_u32 s49, s52, s49
	v_mov_b32_e32 v11, v8
	s_or_b32 s29, s33, 1
	global_store_dwordx2 v30, v[10:11], s[48:49]
	v_pk_mul_f32 v[8:9], v[6:7], s[18:19]
	v_mov_b32_e32 v10, v7
	s_mul_hi_u32 s49, s29, s14
	s_mul_i32 s48, s29, s14
	v_mov_b32_e32 v8, v9
	v_pk_mul_f32 v[10:11], v[10:11], s[18:19]
	s_lshl_b64 s[48:49], s[48:49], 3
	v_pk_fma_f32 v[8:9], v[6:7], s[18:19], v[8:9] neg_lo:[0,0,1] neg_hi:[0,0,1]
	v_pk_fma_f32 v[6:7], v[6:7], s[34:35], v[10:11]
	s_add_u32 s48, s3, s48
	s_addc_u32 s49, s52, s49
	v_mov_b32_e32 v9, v6
	s_or_b32 s29, s33, 2
	global_store_dwordx2 v30, v[8:9], s[48:49]
	;; [unrolled: 14-line block ×3, first 2 shown]
	s_mul_hi_u32 s49, s29, s14
	s_mul_i32 s48, s29, s14
	s_waitcnt lgkmcnt(0)
	v_pk_mul_f32 v[2:3], v[4:5], s[18:19] op_sel:[1,0]
	s_lshl_b64 s[48:49], s[48:49], 3
	s_add_u32 s48, s3, s48
	v_pk_fma_f32 v[6:7], v[4:5], s[18:19], v[2:3] op_sel:[0,0,1] op_sel_hi:[1,1,0] neg_lo:[0,0,1] neg_hi:[0,0,1]
	v_pk_fma_f32 v[2:3], v[4:5], s[18:19], v[2:3] op_sel:[0,0,1] op_sel_hi:[0,1,0]
	s_addc_u32 s49, s52, s49
	v_mov_b32_e32 v7, v3
	global_store_dwordx2 v30, v[6:7], s[48:49]
	s_branch .LBB312_19
.LBB312_64:
	s_mov_b32 s33, 0
.LBB312_65:
	s_cmp_ge_i32 s33, s17
	s_cbranch_scc1 .LBB312_87
; %bb.66:
	v_mbcnt_hi_u32_b32 v2, -1, v50
	v_and_b32_e32 v3, 63, v2
	v_cmp_gt_u32_e64 s[4:5], 32, v3
	s_mov_b32 s12, 0
	s_cmp_gt_i32 s15, 0
	s_waitcnt lgkmcnt(0)
	v_cndmask_b32_e64 v4, 0, 1, s[4:5]
	v_lshlrev_b32_e32 v4, 5, v4
	v_cmp_gt_u32_e64 s[4:5], 48, v3
	v_add_lshl_u32 v17, v4, v2, 2
	s_mov_b32 s3, s12
	v_cndmask_b32_e64 v4, 0, 1, s[4:5]
	v_lshlrev_b32_e32 v4, 4, v4
	v_cmp_gt_u32_e64 s[4:5], 56, v3
	v_add_lshl_u32 v22, v4, v2, 2
	s_cselect_b64 s[30:31], -1, 0
	v_cndmask_b32_e64 v4, 0, 1, s[4:5]
	v_lshlrev_b32_e32 v4, 3, v4
	v_cmp_gt_u32_e64 s[4:5], 60, v3
	v_add_lshl_u32 v23, v4, v2, 2
	s_lshl_b64 s[2:3], s[2:3], 3
	v_cndmask_b32_e64 v4, 0, 1, s[4:5]
	v_lshlrev_b32_e32 v4, 2, v4
	v_cmp_gt_u32_e64 s[4:5], 62, v3
	v_add_lshl_u32 v24, v4, v2, 2
	v_cmp_ge_i32_e32 vcc, s16, v51
	v_cndmask_b32_e64 v4, 0, 1, s[4:5]
	v_lshlrev_b32_e32 v4, 1, v4
	v_cmp_ne_u32_e64 s[4:5], 63, v3
	v_cmp_ge_i32_e64 s[10:11], s16, v52
	v_add_lshl_u32 v25, v4, v2, 2
	v_addc_co_u32_e64 v2, s[4:5], 0, v2, s[4:5]
	s_add_u32 s16, s35, s2
	v_cmp_gt_u32_e64 s[0:1], 64, v0
	v_lshlrev_b32_e32 v16, 3, v1
	v_lshlrev_b32_e32 v26, 2, v2
	v_cmp_eq_u32_e64 s[4:5], 0, v1
	v_cmp_gt_u32_e64 s[6:7], 4, v0
	v_cmp_eq_u32_e64 s[8:9], 0, v0
	s_addc_u32 s28, s50, s3
	v_mad_i64_i32 v[0:1], s[2:3], s26, v20, 0
	v_mad_i64_i32 v[2:3], s[2:3], s26, v48, 0
	;; [unrolled: 1-line block ×4, first 2 shown]
	v_lshl_add_u64 v[0:1], v[0:1], 3, s[24:25]
	v_lshl_add_u64 v[2:3], v[2:3], 3, s[24:25]
	;; [unrolled: 1-line block ×4, first 2 shown]
	s_mul_i32 s13, s21, s33
	s_mul_hi_u32 s24, s20, s33
	s_add_i32 s25, s24, s13
	s_mul_i32 s24, s20, s33
	s_and_b64 s[2:3], s[30:31], s[10:11]
	s_lshl_b64 s[10:11], s[26:27], 3
	s_lshl_b64 s[24:25], s[24:25], 3
	s_add_u32 s22, s22, s24
	s_addc_u32 s23, s23, s25
	v_and_b32_e32 v27, 24, v49
	v_lshl_add_u64 v[8:9], v[20:21], 3, s[22:23]
	s_lshl_b64 s[22:23], s[20:21], 3
	v_mov_b32_e32 v10, 0
	s_branch .LBB312_68
.LBB312_67:                             ;   in Loop: Header=BB312_68 Depth=1
	s_or_b64 exec, exec, s[24:25]
	s_add_i32 s33, s33, 1
	s_cmp_lt_i32 s33, s17
	v_lshl_add_u64 v[8:9], v[8:9], 0, s[22:23]
	s_cbranch_scc0 .LBB312_87
.LBB312_68:                             ; =>This Loop Header: Depth=1
                                        ;     Child Loop BB312_80 Depth 2
                                        ;     Child Loop BB312_82 Depth 2
                                        ; implicit-def: $vgpr13
	s_and_saveexec_b64 s[24:25], vcc
	s_xor_b64 s[24:25], exec, s[24:25]
	s_cbranch_execnz .LBB312_77
; %bb.69:                               ;   in Loop: Header=BB312_68 Depth=1
	s_andn2_saveexec_b64 s[24:25], s[24:25]
	s_cbranch_execnz .LBB312_78
.LBB312_70:                             ;   in Loop: Header=BB312_68 Depth=1
	s_or_b64 exec, exec, s[24:25]
	s_and_saveexec_b64 s[24:25], s[0:1]
	s_cbranch_execz .LBB312_72
.LBB312_71:                             ;   in Loop: Header=BB312_68 Depth=1
	v_mov_b32_e32 v11, v10
	ds_write_b64 v16, v[10:11]
.LBB312_72:                             ;   in Loop: Header=BB312_68 Depth=1
	s_or_b64 exec, exec, s[24:25]
	s_waitcnt lgkmcnt(0)
	ds_bpermute_b32 v14, v17, v12
	ds_bpermute_b32 v15, v17, v13
	s_waitcnt lgkmcnt(0)
	s_barrier
	v_pk_add_f32 v[12:13], v[12:13], v[14:15]
	ds_bpermute_b32 v14, v22, v12
	ds_bpermute_b32 v15, v22, v13
	s_waitcnt lgkmcnt(0)
	v_pk_add_f32 v[12:13], v[12:13], v[14:15]
	ds_bpermute_b32 v14, v23, v12
	ds_bpermute_b32 v15, v23, v13
	s_waitcnt lgkmcnt(0)
	;; [unrolled: 4-line block ×4, first 2 shown]
	v_pk_add_f32 v[12:13], v[12:13], v[14:15]
	ds_bpermute_b32 v14, v26, v12
	ds_bpermute_b32 v15, v26, v13
	s_and_saveexec_b64 s[24:25], s[4:5]
	s_cbranch_execz .LBB312_74
; %bb.73:                               ;   in Loop: Header=BB312_68 Depth=1
	s_waitcnt lgkmcnt(0)
	v_pk_add_f32 v[12:13], v[12:13], v[14:15]
	ds_write_b64 v27, v[12:13]
.LBB312_74:                             ;   in Loop: Header=BB312_68 Depth=1
	s_or_b64 exec, exec, s[24:25]
	s_mov_b32 s13, s12
	v_mov_b64_e32 v[12:13], s[12:13]
	s_waitcnt lgkmcnt(0)
	s_barrier
	s_and_saveexec_b64 s[24:25], s[6:7]
	s_cbranch_execnz .LBB312_84
; %bb.75:                               ;   in Loop: Header=BB312_68 Depth=1
	s_or_b64 exec, exec, s[24:25]
	s_and_saveexec_b64 s[24:25], s[0:1]
	s_cbranch_execnz .LBB312_85
.LBB312_76:                             ;   in Loop: Header=BB312_68 Depth=1
	s_or_b64 exec, exec, s[24:25]
	s_and_saveexec_b64 s[24:25], s[8:9]
	s_cbranch_execz .LBB312_67
	s_branch .LBB312_86
.LBB312_77:                             ;   in Loop: Header=BB312_68 Depth=1
	flat_load_dwordx2 v[14:15], v[2:3]
	flat_load_dwordx2 v[28:29], v[4:5]
	s_waitcnt lgkmcnt(0)
	flat_load_dwordx2 v[12:13], v[0:1]
	flat_load_dwordx2 v[30:31], v[6:7]
	s_mul_i32 s13, s33, s21
	s_mul_hi_u32 s27, s33, s20
	s_mul_i32 s26, s33, s20
	s_add_i32 s27, s27, s13
	v_lshl_add_u64 v[20:21], s[26:27], 3, v[18:19]
	s_waitcnt vmcnt(0) lgkmcnt(0)
	scratch_store_dwordx4 off, v[12:15], off
	scratch_store_dwordx4 off, v[28:31], off offset:16
	flat_load_dwordx4 v[32:35], v[20:21]
	flat_load_dwordx4 v[36:39], v[20:21] offset:16
	s_waitcnt vmcnt(0) lgkmcnt(0)
	v_mul_f32_e32 v11, v13, v33
	v_mul_f32_e32 v21, v12, v33
	;; [unrolled: 1-line block ×4, first 2 shown]
	v_pk_mul_f32 v[40:41], v[28:29], v[36:37] op_sel:[1,0]
	v_fma_f32 v20, v12, v32, -v11
	v_fmac_f32_e32 v21, v13, v32
	v_pk_mul_f32 v[42:43], v[30:31], v[38:39] op_sel:[1,0]
	v_fma_f32 v32, v14, v34, -v44
	v_fmac_f32_e32 v33, v15, v34
	v_pk_fma_f32 v[12:13], v[28:29], v[36:37], v[40:41] op_sel:[0,0,1] op_sel_hi:[1,1,0] neg_lo:[0,0,1] neg_hi:[0,0,1]
	v_pk_fma_f32 v[14:15], v[28:29], v[36:37], v[40:41] op_sel:[0,0,1] op_sel_hi:[0,1,0]
	v_pk_add_f32 v[20:21], v[20:21], 0 op_sel_hi:[1,0]
	v_pk_fma_f32 v[28:29], v[30:31], v[38:39], v[42:43] op_sel:[0,0,1] op_sel_hi:[1,1,0] neg_lo:[0,0,1] neg_hi:[0,0,1]
	v_pk_fma_f32 v[30:31], v[30:31], v[38:39], v[42:43] op_sel:[0,0,1] op_sel_hi:[0,1,0]
	v_mov_b32_e32 v13, v15
	v_pk_add_f32 v[14:15], v[20:21], v[32:33]
	v_mov_b32_e32 v29, v31
	v_pk_add_f32 v[12:13], v[14:15], v[12:13]
	s_nop 0
	v_pk_add_f32 v[12:13], v[12:13], v[28:29]
	s_andn2_saveexec_b64 s[24:25], s[24:25]
	s_cbranch_execz .LBB312_70
.LBB312_78:                             ;   in Loop: Header=BB312_68 Depth=1
	s_waitcnt lgkmcnt(0)
	v_mov_b32_e32 v13, 0
	v_mov_b32_e32 v12, v13
	s_and_saveexec_b64 s[26:27], s[2:3]
	s_cbranch_execz .LBB312_83
; %bb.79:                               ;   in Loop: Header=BB312_68 Depth=1
	v_mov_b32_e32 v11, 0
	v_mov_b64_e32 v[12:13], v[0:1]
	s_mov_b32 s13, s15
.LBB312_80:                             ;   Parent Loop BB312_68 Depth=1
                                        ; =>  This Inner Loop Header: Depth=2
	flat_load_dwordx2 v[14:15], v[12:13]
	s_add_i32 s13, s13, -1
	v_lshl_add_u64 v[12:13], v[12:13], 0, s[10:11]
	s_cmp_eq_u32 s13, 0
	s_waitcnt vmcnt(0) lgkmcnt(0)
	scratch_store_dwordx2 v11, v[14:15], off
	v_add_u32_e32 v11, 8, v11
	s_cbranch_scc0 .LBB312_80
; %bb.81:                               ;   in Loop: Header=BB312_68 Depth=1
	v_mov_b32_e32 v12, 0
	v_mov_b32_e32 v11, 0
	v_mov_b64_e32 v[14:15], v[8:9]
	s_mov_b32 s13, s15
	v_mov_b32_e32 v13, v12
.LBB312_82:                             ;   Parent Loop BB312_68 Depth=1
                                        ; =>  This Inner Loop Header: Depth=2
	flat_load_dwordx2 v[20:21], v[14:15]
	scratch_load_dwordx2 v[28:29], v11, off
	s_add_i32 s13, s13, -1
	v_add_u32_e32 v11, 8, v11
	v_lshl_add_u64 v[14:15], v[14:15], 0, 8
	s_cmp_lg_u32 s13, 0
	s_waitcnt vmcnt(0) lgkmcnt(0)
	v_pk_mul_f32 v[30:31], v[28:29], v[20:21] op_sel:[0,1]
	s_nop 0
	v_pk_fma_f32 v[32:33], v[28:29], v[20:21], v[30:31] op_sel:[0,0,1] op_sel_hi:[1,1,0] neg_lo:[0,0,1] neg_hi:[0,0,1]
	v_pk_fma_f32 v[20:21], v[28:29], v[20:21], v[30:31] op_sel:[0,0,1] op_sel_hi:[1,0,0]
	s_nop 0
	v_mov_b32_e32 v33, v21
	v_pk_add_f32 v[12:13], v[12:13], v[32:33]
	s_cbranch_scc1 .LBB312_82
.LBB312_83:                             ;   in Loop: Header=BB312_68 Depth=1
	s_or_b64 exec, exec, s[26:27]
	s_or_b64 exec, exec, s[24:25]
	s_and_saveexec_b64 s[24:25], s[0:1]
	s_cbranch_execnz .LBB312_71
	s_branch .LBB312_72
.LBB312_84:                             ;   in Loop: Header=BB312_68 Depth=1
	ds_read_b64 v[12:13], v16
	s_or_b64 exec, exec, s[24:25]
	s_and_saveexec_b64 s[24:25], s[0:1]
	s_cbranch_execz .LBB312_76
.LBB312_85:                             ;   in Loop: Header=BB312_68 Depth=1
	s_waitcnt lgkmcnt(0)
	ds_bpermute_b32 v14, v25, v12
	ds_bpermute_b32 v15, v25, v13
	s_waitcnt lgkmcnt(0)
	v_pk_add_f32 v[12:13], v[12:13], v[14:15]
	ds_bpermute_b32 v14, v26, v12
	ds_bpermute_b32 v15, v26, v13
	s_waitcnt lgkmcnt(0)
	v_pk_add_f32 v[12:13], v[12:13], v[14:15]
	s_or_b64 exec, exec, s[24:25]
	s_and_saveexec_b64 s[24:25], s[8:9]
	s_cbranch_execz .LBB312_67
.LBB312_86:                             ;   in Loop: Header=BB312_68 Depth=1
	s_mul_hi_u32 s27, s33, s14
	s_mul_i32 s26, s33, s14
	s_waitcnt lgkmcnt(0)
	v_pk_mul_f32 v[14:15], v[12:13], s[18:19] op_sel:[1,0]
	s_lshl_b64 s[26:27], s[26:27], 3
	s_add_u32 s26, s16, s26
	v_pk_fma_f32 v[20:21], v[12:13], s[18:19], v[14:15] op_sel:[0,0,1] op_sel_hi:[1,1,0] neg_lo:[0,0,1] neg_hi:[0,0,1]
	v_pk_fma_f32 v[12:13], v[12:13], s[18:19], v[14:15] op_sel:[0,0,1] op_sel_hi:[0,1,0]
	s_addc_u32 s27, s28, s27
	v_mov_b32_e32 v21, v13
	global_store_dwordx2 v10, v[20:21], s[26:27]
	s_branch .LBB312_67
.LBB312_87:
	s_endpgm
	.section	.rodata,"a",@progbits
	.p2align	6, 0x0
	.amdhsa_kernel _ZL23rocblas_gemvt_sn_kernelILb0ELi256ELi4ElPK19rocblas_complex_numIfES1_S1_EviiT4_lPKT3_lilS7_lilPT5_i
		.amdhsa_group_segment_fixed_size 512
		.amdhsa_private_segment_fixed_size 48
		.amdhsa_kernarg_size 360
		.amdhsa_user_sgpr_count 2
		.amdhsa_user_sgpr_dispatch_ptr 0
		.amdhsa_user_sgpr_queue_ptr 0
		.amdhsa_user_sgpr_kernarg_segment_ptr 1
		.amdhsa_user_sgpr_dispatch_id 0
		.amdhsa_user_sgpr_kernarg_preload_length 0
		.amdhsa_user_sgpr_kernarg_preload_offset 0
		.amdhsa_user_sgpr_private_segment_size 0
		.amdhsa_uses_dynamic_stack 0
		.amdhsa_enable_private_segment 1
		.amdhsa_system_sgpr_workgroup_id_x 1
		.amdhsa_system_sgpr_workgroup_id_y 0
		.amdhsa_system_sgpr_workgroup_id_z 1
		.amdhsa_system_sgpr_workgroup_info 0
		.amdhsa_system_vgpr_workitem_id 0
		.amdhsa_next_free_vgpr 78
		.amdhsa_next_free_sgpr 53
		.amdhsa_accum_offset 80
		.amdhsa_reserve_vcc 1
		.amdhsa_float_round_mode_32 0
		.amdhsa_float_round_mode_16_64 0
		.amdhsa_float_denorm_mode_32 3
		.amdhsa_float_denorm_mode_16_64 3
		.amdhsa_dx10_clamp 1
		.amdhsa_ieee_mode 1
		.amdhsa_fp16_overflow 0
		.amdhsa_tg_split 0
		.amdhsa_exception_fp_ieee_invalid_op 0
		.amdhsa_exception_fp_denorm_src 0
		.amdhsa_exception_fp_ieee_div_zero 0
		.amdhsa_exception_fp_ieee_overflow 0
		.amdhsa_exception_fp_ieee_underflow 0
		.amdhsa_exception_fp_ieee_inexact 0
		.amdhsa_exception_int_div_zero 0
	.end_amdhsa_kernel
	.section	.text._ZL23rocblas_gemvt_sn_kernelILb0ELi256ELi4ElPK19rocblas_complex_numIfES1_S1_EviiT4_lPKT3_lilS7_lilPT5_i,"axG",@progbits,_ZL23rocblas_gemvt_sn_kernelILb0ELi256ELi4ElPK19rocblas_complex_numIfES1_S1_EviiT4_lPKT3_lilS7_lilPT5_i,comdat
.Lfunc_end312:
	.size	_ZL23rocblas_gemvt_sn_kernelILb0ELi256ELi4ElPK19rocblas_complex_numIfES1_S1_EviiT4_lPKT3_lilS7_lilPT5_i, .Lfunc_end312-_ZL23rocblas_gemvt_sn_kernelILb0ELi256ELi4ElPK19rocblas_complex_numIfES1_S1_EviiT4_lPKT3_lilS7_lilPT5_i
                                        ; -- End function
	.section	.AMDGPU.csdata,"",@progbits
; Kernel info:
; codeLenInByte = 5408
; NumSgprs: 59
; NumVgprs: 78
; NumAgprs: 0
; TotalNumVgprs: 78
; ScratchSize: 48
; MemoryBound: 0
; FloatMode: 240
; IeeeMode: 1
; LDSByteSize: 512 bytes/workgroup (compile time only)
; SGPRBlocks: 7
; VGPRBlocks: 9
; NumSGPRsForWavesPerEU: 59
; NumVGPRsForWavesPerEU: 78
; AccumOffset: 80
; Occupancy: 6
; WaveLimiterHint : 0
; COMPUTE_PGM_RSRC2:SCRATCH_EN: 1
; COMPUTE_PGM_RSRC2:USER_SGPR: 2
; COMPUTE_PGM_RSRC2:TRAP_HANDLER: 0
; COMPUTE_PGM_RSRC2:TGID_X_EN: 1
; COMPUTE_PGM_RSRC2:TGID_Y_EN: 0
; COMPUTE_PGM_RSRC2:TGID_Z_EN: 1
; COMPUTE_PGM_RSRC2:TIDIG_COMP_CNT: 0
; COMPUTE_PGM_RSRC3_GFX90A:ACCUM_OFFSET: 19
; COMPUTE_PGM_RSRC3_GFX90A:TG_SPLIT: 0
	.section	.text._ZL23rocblas_gemvt_sn_reduceILi256ELi8E19rocblas_complex_numIfES1_KPS1_EviT2_lPT3_lilPT1_i,"axG",@progbits,_ZL23rocblas_gemvt_sn_reduceILi256ELi8E19rocblas_complex_numIfES1_KPS1_EviT2_lPT3_lilPT1_i,comdat
	.globl	_ZL23rocblas_gemvt_sn_reduceILi256ELi8E19rocblas_complex_numIfES1_KPS1_EviT2_lPT3_lilPT1_i ; -- Begin function _ZL23rocblas_gemvt_sn_reduceILi256ELi8E19rocblas_complex_numIfES1_KPS1_EviT2_lPT3_lilPT1_i
	.p2align	8
	.type	_ZL23rocblas_gemvt_sn_reduceILi256ELi8E19rocblas_complex_numIfES1_KPS1_EviT2_lPT3_lilPT1_i,@function
_ZL23rocblas_gemvt_sn_reduceILi256ELi8E19rocblas_complex_numIfES1_KPS1_EviT2_lPT3_lilPT1_i: ; @_ZL23rocblas_gemvt_sn_reduceILi256ELi8E19rocblas_complex_numIfES1_KPS1_EviT2_lPT3_lilPT1_i
; %bb.0:
	s_load_dwordx4 s[12:15], s[0:1], 0x18
	s_load_dwordx4 s[8:11], s[0:1], 0x0
	s_mov_b32 s5, 0
	s_lshl_b64 s[6:7], s[4:5], 3
	v_lshlrev_b32_e32 v1, 3, v0
	s_waitcnt lgkmcnt(0)
	s_add_u32 s16, s12, s6
	s_addc_u32 s17, s13, s7
	s_load_dwordx2 s[12:13], s[0:1], 0x38
	s_load_dword s2, s[0:1], 0x4c
	s_load_dwordx2 s[6:7], s[16:17], 0x0
	s_ashr_i32 s11, s8, 31
	s_add_u32 s20, s0, 0x48
	s_addc_u32 s21, s1, 0
	s_waitcnt lgkmcnt(0)
	s_mul_i32 s2, s2, s4
	s_add_i32 s2, s2, s3
	s_mul_i32 s4, s2, s11
	s_mul_hi_u32 s16, s2, s8
	s_add_i32 s17, s16, s4
	s_mul_i32 s16, s2, s8
	s_lshr_b32 s2, s11, 29
	s_add_i32 s2, s8, s2
	s_and_b32 s2, s2, -8
	s_mov_b32 s4, s5
	v_cmp_gt_i32_e32 vcc, s2, v1
	v_mov_b64_e32 v[2:3], s[4:5]
	s_and_saveexec_b64 s[18:19], vcc
	s_cbranch_execz .LBB313_4
; %bb.1:
	s_load_dword s4, s[20:21], 0xc
	s_lshl_b64 s[20:21], s[16:17], 3
	v_lshlrev_b32_e32 v2, 6, v0
	v_mov_b32_e32 v3, 0
	s_waitcnt lgkmcnt(0)
	s_and_b32 s4, s4, 0xffff
	s_lshl_b32 s11, s4, 3
	s_add_u32 s20, s12, s20
	s_addc_u32 s21, s13, s21
	v_lshl_add_u64 v[4:5], s[20:21], 0, v[2:3]
	s_lshl_b32 s4, s4, 6
	v_lshl_add_u64 v[4:5], v[4:5], 0, 56
	s_mov_b64 s[20:21], 0
	v_mov_b32_e32 v2, v3
.LBB313_2:                              ; =>This Inner Loop Header: Depth=1
	global_load_dwordx4 v[6:9], v[4:5], off offset:-56
	global_load_dwordx4 v[10:13], v[4:5], off offset:-40
	;; [unrolled: 1-line block ×4, first 2 shown]
	v_add_u32_e32 v1, s11, v1
	v_cmp_le_i32_e32 vcc, s2, v1
	v_lshl_add_u64 v[4:5], v[4:5], 0, s[4:5]
	s_or_b64 s[20:21], vcc, s[20:21]
	s_waitcnt vmcnt(3)
	v_pk_add_f32 v[2:3], v[2:3], v[6:7]
	s_nop 0
	v_pk_add_f32 v[2:3], v[2:3], v[8:9]
	s_waitcnt vmcnt(2)
	v_pk_add_f32 v[2:3], v[2:3], v[10:11]
	s_nop 0
	v_pk_add_f32 v[2:3], v[2:3], v[12:13]
	;; [unrolled: 4-line block ×4, first 2 shown]
	s_andn2_b64 exec, exec, s[20:21]
	s_cbranch_execnz .LBB313_2
; %bb.3:
	s_or_b64 exec, exec, s[20:21]
.LBB313_4:
	s_or_b64 exec, exec, s[18:19]
	s_sub_i32 s2, s8, s2
	v_cmp_gt_u32_e32 vcc, s2, v0
	s_and_saveexec_b64 s[4:5], vcc
	s_cbranch_execz .LBB313_6
; %bb.5:
	s_lshl_b64 s[16:17], s[16:17], 3
	s_add_u32 s12, s12, s16
	s_addc_u32 s13, s13, s17
	v_xad_u32 v4, v0, -1, s8
	v_mov_b32_e32 v5, 0
	v_lshl_add_u64 v[4:5], v[4:5], 3, s[12:13]
	global_load_dwordx2 v[4:5], v[4:5], off
	s_waitcnt vmcnt(0)
	v_pk_add_f32 v[2:3], v[2:3], v[4:5]
.LBB313_6:
	s_or_b64 exec, exec, s[4:5]
	v_and_b32_e32 v6, 63, v0
	v_cmp_gt_u32_e32 vcc, 64, v0
	v_lshlrev_b32_e32 v1, 3, v6
	s_and_saveexec_b64 s[4:5], vcc
	s_cbranch_execz .LBB313_8
; %bb.7:
	v_mov_b32_e32 v4, 0
	v_mov_b32_e32 v5, v4
	ds_write_b64 v1, v[4:5]
.LBB313_8:
	s_or_b64 exec, exec, s[4:5]
	v_mbcnt_lo_u32_b32 v4, -1, 0
	v_mbcnt_hi_u32_b32 v8, -1, v4
	v_and_b32_e32 v9, 63, v8
	v_cmp_gt_u32_e64 s[4:5], 32, v9
	s_waitcnt lgkmcnt(0)
	s_barrier
	v_cndmask_b32_e64 v4, 0, 1, s[4:5]
	v_lshlrev_b32_e32 v4, 5, v4
	v_add_lshl_u32 v5, v4, v8, 2
	ds_bpermute_b32 v4, v5, v2
	ds_bpermute_b32 v5, v5, v3
	v_cmp_gt_u32_e64 s[4:5], 48, v9
	s_waitcnt lgkmcnt(0)
	v_pk_add_f32 v[2:3], v[2:3], v[4:5]
	v_cndmask_b32_e64 v7, 0, 1, s[4:5]
	v_lshlrev_b32_e32 v7, 4, v7
	v_add_lshl_u32 v7, v7, v8, 2
	ds_bpermute_b32 v4, v7, v2
	ds_bpermute_b32 v5, v7, v3
	v_cmp_gt_u32_e64 s[4:5], 56, v9
	s_waitcnt lgkmcnt(0)
	v_pk_add_f32 v[2:3], v[2:3], v[4:5]
	;; [unrolled: 8-line block ×4, first 2 shown]
	v_cndmask_b32_e64 v7, 0, 1, s[4:5]
	v_lshlrev_b32_e32 v7, 1, v7
	v_add_lshl_u32 v7, v7, v8, 2
	ds_bpermute_b32 v4, v7, v2
	ds_bpermute_b32 v5, v7, v3
	v_cmp_ne_u32_e64 s[4:5], 63, v9
	s_waitcnt lgkmcnt(0)
	v_pk_add_f32 v[2:3], v[2:3], v[4:5]
	v_addc_co_u32_e64 v4, s[4:5], 0, v8, s[4:5]
	v_lshlrev_b32_e32 v8, 2, v4
	ds_bpermute_b32 v4, v8, v2
	ds_bpermute_b32 v5, v8, v3
	v_cmp_eq_u32_e64 s[4:5], 0, v6
	s_and_saveexec_b64 s[12:13], s[4:5]
	s_cbranch_execz .LBB313_10
; %bb.9:
	v_lshrrev_b32_e32 v6, 3, v0
	v_and_b32_e32 v6, 24, v6
	s_waitcnt lgkmcnt(0)
	v_pk_add_f32 v[2:3], v[2:3], v[4:5]
	ds_write_b64 v6, v[2:3]
.LBB313_10:
	s_or_b64 exec, exec, s[12:13]
	v_cmp_gt_u32_e64 s[4:5], 4, v0
	v_mov_b32_e32 v2, 0
	v_mov_b32_e32 v3, 0
	s_waitcnt lgkmcnt(0)
	s_barrier
	s_and_saveexec_b64 s[12:13], s[4:5]
	s_cbranch_execnz .LBB313_14
; %bb.11:
	s_or_b64 exec, exec, s[12:13]
	s_and_saveexec_b64 s[4:5], vcc
	s_cbranch_execnz .LBB313_15
.LBB313_12:
	s_or_b64 exec, exec, s[4:5]
	v_cmp_eq_u32_e32 vcc, 0, v0
	s_and_saveexec_b64 s[4:5], vcc
	s_cbranch_execnz .LBB313_16
.LBB313_13:
	s_endpgm
.LBB313_14:
	ds_read_b64 v[2:3], v1
	s_or_b64 exec, exec, s[12:13]
	s_and_saveexec_b64 s[4:5], vcc
	s_cbranch_execz .LBB313_12
.LBB313_15:
	s_waitcnt lgkmcnt(0)
	ds_bpermute_b32 v4, v7, v2
	ds_bpermute_b32 v5, v7, v3
	s_waitcnt lgkmcnt(0)
	v_pk_add_f32 v[2:3], v[2:3], v[4:5]
	ds_bpermute_b32 v4, v8, v2
	ds_bpermute_b32 v5, v8, v3
	s_waitcnt lgkmcnt(0)
	v_pk_add_f32 v[2:3], v[2:3], v[4:5]
	s_or_b64 exec, exec, s[4:5]
	v_cmp_eq_u32_e32 vcc, 0, v0
	s_and_saveexec_b64 s[4:5], vcc
	s_cbranch_execz .LBB313_13
.LBB313_16:
	s_load_dword s5, s[0:1], 0x28
	s_lshl_b64 s[0:1], s[14:15], 3
	v_cmp_neq_f32_e64 s[12:13], s9, 0
	v_cmp_neq_f32_e64 s[14:15], s10, 0
	s_waitcnt lgkmcnt(0)
	s_ashr_i32 s8, s5, 31
	s_add_u32 s2, s6, s0
	s_mul_hi_u32 s11, s5, s3
	s_addc_u32 s4, s7, s1
	s_mul_i32 s8, s8, s3
	s_or_b64 s[6:7], s[12:13], s[14:15]
	s_add_i32 s1, s11, s8
	s_andn2_b64 vcc, exec, s[6:7]
	s_mul_i32 s0, s5, s3
	s_cbranch_vccnz .LBB313_18
; %bb.17:
	s_lshl_b64 s[6:7], s[0:1], 3
	s_add_u32 s6, s2, s6
	s_addc_u32 s7, s4, s7
	s_load_dwordx2 s[6:7], s[6:7], 0x0
	s_mov_b32 s8, s9
	s_mov_b32 s9, s10
	s_waitcnt lgkmcnt(0)
	v_mov_b64_e32 v[0:1], s[6:7]
	v_pk_mul_f32 v[4:5], s[8:9], v[0:1] op_sel:[0,1]
	s_nop 0
	v_pk_fma_f32 v[6:7], s[8:9], v[0:1], v[4:5] op_sel:[0,0,1] op_sel_hi:[1,1,0] neg_lo:[0,0,1] neg_hi:[0,0,1]
	v_pk_fma_f32 v[0:1], s[8:9], v[0:1], v[4:5] op_sel:[0,0,1] op_sel_hi:[1,0,0]
	s_nop 0
	v_mov_b32_e32 v7, v1
	v_pk_add_f32 v[2:3], v[6:7], v[2:3]
.LBB313_18:
	s_lshl_b64 s[0:1], s[0:1], 3
	s_add_u32 s0, s2, s0
	s_addc_u32 s1, s4, s1
	v_mov_b32_e32 v0, 0
	global_store_dwordx2 v0, v[2:3], s[0:1]
	s_endpgm
	.section	.rodata,"a",@progbits
	.p2align	6, 0x0
	.amdhsa_kernel _ZL23rocblas_gemvt_sn_reduceILi256ELi8E19rocblas_complex_numIfES1_KPS1_EviT2_lPT3_lilPT1_i
		.amdhsa_group_segment_fixed_size 512
		.amdhsa_private_segment_fixed_size 0
		.amdhsa_kernarg_size 328
		.amdhsa_user_sgpr_count 2
		.amdhsa_user_sgpr_dispatch_ptr 0
		.amdhsa_user_sgpr_queue_ptr 0
		.amdhsa_user_sgpr_kernarg_segment_ptr 1
		.amdhsa_user_sgpr_dispatch_id 0
		.amdhsa_user_sgpr_kernarg_preload_length 0
		.amdhsa_user_sgpr_kernarg_preload_offset 0
		.amdhsa_user_sgpr_private_segment_size 0
		.amdhsa_uses_dynamic_stack 0
		.amdhsa_enable_private_segment 0
		.amdhsa_system_sgpr_workgroup_id_x 1
		.amdhsa_system_sgpr_workgroup_id_y 1
		.amdhsa_system_sgpr_workgroup_id_z 1
		.amdhsa_system_sgpr_workgroup_info 0
		.amdhsa_system_vgpr_workitem_id 0
		.amdhsa_next_free_vgpr 22
		.amdhsa_next_free_sgpr 22
		.amdhsa_accum_offset 24
		.amdhsa_reserve_vcc 1
		.amdhsa_float_round_mode_32 0
		.amdhsa_float_round_mode_16_64 0
		.amdhsa_float_denorm_mode_32 3
		.amdhsa_float_denorm_mode_16_64 3
		.amdhsa_dx10_clamp 1
		.amdhsa_ieee_mode 1
		.amdhsa_fp16_overflow 0
		.amdhsa_tg_split 0
		.amdhsa_exception_fp_ieee_invalid_op 0
		.amdhsa_exception_fp_denorm_src 0
		.amdhsa_exception_fp_ieee_div_zero 0
		.amdhsa_exception_fp_ieee_overflow 0
		.amdhsa_exception_fp_ieee_underflow 0
		.amdhsa_exception_fp_ieee_inexact 0
		.amdhsa_exception_int_div_zero 0
	.end_amdhsa_kernel
	.section	.text._ZL23rocblas_gemvt_sn_reduceILi256ELi8E19rocblas_complex_numIfES1_KPS1_EviT2_lPT3_lilPT1_i,"axG",@progbits,_ZL23rocblas_gemvt_sn_reduceILi256ELi8E19rocblas_complex_numIfES1_KPS1_EviT2_lPT3_lilPT1_i,comdat
.Lfunc_end313:
	.size	_ZL23rocblas_gemvt_sn_reduceILi256ELi8E19rocblas_complex_numIfES1_KPS1_EviT2_lPT3_lilPT1_i, .Lfunc_end313-_ZL23rocblas_gemvt_sn_reduceILi256ELi8E19rocblas_complex_numIfES1_KPS1_EviT2_lPT3_lilPT1_i
                                        ; -- End function
	.section	.AMDGPU.csdata,"",@progbits
; Kernel info:
; codeLenInByte = 1220
; NumSgprs: 28
; NumVgprs: 22
; NumAgprs: 0
; TotalNumVgprs: 22
; ScratchSize: 0
; MemoryBound: 0
; FloatMode: 240
; IeeeMode: 1
; LDSByteSize: 512 bytes/workgroup (compile time only)
; SGPRBlocks: 3
; VGPRBlocks: 2
; NumSGPRsForWavesPerEU: 28
; NumVGPRsForWavesPerEU: 22
; AccumOffset: 24
; Occupancy: 8
; WaveLimiterHint : 1
; COMPUTE_PGM_RSRC2:SCRATCH_EN: 0
; COMPUTE_PGM_RSRC2:USER_SGPR: 2
; COMPUTE_PGM_RSRC2:TRAP_HANDLER: 0
; COMPUTE_PGM_RSRC2:TGID_X_EN: 1
; COMPUTE_PGM_RSRC2:TGID_Y_EN: 1
; COMPUTE_PGM_RSRC2:TGID_Z_EN: 1
; COMPUTE_PGM_RSRC2:TIDIG_COMP_CNT: 0
; COMPUTE_PGM_RSRC3_GFX90A:ACCUM_OFFSET: 5
; COMPUTE_PGM_RSRC3_GFX90A:TG_SPLIT: 0
	.section	.text._ZL32rocblas_gemvt_warp_reduce_kernelILb0ELi256EiPK19rocblas_complex_numIfES3_KPS1_EviiT3_lPKT2_lT1_lS9_lSA_lS6_lPT4_lSA_li,"axG",@progbits,_ZL32rocblas_gemvt_warp_reduce_kernelILb0ELi256EiPK19rocblas_complex_numIfES3_KPS1_EviiT3_lPKT2_lT1_lS9_lSA_lS6_lPT4_lSA_li,comdat
	.globl	_ZL32rocblas_gemvt_warp_reduce_kernelILb0ELi256EiPK19rocblas_complex_numIfES3_KPS1_EviiT3_lPKT2_lT1_lS9_lSA_lS6_lPT4_lSA_li ; -- Begin function _ZL32rocblas_gemvt_warp_reduce_kernelILb0ELi256EiPK19rocblas_complex_numIfES3_KPS1_EviiT3_lPKT2_lT1_lS9_lSA_lS6_lPT4_lSA_li
	.p2align	8
	.type	_ZL32rocblas_gemvt_warp_reduce_kernelILb0ELi256EiPK19rocblas_complex_numIfES3_KPS1_EviiT3_lPKT2_lT1_lS9_lSA_lS6_lPT4_lSA_li,@function
_ZL32rocblas_gemvt_warp_reduce_kernelILb0ELi256EiPK19rocblas_complex_numIfES3_KPS1_EviiT3_lPKT2_lT1_lS9_lSA_lS6_lPT4_lSA_li: ; @_ZL32rocblas_gemvt_warp_reduce_kernelILb0ELi256EiPK19rocblas_complex_numIfES3_KPS1_EviiT3_lPKT2_lT1_lS9_lSA_lS6_lPT4_lSA_li
; %bb.0:
	s_load_dwordx8 s[12:19], s[0:1], 0x8
	s_load_dwordx8 s[4:11], s[0:1], 0x58
	s_mov_b32 s22, s3
	s_waitcnt lgkmcnt(0)
	s_mul_i32 s3, s3, s15
	s_mul_hi_u32 s15, s22, s14
	s_add_i32 s15, s15, s3
	s_mul_i32 s14, s22, s14
	s_lshl_b64 s[14:15], s[14:15], 3
	s_add_u32 s12, s12, s14
	s_mul_i32 s3, s22, s7
	s_mul_hi_u32 s7, s22, s6
	s_addc_u32 s13, s13, s15
	s_add_i32 s7, s7, s3
	s_mul_i32 s6, s22, s6
	s_lshl_b64 s[6:7], s[6:7], 3
	s_add_u32 s4, s4, s6
	s_load_dwordx2 s[12:13], s[12:13], 0x0
	s_addc_u32 s5, s5, s7
	s_load_dwordx2 s[6:7], s[4:5], 0x0
	s_waitcnt lgkmcnt(0)
	v_cmp_eq_f32_e64 s[4:5], s12, 0
	v_cmp_eq_f32_e64 s[14:15], s13, 0
	s_and_b64 s[4:5], s[4:5], s[14:15]
	v_cmp_eq_f32_e64 s[14:15], s6, 1.0
	v_cmp_eq_f32_e64 s[20:21], s7, 0
	s_and_b64 s[14:15], s[14:15], s[20:21]
	s_and_b64 s[4:5], s[4:5], s[14:15]
	s_and_b64 vcc, exec, s[4:5]
	s_cbranch_vccnz .LBB314_25
; %bb.1:
	s_or_b32 s3, s12, s13
	s_bitset0_b32 s3, 31
	s_cmp_lg_u32 s3, 0
	s_cselect_b64 s[24:25], -1, 0
	s_cmp_eq_u32 s3, 0
	s_cselect_b64 s[4:5], -1, 0
	s_mov_b32 s23, 0
	s_mov_b64 s[14:15], 0
	s_and_b64 vcc, exec, s[4:5]
	s_mov_b64 s[20:21], 0
	s_cbranch_vccnz .LBB314_3
; %bb.2:
	s_lshl_b64 s[20:21], s[22:23], 3
	s_add_u32 s16, s16, s20
	s_addc_u32 s17, s17, s21
	s_load_dwordx2 s[16:17], s[16:17], 0x0
	s_lshl_b64 s[18:19], s[18:19], 3
	s_waitcnt lgkmcnt(0)
	s_add_u32 s20, s16, s18
	s_addc_u32 s21, s17, s19
.LBB314_3:
	s_andn2_b64 vcc, exec, s[24:25]
	s_cbranch_vccnz .LBB314_5
; %bb.4:
	s_load_dwordx4 s[16:19], s[0:1], 0x38
	s_lshl_b64 s[14:15], s[22:23], 3
	s_waitcnt lgkmcnt(0)
	s_add_u32 s14, s16, s14
	s_addc_u32 s15, s17, s15
	s_load_dwordx2 s[14:15], s[14:15], 0x0
	s_lshl_b64 s[16:17], s[18:19], 3
	s_waitcnt lgkmcnt(0)
	s_add_u32 s14, s14, s16
	s_addc_u32 s15, s15, s17
.LBB314_5:
	s_lshl_b64 s[16:17], s[22:23], 3
	s_add_u32 s8, s8, s16
	s_addc_u32 s9, s9, s17
	s_load_dwordx2 s[18:19], s[8:9], 0x0
	s_load_dword s17, s[0:1], 0x78
	s_lshl_b64 s[10:11], s[10:11], 3
	s_mov_b64 s[8:9], -1
	s_waitcnt lgkmcnt(0)
	s_add_u32 s3, s18, s10
	s_addc_u32 s16, s19, s11
	s_andn2_b64 vcc, exec, s[4:5]
	v_cmp_eq_u32_e64 s[4:5], 0, v0
	s_cbranch_vccnz .LBB314_11
; %bb.6:
	s_and_saveexec_b64 s[8:9], s[4:5]
	s_cbranch_execz .LBB314_10
; %bb.7:
	v_cmp_neq_f32_e64 s[10:11], s6, 0
	v_cmp_neq_f32_e64 s[18:19], s7, 0
	s_mul_i32 s4, s2, s17
	s_or_b64 s[10:11], s[10:11], s[18:19]
	s_ashr_i32 s5, s4, 31
	v_mov_b32_e32 v1, 0
	s_andn2_b64 vcc, exec, s[10:11]
	v_mov_b32_e32 v2, 0
	v_mov_b32_e32 v3, 0
	s_cbranch_vccnz .LBB314_9
; %bb.8:
	s_lshl_b64 s[10:11], s[4:5], 3
	s_add_u32 s10, s3, s10
	s_addc_u32 s11, s16, s11
	s_load_dwordx2 s[10:11], s[10:11], 0x0
	s_waitcnt lgkmcnt(0)
	v_mov_b64_e32 v[4:5], s[10:11]
	v_pk_mul_f32 v[6:7], s[6:7], v[4:5] op_sel:[0,1]
	s_nop 0
	v_pk_fma_f32 v[2:3], s[6:7], v[4:5], v[6:7] op_sel:[0,0,1] op_sel_hi:[1,1,0] neg_lo:[0,0,1] neg_hi:[0,0,1]
	v_pk_fma_f32 v[4:5], s[6:7], v[4:5], v[6:7] op_sel:[0,0,1] op_sel_hi:[1,0,0]
	s_nop 0
	v_mov_b32_e32 v3, v5
.LBB314_9:
	s_lshl_b64 s[4:5], s[4:5], 3
	s_add_u32 s4, s3, s4
	s_addc_u32 s5, s16, s5
	global_store_dwordx2 v1, v[2:3], s[4:5]
.LBB314_10:
	s_or_b64 exec, exec, s[8:9]
	s_mov_b64 s[8:9], 0
.LBB314_11:
	s_andn2_b64 vcc, exec, s[8:9]
	s_cbranch_vccnz .LBB314_25
; %bb.12:
	s_load_dword s19, s[0:1], 0x0
	s_load_dword s5, s[0:1], 0x28
	;; [unrolled: 1-line block ×3, first 2 shown]
	v_mov_b32_e32 v6, 0
	v_mov_b32_e32 v3, v6
	s_waitcnt lgkmcnt(0)
	v_cmp_gt_i32_e32 vcc, s19, v0
	s_mul_i32 s0, s2, s5
	s_ashr_i32 s1, s0, 31
	s_lshl_b64 s[0:1], s[0:1], 3
	v_cndmask_b32_e32 v1, 0, v0, vcc
	s_add_u32 s0, s0, s20
	v_lshlrev_b32_e32 v2, 3, v1
	s_addc_u32 s1, s1, s21
	v_lshl_add_u64 v[2:3], s[0:1], 0, v[2:3]
	s_ashr_i32 s0, s19, 31
	s_lshr_b32 s0, s0, 24
	s_mov_b32 s4, 0
	s_add_i32 s0, s19, s0
	s_and_b32 s0, s0, 0xffffff00
	s_mov_b32 s5, s4
	v_cmp_gt_i32_e32 vcc, s0, v0
	v_mov_b64_e32 v[4:5], s[4:5]
	s_and_saveexec_b64 s[4:5], vcc
	s_cbranch_execz .LBB314_16
; %bb.13:
	v_mul_lo_u32 v4, v0, s18
	s_lshl_b32 s1, s18, 8
	s_mov_b64 s[8:9], 0
	s_mov_b64 s[10:11], 0x800
	v_mov_b64_e32 v[8:9], v[2:3]
	v_mov_b32_e32 v1, v0
	v_mov_b32_e32 v7, v6
.LBB314_14:                             ; =>This Inner Loop Header: Depth=1
	v_ashrrev_i32_e32 v5, 31, v4
	v_lshl_add_u64 v[12:13], v[4:5], 3, s[14:15]
	flat_load_dwordx2 v[10:11], v[8:9]
	v_add_u32_e32 v1, 0x100, v1
	flat_load_dwordx2 v[12:13], v[12:13]
	v_cmp_le_i32_e32 vcc, s0, v1
	v_lshl_add_u64 v[8:9], v[8:9], 0, s[10:11]
	v_add_u32_e32 v4, s1, v4
	s_or_b64 s[8:9], vcc, s[8:9]
	s_waitcnt vmcnt(0) lgkmcnt(0)
	v_mul_f32_e32 v5, v13, v11
	v_mul_f32_e32 v15, v12, v11
	v_fma_f32 v14, v12, v10, -v5
	v_fmac_f32_e32 v15, v13, v10
	v_pk_add_f32 v[6:7], v[6:7], v[14:15]
	s_andn2_b64 exec, exec, s[8:9]
	s_cbranch_execnz .LBB314_14
; %bb.15:
	s_or_b64 exec, exec, s[8:9]
	v_mov_b64_e32 v[4:5], v[6:7]
.LBB314_16:
	s_or_b64 exec, exec, s[4:5]
	v_add_u32_e32 v1, s0, v0
	v_cmp_gt_i32_e32 vcc, s19, v1
	s_and_saveexec_b64 s[4:5], vcc
	s_cbranch_execz .LBB314_18
; %bb.17:
	v_mul_lo_u32 v6, v1, s18
	s_ashr_i32 s1, s0, 31
	v_ashrrev_i32_e32 v7, 31, v6
	v_lshl_add_u64 v[2:3], s[0:1], 3, v[2:3]
	v_lshl_add_u64 v[6:7], v[6:7], 3, s[14:15]
	flat_load_dwordx2 v[2:3], v[2:3]
	s_nop 0
	flat_load_dwordx2 v[6:7], v[6:7]
	s_waitcnt vmcnt(0) lgkmcnt(0)
	v_pk_mul_f32 v[8:9], v[6:7], v[2:3] op_sel:[0,1]
	s_nop 0
	v_pk_fma_f32 v[10:11], v[6:7], v[2:3], v[8:9] op_sel:[0,0,1] op_sel_hi:[1,1,0] neg_lo:[0,0,1] neg_hi:[0,0,1]
	v_pk_fma_f32 v[2:3], v[6:7], v[2:3], v[8:9] op_sel:[0,0,1] op_sel_hi:[1,0,0]
	s_nop 0
	v_mov_b32_e32 v11, v3
	v_pk_add_f32 v[4:5], v[4:5], v[10:11]
.LBB314_18:
	s_or_b64 exec, exec, s[4:5]
	v_and_b32_e32 v6, 63, v0
	v_cmp_gt_u32_e32 vcc, 64, v0
	v_lshlrev_b32_e32 v1, 3, v6
	s_and_saveexec_b64 s[0:1], vcc
	s_cbranch_execz .LBB314_20
; %bb.19:
	v_mov_b32_e32 v2, 0
	v_mov_b32_e32 v3, v2
	ds_write_b64 v1, v[2:3]
.LBB314_20:
	s_or_b64 exec, exec, s[0:1]
	v_mbcnt_lo_u32_b32 v2, -1, 0
	v_mbcnt_hi_u32_b32 v8, -1, v2
	v_and_b32_e32 v9, 63, v8
	v_cmp_gt_u32_e64 s[0:1], 32, v9
	s_mov_b32 s4, 0
	s_waitcnt lgkmcnt(0)
	v_cndmask_b32_e64 v2, 0, 1, s[0:1]
	v_lshlrev_b32_e32 v2, 5, v2
	v_add_lshl_u32 v3, v2, v8, 2
	ds_bpermute_b32 v2, v3, v4
	ds_bpermute_b32 v3, v3, v5
	v_cmp_gt_u32_e64 s[0:1], 48, v9
	s_barrier
	s_waitcnt lgkmcnt(0)
	v_cndmask_b32_e64 v7, 0, 1, s[0:1]
	v_lshlrev_b32_e32 v7, 4, v7
	v_add_lshl_u32 v7, v7, v8, 2
	v_pk_add_f32 v[2:3], v[4:5], v[2:3]
	ds_bpermute_b32 v4, v7, v2
	ds_bpermute_b32 v5, v7, v3
	v_cmp_gt_u32_e64 s[0:1], 56, v9
	s_waitcnt lgkmcnt(0)
	v_pk_add_f32 v[2:3], v[2:3], v[4:5]
	v_cndmask_b32_e64 v7, 0, 1, s[0:1]
	v_lshlrev_b32_e32 v7, 3, v7
	v_add_lshl_u32 v7, v7, v8, 2
	ds_bpermute_b32 v4, v7, v2
	ds_bpermute_b32 v5, v7, v3
	v_cmp_gt_u32_e64 s[0:1], 60, v9
	s_waitcnt lgkmcnt(0)
	v_pk_add_f32 v[2:3], v[2:3], v[4:5]
	v_cndmask_b32_e64 v7, 0, 1, s[0:1]
	v_lshlrev_b32_e32 v7, 2, v7
	v_add_lshl_u32 v7, v7, v8, 2
	;; [unrolled: 8-line block ×3, first 2 shown]
	ds_bpermute_b32 v4, v7, v2
	ds_bpermute_b32 v5, v7, v3
	v_cmp_ne_u32_e64 s[0:1], 63, v9
	s_waitcnt lgkmcnt(0)
	v_pk_add_f32 v[2:3], v[2:3], v[4:5]
	v_addc_co_u32_e64 v4, s[0:1], 0, v8, s[0:1]
	v_lshlrev_b32_e32 v8, 2, v4
	ds_bpermute_b32 v4, v8, v2
	ds_bpermute_b32 v5, v8, v3
	v_cmp_eq_u32_e64 s[0:1], 0, v6
	s_and_saveexec_b64 s[8:9], s[0:1]
	s_cbranch_execz .LBB314_22
; %bb.21:
	v_lshrrev_b32_e32 v6, 3, v0
	v_and_b32_e32 v6, 24, v6
	s_waitcnt lgkmcnt(0)
	v_pk_add_f32 v[2:3], v[2:3], v[4:5]
	ds_write_b64 v6, v[2:3]
.LBB314_22:
	s_or_b64 exec, exec, s[8:9]
	s_mov_b32 s5, s4
	v_cmp_gt_u32_e64 s[0:1], 4, v0
	v_mov_b64_e32 v[2:3], s[4:5]
	s_waitcnt lgkmcnt(0)
	s_barrier
	s_and_saveexec_b64 s[4:5], s[0:1]
	s_cbranch_execnz .LBB314_26
; %bb.23:
	s_or_b64 exec, exec, s[4:5]
	s_and_saveexec_b64 s[0:1], vcc
	s_cbranch_execnz .LBB314_27
.LBB314_24:
	s_or_b64 exec, exec, s[0:1]
	v_cmp_eq_u32_e32 vcc, 0, v0
	s_and_saveexec_b64 s[0:1], vcc
	s_cbranch_execnz .LBB314_28
.LBB314_25:
	s_endpgm
.LBB314_26:
	ds_read_b64 v[2:3], v1
	s_or_b64 exec, exec, s[4:5]
	s_and_saveexec_b64 s[0:1], vcc
	s_cbranch_execz .LBB314_24
.LBB314_27:
	s_waitcnt lgkmcnt(0)
	ds_bpermute_b32 v4, v7, v2
	ds_bpermute_b32 v5, v7, v3
	s_waitcnt lgkmcnt(0)
	v_pk_add_f32 v[2:3], v[2:3], v[4:5]
	ds_bpermute_b32 v4, v8, v2
	ds_bpermute_b32 v5, v8, v3
	s_waitcnt lgkmcnt(0)
	v_pk_add_f32 v[2:3], v[2:3], v[4:5]
	s_or_b64 exec, exec, s[0:1]
	v_cmp_eq_u32_e32 vcc, 0, v0
	s_and_saveexec_b64 s[0:1], vcc
	s_cbranch_execz .LBB314_25
.LBB314_28:
	v_cmp_neq_f32_e64 s[4:5], s6, 0
	v_cmp_neq_f32_e64 s[8:9], s7, 0
	s_waitcnt lgkmcnt(0)
	v_pk_mul_f32 v[4:5], v[2:3], s[12:13] op_sel:[1,0]
	s_mul_i32 s0, s2, s17
	s_or_b64 s[4:5], s[4:5], s[8:9]
	v_pk_fma_f32 v[0:1], v[2:3], s[12:13], v[4:5] op_sel:[0,0,1] op_sel_hi:[0,1,0] neg_lo:[0,0,1] neg_hi:[0,0,1]
	v_pk_fma_f32 v[2:3], v[2:3], s[12:13], v[4:5] op_sel:[0,0,1] op_sel_hi:[0,1,0]
	s_andn2_b64 vcc, exec, s[4:5]
	s_ashr_i32 s1, s0, 31
	s_cbranch_vccnz .LBB314_30
; %bb.29:
	s_lshl_b64 s[4:5], s[0:1], 3
	s_add_u32 s4, s3, s4
	s_addc_u32 s5, s16, s5
	v_mov_b32_e32 v1, 0
	global_load_dwordx2 v[4:5], v1, s[4:5]
	v_mov_b32_e32 v1, v3
	s_waitcnt vmcnt(0)
	v_pk_mul_f32 v[2:3], s[6:7], v[4:5] op_sel:[0,1]
	s_nop 0
	v_pk_fma_f32 v[6:7], s[6:7], v[4:5], v[2:3] op_sel:[0,0,1] op_sel_hi:[1,1,0] neg_lo:[0,0,1] neg_hi:[0,0,1]
	v_pk_fma_f32 v[2:3], s[6:7], v[4:5], v[2:3] op_sel:[0,0,1] op_sel_hi:[1,0,0]
	s_nop 0
	v_mov_b32_e32 v7, v3
	v_pk_add_f32 v[0:1], v[0:1], v[6:7]
	s_nop 0
	v_mov_b32_e32 v3, v1
.LBB314_30:
	s_lshl_b64 s[0:1], s[0:1], 3
	s_add_u32 s0, s3, s0
	s_addc_u32 s1, s16, s1
	v_mov_b32_e32 v2, 0
	v_mov_b32_e32 v1, v3
	global_store_dwordx2 v2, v[0:1], s[0:1]
	s_endpgm
	.section	.rodata,"a",@progbits
	.p2align	6, 0x0
	.amdhsa_kernel _ZL32rocblas_gemvt_warp_reduce_kernelILb0ELi256EiPK19rocblas_complex_numIfES3_KPS1_EviiT3_lPKT2_lT1_lS9_lSA_lS6_lPT4_lSA_li
		.amdhsa_group_segment_fixed_size 512
		.amdhsa_private_segment_fixed_size 0
		.amdhsa_kernarg_size 140
		.amdhsa_user_sgpr_count 2
		.amdhsa_user_sgpr_dispatch_ptr 0
		.amdhsa_user_sgpr_queue_ptr 0
		.amdhsa_user_sgpr_kernarg_segment_ptr 1
		.amdhsa_user_sgpr_dispatch_id 0
		.amdhsa_user_sgpr_kernarg_preload_length 0
		.amdhsa_user_sgpr_kernarg_preload_offset 0
		.amdhsa_user_sgpr_private_segment_size 0
		.amdhsa_uses_dynamic_stack 0
		.amdhsa_enable_private_segment 0
		.amdhsa_system_sgpr_workgroup_id_x 1
		.amdhsa_system_sgpr_workgroup_id_y 0
		.amdhsa_system_sgpr_workgroup_id_z 1
		.amdhsa_system_sgpr_workgroup_info 0
		.amdhsa_system_vgpr_workitem_id 0
		.amdhsa_next_free_vgpr 16
		.amdhsa_next_free_sgpr 26
		.amdhsa_accum_offset 16
		.amdhsa_reserve_vcc 1
		.amdhsa_float_round_mode_32 0
		.amdhsa_float_round_mode_16_64 0
		.amdhsa_float_denorm_mode_32 3
		.amdhsa_float_denorm_mode_16_64 3
		.amdhsa_dx10_clamp 1
		.amdhsa_ieee_mode 1
		.amdhsa_fp16_overflow 0
		.amdhsa_tg_split 0
		.amdhsa_exception_fp_ieee_invalid_op 0
		.amdhsa_exception_fp_denorm_src 0
		.amdhsa_exception_fp_ieee_div_zero 0
		.amdhsa_exception_fp_ieee_overflow 0
		.amdhsa_exception_fp_ieee_underflow 0
		.amdhsa_exception_fp_ieee_inexact 0
		.amdhsa_exception_int_div_zero 0
	.end_amdhsa_kernel
	.section	.text._ZL32rocblas_gemvt_warp_reduce_kernelILb0ELi256EiPK19rocblas_complex_numIfES3_KPS1_EviiT3_lPKT2_lT1_lS9_lSA_lS6_lPT4_lSA_li,"axG",@progbits,_ZL32rocblas_gemvt_warp_reduce_kernelILb0ELi256EiPK19rocblas_complex_numIfES3_KPS1_EviiT3_lPKT2_lT1_lS9_lSA_lS6_lPT4_lSA_li,comdat
.Lfunc_end314:
	.size	_ZL32rocblas_gemvt_warp_reduce_kernelILb0ELi256EiPK19rocblas_complex_numIfES3_KPS1_EviiT3_lPKT2_lT1_lS9_lSA_lS6_lPT4_lSA_li, .Lfunc_end314-_ZL32rocblas_gemvt_warp_reduce_kernelILb0ELi256EiPK19rocblas_complex_numIfES3_KPS1_EviiT3_lPKT2_lT1_lS9_lSA_lS6_lPT4_lSA_li
                                        ; -- End function
	.section	.AMDGPU.csdata,"",@progbits
; Kernel info:
; codeLenInByte = 1668
; NumSgprs: 32
; NumVgprs: 16
; NumAgprs: 0
; TotalNumVgprs: 16
; ScratchSize: 0
; MemoryBound: 0
; FloatMode: 240
; IeeeMode: 1
; LDSByteSize: 512 bytes/workgroup (compile time only)
; SGPRBlocks: 3
; VGPRBlocks: 1
; NumSGPRsForWavesPerEU: 32
; NumVGPRsForWavesPerEU: 16
; AccumOffset: 16
; Occupancy: 8
; WaveLimiterHint : 1
; COMPUTE_PGM_RSRC2:SCRATCH_EN: 0
; COMPUTE_PGM_RSRC2:USER_SGPR: 2
; COMPUTE_PGM_RSRC2:TRAP_HANDLER: 0
; COMPUTE_PGM_RSRC2:TGID_X_EN: 1
; COMPUTE_PGM_RSRC2:TGID_Y_EN: 0
; COMPUTE_PGM_RSRC2:TGID_Z_EN: 1
; COMPUTE_PGM_RSRC2:TIDIG_COMP_CNT: 0
; COMPUTE_PGM_RSRC3_GFX90A:ACCUM_OFFSET: 3
; COMPUTE_PGM_RSRC3_GFX90A:TG_SPLIT: 0
	.section	.text._ZL32rocblas_gemvt_warp_reduce_kernelILb0ELi256ElPK19rocblas_complex_numIfES3_KPS1_EviiT3_lPKT2_lT1_lS9_lSA_lS6_lPT4_lSA_li,"axG",@progbits,_ZL32rocblas_gemvt_warp_reduce_kernelILb0ELi256ElPK19rocblas_complex_numIfES3_KPS1_EviiT3_lPKT2_lT1_lS9_lSA_lS6_lPT4_lSA_li,comdat
	.globl	_ZL32rocblas_gemvt_warp_reduce_kernelILb0ELi256ElPK19rocblas_complex_numIfES3_KPS1_EviiT3_lPKT2_lT1_lS9_lSA_lS6_lPT4_lSA_li ; -- Begin function _ZL32rocblas_gemvt_warp_reduce_kernelILb0ELi256ElPK19rocblas_complex_numIfES3_KPS1_EviiT3_lPKT2_lT1_lS9_lSA_lS6_lPT4_lSA_li
	.p2align	8
	.type	_ZL32rocblas_gemvt_warp_reduce_kernelILb0ELi256ElPK19rocblas_complex_numIfES3_KPS1_EviiT3_lPKT2_lT1_lS9_lSA_lS6_lPT4_lSA_li,@function
_ZL32rocblas_gemvt_warp_reduce_kernelILb0ELi256ElPK19rocblas_complex_numIfES3_KPS1_EviiT3_lPKT2_lT1_lS9_lSA_lS6_lPT4_lSA_li: ; @_ZL32rocblas_gemvt_warp_reduce_kernelILb0ELi256ElPK19rocblas_complex_numIfES3_KPS1_EviiT3_lPKT2_lT1_lS9_lSA_lS6_lPT4_lSA_li
; %bb.0:
	s_load_dwordx8 s[12:19], s[0:1], 0x8
	s_load_dwordx8 s[4:11], s[0:1], 0x58
	s_mov_b32 s28, s3
	s_waitcnt lgkmcnt(0)
	s_mul_i32 s3, s3, s15
	s_mul_hi_u32 s15, s28, s14
	s_add_i32 s15, s15, s3
	s_mul_i32 s14, s28, s14
	s_lshl_b64 s[14:15], s[14:15], 3
	s_add_u32 s12, s12, s14
	s_mul_i32 s3, s28, s7
	s_mul_hi_u32 s7, s28, s6
	s_addc_u32 s13, s13, s15
	s_add_i32 s7, s7, s3
	s_mul_i32 s6, s28, s6
	s_lshl_b64 s[6:7], s[6:7], 3
	s_add_u32 s4, s4, s6
	s_load_dwordx2 s[14:15], s[12:13], 0x0
	s_addc_u32 s5, s5, s7
	s_load_dwordx2 s[12:13], s[4:5], 0x0
	s_waitcnt lgkmcnt(0)
	v_cmp_eq_f32_e64 s[4:5], s14, 0
	v_cmp_eq_f32_e64 s[6:7], s15, 0
	s_and_b64 s[4:5], s[4:5], s[6:7]
	v_cmp_eq_f32_e64 s[6:7], s12, 1.0
	v_cmp_eq_f32_e64 s[20:21], s13, 0
	s_and_b64 s[6:7], s[6:7], s[20:21]
	s_and_b64 s[4:5], s[4:5], s[6:7]
	s_and_b64 vcc, exec, s[4:5]
	s_cbranch_vccnz .LBB315_25
; %bb.1:
	s_or_b32 s3, s14, s15
	s_load_dwordx2 s[24:25], s[0:1], 0x28
	s_load_dwordx2 s[20:21], s[0:1], 0x78
	s_bitset0_b32 s3, 31
	s_cmp_lg_u32 s3, 0
	s_cselect_b64 s[34:35], -1, 0
	s_cmp_eq_u32 s3, 0
	s_cselect_b64 s[30:31], -1, 0
	s_mov_b32 s29, 0
	s_mov_b64 s[22:23], 0
	s_and_b64 vcc, exec, s[30:31]
	s_mov_b64 s[26:27], 0
	s_cbranch_vccnz .LBB315_3
; %bb.2:
	s_lshl_b64 s[4:5], s[28:29], 3
	s_add_u32 s4, s16, s4
	s_addc_u32 s5, s17, s5
	s_load_dwordx2 s[4:5], s[4:5], 0x0
	s_lshl_b64 s[6:7], s[18:19], 3
	s_waitcnt lgkmcnt(0)
	s_add_u32 s26, s4, s6
	s_addc_u32 s27, s5, s7
.LBB315_3:
	s_load_dwordx4 s[4:7], s[0:1], 0x38
	s_load_dwordx2 s[16:17], s[0:1], 0x48
	s_andn2_b64 vcc, exec, s[34:35]
	s_cbranch_vccnz .LBB315_5
; %bb.4:
	s_lshl_b64 s[18:19], s[28:29], 3
	s_waitcnt lgkmcnt(0)
	s_add_u32 s4, s4, s18
	s_addc_u32 s5, s5, s19
	s_load_dwordx2 s[4:5], s[4:5], 0x0
	s_lshl_b64 s[6:7], s[6:7], 3
	s_waitcnt lgkmcnt(0)
	s_add_u32 s22, s4, s6
	s_addc_u32 s23, s5, s7
.LBB315_5:
	s_waitcnt lgkmcnt(0)
	s_lshl_b64 s[4:5], s[28:29], 3
	s_add_u32 s4, s8, s4
	s_addc_u32 s5, s9, s5
	s_load_dwordx2 s[4:5], s[4:5], 0x0
	s_lshl_b64 s[8:9], s[10:11], 3
	s_mov_b64 s[6:7], -1
	s_waitcnt lgkmcnt(0)
	s_add_u32 s3, s4, s8
	s_addc_u32 s18, s5, s9
	s_andn2_b64 vcc, exec, s[30:31]
	v_cmp_eq_u32_e64 s[4:5], 0, v0
	s_cbranch_vccnz .LBB315_11
; %bb.6:
	s_and_saveexec_b64 s[6:7], s[4:5]
	s_cbranch_execz .LBB315_10
; %bb.7:
	v_cmp_neq_f32_e64 s[8:9], s12, 0
	v_cmp_neq_f32_e64 s[10:11], s13, 0
	s_ashr_i32 s4, s2, 31
	s_mul_i32 s5, s2, s21
	s_mul_hi_u32 s19, s2, s20
	s_add_i32 s5, s19, s5
	s_mul_i32 s4, s4, s20
	s_or_b64 s[8:9], s[8:9], s[10:11]
	s_add_i32 s5, s5, s4
	s_mul_i32 s4, s2, s20
	v_mov_b32_e32 v1, 0
	s_andn2_b64 vcc, exec, s[8:9]
	v_mov_b32_e32 v2, 0
	v_mov_b32_e32 v3, 0
	s_cbranch_vccnz .LBB315_9
; %bb.8:
	s_lshl_b64 s[8:9], s[4:5], 3
	s_add_u32 s8, s3, s8
	s_addc_u32 s9, s18, s9
	s_load_dwordx2 s[8:9], s[8:9], 0x0
	s_waitcnt lgkmcnt(0)
	v_mov_b64_e32 v[4:5], s[8:9]
	v_pk_mul_f32 v[6:7], s[12:13], v[4:5] op_sel:[0,1]
	s_nop 0
	v_pk_fma_f32 v[2:3], s[12:13], v[4:5], v[6:7] op_sel:[0,0,1] op_sel_hi:[1,1,0] neg_lo:[0,0,1] neg_hi:[0,0,1]
	v_pk_fma_f32 v[4:5], s[12:13], v[4:5], v[6:7] op_sel:[0,0,1] op_sel_hi:[1,0,0]
	s_nop 0
	v_mov_b32_e32 v3, v5
.LBB315_9:
	s_lshl_b64 s[4:5], s[4:5], 3
	s_add_u32 s4, s3, s4
	s_addc_u32 s5, s18, s5
	global_store_dwordx2 v1, v[2:3], s[4:5]
.LBB315_10:
	s_or_b64 exec, exec, s[6:7]
	s_mov_b64 s[6:7], 0
.LBB315_11:
	s_andn2_b64 vcc, exec, s[6:7]
	s_cbranch_vccnz .LBB315_25
; %bb.12:
	s_load_dword s1, s[0:1], 0x0
	s_ashr_i32 s19, s2, 31
	s_mul_i32 s0, s2, s25
	s_mul_hi_u32 s5, s2, s24
	s_add_i32 s0, s5, s0
	s_mul_i32 s5, s19, s24
	s_add_i32 s7, s0, s5
	s_mul_i32 s6, s2, s24
	s_lshl_b64 s[6:7], s[6:7], 3
	s_add_u32 s6, s6, s26
	s_addc_u32 s7, s7, s27
	s_waitcnt lgkmcnt(0)
	s_ashr_i32 s0, s1, 31
	v_cmp_gt_i32_e32 vcc, s1, v0
	s_lshr_b32 s0, s0, 24
	s_mov_b32 s4, 0
	v_mov_b32_e32 v2, 0
	v_cndmask_b32_e32 v1, 0, v0, vcc
	s_add_i32 s0, s1, s0
	v_mov_b32_e32 v5, v2
	v_lshlrev_b32_e32 v4, 3, v1
	s_and_b32 s0, s0, 0xffffff00
	s_mov_b32 s5, s4
	v_lshl_add_u64 v[4:5], s[6:7], 0, v[4:5]
	v_cmp_gt_i32_e32 vcc, s0, v0
	v_mov_b64_e32 v[6:7], s[4:5]
	s_and_saveexec_b64 s[4:5], vcc
	s_cbranch_execz .LBB315_16
; %bb.13:
	v_mad_u64_u32 v[6:7], s[6:7], s16, v0, 0
	v_mov_b32_e32 v8, v7
	v_mad_u64_u32 v[8:9], s[6:7], s17, v0, v[8:9]
	v_mov_b32_e32 v7, v8
	v_lshl_add_u64 v[6:7], v[6:7], 3, s[22:23]
	s_lshl_b64 s[8:9], s[16:17], 11
	s_mov_b64 s[6:7], 0
	s_mov_b64 s[10:11], 0x800
	v_mov_b64_e32 v[8:9], v[4:5]
	v_mov_b32_e32 v1, v0
	v_mov_b32_e32 v3, v2
.LBB315_14:                             ; =>This Inner Loop Header: Depth=1
	flat_load_dwordx2 v[10:11], v[8:9]
	flat_load_dwordx2 v[12:13], v[6:7]
	v_add_u32_e32 v1, 0x100, v1
	v_cmp_le_i32_e32 vcc, s0, v1
	v_lshl_add_u64 v[8:9], v[8:9], 0, s[10:11]
	v_lshl_add_u64 v[6:7], v[6:7], 0, s[8:9]
	s_or_b64 s[6:7], vcc, s[6:7]
	s_waitcnt vmcnt(0) lgkmcnt(0)
	v_mul_f32_e32 v14, v13, v11
	v_mul_f32_e32 v15, v12, v11
	v_fma_f32 v14, v12, v10, -v14
	v_fmac_f32_e32 v15, v13, v10
	v_pk_add_f32 v[2:3], v[2:3], v[14:15]
	s_andn2_b64 exec, exec, s[6:7]
	s_cbranch_execnz .LBB315_14
; %bb.15:
	s_or_b64 exec, exec, s[6:7]
	v_mov_b64_e32 v[6:7], v[2:3]
.LBB315_16:
	s_or_b64 exec, exec, s[4:5]
	v_add_u32_e32 v1, s0, v0
	v_cmp_gt_i32_e32 vcc, s1, v1
	s_and_saveexec_b64 s[4:5], vcc
	s_cbranch_execz .LBB315_18
; %bb.17:
	s_ashr_i32 s1, s0, 31
	v_lshl_add_u64 v[2:3], s[0:1], 3, v[4:5]
	v_ashrrev_i32_e32 v4, 31, v1
	v_mul_lo_u32 v8, v1, s17
	v_mul_lo_u32 v9, v4, s16
	v_mad_u64_u32 v[4:5], s[0:1], v1, s16, 0
	v_add3_u32 v5, v5, v8, v9
	v_lshl_add_u64 v[4:5], v[4:5], 3, s[22:23]
	flat_load_dwordx2 v[2:3], v[2:3]
	s_nop 0
	flat_load_dwordx2 v[4:5], v[4:5]
	s_waitcnt vmcnt(0) lgkmcnt(0)
	v_pk_mul_f32 v[8:9], v[4:5], v[2:3] op_sel:[0,1]
	s_nop 0
	v_pk_fma_f32 v[10:11], v[4:5], v[2:3], v[8:9] op_sel:[0,0,1] op_sel_hi:[1,1,0] neg_lo:[0,0,1] neg_hi:[0,0,1]
	v_pk_fma_f32 v[2:3], v[4:5], v[2:3], v[8:9] op_sel:[0,0,1] op_sel_hi:[1,0,0]
	s_nop 0
	v_mov_b32_e32 v11, v3
	v_pk_add_f32 v[6:7], v[6:7], v[10:11]
.LBB315_18:
	s_or_b64 exec, exec, s[4:5]
	v_and_b32_e32 v8, 63, v0
	v_cmp_gt_u32_e32 vcc, 64, v0
	v_lshlrev_b32_e32 v1, 3, v8
	s_and_saveexec_b64 s[0:1], vcc
	s_cbranch_execz .LBB315_20
; %bb.19:
	v_mov_b32_e32 v2, 0
	v_mov_b32_e32 v3, v2
	ds_write_b64 v1, v[2:3]
.LBB315_20:
	s_or_b64 exec, exec, s[0:1]
	v_mbcnt_lo_u32_b32 v2, -1, 0
	v_mbcnt_hi_u32_b32 v9, -1, v2
	v_and_b32_e32 v10, 63, v9
	v_cmp_gt_u32_e64 s[0:1], 32, v10
	s_mov_b32 s4, 0
	s_waitcnt lgkmcnt(0)
	v_cndmask_b32_e64 v2, 0, 1, s[0:1]
	v_lshlrev_b32_e32 v2, 5, v2
	v_add_lshl_u32 v3, v2, v9, 2
	ds_bpermute_b32 v2, v3, v6
	ds_bpermute_b32 v3, v3, v7
	v_cmp_gt_u32_e64 s[0:1], 48, v10
	s_barrier
	s_waitcnt lgkmcnt(0)
	v_cndmask_b32_e64 v4, 0, 1, s[0:1]
	v_lshlrev_b32_e32 v4, 4, v4
	v_add_lshl_u32 v5, v4, v9, 2
	v_pk_add_f32 v[2:3], v[6:7], v[2:3]
	ds_bpermute_b32 v4, v5, v2
	ds_bpermute_b32 v5, v5, v3
	v_cmp_gt_u32_e64 s[0:1], 56, v10
	s_waitcnt lgkmcnt(0)
	v_pk_add_f32 v[2:3], v[2:3], v[4:5]
	v_cndmask_b32_e64 v6, 0, 1, s[0:1]
	v_lshlrev_b32_e32 v6, 3, v6
	v_add_lshl_u32 v6, v6, v9, 2
	ds_bpermute_b32 v4, v6, v2
	ds_bpermute_b32 v5, v6, v3
	v_cmp_gt_u32_e64 s[0:1], 60, v10
	s_waitcnt lgkmcnt(0)
	v_pk_add_f32 v[2:3], v[2:3], v[4:5]
	v_cndmask_b32_e64 v6, 0, 1, s[0:1]
	v_lshlrev_b32_e32 v6, 2, v6
	v_add_lshl_u32 v6, v6, v9, 2
	ds_bpermute_b32 v4, v6, v2
	ds_bpermute_b32 v5, v6, v3
	v_cmp_gt_u32_e64 s[0:1], 62, v10
	s_waitcnt lgkmcnt(0)
	v_pk_add_f32 v[2:3], v[2:3], v[4:5]
	v_cndmask_b32_e64 v6, 0, 1, s[0:1]
	v_lshlrev_b32_e32 v6, 1, v6
	v_add_lshl_u32 v6, v6, v9, 2
	ds_bpermute_b32 v4, v6, v2
	ds_bpermute_b32 v5, v6, v3
	v_cmp_ne_u32_e64 s[0:1], 63, v10
	s_waitcnt lgkmcnt(0)
	v_pk_add_f32 v[2:3], v[2:3], v[4:5]
	v_addc_co_u32_e64 v4, s[0:1], 0, v9, s[0:1]
	v_lshlrev_b32_e32 v7, 2, v4
	ds_bpermute_b32 v4, v7, v2
	ds_bpermute_b32 v5, v7, v3
	v_cmp_eq_u32_e64 s[0:1], 0, v8
	s_and_saveexec_b64 s[6:7], s[0:1]
	s_cbranch_execz .LBB315_22
; %bb.21:
	v_lshrrev_b32_e32 v8, 3, v0
	v_and_b32_e32 v8, 24, v8
	s_waitcnt lgkmcnt(0)
	v_pk_add_f32 v[2:3], v[2:3], v[4:5]
	ds_write_b64 v8, v[2:3]
.LBB315_22:
	s_or_b64 exec, exec, s[6:7]
	s_mov_b32 s5, s4
	v_cmp_gt_u32_e64 s[0:1], 4, v0
	v_mov_b64_e32 v[2:3], s[4:5]
	s_waitcnt lgkmcnt(0)
	s_barrier
	s_and_saveexec_b64 s[4:5], s[0:1]
	s_cbranch_execnz .LBB315_26
; %bb.23:
	s_or_b64 exec, exec, s[4:5]
	s_and_saveexec_b64 s[0:1], vcc
	s_cbranch_execnz .LBB315_27
.LBB315_24:
	s_or_b64 exec, exec, s[0:1]
	v_cmp_eq_u32_e32 vcc, 0, v0
	s_and_saveexec_b64 s[0:1], vcc
	s_cbranch_execnz .LBB315_28
.LBB315_25:
	s_endpgm
.LBB315_26:
	ds_read_b64 v[2:3], v1
	s_or_b64 exec, exec, s[4:5]
	s_and_saveexec_b64 s[0:1], vcc
	s_cbranch_execz .LBB315_24
.LBB315_27:
	s_waitcnt lgkmcnt(0)
	ds_bpermute_b32 v4, v6, v2
	ds_bpermute_b32 v5, v6, v3
	s_waitcnt lgkmcnt(0)
	v_pk_add_f32 v[2:3], v[2:3], v[4:5]
	ds_bpermute_b32 v4, v7, v2
	ds_bpermute_b32 v5, v7, v3
	s_waitcnt lgkmcnt(0)
	v_pk_add_f32 v[2:3], v[2:3], v[4:5]
	s_or_b64 exec, exec, s[0:1]
	v_cmp_eq_u32_e32 vcc, 0, v0
	s_and_saveexec_b64 s[0:1], vcc
	s_cbranch_execz .LBB315_25
.LBB315_28:
	v_cmp_neq_f32_e64 s[4:5], s12, 0
	v_cmp_neq_f32_e64 s[6:7], s13, 0
	s_mul_i32 s0, s2, s21
	s_mul_hi_u32 s1, s2, s20
	s_waitcnt lgkmcnt(0)
	v_pk_mul_f32 v[4:5], v[2:3], s[14:15] op_sel:[1,0]
	s_add_i32 s0, s1, s0
	s_mul_i32 s1, s19, s20
	s_or_b64 s[4:5], s[4:5], s[6:7]
	v_pk_fma_f32 v[0:1], v[2:3], s[14:15], v[4:5] op_sel:[0,0,1] op_sel_hi:[0,1,0] neg_lo:[0,0,1] neg_hi:[0,0,1]
	v_pk_fma_f32 v[2:3], v[2:3], s[14:15], v[4:5] op_sel:[0,0,1] op_sel_hi:[0,1,0]
	s_add_i32 s1, s0, s1
	s_andn2_b64 vcc, exec, s[4:5]
	s_mul_i32 s0, s2, s20
	s_cbranch_vccnz .LBB315_30
; %bb.29:
	s_lshl_b64 s[4:5], s[0:1], 3
	s_add_u32 s4, s3, s4
	s_addc_u32 s5, s18, s5
	v_mov_b32_e32 v1, 0
	global_load_dwordx2 v[4:5], v1, s[4:5]
	v_mov_b32_e32 v1, v3
	s_waitcnt vmcnt(0)
	v_pk_mul_f32 v[2:3], s[12:13], v[4:5] op_sel:[0,1]
	s_nop 0
	v_pk_fma_f32 v[6:7], s[12:13], v[4:5], v[2:3] op_sel:[0,0,1] op_sel_hi:[1,1,0] neg_lo:[0,0,1] neg_hi:[0,0,1]
	v_pk_fma_f32 v[2:3], s[12:13], v[4:5], v[2:3] op_sel:[0,0,1] op_sel_hi:[1,0,0]
	s_nop 0
	v_mov_b32_e32 v7, v3
	v_pk_add_f32 v[0:1], v[0:1], v[6:7]
	s_nop 0
	v_mov_b32_e32 v3, v1
.LBB315_30:
	s_lshl_b64 s[0:1], s[0:1], 3
	s_add_u32 s0, s3, s0
	s_addc_u32 s1, s18, s1
	v_mov_b32_e32 v2, 0
	v_mov_b32_e32 v1, v3
	global_store_dwordx2 v2, v[0:1], s[0:1]
	s_endpgm
	.section	.rodata,"a",@progbits
	.p2align	6, 0x0
	.amdhsa_kernel _ZL32rocblas_gemvt_warp_reduce_kernelILb0ELi256ElPK19rocblas_complex_numIfES3_KPS1_EviiT3_lPKT2_lT1_lS9_lSA_lS6_lPT4_lSA_li
		.amdhsa_group_segment_fixed_size 512
		.amdhsa_private_segment_fixed_size 0
		.amdhsa_kernarg_size 140
		.amdhsa_user_sgpr_count 2
		.amdhsa_user_sgpr_dispatch_ptr 0
		.amdhsa_user_sgpr_queue_ptr 0
		.amdhsa_user_sgpr_kernarg_segment_ptr 1
		.amdhsa_user_sgpr_dispatch_id 0
		.amdhsa_user_sgpr_kernarg_preload_length 0
		.amdhsa_user_sgpr_kernarg_preload_offset 0
		.amdhsa_user_sgpr_private_segment_size 0
		.amdhsa_uses_dynamic_stack 0
		.amdhsa_enable_private_segment 0
		.amdhsa_system_sgpr_workgroup_id_x 1
		.amdhsa_system_sgpr_workgroup_id_y 0
		.amdhsa_system_sgpr_workgroup_id_z 1
		.amdhsa_system_sgpr_workgroup_info 0
		.amdhsa_system_vgpr_workitem_id 0
		.amdhsa_next_free_vgpr 16
		.amdhsa_next_free_sgpr 36
		.amdhsa_accum_offset 16
		.amdhsa_reserve_vcc 1
		.amdhsa_float_round_mode_32 0
		.amdhsa_float_round_mode_16_64 0
		.amdhsa_float_denorm_mode_32 3
		.amdhsa_float_denorm_mode_16_64 3
		.amdhsa_dx10_clamp 1
		.amdhsa_ieee_mode 1
		.amdhsa_fp16_overflow 0
		.amdhsa_tg_split 0
		.amdhsa_exception_fp_ieee_invalid_op 0
		.amdhsa_exception_fp_denorm_src 0
		.amdhsa_exception_fp_ieee_div_zero 0
		.amdhsa_exception_fp_ieee_overflow 0
		.amdhsa_exception_fp_ieee_underflow 0
		.amdhsa_exception_fp_ieee_inexact 0
		.amdhsa_exception_int_div_zero 0
	.end_amdhsa_kernel
	.section	.text._ZL32rocblas_gemvt_warp_reduce_kernelILb0ELi256ElPK19rocblas_complex_numIfES3_KPS1_EviiT3_lPKT2_lT1_lS9_lSA_lS6_lPT4_lSA_li,"axG",@progbits,_ZL32rocblas_gemvt_warp_reduce_kernelILb0ELi256ElPK19rocblas_complex_numIfES3_KPS1_EviiT3_lPKT2_lT1_lS9_lSA_lS6_lPT4_lSA_li,comdat
.Lfunc_end315:
	.size	_ZL32rocblas_gemvt_warp_reduce_kernelILb0ELi256ElPK19rocblas_complex_numIfES3_KPS1_EviiT3_lPKT2_lT1_lS9_lSA_lS6_lPT4_lSA_li, .Lfunc_end315-_ZL32rocblas_gemvt_warp_reduce_kernelILb0ELi256ElPK19rocblas_complex_numIfES3_KPS1_EviiT3_lPKT2_lT1_lS9_lSA_lS6_lPT4_lSA_li
                                        ; -- End function
	.section	.AMDGPU.csdata,"",@progbits
; Kernel info:
; codeLenInByte = 1768
; NumSgprs: 42
; NumVgprs: 16
; NumAgprs: 0
; TotalNumVgprs: 16
; ScratchSize: 0
; MemoryBound: 0
; FloatMode: 240
; IeeeMode: 1
; LDSByteSize: 512 bytes/workgroup (compile time only)
; SGPRBlocks: 5
; VGPRBlocks: 1
; NumSGPRsForWavesPerEU: 42
; NumVGPRsForWavesPerEU: 16
; AccumOffset: 16
; Occupancy: 8
; WaveLimiterHint : 1
; COMPUTE_PGM_RSRC2:SCRATCH_EN: 0
; COMPUTE_PGM_RSRC2:USER_SGPR: 2
; COMPUTE_PGM_RSRC2:TRAP_HANDLER: 0
; COMPUTE_PGM_RSRC2:TGID_X_EN: 1
; COMPUTE_PGM_RSRC2:TGID_Y_EN: 0
; COMPUTE_PGM_RSRC2:TGID_Z_EN: 1
; COMPUTE_PGM_RSRC2:TIDIG_COMP_CNT: 0
; COMPUTE_PGM_RSRC3_GFX90A:ACCUM_OFFSET: 3
; COMPUTE_PGM_RSRC3_GFX90A:TG_SPLIT: 0
	.section	.text._ZL32rocblas_gemvt_warp_reduce_kernelILb0ELi256EiPK19rocblas_complex_numIfES1_KPS1_EviiT3_lPKT2_lT1_lS9_lSA_lS6_lPT4_lSA_li,"axG",@progbits,_ZL32rocblas_gemvt_warp_reduce_kernelILb0ELi256EiPK19rocblas_complex_numIfES1_KPS1_EviiT3_lPKT2_lT1_lS9_lSA_lS6_lPT4_lSA_li,comdat
	.globl	_ZL32rocblas_gemvt_warp_reduce_kernelILb0ELi256EiPK19rocblas_complex_numIfES1_KPS1_EviiT3_lPKT2_lT1_lS9_lSA_lS6_lPT4_lSA_li ; -- Begin function _ZL32rocblas_gemvt_warp_reduce_kernelILb0ELi256EiPK19rocblas_complex_numIfES1_KPS1_EviiT3_lPKT2_lT1_lS9_lSA_lS6_lPT4_lSA_li
	.p2align	8
	.type	_ZL32rocblas_gemvt_warp_reduce_kernelILb0ELi256EiPK19rocblas_complex_numIfES1_KPS1_EviiT3_lPKT2_lT1_lS9_lSA_lS6_lPT4_lSA_li,@function
_ZL32rocblas_gemvt_warp_reduce_kernelILb0ELi256EiPK19rocblas_complex_numIfES1_KPS1_EviiT3_lPKT2_lT1_lS9_lSA_lS6_lPT4_lSA_li: ; @_ZL32rocblas_gemvt_warp_reduce_kernelILb0ELi256EiPK19rocblas_complex_numIfES1_KPS1_EviiT3_lPKT2_lT1_lS9_lSA_lS6_lPT4_lSA_li
; %bb.0:
	s_load_dwordx2 s[8:9], s[0:1], 0x8
	s_load_dwordx2 s[6:7], s[0:1], 0x58
	s_waitcnt lgkmcnt(0)
	v_cmp_eq_f32_e64 s[10:11], s8, 0
	v_cmp_eq_f32_e64 s[12:13], s9, 0
	s_and_b64 s[10:11], s[10:11], s[12:13]
	v_cmp_eq_f32_e64 s[12:13], s6, 1.0
	v_cmp_eq_f32_e64 s[14:15], s7, 0
	s_and_b64 s[12:13], s[12:13], s[14:15]
	s_and_b64 s[10:11], s[10:11], s[12:13]
	s_and_b64 vcc, exec, s[10:11]
	s_cbranch_vccnz .LBB316_27
; %bb.1:
	s_mov_b32 s4, s3
	s_or_b32 s3, s8, s9
	s_bitset0_b32 s3, 31
	s_cmp_lg_u32 s3, 0
	s_cselect_b64 s[10:11], -1, 0
	s_cmp_eq_u32 s3, 0
	s_cselect_b64 s[14:15], -1, 0
	s_and_b64 vcc, exec, s[10:11]
	s_cbranch_vccnz .LBB316_3
; %bb.2:
	s_mov_b32 s5, 0
	s_mov_b64 s[12:13], 0
	s_cbranch_execz .LBB316_4
	s_branch .LBB316_5
.LBB316_3:
                                        ; implicit-def: $sgpr12_sgpr13
.LBB316_4:
	s_load_dwordx4 s[16:19], s[0:1], 0x18
	s_mov_b32 s5, 0
	s_lshl_b64 s[12:13], s[4:5], 3
	s_waitcnt lgkmcnt(0)
	s_add_u32 s12, s16, s12
	s_addc_u32 s13, s17, s13
	s_load_dwordx2 s[12:13], s[12:13], 0x0
	s_lshl_b64 s[16:17], s[18:19], 3
	s_waitcnt lgkmcnt(0)
	s_add_u32 s12, s12, s16
	s_addc_u32 s13, s13, s17
.LBB316_5:
	s_andn2_b64 vcc, exec, s[10:11]
	s_mov_b64 s[10:11], 0
	s_cbranch_vccnz .LBB316_7
; %bb.6:
	s_load_dwordx4 s[16:19], s[0:1], 0x38
	s_lshl_b64 s[10:11], s[4:5], 3
	s_waitcnt lgkmcnt(0)
	s_add_u32 s10, s16, s10
	s_addc_u32 s11, s17, s11
	s_load_dwordx2 s[10:11], s[10:11], 0x0
	s_lshl_b64 s[16:17], s[18:19], 3
	s_waitcnt lgkmcnt(0)
	s_add_u32 s10, s10, s16
	s_addc_u32 s11, s11, s17
.LBB316_7:
	s_load_dwordx4 s[20:23], s[0:1], 0x68
	s_load_dword s19, s[0:1], 0x78
	s_lshl_b64 s[4:5], s[4:5], 3
	s_mov_b64 s[16:17], -1
	s_waitcnt lgkmcnt(0)
	s_add_u32 s4, s20, s4
	s_addc_u32 s5, s21, s5
	s_load_dwordx2 s[4:5], s[4:5], 0x0
	s_lshl_b64 s[20:21], s[22:23], 3
	s_waitcnt lgkmcnt(0)
	s_add_u32 s3, s4, s20
	s_addc_u32 s18, s5, s21
	s_andn2_b64 vcc, exec, s[14:15]
	v_cmp_eq_u32_e64 s[4:5], 0, v0
	s_cbranch_vccnz .LBB316_13
; %bb.8:
	s_and_saveexec_b64 s[14:15], s[4:5]
	s_cbranch_execz .LBB316_12
; %bb.9:
	v_cmp_neq_f32_e64 s[16:17], s6, 0
	v_cmp_neq_f32_e64 s[20:21], s7, 0
	s_mul_i32 s4, s2, s19
	s_or_b64 s[16:17], s[16:17], s[20:21]
	s_ashr_i32 s5, s4, 31
	v_mov_b32_e32 v1, 0
	s_andn2_b64 vcc, exec, s[16:17]
	v_mov_b32_e32 v2, 0
	v_mov_b32_e32 v3, 0
	s_cbranch_vccnz .LBB316_11
; %bb.10:
	s_lshl_b64 s[16:17], s[4:5], 3
	s_add_u32 s16, s3, s16
	s_addc_u32 s17, s18, s17
	s_load_dwordx2 s[16:17], s[16:17], 0x0
	s_waitcnt lgkmcnt(0)
	v_mov_b64_e32 v[4:5], s[16:17]
	v_pk_mul_f32 v[6:7], s[6:7], v[4:5] op_sel:[0,1]
	s_nop 0
	v_pk_fma_f32 v[2:3], s[6:7], v[4:5], v[6:7] op_sel:[0,0,1] op_sel_hi:[1,1,0] neg_lo:[0,0,1] neg_hi:[0,0,1]
	v_pk_fma_f32 v[4:5], s[6:7], v[4:5], v[6:7] op_sel:[0,0,1] op_sel_hi:[1,0,0]
	s_nop 0
	v_mov_b32_e32 v3, v5
.LBB316_11:
	s_lshl_b64 s[4:5], s[4:5], 3
	s_add_u32 s4, s3, s4
	s_addc_u32 s5, s18, s5
	global_store_dwordx2 v1, v[2:3], s[4:5]
.LBB316_12:
	s_or_b64 exec, exec, s[14:15]
	s_mov_b64 s[16:17], 0
.LBB316_13:
	s_andn2_b64 vcc, exec, s[16:17]
	s_cbranch_vccnz .LBB316_27
; %bb.14:
	s_load_dword s17, s[0:1], 0x0
	s_load_dword s5, s[0:1], 0x28
	;; [unrolled: 1-line block ×3, first 2 shown]
	v_mov_b32_e32 v6, 0
	v_mov_b32_e32 v3, v6
	s_waitcnt lgkmcnt(0)
	v_cmp_gt_i32_e32 vcc, s17, v0
	s_mul_i32 s0, s2, s5
	s_ashr_i32 s1, s0, 31
	s_lshl_b64 s[0:1], s[0:1], 3
	v_cndmask_b32_e32 v1, 0, v0, vcc
	s_add_u32 s0, s0, s12
	v_lshlrev_b32_e32 v2, 3, v1
	s_addc_u32 s1, s1, s13
	v_lshl_add_u64 v[2:3], s[0:1], 0, v[2:3]
	s_ashr_i32 s0, s17, 31
	s_lshr_b32 s0, s0, 24
	s_mov_b32 s4, 0
	s_add_i32 s0, s17, s0
	s_and_b32 s0, s0, 0xffffff00
	s_mov_b32 s5, s4
	v_cmp_gt_i32_e32 vcc, s0, v0
	v_mov_b64_e32 v[4:5], s[4:5]
	s_and_saveexec_b64 s[4:5], vcc
	s_cbranch_execz .LBB316_18
; %bb.15:
	v_mul_lo_u32 v4, v0, s16
	s_lshl_b32 s1, s16, 8
	s_mov_b64 s[12:13], 0
	s_mov_b64 s[14:15], 0x800
	v_mov_b64_e32 v[8:9], v[2:3]
	v_mov_b32_e32 v1, v0
	v_mov_b32_e32 v7, v6
.LBB316_16:                             ; =>This Inner Loop Header: Depth=1
	v_ashrrev_i32_e32 v5, 31, v4
	v_lshl_add_u64 v[12:13], v[4:5], 3, s[10:11]
	flat_load_dwordx2 v[10:11], v[8:9]
	v_add_u32_e32 v1, 0x100, v1
	flat_load_dwordx2 v[12:13], v[12:13]
	v_cmp_le_i32_e32 vcc, s0, v1
	v_lshl_add_u64 v[8:9], v[8:9], 0, s[14:15]
	v_add_u32_e32 v4, s1, v4
	s_or_b64 s[12:13], vcc, s[12:13]
	s_waitcnt vmcnt(0) lgkmcnt(0)
	v_mul_f32_e32 v5, v13, v11
	v_mul_f32_e32 v15, v12, v11
	v_fma_f32 v14, v12, v10, -v5
	v_fmac_f32_e32 v15, v13, v10
	v_pk_add_f32 v[6:7], v[6:7], v[14:15]
	s_andn2_b64 exec, exec, s[12:13]
	s_cbranch_execnz .LBB316_16
; %bb.17:
	s_or_b64 exec, exec, s[12:13]
	v_mov_b64_e32 v[4:5], v[6:7]
.LBB316_18:
	s_or_b64 exec, exec, s[4:5]
	v_add_u32_e32 v1, s0, v0
	v_cmp_gt_i32_e32 vcc, s17, v1
	s_and_saveexec_b64 s[4:5], vcc
	s_cbranch_execz .LBB316_20
; %bb.19:
	v_mul_lo_u32 v6, v1, s16
	s_ashr_i32 s1, s0, 31
	v_ashrrev_i32_e32 v7, 31, v6
	v_lshl_add_u64 v[2:3], s[0:1], 3, v[2:3]
	v_lshl_add_u64 v[6:7], v[6:7], 3, s[10:11]
	flat_load_dwordx2 v[2:3], v[2:3]
	s_nop 0
	flat_load_dwordx2 v[6:7], v[6:7]
	s_waitcnt vmcnt(0) lgkmcnt(0)
	v_pk_mul_f32 v[8:9], v[6:7], v[2:3] op_sel:[0,1]
	s_nop 0
	v_pk_fma_f32 v[10:11], v[6:7], v[2:3], v[8:9] op_sel:[0,0,1] op_sel_hi:[1,1,0] neg_lo:[0,0,1] neg_hi:[0,0,1]
	v_pk_fma_f32 v[2:3], v[6:7], v[2:3], v[8:9] op_sel:[0,0,1] op_sel_hi:[1,0,0]
	s_nop 0
	v_mov_b32_e32 v11, v3
	v_pk_add_f32 v[4:5], v[4:5], v[10:11]
.LBB316_20:
	s_or_b64 exec, exec, s[4:5]
	v_and_b32_e32 v6, 63, v0
	v_cmp_gt_u32_e32 vcc, 64, v0
	v_lshlrev_b32_e32 v1, 3, v6
	s_and_saveexec_b64 s[0:1], vcc
	s_cbranch_execz .LBB316_22
; %bb.21:
	v_mov_b32_e32 v2, 0
	v_mov_b32_e32 v3, v2
	ds_write_b64 v1, v[2:3]
.LBB316_22:
	s_or_b64 exec, exec, s[0:1]
	v_mbcnt_lo_u32_b32 v2, -1, 0
	v_mbcnt_hi_u32_b32 v8, -1, v2
	v_and_b32_e32 v9, 63, v8
	v_cmp_gt_u32_e64 s[0:1], 32, v9
	s_mov_b32 s4, 0
	s_waitcnt lgkmcnt(0)
	v_cndmask_b32_e64 v2, 0, 1, s[0:1]
	v_lshlrev_b32_e32 v2, 5, v2
	v_add_lshl_u32 v3, v2, v8, 2
	ds_bpermute_b32 v2, v3, v4
	ds_bpermute_b32 v3, v3, v5
	v_cmp_gt_u32_e64 s[0:1], 48, v9
	s_barrier
	s_waitcnt lgkmcnt(0)
	v_cndmask_b32_e64 v7, 0, 1, s[0:1]
	v_lshlrev_b32_e32 v7, 4, v7
	v_add_lshl_u32 v7, v7, v8, 2
	v_pk_add_f32 v[2:3], v[4:5], v[2:3]
	ds_bpermute_b32 v4, v7, v2
	ds_bpermute_b32 v5, v7, v3
	v_cmp_gt_u32_e64 s[0:1], 56, v9
	s_waitcnt lgkmcnt(0)
	v_pk_add_f32 v[2:3], v[2:3], v[4:5]
	v_cndmask_b32_e64 v7, 0, 1, s[0:1]
	v_lshlrev_b32_e32 v7, 3, v7
	v_add_lshl_u32 v7, v7, v8, 2
	ds_bpermute_b32 v4, v7, v2
	ds_bpermute_b32 v5, v7, v3
	v_cmp_gt_u32_e64 s[0:1], 60, v9
	s_waitcnt lgkmcnt(0)
	v_pk_add_f32 v[2:3], v[2:3], v[4:5]
	v_cndmask_b32_e64 v7, 0, 1, s[0:1]
	v_lshlrev_b32_e32 v7, 2, v7
	v_add_lshl_u32 v7, v7, v8, 2
	;; [unrolled: 8-line block ×3, first 2 shown]
	ds_bpermute_b32 v4, v7, v2
	ds_bpermute_b32 v5, v7, v3
	v_cmp_ne_u32_e64 s[0:1], 63, v9
	s_waitcnt lgkmcnt(0)
	v_pk_add_f32 v[2:3], v[2:3], v[4:5]
	v_addc_co_u32_e64 v4, s[0:1], 0, v8, s[0:1]
	v_lshlrev_b32_e32 v8, 2, v4
	ds_bpermute_b32 v4, v8, v2
	ds_bpermute_b32 v5, v8, v3
	v_cmp_eq_u32_e64 s[0:1], 0, v6
	s_and_saveexec_b64 s[10:11], s[0:1]
	s_cbranch_execz .LBB316_24
; %bb.23:
	v_lshrrev_b32_e32 v6, 3, v0
	v_and_b32_e32 v6, 24, v6
	s_waitcnt lgkmcnt(0)
	v_pk_add_f32 v[2:3], v[2:3], v[4:5]
	ds_write_b64 v6, v[2:3]
.LBB316_24:
	s_or_b64 exec, exec, s[10:11]
	s_mov_b32 s5, s4
	v_cmp_gt_u32_e64 s[0:1], 4, v0
	v_mov_b64_e32 v[2:3], s[4:5]
	s_waitcnt lgkmcnt(0)
	s_barrier
	s_and_saveexec_b64 s[4:5], s[0:1]
	s_cbranch_execnz .LBB316_28
; %bb.25:
	s_or_b64 exec, exec, s[4:5]
	s_and_saveexec_b64 s[0:1], vcc
	s_cbranch_execnz .LBB316_29
.LBB316_26:
	s_or_b64 exec, exec, s[0:1]
	v_cmp_eq_u32_e32 vcc, 0, v0
	s_and_saveexec_b64 s[0:1], vcc
	s_cbranch_execnz .LBB316_30
.LBB316_27:
	s_endpgm
.LBB316_28:
	ds_read_b64 v[2:3], v1
	s_or_b64 exec, exec, s[4:5]
	s_and_saveexec_b64 s[0:1], vcc
	s_cbranch_execz .LBB316_26
.LBB316_29:
	s_waitcnt lgkmcnt(0)
	ds_bpermute_b32 v4, v7, v2
	ds_bpermute_b32 v5, v7, v3
	s_waitcnt lgkmcnt(0)
	v_pk_add_f32 v[2:3], v[2:3], v[4:5]
	ds_bpermute_b32 v4, v8, v2
	ds_bpermute_b32 v5, v8, v3
	s_waitcnt lgkmcnt(0)
	v_pk_add_f32 v[2:3], v[2:3], v[4:5]
	s_or_b64 exec, exec, s[0:1]
	v_cmp_eq_u32_e32 vcc, 0, v0
	s_and_saveexec_b64 s[0:1], vcc
	s_cbranch_execz .LBB316_27
.LBB316_30:
	v_cmp_neq_f32_e64 s[4:5], s6, 0
	v_cmp_neq_f32_e64 s[10:11], s7, 0
	s_waitcnt lgkmcnt(0)
	v_pk_mul_f32 v[4:5], v[2:3], s[8:9] op_sel:[1,0]
	s_mul_i32 s0, s2, s19
	s_or_b64 s[4:5], s[4:5], s[10:11]
	v_pk_fma_f32 v[0:1], v[2:3], s[8:9], v[4:5] op_sel:[0,0,1] op_sel_hi:[0,1,0] neg_lo:[0,0,1] neg_hi:[0,0,1]
	v_pk_fma_f32 v[2:3], v[2:3], s[8:9], v[4:5] op_sel:[0,0,1] op_sel_hi:[0,1,0]
	s_andn2_b64 vcc, exec, s[4:5]
	s_ashr_i32 s1, s0, 31
	s_cbranch_vccnz .LBB316_32
; %bb.31:
	s_lshl_b64 s[4:5], s[0:1], 3
	s_add_u32 s4, s3, s4
	s_addc_u32 s5, s18, s5
	v_mov_b32_e32 v1, 0
	global_load_dwordx2 v[4:5], v1, s[4:5]
	v_mov_b32_e32 v1, v3
	s_waitcnt vmcnt(0)
	v_pk_mul_f32 v[2:3], s[6:7], v[4:5] op_sel:[0,1]
	s_nop 0
	v_pk_fma_f32 v[6:7], s[6:7], v[4:5], v[2:3] op_sel:[0,0,1] op_sel_hi:[1,1,0] neg_lo:[0,0,1] neg_hi:[0,0,1]
	v_pk_fma_f32 v[2:3], s[6:7], v[4:5], v[2:3] op_sel:[0,0,1] op_sel_hi:[1,0,0]
	s_nop 0
	v_mov_b32_e32 v7, v3
	v_pk_add_f32 v[0:1], v[0:1], v[6:7]
	s_nop 0
	v_mov_b32_e32 v3, v1
.LBB316_32:
	s_lshl_b64 s[0:1], s[0:1], 3
	s_add_u32 s0, s3, s0
	s_addc_u32 s1, s18, s1
	v_mov_b32_e32 v2, 0
	v_mov_b32_e32 v1, v3
	global_store_dwordx2 v2, v[0:1], s[0:1]
	s_endpgm
	.section	.rodata,"a",@progbits
	.p2align	6, 0x0
	.amdhsa_kernel _ZL32rocblas_gemvt_warp_reduce_kernelILb0ELi256EiPK19rocblas_complex_numIfES1_KPS1_EviiT3_lPKT2_lT1_lS9_lSA_lS6_lPT4_lSA_li
		.amdhsa_group_segment_fixed_size 512
		.amdhsa_private_segment_fixed_size 0
		.amdhsa_kernarg_size 140
		.amdhsa_user_sgpr_count 2
		.amdhsa_user_sgpr_dispatch_ptr 0
		.amdhsa_user_sgpr_queue_ptr 0
		.amdhsa_user_sgpr_kernarg_segment_ptr 1
		.amdhsa_user_sgpr_dispatch_id 0
		.amdhsa_user_sgpr_kernarg_preload_length 0
		.amdhsa_user_sgpr_kernarg_preload_offset 0
		.amdhsa_user_sgpr_private_segment_size 0
		.amdhsa_uses_dynamic_stack 0
		.amdhsa_enable_private_segment 0
		.amdhsa_system_sgpr_workgroup_id_x 1
		.amdhsa_system_sgpr_workgroup_id_y 0
		.amdhsa_system_sgpr_workgroup_id_z 1
		.amdhsa_system_sgpr_workgroup_info 0
		.amdhsa_system_vgpr_workitem_id 0
		.amdhsa_next_free_vgpr 16
		.amdhsa_next_free_sgpr 24
		.amdhsa_accum_offset 16
		.amdhsa_reserve_vcc 1
		.amdhsa_float_round_mode_32 0
		.amdhsa_float_round_mode_16_64 0
		.amdhsa_float_denorm_mode_32 3
		.amdhsa_float_denorm_mode_16_64 3
		.amdhsa_dx10_clamp 1
		.amdhsa_ieee_mode 1
		.amdhsa_fp16_overflow 0
		.amdhsa_tg_split 0
		.amdhsa_exception_fp_ieee_invalid_op 0
		.amdhsa_exception_fp_denorm_src 0
		.amdhsa_exception_fp_ieee_div_zero 0
		.amdhsa_exception_fp_ieee_overflow 0
		.amdhsa_exception_fp_ieee_underflow 0
		.amdhsa_exception_fp_ieee_inexact 0
		.amdhsa_exception_int_div_zero 0
	.end_amdhsa_kernel
	.section	.text._ZL32rocblas_gemvt_warp_reduce_kernelILb0ELi256EiPK19rocblas_complex_numIfES1_KPS1_EviiT3_lPKT2_lT1_lS9_lSA_lS6_lPT4_lSA_li,"axG",@progbits,_ZL32rocblas_gemvt_warp_reduce_kernelILb0ELi256EiPK19rocblas_complex_numIfES1_KPS1_EviiT3_lPKT2_lT1_lS9_lSA_lS6_lPT4_lSA_li,comdat
.Lfunc_end316:
	.size	_ZL32rocblas_gemvt_warp_reduce_kernelILb0ELi256EiPK19rocblas_complex_numIfES1_KPS1_EviiT3_lPKT2_lT1_lS9_lSA_lS6_lPT4_lSA_li, .Lfunc_end316-_ZL32rocblas_gemvt_warp_reduce_kernelILb0ELi256EiPK19rocblas_complex_numIfES1_KPS1_EviiT3_lPKT2_lT1_lS9_lSA_lS6_lPT4_lSA_li
                                        ; -- End function
	.section	.AMDGPU.csdata,"",@progbits
; Kernel info:
; codeLenInByte = 1628
; NumSgprs: 30
; NumVgprs: 16
; NumAgprs: 0
; TotalNumVgprs: 16
; ScratchSize: 0
; MemoryBound: 0
; FloatMode: 240
; IeeeMode: 1
; LDSByteSize: 512 bytes/workgroup (compile time only)
; SGPRBlocks: 3
; VGPRBlocks: 1
; NumSGPRsForWavesPerEU: 30
; NumVGPRsForWavesPerEU: 16
; AccumOffset: 16
; Occupancy: 8
; WaveLimiterHint : 1
; COMPUTE_PGM_RSRC2:SCRATCH_EN: 0
; COMPUTE_PGM_RSRC2:USER_SGPR: 2
; COMPUTE_PGM_RSRC2:TRAP_HANDLER: 0
; COMPUTE_PGM_RSRC2:TGID_X_EN: 1
; COMPUTE_PGM_RSRC2:TGID_Y_EN: 0
; COMPUTE_PGM_RSRC2:TGID_Z_EN: 1
; COMPUTE_PGM_RSRC2:TIDIG_COMP_CNT: 0
; COMPUTE_PGM_RSRC3_GFX90A:ACCUM_OFFSET: 3
; COMPUTE_PGM_RSRC3_GFX90A:TG_SPLIT: 0
	.section	.text._ZL32rocblas_gemvt_warp_reduce_kernelILb0ELi256ElPK19rocblas_complex_numIfES1_KPS1_EviiT3_lPKT2_lT1_lS9_lSA_lS6_lPT4_lSA_li,"axG",@progbits,_ZL32rocblas_gemvt_warp_reduce_kernelILb0ELi256ElPK19rocblas_complex_numIfES1_KPS1_EviiT3_lPKT2_lT1_lS9_lSA_lS6_lPT4_lSA_li,comdat
	.globl	_ZL32rocblas_gemvt_warp_reduce_kernelILb0ELi256ElPK19rocblas_complex_numIfES1_KPS1_EviiT3_lPKT2_lT1_lS9_lSA_lS6_lPT4_lSA_li ; -- Begin function _ZL32rocblas_gemvt_warp_reduce_kernelILb0ELi256ElPK19rocblas_complex_numIfES1_KPS1_EviiT3_lPKT2_lT1_lS9_lSA_lS6_lPT4_lSA_li
	.p2align	8
	.type	_ZL32rocblas_gemvt_warp_reduce_kernelILb0ELi256ElPK19rocblas_complex_numIfES1_KPS1_EviiT3_lPKT2_lT1_lS9_lSA_lS6_lPT4_lSA_li,@function
_ZL32rocblas_gemvt_warp_reduce_kernelILb0ELi256ElPK19rocblas_complex_numIfES1_KPS1_EviiT3_lPKT2_lT1_lS9_lSA_lS6_lPT4_lSA_li: ; @_ZL32rocblas_gemvt_warp_reduce_kernelILb0ELi256ElPK19rocblas_complex_numIfES1_KPS1_EviiT3_lPKT2_lT1_lS9_lSA_lS6_lPT4_lSA_li
; %bb.0:
	s_load_dwordx2 s[10:11], s[0:1], 0x8
	s_load_dwordx2 s[8:9], s[0:1], 0x58
	s_waitcnt lgkmcnt(0)
	v_cmp_eq_f32_e64 s[4:5], s10, 0
	v_cmp_eq_f32_e64 s[6:7], s11, 0
	s_and_b64 s[4:5], s[4:5], s[6:7]
	v_cmp_eq_f32_e64 s[6:7], s8, 1.0
	v_cmp_eq_f32_e64 s[12:13], s9, 0
	s_and_b64 s[6:7], s[6:7], s[12:13]
	s_and_b64 s[4:5], s[4:5], s[6:7]
	s_and_b64 vcc, exec, s[4:5]
	s_cbranch_vccnz .LBB317_27
; %bb.1:
	s_mov_b32 s20, s3
	s_load_dwordx4 s[4:7], s[0:1], 0x18
	s_load_dwordx2 s[16:17], s[0:1], 0x28
	s_or_b32 s3, s10, s11
	s_bitset0_b32 s3, 31
	s_cmp_lg_u32 s3, 0
	s_cselect_b64 s[14:15], -1, 0
	s_cmp_eq_u32 s3, 0
	s_cselect_b64 s[22:23], -1, 0
	s_and_b64 vcc, exec, s[14:15]
	s_cbranch_vccnz .LBB317_3
; %bb.2:
	s_mov_b32 s21, 0
	s_mov_b64 s[18:19], 0
	s_cbranch_execz .LBB317_4
	s_branch .LBB317_5
.LBB317_3:
                                        ; implicit-def: $sgpr18_sgpr19
.LBB317_4:
	s_mov_b32 s21, 0
	s_lshl_b64 s[12:13], s[20:21], 3
	s_waitcnt lgkmcnt(0)
	s_add_u32 s4, s4, s12
	s_addc_u32 s5, s5, s13
	s_load_dwordx2 s[4:5], s[4:5], 0x0
	s_lshl_b64 s[6:7], s[6:7], 3
	s_waitcnt lgkmcnt(0)
	s_add_u32 s18, s4, s6
	s_addc_u32 s19, s5, s7
.LBB317_5:
	s_waitcnt lgkmcnt(0)
	s_load_dwordx4 s[4:7], s[0:1], 0x38
	s_load_dwordx2 s[12:13], s[0:1], 0x48
	s_andn2_b64 vcc, exec, s[14:15]
	s_mov_b64 s[14:15], 0
	s_cbranch_vccnz .LBB317_7
; %bb.6:
	s_lshl_b64 s[14:15], s[20:21], 3
	s_waitcnt lgkmcnt(0)
	s_add_u32 s4, s4, s14
	s_addc_u32 s5, s5, s15
	s_load_dwordx2 s[4:5], s[4:5], 0x0
	s_lshl_b64 s[6:7], s[6:7], 3
	s_waitcnt lgkmcnt(0)
	s_add_u32 s14, s4, s6
	s_addc_u32 s15, s5, s7
.LBB317_7:
	s_load_dwordx4 s[24:27], s[0:1], 0x68
	s_waitcnt lgkmcnt(0)
	s_load_dwordx2 s[6:7], s[0:1], 0x78
	s_lshl_b64 s[4:5], s[20:21], 3
	s_mov_b64 s[20:21], -1
	s_add_u32 s4, s24, s4
	s_addc_u32 s5, s25, s5
	s_load_dwordx2 s[4:5], s[4:5], 0x0
	s_lshl_b64 s[24:25], s[26:27], 3
	s_waitcnt lgkmcnt(0)
	s_add_u32 s3, s4, s24
	s_addc_u32 s24, s5, s25
	s_andn2_b64 vcc, exec, s[22:23]
	v_cmp_eq_u32_e64 s[4:5], 0, v0
	s_cbranch_vccnz .LBB317_13
; %bb.8:
	s_and_saveexec_b64 s[20:21], s[4:5]
	s_cbranch_execz .LBB317_12
; %bb.9:
	v_cmp_neq_f32_e64 s[22:23], s8, 0
	v_cmp_neq_f32_e64 s[26:27], s9, 0
	s_ashr_i32 s4, s2, 31
	s_mul_i32 s5, s2, s7
	s_mul_hi_u32 s25, s2, s6
	s_add_i32 s5, s25, s5
	s_mul_i32 s4, s4, s6
	s_or_b64 s[22:23], s[22:23], s[26:27]
	s_add_i32 s5, s5, s4
	s_mul_i32 s4, s2, s6
	v_mov_b32_e32 v1, 0
	s_andn2_b64 vcc, exec, s[22:23]
	v_mov_b32_e32 v2, 0
	v_mov_b32_e32 v3, 0
	s_cbranch_vccnz .LBB317_11
; %bb.10:
	s_lshl_b64 s[22:23], s[4:5], 3
	s_add_u32 s22, s3, s22
	s_addc_u32 s23, s24, s23
	s_load_dwordx2 s[22:23], s[22:23], 0x0
	s_waitcnt lgkmcnt(0)
	v_mov_b64_e32 v[4:5], s[22:23]
	v_pk_mul_f32 v[6:7], s[8:9], v[4:5] op_sel:[0,1]
	s_nop 0
	v_pk_fma_f32 v[2:3], s[8:9], v[4:5], v[6:7] op_sel:[0,0,1] op_sel_hi:[1,1,0] neg_lo:[0,0,1] neg_hi:[0,0,1]
	v_pk_fma_f32 v[4:5], s[8:9], v[4:5], v[6:7] op_sel:[0,0,1] op_sel_hi:[1,0,0]
	s_nop 0
	v_mov_b32_e32 v3, v5
.LBB317_11:
	s_lshl_b64 s[4:5], s[4:5], 3
	s_add_u32 s4, s3, s4
	s_addc_u32 s5, s24, s5
	global_store_dwordx2 v1, v[2:3], s[4:5]
.LBB317_12:
	s_or_b64 exec, exec, s[20:21]
	s_mov_b64 s[20:21], 0
.LBB317_13:
	s_andn2_b64 vcc, exec, s[20:21]
	s_cbranch_vccnz .LBB317_27
; %bb.14:
	s_load_dword s1, s[0:1], 0x0
	s_ashr_i32 s22, s2, 31
	s_mul_i32 s0, s2, s17
	s_mul_hi_u32 s5, s2, s16
	s_add_i32 s0, s5, s0
	s_mul_i32 s5, s22, s16
	s_add_i32 s17, s0, s5
	s_mul_i32 s16, s2, s16
	s_lshl_b64 s[16:17], s[16:17], 3
	s_add_u32 s16, s16, s18
	s_addc_u32 s17, s17, s19
	s_waitcnt lgkmcnt(0)
	s_ashr_i32 s0, s1, 31
	v_cmp_gt_i32_e32 vcc, s1, v0
	s_lshr_b32 s0, s0, 24
	s_mov_b32 s4, 0
	v_mov_b32_e32 v2, 0
	v_cndmask_b32_e32 v1, 0, v0, vcc
	s_add_i32 s0, s1, s0
	v_mov_b32_e32 v5, v2
	v_lshlrev_b32_e32 v4, 3, v1
	s_and_b32 s0, s0, 0xffffff00
	s_mov_b32 s5, s4
	v_lshl_add_u64 v[4:5], s[16:17], 0, v[4:5]
	v_cmp_gt_i32_e32 vcc, s0, v0
	v_mov_b64_e32 v[6:7], s[4:5]
	s_and_saveexec_b64 s[4:5], vcc
	s_cbranch_execz .LBB317_18
; %bb.15:
	v_mad_u64_u32 v[6:7], s[16:17], s12, v0, 0
	v_mov_b32_e32 v8, v7
	v_mad_u64_u32 v[8:9], s[16:17], s13, v0, v[8:9]
	v_mov_b32_e32 v7, v8
	v_lshl_add_u64 v[6:7], v[6:7], 3, s[14:15]
	s_lshl_b64 s[18:19], s[12:13], 11
	s_mov_b64 s[16:17], 0
	s_mov_b64 s[20:21], 0x800
	v_mov_b64_e32 v[8:9], v[4:5]
	v_mov_b32_e32 v1, v0
	v_mov_b32_e32 v3, v2
.LBB317_16:                             ; =>This Inner Loop Header: Depth=1
	flat_load_dwordx2 v[10:11], v[8:9]
	flat_load_dwordx2 v[12:13], v[6:7]
	v_add_u32_e32 v1, 0x100, v1
	v_cmp_le_i32_e32 vcc, s0, v1
	v_lshl_add_u64 v[8:9], v[8:9], 0, s[20:21]
	v_lshl_add_u64 v[6:7], v[6:7], 0, s[18:19]
	s_or_b64 s[16:17], vcc, s[16:17]
	s_waitcnt vmcnt(0) lgkmcnt(0)
	v_mul_f32_e32 v14, v13, v11
	v_mul_f32_e32 v15, v12, v11
	v_fma_f32 v14, v12, v10, -v14
	v_fmac_f32_e32 v15, v13, v10
	v_pk_add_f32 v[2:3], v[2:3], v[14:15]
	s_andn2_b64 exec, exec, s[16:17]
	s_cbranch_execnz .LBB317_16
; %bb.17:
	s_or_b64 exec, exec, s[16:17]
	v_mov_b64_e32 v[6:7], v[2:3]
.LBB317_18:
	s_or_b64 exec, exec, s[4:5]
	v_add_u32_e32 v1, s0, v0
	v_cmp_gt_i32_e32 vcc, s1, v1
	s_and_saveexec_b64 s[4:5], vcc
	s_cbranch_execz .LBB317_20
; %bb.19:
	s_ashr_i32 s1, s0, 31
	v_lshl_add_u64 v[2:3], s[0:1], 3, v[4:5]
	v_ashrrev_i32_e32 v4, 31, v1
	v_mul_lo_u32 v8, v1, s13
	v_mul_lo_u32 v9, v4, s12
	v_mad_u64_u32 v[4:5], s[0:1], v1, s12, 0
	v_add3_u32 v5, v5, v8, v9
	v_lshl_add_u64 v[4:5], v[4:5], 3, s[14:15]
	flat_load_dwordx2 v[2:3], v[2:3]
	s_nop 0
	flat_load_dwordx2 v[4:5], v[4:5]
	s_waitcnt vmcnt(0) lgkmcnt(0)
	v_pk_mul_f32 v[8:9], v[4:5], v[2:3] op_sel:[0,1]
	s_nop 0
	v_pk_fma_f32 v[10:11], v[4:5], v[2:3], v[8:9] op_sel:[0,0,1] op_sel_hi:[1,1,0] neg_lo:[0,0,1] neg_hi:[0,0,1]
	v_pk_fma_f32 v[2:3], v[4:5], v[2:3], v[8:9] op_sel:[0,0,1] op_sel_hi:[1,0,0]
	s_nop 0
	v_mov_b32_e32 v11, v3
	v_pk_add_f32 v[6:7], v[6:7], v[10:11]
.LBB317_20:
	s_or_b64 exec, exec, s[4:5]
	v_and_b32_e32 v8, 63, v0
	v_cmp_gt_u32_e32 vcc, 64, v0
	v_lshlrev_b32_e32 v1, 3, v8
	s_and_saveexec_b64 s[0:1], vcc
	s_cbranch_execz .LBB317_22
; %bb.21:
	v_mov_b32_e32 v2, 0
	v_mov_b32_e32 v3, v2
	ds_write_b64 v1, v[2:3]
.LBB317_22:
	s_or_b64 exec, exec, s[0:1]
	v_mbcnt_lo_u32_b32 v2, -1, 0
	v_mbcnt_hi_u32_b32 v9, -1, v2
	v_and_b32_e32 v10, 63, v9
	v_cmp_gt_u32_e64 s[0:1], 32, v10
	s_mov_b32 s4, 0
	s_waitcnt lgkmcnt(0)
	v_cndmask_b32_e64 v2, 0, 1, s[0:1]
	v_lshlrev_b32_e32 v2, 5, v2
	v_add_lshl_u32 v3, v2, v9, 2
	ds_bpermute_b32 v2, v3, v6
	ds_bpermute_b32 v3, v3, v7
	v_cmp_gt_u32_e64 s[0:1], 48, v10
	s_barrier
	s_waitcnt lgkmcnt(0)
	v_cndmask_b32_e64 v4, 0, 1, s[0:1]
	v_lshlrev_b32_e32 v4, 4, v4
	v_add_lshl_u32 v5, v4, v9, 2
	v_pk_add_f32 v[2:3], v[6:7], v[2:3]
	ds_bpermute_b32 v4, v5, v2
	ds_bpermute_b32 v5, v5, v3
	v_cmp_gt_u32_e64 s[0:1], 56, v10
	s_waitcnt lgkmcnt(0)
	v_pk_add_f32 v[2:3], v[2:3], v[4:5]
	v_cndmask_b32_e64 v6, 0, 1, s[0:1]
	v_lshlrev_b32_e32 v6, 3, v6
	v_add_lshl_u32 v6, v6, v9, 2
	ds_bpermute_b32 v4, v6, v2
	ds_bpermute_b32 v5, v6, v3
	v_cmp_gt_u32_e64 s[0:1], 60, v10
	s_waitcnt lgkmcnt(0)
	v_pk_add_f32 v[2:3], v[2:3], v[4:5]
	v_cndmask_b32_e64 v6, 0, 1, s[0:1]
	v_lshlrev_b32_e32 v6, 2, v6
	v_add_lshl_u32 v6, v6, v9, 2
	ds_bpermute_b32 v4, v6, v2
	ds_bpermute_b32 v5, v6, v3
	v_cmp_gt_u32_e64 s[0:1], 62, v10
	s_waitcnt lgkmcnt(0)
	v_pk_add_f32 v[2:3], v[2:3], v[4:5]
	v_cndmask_b32_e64 v6, 0, 1, s[0:1]
	v_lshlrev_b32_e32 v6, 1, v6
	v_add_lshl_u32 v6, v6, v9, 2
	ds_bpermute_b32 v4, v6, v2
	ds_bpermute_b32 v5, v6, v3
	v_cmp_ne_u32_e64 s[0:1], 63, v10
	s_waitcnt lgkmcnt(0)
	v_pk_add_f32 v[2:3], v[2:3], v[4:5]
	v_addc_co_u32_e64 v4, s[0:1], 0, v9, s[0:1]
	v_lshlrev_b32_e32 v7, 2, v4
	ds_bpermute_b32 v4, v7, v2
	ds_bpermute_b32 v5, v7, v3
	v_cmp_eq_u32_e64 s[0:1], 0, v8
	s_and_saveexec_b64 s[12:13], s[0:1]
	s_cbranch_execz .LBB317_24
; %bb.23:
	v_lshrrev_b32_e32 v8, 3, v0
	v_and_b32_e32 v8, 24, v8
	s_waitcnt lgkmcnt(0)
	v_pk_add_f32 v[2:3], v[2:3], v[4:5]
	ds_write_b64 v8, v[2:3]
.LBB317_24:
	s_or_b64 exec, exec, s[12:13]
	s_mov_b32 s5, s4
	v_cmp_gt_u32_e64 s[0:1], 4, v0
	v_mov_b64_e32 v[2:3], s[4:5]
	s_waitcnt lgkmcnt(0)
	s_barrier
	s_and_saveexec_b64 s[4:5], s[0:1]
	s_cbranch_execnz .LBB317_28
; %bb.25:
	s_or_b64 exec, exec, s[4:5]
	s_and_saveexec_b64 s[0:1], vcc
	s_cbranch_execnz .LBB317_29
.LBB317_26:
	s_or_b64 exec, exec, s[0:1]
	v_cmp_eq_u32_e32 vcc, 0, v0
	s_and_saveexec_b64 s[0:1], vcc
	s_cbranch_execnz .LBB317_30
.LBB317_27:
	s_endpgm
.LBB317_28:
	ds_read_b64 v[2:3], v1
	s_or_b64 exec, exec, s[4:5]
	s_and_saveexec_b64 s[0:1], vcc
	s_cbranch_execz .LBB317_26
.LBB317_29:
	s_waitcnt lgkmcnt(0)
	ds_bpermute_b32 v4, v6, v2
	ds_bpermute_b32 v5, v6, v3
	s_waitcnt lgkmcnt(0)
	v_pk_add_f32 v[2:3], v[2:3], v[4:5]
	ds_bpermute_b32 v4, v7, v2
	ds_bpermute_b32 v5, v7, v3
	s_waitcnt lgkmcnt(0)
	v_pk_add_f32 v[2:3], v[2:3], v[4:5]
	s_or_b64 exec, exec, s[0:1]
	v_cmp_eq_u32_e32 vcc, 0, v0
	s_and_saveexec_b64 s[0:1], vcc
	s_cbranch_execz .LBB317_27
.LBB317_30:
	v_cmp_neq_f32_e64 s[4:5], s8, 0
	v_cmp_neq_f32_e64 s[12:13], s9, 0
	s_mul_i32 s0, s2, s7
	s_mul_hi_u32 s1, s2, s6
	s_waitcnt lgkmcnt(0)
	v_pk_mul_f32 v[4:5], v[2:3], s[10:11] op_sel:[1,0]
	s_add_i32 s0, s1, s0
	s_mul_i32 s1, s22, s6
	s_or_b64 s[4:5], s[4:5], s[12:13]
	v_pk_fma_f32 v[0:1], v[2:3], s[10:11], v[4:5] op_sel:[0,0,1] op_sel_hi:[0,1,0] neg_lo:[0,0,1] neg_hi:[0,0,1]
	v_pk_fma_f32 v[2:3], v[2:3], s[10:11], v[4:5] op_sel:[0,0,1] op_sel_hi:[0,1,0]
	s_add_i32 s1, s0, s1
	s_andn2_b64 vcc, exec, s[4:5]
	s_mul_i32 s0, s2, s6
	s_cbranch_vccnz .LBB317_32
; %bb.31:
	s_lshl_b64 s[4:5], s[0:1], 3
	s_add_u32 s4, s3, s4
	s_addc_u32 s5, s24, s5
	v_mov_b32_e32 v1, 0
	global_load_dwordx2 v[4:5], v1, s[4:5]
	v_mov_b32_e32 v1, v3
	s_waitcnt vmcnt(0)
	v_pk_mul_f32 v[2:3], s[8:9], v[4:5] op_sel:[0,1]
	s_nop 0
	v_pk_fma_f32 v[6:7], s[8:9], v[4:5], v[2:3] op_sel:[0,0,1] op_sel_hi:[1,1,0] neg_lo:[0,0,1] neg_hi:[0,0,1]
	v_pk_fma_f32 v[2:3], s[8:9], v[4:5], v[2:3] op_sel:[0,0,1] op_sel_hi:[1,0,0]
	s_nop 0
	v_mov_b32_e32 v7, v3
	v_pk_add_f32 v[0:1], v[0:1], v[6:7]
	s_nop 0
	v_mov_b32_e32 v3, v1
.LBB317_32:
	s_lshl_b64 s[0:1], s[0:1], 3
	s_add_u32 s0, s3, s0
	s_addc_u32 s1, s24, s1
	v_mov_b32_e32 v2, 0
	v_mov_b32_e32 v1, v3
	global_store_dwordx2 v2, v[0:1], s[0:1]
	s_endpgm
	.section	.rodata,"a",@progbits
	.p2align	6, 0x0
	.amdhsa_kernel _ZL32rocblas_gemvt_warp_reduce_kernelILb0ELi256ElPK19rocblas_complex_numIfES1_KPS1_EviiT3_lPKT2_lT1_lS9_lSA_lS6_lPT4_lSA_li
		.amdhsa_group_segment_fixed_size 512
		.amdhsa_private_segment_fixed_size 0
		.amdhsa_kernarg_size 140
		.amdhsa_user_sgpr_count 2
		.amdhsa_user_sgpr_dispatch_ptr 0
		.amdhsa_user_sgpr_queue_ptr 0
		.amdhsa_user_sgpr_kernarg_segment_ptr 1
		.amdhsa_user_sgpr_dispatch_id 0
		.amdhsa_user_sgpr_kernarg_preload_length 0
		.amdhsa_user_sgpr_kernarg_preload_offset 0
		.amdhsa_user_sgpr_private_segment_size 0
		.amdhsa_uses_dynamic_stack 0
		.amdhsa_enable_private_segment 0
		.amdhsa_system_sgpr_workgroup_id_x 1
		.amdhsa_system_sgpr_workgroup_id_y 0
		.amdhsa_system_sgpr_workgroup_id_z 1
		.amdhsa_system_sgpr_workgroup_info 0
		.amdhsa_system_vgpr_workitem_id 0
		.amdhsa_next_free_vgpr 16
		.amdhsa_next_free_sgpr 28
		.amdhsa_accum_offset 16
		.amdhsa_reserve_vcc 1
		.amdhsa_float_round_mode_32 0
		.amdhsa_float_round_mode_16_64 0
		.amdhsa_float_denorm_mode_32 3
		.amdhsa_float_denorm_mode_16_64 3
		.amdhsa_dx10_clamp 1
		.amdhsa_ieee_mode 1
		.amdhsa_fp16_overflow 0
		.amdhsa_tg_split 0
		.amdhsa_exception_fp_ieee_invalid_op 0
		.amdhsa_exception_fp_denorm_src 0
		.amdhsa_exception_fp_ieee_div_zero 0
		.amdhsa_exception_fp_ieee_overflow 0
		.amdhsa_exception_fp_ieee_underflow 0
		.amdhsa_exception_fp_ieee_inexact 0
		.amdhsa_exception_int_div_zero 0
	.end_amdhsa_kernel
	.section	.text._ZL32rocblas_gemvt_warp_reduce_kernelILb0ELi256ElPK19rocblas_complex_numIfES1_KPS1_EviiT3_lPKT2_lT1_lS9_lSA_lS6_lPT4_lSA_li,"axG",@progbits,_ZL32rocblas_gemvt_warp_reduce_kernelILb0ELi256ElPK19rocblas_complex_numIfES1_KPS1_EviiT3_lPKT2_lT1_lS9_lSA_lS6_lPT4_lSA_li,comdat
.Lfunc_end317:
	.size	_ZL32rocblas_gemvt_warp_reduce_kernelILb0ELi256ElPK19rocblas_complex_numIfES1_KPS1_EviiT3_lPKT2_lT1_lS9_lSA_lS6_lPT4_lSA_li, .Lfunc_end317-_ZL32rocblas_gemvt_warp_reduce_kernelILb0ELi256ElPK19rocblas_complex_numIfES1_KPS1_EviiT3_lPKT2_lT1_lS9_lSA_lS6_lPT4_lSA_li
                                        ; -- End function
	.section	.AMDGPU.csdata,"",@progbits
; Kernel info:
; codeLenInByte = 1728
; NumSgprs: 34
; NumVgprs: 16
; NumAgprs: 0
; TotalNumVgprs: 16
; ScratchSize: 0
; MemoryBound: 0
; FloatMode: 240
; IeeeMode: 1
; LDSByteSize: 512 bytes/workgroup (compile time only)
; SGPRBlocks: 4
; VGPRBlocks: 1
; NumSGPRsForWavesPerEU: 34
; NumVGPRsForWavesPerEU: 16
; AccumOffset: 16
; Occupancy: 8
; WaveLimiterHint : 1
; COMPUTE_PGM_RSRC2:SCRATCH_EN: 0
; COMPUTE_PGM_RSRC2:USER_SGPR: 2
; COMPUTE_PGM_RSRC2:TRAP_HANDLER: 0
; COMPUTE_PGM_RSRC2:TGID_X_EN: 1
; COMPUTE_PGM_RSRC2:TGID_Y_EN: 0
; COMPUTE_PGM_RSRC2:TGID_Z_EN: 1
; COMPUTE_PGM_RSRC2:TIDIG_COMP_CNT: 0
; COMPUTE_PGM_RSRC3_GFX90A:ACCUM_OFFSET: 3
; COMPUTE_PGM_RSRC3_GFX90A:TG_SPLIT: 0
	.section	.text._ZL20rocblas_gemvt_kernelILb0ELi256EPK19rocblas_complex_numIfES3_KPS1_EviiT2_lPKT1_lilS9_lilS6_lPT3_lili,"axG",@progbits,_ZL20rocblas_gemvt_kernelILb0ELi256EPK19rocblas_complex_numIfES3_KPS1_EviiT2_lPKT1_lilS9_lilS6_lPT3_lili,comdat
	.globl	_ZL20rocblas_gemvt_kernelILb0ELi256EPK19rocblas_complex_numIfES3_KPS1_EviiT2_lPKT1_lilS9_lilS6_lPT3_lili ; -- Begin function _ZL20rocblas_gemvt_kernelILb0ELi256EPK19rocblas_complex_numIfES3_KPS1_EviiT2_lPKT1_lilS9_lilS6_lPT3_lili
	.p2align	8
	.type	_ZL20rocblas_gemvt_kernelILb0ELi256EPK19rocblas_complex_numIfES3_KPS1_EviiT2_lPKT1_lilS9_lilS6_lPT3_lili,@function
_ZL20rocblas_gemvt_kernelILb0ELi256EPK19rocblas_complex_numIfES3_KPS1_EviiT2_lPKT1_lilS9_lilS6_lPT3_lili: ; @_ZL20rocblas_gemvt_kernelILb0ELi256EPK19rocblas_complex_numIfES3_KPS1_EviiT2_lPKT1_lilS9_lilS6_lPT3_lili
; %bb.0:
	s_load_dwordx8 s[12:19], s[0:1], 0x8
	s_load_dwordx8 s[4:11], s[0:1], 0x58
	s_mov_b32 s22, s3
	s_waitcnt lgkmcnt(0)
	s_mul_i32 s3, s3, s15
	s_mul_hi_u32 s15, s22, s14
	s_add_i32 s15, s15, s3
	s_mul_i32 s14, s22, s14
	s_lshl_b64 s[14:15], s[14:15], 3
	s_add_u32 s12, s12, s14
	s_mul_i32 s3, s22, s7
	s_mul_hi_u32 s7, s22, s6
	s_addc_u32 s13, s13, s15
	s_add_i32 s7, s7, s3
	s_mul_i32 s6, s22, s6
	s_lshl_b64 s[6:7], s[6:7], 3
	s_add_u32 s4, s4, s6
	s_load_dwordx2 s[12:13], s[12:13], 0x0
	s_addc_u32 s5, s5, s7
	s_load_dwordx2 s[6:7], s[4:5], 0x0
	s_waitcnt lgkmcnt(0)
	v_cmp_eq_f32_e64 s[4:5], s12, 0
	v_cmp_eq_f32_e64 s[14:15], s13, 0
	s_and_b64 s[4:5], s[4:5], s[14:15]
	v_cmp_eq_f32_e64 s[14:15], s6, 1.0
	v_cmp_eq_f32_e64 s[20:21], s7, 0
	s_and_b64 s[14:15], s[14:15], s[20:21]
	s_and_b64 s[4:5], s[4:5], s[14:15]
	s_and_b64 vcc, exec, s[4:5]
	s_cbranch_vccnz .LBB318_39
; %bb.1:
	s_or_b32 s3, s12, s13
	s_bitset0_b32 s3, 31
	s_cmp_lg_u32 s3, 0
	s_cselect_b64 s[24:25], -1, 0
	s_cmp_eq_u32 s3, 0
	s_cselect_b64 s[4:5], -1, 0
	s_mov_b32 s23, 0
	s_mov_b64 s[14:15], 0
	s_and_b64 vcc, exec, s[4:5]
	s_mov_b64 s[20:21], 0
	s_cbranch_vccnz .LBB318_3
; %bb.2:
	s_lshl_b64 s[20:21], s[22:23], 3
	s_add_u32 s16, s16, s20
	s_addc_u32 s17, s17, s21
	s_load_dwordx2 s[16:17], s[16:17], 0x0
	s_lshl_b64 s[18:19], s[18:19], 3
	s_waitcnt lgkmcnt(0)
	s_add_u32 s20, s16, s18
	s_addc_u32 s21, s17, s19
.LBB318_3:
	s_andn2_b64 vcc, exec, s[24:25]
	s_cbranch_vccnz .LBB318_5
; %bb.4:
	s_load_dwordx4 s[16:19], s[0:1], 0x38
	s_lshl_b64 s[14:15], s[22:23], 3
	s_waitcnt lgkmcnt(0)
	s_add_u32 s14, s16, s14
	s_addc_u32 s15, s17, s15
	s_load_dwordx2 s[14:15], s[14:15], 0x0
	s_lshl_b64 s[16:17], s[18:19], 3
	s_waitcnt lgkmcnt(0)
	s_add_u32 s14, s14, s16
	s_addc_u32 s15, s15, s17
.LBB318_5:
	s_lshl_b64 s[16:17], s[22:23], 3
	s_add_u32 s8, s8, s16
	s_addc_u32 s9, s9, s17
	s_load_dwordx2 s[16:17], s[8:9], 0x0
	s_load_dword s19, s[0:1], 0x78
	s_lshl_b64 s[10:11], s[10:11], 3
	s_mov_b64 s[8:9], -1
	s_waitcnt lgkmcnt(0)
	s_add_u32 s3, s16, s10
	s_addc_u32 s18, s17, s11
	s_andn2_b64 vcc, exec, s[4:5]
	v_cmp_eq_u32_e64 s[4:5], 0, v0
	s_cbranch_vccnz .LBB318_11
; %bb.6:
	s_and_saveexec_b64 s[8:9], s[4:5]
	s_cbranch_execz .LBB318_10
; %bb.7:
	v_cmp_neq_f32_e64 s[10:11], s6, 0
	v_cmp_neq_f32_e64 s[16:17], s7, 0
	s_or_b64 s[10:11], s[10:11], s[16:17]
	s_mul_hi_i32 s5, s19, s2
	s_mul_i32 s4, s19, s2
	v_mov_b32_e32 v1, 0
	s_andn2_b64 vcc, exec, s[10:11]
	v_mov_b32_e32 v2, 0
	v_mov_b32_e32 v3, 0
	s_cbranch_vccnz .LBB318_9
; %bb.8:
	s_lshl_b64 s[10:11], s[4:5], 3
	s_add_u32 s10, s3, s10
	s_addc_u32 s11, s18, s11
	s_load_dwordx2 s[10:11], s[10:11], 0x0
	s_waitcnt lgkmcnt(0)
	v_mov_b64_e32 v[4:5], s[10:11]
	v_pk_mul_f32 v[6:7], s[6:7], v[4:5] op_sel:[0,1]
	s_nop 0
	v_pk_fma_f32 v[2:3], s[6:7], v[4:5], v[6:7] op_sel:[0,0,1] op_sel_hi:[1,1,0] neg_lo:[0,0,1] neg_hi:[0,0,1]
	v_pk_fma_f32 v[4:5], s[6:7], v[4:5], v[6:7] op_sel:[0,0,1] op_sel_hi:[1,0,0]
	s_nop 0
	v_mov_b32_e32 v3, v5
.LBB318_9:
	s_lshl_b64 s[4:5], s[4:5], 3
	s_add_u32 s4, s3, s4
	s_addc_u32 s5, s18, s5
	global_store_dwordx2 v1, v[2:3], s[4:5]
.LBB318_10:
	s_or_b64 exec, exec, s[8:9]
	s_mov_b64 s[8:9], 0
.LBB318_11:
	s_andn2_b64 vcc, exec, s[8:9]
	s_cbranch_vccnz .LBB318_39
; %bb.12:
	s_load_dword s9, s[0:1], 0x0
	s_load_dword s5, s[0:1], 0x28
	s_load_dword s4, s[0:1], 0x48
	s_mov_b32 s0, 0
	v_mov_b32_e32 v4, 0
	s_waitcnt lgkmcnt(0)
	v_cmp_gt_i32_e32 vcc, s9, v0
	s_mul_hi_i32 s11, s5, s2
	s_mul_i32 s10, s5, s2
	s_lshl_b64 s[10:11], s[10:11], 3
	s_add_u32 s10, s10, s20
	s_addc_u32 s11, s11, s21
	s_ashr_i32 s1, s9, 31
	s_lshr_b32 s1, s1, 24
	v_cndmask_b32_e32 v1, 0, v0, vcc
	s_add_i32 s1, s9, s1
	v_lshlrev_b32_e32 v2, 3, v1
	v_mov_b32_e32 v3, v4
	s_and_b32 s8, s1, 0xffffff00
	s_mov_b32 s1, s0
	v_lshl_add_u64 v[2:3], s[10:11], 0, v[2:3]
	s_cmpk_lt_i32 s9, 0x100
	v_mov_b64_e32 v[6:7], s[0:1]
	s_cbranch_scc1 .LBB318_16
; %bb.13:
	s_ashr_i32 s5, s4, 31
	v_mad_i64_i32 v[6:7], s[10:11], s4, v0, 0
	v_lshl_add_u64 v[6:7], v[6:7], 3, s[14:15]
	s_lshl_b64 s[10:11], s[4:5], 11
	s_mov_b64 s[16:17], 0x800
	v_mov_b64_e32 v[8:9], v[2:3]
	v_mov_b32_e32 v5, v4
.LBB318_14:                             ; =>This Inner Loop Header: Depth=1
	flat_load_dwordx2 v[10:11], v[8:9]
	flat_load_dwordx2 v[12:13], v[6:7]
	s_addk_i32 s0, 0x100
	v_lshl_add_u64 v[6:7], v[6:7], 0, s[10:11]
	v_lshl_add_u64 v[8:9], v[8:9], 0, s[16:17]
	s_cmp_ge_i32 s0, s8
	s_waitcnt vmcnt(0) lgkmcnt(0)
	v_pk_mul_f32 v[14:15], v[12:13], v[10:11] op_sel:[0,1]
	s_nop 0
	v_pk_fma_f32 v[16:17], v[12:13], v[10:11], v[14:15] op_sel:[0,0,1] op_sel_hi:[1,1,0] neg_lo:[0,0,1] neg_hi:[0,0,1]
	v_pk_fma_f32 v[10:11], v[12:13], v[10:11], v[14:15] op_sel:[0,0,1] op_sel_hi:[1,0,0]
	s_nop 0
	v_mov_b32_e32 v17, v11
	v_pk_add_f32 v[4:5], v[4:5], v[16:17]
	s_cbranch_scc0 .LBB318_14
; %bb.15:
	v_mov_b64_e32 v[6:7], v[4:5]
.LBB318_16:
	v_add_u32_e32 v1, s8, v0
	v_cmp_gt_i32_e32 vcc, s9, v1
	s_and_saveexec_b64 s[0:1], vcc
	s_cbranch_execz .LBB318_18
; %bb.17:
	s_ashr_i32 s9, s8, 31
	v_mad_i64_i32 v[4:5], s[4:5], s4, v1, 0
	v_lshl_add_u64 v[2:3], s[8:9], 3, v[2:3]
	v_lshl_add_u64 v[4:5], v[4:5], 3, s[14:15]
	flat_load_dwordx2 v[2:3], v[2:3]
	s_nop 0
	flat_load_dwordx2 v[4:5], v[4:5]
	s_waitcnt vmcnt(0) lgkmcnt(0)
	v_pk_mul_f32 v[8:9], v[4:5], v[2:3] op_sel:[0,1]
	s_nop 0
	v_pk_fma_f32 v[10:11], v[4:5], v[2:3], v[8:9] op_sel:[0,0,1] op_sel_hi:[1,1,0] neg_lo:[0,0,1] neg_hi:[0,0,1]
	v_pk_fma_f32 v[2:3], v[4:5], v[2:3], v[8:9] op_sel:[0,0,1] op_sel_hi:[1,0,0]
	s_nop 0
	v_mov_b32_e32 v11, v3
	v_pk_add_f32 v[6:7], v[6:7], v[10:11]
.LBB318_18:
	s_or_b64 exec, exec, s[0:1]
	s_movk_i32 s0, 0x80
	v_lshlrev_b32_e32 v1, 3, v0
	v_cmp_gt_u32_e32 vcc, s0, v0
	ds_write_b64 v1, v[6:7]
	s_waitcnt lgkmcnt(0)
	s_barrier
	s_and_saveexec_b64 s[0:1], vcc
	s_cbranch_execz .LBB318_20
; %bb.19:
	ds_read2st64_b64 v[2:5], v1 offset1:2
	s_waitcnt lgkmcnt(0)
	v_pk_add_f32 v[2:3], v[4:5], v[2:3]
	ds_write_b64 v1, v[2:3]
.LBB318_20:
	s_or_b64 exec, exec, s[0:1]
	v_cmp_gt_u32_e32 vcc, 64, v0
	s_waitcnt lgkmcnt(0)
	s_barrier
	s_and_saveexec_b64 s[0:1], vcc
	s_cbranch_execz .LBB318_22
; %bb.21:
	ds_read2st64_b64 v[2:5], v1 offset1:1
	s_waitcnt lgkmcnt(0)
	v_pk_add_f32 v[2:3], v[4:5], v[2:3]
	ds_write_b64 v1, v[2:3]
.LBB318_22:
	s_or_b64 exec, exec, s[0:1]
	v_cmp_gt_u32_e32 vcc, 32, v0
	s_waitcnt lgkmcnt(0)
	s_barrier
	s_and_saveexec_b64 s[0:1], vcc
	s_cbranch_execz .LBB318_24
; %bb.23:
	ds_read2_b64 v[2:5], v1 offset1:32
	s_waitcnt lgkmcnt(0)
	v_pk_add_f32 v[2:3], v[4:5], v[2:3]
	ds_write_b64 v1, v[2:3]
.LBB318_24:
	s_or_b64 exec, exec, s[0:1]
	v_cmp_gt_u32_e32 vcc, 16, v0
	s_waitcnt lgkmcnt(0)
	s_barrier
	s_and_saveexec_b64 s[0:1], vcc
	s_cbranch_execz .LBB318_26
; %bb.25:
	ds_read2_b64 v[2:5], v1 offset1:16
	s_waitcnt lgkmcnt(0)
	v_pk_add_f32 v[2:3], v[4:5], v[2:3]
	ds_write_b64 v1, v[2:3]
.LBB318_26:
	;; [unrolled: 12-line block ×5, first 2 shown]
	s_or_b64 exec, exec, s[0:1]
	v_cmp_eq_u32_e32 vcc, 0, v0
	s_waitcnt lgkmcnt(0)
	s_barrier
	s_and_saveexec_b64 s[0:1], vcc
	s_cbranch_execz .LBB318_34
; %bb.33:
	v_mov_b32_e32 v4, 0
	ds_read_b128 v[0:3], v4
	s_waitcnt lgkmcnt(0)
	v_pk_add_f32 v[0:1], v[2:3], v[0:1]
	ds_write_b64 v4, v[0:1]
.LBB318_34:
	s_or_b64 exec, exec, s[0:1]
	s_waitcnt lgkmcnt(0)
	s_barrier
	s_and_saveexec_b64 s[0:1], vcc
	s_cbranch_execz .LBB318_39
; %bb.35:
	v_mov_b32_e32 v4, 0
	ds_read_b64 v[2:3], v4
	v_cmp_neq_f32_e64 s[4:5], s6, 0
	v_cmp_neq_f32_e64 s[8:9], s7, 0
	s_mov_b32 s0, s13
	s_or_b64 s[4:5], s[4:5], s[8:9]
	s_waitcnt lgkmcnt(0)
	v_pk_mul_f32 v[0:1], v[2:3], s[12:13]
	v_mov_b32_e32 v6, v3
	v_mov_b32_e32 v0, v1
	v_pk_mul_f32 v[6:7], v[6:7], s[12:13]
	v_pk_fma_f32 v[0:1], v[2:3], s[12:13], v[0:1] neg_lo:[0,0,1] neg_hi:[0,0,1]
	v_pk_fma_f32 v[2:3], v[2:3], s[0:1], v[6:7]
	s_mul_hi_i32 s1, s19, s2
	s_andn2_b64 vcc, exec, s[4:5]
	s_mul_i32 s0, s19, s2
	s_cbranch_vccnz .LBB318_37
; %bb.36:
	s_lshl_b64 s[4:5], s[0:1], 3
	s_add_u32 s4, s3, s4
	s_addc_u32 s5, s18, s5
	global_load_dwordx2 v[6:7], v4, s[4:5]
	s_waitcnt vmcnt(0)
	v_pk_mul_f32 v[8:9], s[6:7], v[6:7]
	v_mul_f32_e32 v1, s7, v6
	v_sub_f32_e32 v3, v8, v9
	v_fmac_f32_e32 v1, s6, v7
	v_add_f32_e32 v0, v0, v3
	v_add_f32_e32 v1, v2, v1
	s_branch .LBB318_38
.LBB318_37:
	v_mov_b32_e32 v1, v2
.LBB318_38:
	s_lshl_b64 s[0:1], s[0:1], 3
	s_add_u32 s0, s3, s0
	s_addc_u32 s1, s18, s1
	global_store_dwordx2 v4, v[0:1], s[0:1]
.LBB318_39:
	s_endpgm
	.section	.rodata,"a",@progbits
	.p2align	6, 0x0
	.amdhsa_kernel _ZL20rocblas_gemvt_kernelILb0ELi256EPK19rocblas_complex_numIfES3_KPS1_EviiT2_lPKT1_lilS9_lilS6_lPT3_lili
		.amdhsa_group_segment_fixed_size 2048
		.amdhsa_private_segment_fixed_size 0
		.amdhsa_kernarg_size 140
		.amdhsa_user_sgpr_count 2
		.amdhsa_user_sgpr_dispatch_ptr 0
		.amdhsa_user_sgpr_queue_ptr 0
		.amdhsa_user_sgpr_kernarg_segment_ptr 1
		.amdhsa_user_sgpr_dispatch_id 0
		.amdhsa_user_sgpr_kernarg_preload_length 0
		.amdhsa_user_sgpr_kernarg_preload_offset 0
		.amdhsa_user_sgpr_private_segment_size 0
		.amdhsa_uses_dynamic_stack 0
		.amdhsa_enable_private_segment 0
		.amdhsa_system_sgpr_workgroup_id_x 1
		.amdhsa_system_sgpr_workgroup_id_y 0
		.amdhsa_system_sgpr_workgroup_id_z 1
		.amdhsa_system_sgpr_workgroup_info 0
		.amdhsa_system_vgpr_workitem_id 0
		.amdhsa_next_free_vgpr 18
		.amdhsa_next_free_sgpr 26
		.amdhsa_accum_offset 20
		.amdhsa_reserve_vcc 1
		.amdhsa_float_round_mode_32 0
		.amdhsa_float_round_mode_16_64 0
		.amdhsa_float_denorm_mode_32 3
		.amdhsa_float_denorm_mode_16_64 3
		.amdhsa_dx10_clamp 1
		.amdhsa_ieee_mode 1
		.amdhsa_fp16_overflow 0
		.amdhsa_tg_split 0
		.amdhsa_exception_fp_ieee_invalid_op 0
		.amdhsa_exception_fp_denorm_src 0
		.amdhsa_exception_fp_ieee_div_zero 0
		.amdhsa_exception_fp_ieee_overflow 0
		.amdhsa_exception_fp_ieee_underflow 0
		.amdhsa_exception_fp_ieee_inexact 0
		.amdhsa_exception_int_div_zero 0
	.end_amdhsa_kernel
	.section	.text._ZL20rocblas_gemvt_kernelILb0ELi256EPK19rocblas_complex_numIfES3_KPS1_EviiT2_lPKT1_lilS9_lilS6_lPT3_lili,"axG",@progbits,_ZL20rocblas_gemvt_kernelILb0ELi256EPK19rocblas_complex_numIfES3_KPS1_EviiT2_lPKT1_lilS9_lilS6_lPT3_lili,comdat
.Lfunc_end318:
	.size	_ZL20rocblas_gemvt_kernelILb0ELi256EPK19rocblas_complex_numIfES3_KPS1_EviiT2_lPKT1_lilS9_lilS6_lPT3_lili, .Lfunc_end318-_ZL20rocblas_gemvt_kernelILb0ELi256EPK19rocblas_complex_numIfES3_KPS1_EviiT2_lPKT1_lilS9_lilS6_lPT3_lili
                                        ; -- End function
	.section	.AMDGPU.csdata,"",@progbits
; Kernel info:
; codeLenInByte = 1508
; NumSgprs: 32
; NumVgprs: 18
; NumAgprs: 0
; TotalNumVgprs: 18
; ScratchSize: 0
; MemoryBound: 0
; FloatMode: 240
; IeeeMode: 1
; LDSByteSize: 2048 bytes/workgroup (compile time only)
; SGPRBlocks: 3
; VGPRBlocks: 2
; NumSGPRsForWavesPerEU: 32
; NumVGPRsForWavesPerEU: 18
; AccumOffset: 20
; Occupancy: 8
; WaveLimiterHint : 1
; COMPUTE_PGM_RSRC2:SCRATCH_EN: 0
; COMPUTE_PGM_RSRC2:USER_SGPR: 2
; COMPUTE_PGM_RSRC2:TRAP_HANDLER: 0
; COMPUTE_PGM_RSRC2:TGID_X_EN: 1
; COMPUTE_PGM_RSRC2:TGID_Y_EN: 0
; COMPUTE_PGM_RSRC2:TGID_Z_EN: 1
; COMPUTE_PGM_RSRC2:TIDIG_COMP_CNT: 0
; COMPUTE_PGM_RSRC3_GFX90A:ACCUM_OFFSET: 4
; COMPUTE_PGM_RSRC3_GFX90A:TG_SPLIT: 0
	.section	.text._ZL20rocblas_gemvt_kernelILb0ELi256EPK19rocblas_complex_numIfES1_KPS1_EviiT2_lPKT1_lilS9_lilS6_lPT3_lili,"axG",@progbits,_ZL20rocblas_gemvt_kernelILb0ELi256EPK19rocblas_complex_numIfES1_KPS1_EviiT2_lPKT1_lilS9_lilS6_lPT3_lili,comdat
	.globl	_ZL20rocblas_gemvt_kernelILb0ELi256EPK19rocblas_complex_numIfES1_KPS1_EviiT2_lPKT1_lilS9_lilS6_lPT3_lili ; -- Begin function _ZL20rocblas_gemvt_kernelILb0ELi256EPK19rocblas_complex_numIfES1_KPS1_EviiT2_lPKT1_lilS9_lilS6_lPT3_lili
	.p2align	8
	.type	_ZL20rocblas_gemvt_kernelILb0ELi256EPK19rocblas_complex_numIfES1_KPS1_EviiT2_lPKT1_lilS9_lilS6_lPT3_lili,@function
_ZL20rocblas_gemvt_kernelILb0ELi256EPK19rocblas_complex_numIfES1_KPS1_EviiT2_lPKT1_lilS9_lilS6_lPT3_lili: ; @_ZL20rocblas_gemvt_kernelILb0ELi256EPK19rocblas_complex_numIfES1_KPS1_EviiT2_lPKT1_lilS9_lilS6_lPT3_lili
; %bb.0:
	s_load_dwordx2 s[8:9], s[0:1], 0x8
	s_load_dwordx2 s[6:7], s[0:1], 0x58
	s_waitcnt lgkmcnt(0)
	v_cmp_eq_f32_e64 s[10:11], s8, 0
	v_cmp_eq_f32_e64 s[12:13], s9, 0
	s_and_b64 s[10:11], s[10:11], s[12:13]
	v_cmp_eq_f32_e64 s[12:13], s6, 1.0
	v_cmp_eq_f32_e64 s[14:15], s7, 0
	s_and_b64 s[12:13], s[12:13], s[14:15]
	s_and_b64 s[10:11], s[10:11], s[12:13]
	s_and_b64 vcc, exec, s[10:11]
	s_cbranch_vccnz .LBB319_41
; %bb.1:
	s_mov_b32 s4, s3
	s_or_b32 s3, s8, s9
	s_bitset0_b32 s3, 31
	s_cmp_lg_u32 s3, 0
	s_cselect_b64 s[10:11], -1, 0
	s_cmp_eq_u32 s3, 0
	s_cselect_b64 s[14:15], -1, 0
	s_and_b64 vcc, exec, s[10:11]
	s_cbranch_vccnz .LBB319_3
; %bb.2:
	s_mov_b32 s5, 0
	s_mov_b64 s[12:13], 0
	s_cbranch_execz .LBB319_4
	s_branch .LBB319_5
.LBB319_3:
                                        ; implicit-def: $sgpr12_sgpr13
.LBB319_4:
	s_load_dwordx4 s[16:19], s[0:1], 0x18
	s_mov_b32 s5, 0
	s_lshl_b64 s[12:13], s[4:5], 3
	s_waitcnt lgkmcnt(0)
	s_add_u32 s12, s16, s12
	s_addc_u32 s13, s17, s13
	s_load_dwordx2 s[12:13], s[12:13], 0x0
	s_lshl_b64 s[16:17], s[18:19], 3
	s_waitcnt lgkmcnt(0)
	s_add_u32 s12, s12, s16
	s_addc_u32 s13, s13, s17
.LBB319_5:
	s_andn2_b64 vcc, exec, s[10:11]
	s_mov_b64 s[10:11], 0
	s_cbranch_vccnz .LBB319_7
; %bb.6:
	s_load_dwordx4 s[16:19], s[0:1], 0x38
	s_lshl_b64 s[10:11], s[4:5], 3
	s_waitcnt lgkmcnt(0)
	s_add_u32 s10, s16, s10
	s_addc_u32 s11, s17, s11
	s_load_dwordx2 s[10:11], s[10:11], 0x0
	s_lshl_b64 s[16:17], s[18:19], 3
	s_waitcnt lgkmcnt(0)
	s_add_u32 s10, s10, s16
	s_addc_u32 s11, s11, s17
.LBB319_7:
	s_load_dwordx4 s[20:23], s[0:1], 0x68
	s_load_dword s19, s[0:1], 0x78
	s_lshl_b64 s[4:5], s[4:5], 3
	s_mov_b64 s[16:17], -1
	s_waitcnt lgkmcnt(0)
	s_add_u32 s4, s20, s4
	s_addc_u32 s5, s21, s5
	s_load_dwordx2 s[4:5], s[4:5], 0x0
	s_lshl_b64 s[20:21], s[22:23], 3
	s_waitcnt lgkmcnt(0)
	s_add_u32 s3, s4, s20
	s_addc_u32 s18, s5, s21
	s_andn2_b64 vcc, exec, s[14:15]
	v_cmp_eq_u32_e64 s[4:5], 0, v0
	s_cbranch_vccnz .LBB319_13
; %bb.8:
	s_and_saveexec_b64 s[14:15], s[4:5]
	s_cbranch_execz .LBB319_12
; %bb.9:
	v_cmp_neq_f32_e64 s[16:17], s6, 0
	v_cmp_neq_f32_e64 s[20:21], s7, 0
	s_or_b64 s[16:17], s[16:17], s[20:21]
	s_mul_hi_i32 s5, s19, s2
	s_mul_i32 s4, s19, s2
	v_mov_b32_e32 v1, 0
	s_andn2_b64 vcc, exec, s[16:17]
	v_mov_b32_e32 v2, 0
	v_mov_b32_e32 v3, 0
	s_cbranch_vccnz .LBB319_11
; %bb.10:
	s_lshl_b64 s[16:17], s[4:5], 3
	s_add_u32 s16, s3, s16
	s_addc_u32 s17, s18, s17
	s_load_dwordx2 s[16:17], s[16:17], 0x0
	s_waitcnt lgkmcnt(0)
	v_mov_b64_e32 v[4:5], s[16:17]
	v_pk_mul_f32 v[6:7], s[6:7], v[4:5] op_sel:[0,1]
	s_nop 0
	v_pk_fma_f32 v[2:3], s[6:7], v[4:5], v[6:7] op_sel:[0,0,1] op_sel_hi:[1,1,0] neg_lo:[0,0,1] neg_hi:[0,0,1]
	v_pk_fma_f32 v[4:5], s[6:7], v[4:5], v[6:7] op_sel:[0,0,1] op_sel_hi:[1,0,0]
	s_nop 0
	v_mov_b32_e32 v3, v5
.LBB319_11:
	s_lshl_b64 s[4:5], s[4:5], 3
	s_add_u32 s4, s3, s4
	s_addc_u32 s5, s18, s5
	global_store_dwordx2 v1, v[2:3], s[4:5]
.LBB319_12:
	s_or_b64 exec, exec, s[14:15]
	s_mov_b64 s[16:17], 0
.LBB319_13:
	s_andn2_b64 vcc, exec, s[16:17]
	s_cbranch_vccnz .LBB319_41
; %bb.14:
	s_load_dword s20, s[0:1], 0x0
	s_load_dword s5, s[0:1], 0x28
	;; [unrolled: 1-line block ×3, first 2 shown]
	v_mov_b32_e32 v4, 0
	s_mov_b32 s0, 0
	s_waitcnt lgkmcnt(0)
	v_cmp_gt_i32_e32 vcc, s20, v0
	s_mul_hi_i32 s15, s5, s2
	s_mul_i32 s14, s5, s2
	s_lshl_b64 s[14:15], s[14:15], 3
	s_add_u32 s12, s14, s12
	s_addc_u32 s13, s15, s13
	s_ashr_i32 s1, s20, 31
	v_cndmask_b32_e32 v1, 0, v0, vcc
	s_lshr_b32 s1, s1, 24
	v_lshlrev_b32_e32 v2, 3, v1
	v_mov_b32_e32 v3, v4
	s_add_i32 s1, s20, s1
	v_lshl_add_u64 v[2:3], s[12:13], 0, v[2:3]
	s_and_b32 s12, s1, 0xffffff00
	s_mov_b32 s1, s0
	s_cmpk_lt_i32 s20, 0x100
	v_mov_b64_e32 v[6:7], s[0:1]
	s_cbranch_scc1 .LBB319_18
; %bb.15:
	s_ashr_i32 s5, s4, 31
	v_mad_i64_i32 v[6:7], s[14:15], s4, v0, 0
	v_lshl_add_u64 v[6:7], v[6:7], 3, s[10:11]
	s_lshl_b64 s[14:15], s[4:5], 11
	s_mov_b64 s[16:17], 0x800
	v_mov_b64_e32 v[8:9], v[2:3]
	v_mov_b32_e32 v5, v4
.LBB319_16:                             ; =>This Inner Loop Header: Depth=1
	flat_load_dwordx2 v[10:11], v[8:9]
	flat_load_dwordx2 v[12:13], v[6:7]
	s_addk_i32 s0, 0x100
	v_lshl_add_u64 v[6:7], v[6:7], 0, s[14:15]
	v_lshl_add_u64 v[8:9], v[8:9], 0, s[16:17]
	s_cmp_ge_i32 s0, s12
	s_waitcnt vmcnt(0) lgkmcnt(0)
	v_pk_mul_f32 v[14:15], v[12:13], v[10:11] op_sel:[0,1]
	s_nop 0
	v_pk_fma_f32 v[16:17], v[12:13], v[10:11], v[14:15] op_sel:[0,0,1] op_sel_hi:[1,1,0] neg_lo:[0,0,1] neg_hi:[0,0,1]
	v_pk_fma_f32 v[10:11], v[12:13], v[10:11], v[14:15] op_sel:[0,0,1] op_sel_hi:[1,0,0]
	s_nop 0
	v_mov_b32_e32 v17, v11
	v_pk_add_f32 v[4:5], v[4:5], v[16:17]
	s_cbranch_scc0 .LBB319_16
; %bb.17:
	v_mov_b64_e32 v[6:7], v[4:5]
.LBB319_18:
	v_add_u32_e32 v1, s12, v0
	v_cmp_gt_i32_e32 vcc, s20, v1
	s_and_saveexec_b64 s[0:1], vcc
	s_cbranch_execz .LBB319_20
; %bb.19:
	s_ashr_i32 s13, s12, 31
	v_mad_i64_i32 v[4:5], s[4:5], s4, v1, 0
	v_lshl_add_u64 v[2:3], s[12:13], 3, v[2:3]
	v_lshl_add_u64 v[4:5], v[4:5], 3, s[10:11]
	flat_load_dwordx2 v[2:3], v[2:3]
	s_nop 0
	flat_load_dwordx2 v[4:5], v[4:5]
	s_waitcnt vmcnt(0) lgkmcnt(0)
	v_pk_mul_f32 v[8:9], v[4:5], v[2:3] op_sel:[0,1]
	s_nop 0
	v_pk_fma_f32 v[10:11], v[4:5], v[2:3], v[8:9] op_sel:[0,0,1] op_sel_hi:[1,1,0] neg_lo:[0,0,1] neg_hi:[0,0,1]
	v_pk_fma_f32 v[2:3], v[4:5], v[2:3], v[8:9] op_sel:[0,0,1] op_sel_hi:[1,0,0]
	s_nop 0
	v_mov_b32_e32 v11, v3
	v_pk_add_f32 v[6:7], v[6:7], v[10:11]
.LBB319_20:
	s_or_b64 exec, exec, s[0:1]
	s_movk_i32 s0, 0x80
	v_lshlrev_b32_e32 v1, 3, v0
	v_cmp_gt_u32_e32 vcc, s0, v0
	ds_write_b64 v1, v[6:7]
	s_waitcnt lgkmcnt(0)
	s_barrier
	s_and_saveexec_b64 s[0:1], vcc
	s_cbranch_execz .LBB319_22
; %bb.21:
	ds_read2st64_b64 v[2:5], v1 offset1:2
	s_waitcnt lgkmcnt(0)
	v_pk_add_f32 v[2:3], v[4:5], v[2:3]
	ds_write_b64 v1, v[2:3]
.LBB319_22:
	s_or_b64 exec, exec, s[0:1]
	v_cmp_gt_u32_e32 vcc, 64, v0
	s_waitcnt lgkmcnt(0)
	s_barrier
	s_and_saveexec_b64 s[0:1], vcc
	s_cbranch_execz .LBB319_24
; %bb.23:
	ds_read2st64_b64 v[2:5], v1 offset1:1
	s_waitcnt lgkmcnt(0)
	v_pk_add_f32 v[2:3], v[4:5], v[2:3]
	ds_write_b64 v1, v[2:3]
.LBB319_24:
	s_or_b64 exec, exec, s[0:1]
	v_cmp_gt_u32_e32 vcc, 32, v0
	s_waitcnt lgkmcnt(0)
	s_barrier
	s_and_saveexec_b64 s[0:1], vcc
	s_cbranch_execz .LBB319_26
; %bb.25:
	ds_read2_b64 v[2:5], v1 offset1:32
	s_waitcnt lgkmcnt(0)
	v_pk_add_f32 v[2:3], v[4:5], v[2:3]
	ds_write_b64 v1, v[2:3]
.LBB319_26:
	s_or_b64 exec, exec, s[0:1]
	v_cmp_gt_u32_e32 vcc, 16, v0
	s_waitcnt lgkmcnt(0)
	s_barrier
	s_and_saveexec_b64 s[0:1], vcc
	s_cbranch_execz .LBB319_28
; %bb.27:
	ds_read2_b64 v[2:5], v1 offset1:16
	s_waitcnt lgkmcnt(0)
	v_pk_add_f32 v[2:3], v[4:5], v[2:3]
	ds_write_b64 v1, v[2:3]
.LBB319_28:
	;; [unrolled: 12-line block ×5, first 2 shown]
	s_or_b64 exec, exec, s[0:1]
	v_cmp_eq_u32_e32 vcc, 0, v0
	s_waitcnt lgkmcnt(0)
	s_barrier
	s_and_saveexec_b64 s[0:1], vcc
	s_cbranch_execz .LBB319_36
; %bb.35:
	v_mov_b32_e32 v4, 0
	ds_read_b128 v[0:3], v4
	s_waitcnt lgkmcnt(0)
	v_pk_add_f32 v[0:1], v[2:3], v[0:1]
	ds_write_b64 v4, v[0:1]
.LBB319_36:
	s_or_b64 exec, exec, s[0:1]
	s_waitcnt lgkmcnt(0)
	s_barrier
	s_and_saveexec_b64 s[0:1], vcc
	s_cbranch_execz .LBB319_41
; %bb.37:
	v_mov_b32_e32 v4, 0
	ds_read_b64 v[2:3], v4
	v_cmp_neq_f32_e64 s[4:5], s6, 0
	v_cmp_neq_f32_e64 s[10:11], s7, 0
	s_mov_b32 s0, s9
	s_or_b64 s[4:5], s[4:5], s[10:11]
	s_waitcnt lgkmcnt(0)
	v_pk_mul_f32 v[0:1], v[2:3], s[8:9]
	v_mov_b32_e32 v6, v3
	v_mov_b32_e32 v0, v1
	v_pk_mul_f32 v[6:7], v[6:7], s[8:9]
	v_pk_fma_f32 v[0:1], v[2:3], s[8:9], v[0:1] neg_lo:[0,0,1] neg_hi:[0,0,1]
	v_pk_fma_f32 v[2:3], v[2:3], s[0:1], v[6:7]
	s_mul_hi_i32 s1, s19, s2
	s_andn2_b64 vcc, exec, s[4:5]
	s_mul_i32 s0, s19, s2
	s_cbranch_vccnz .LBB319_39
; %bb.38:
	s_lshl_b64 s[4:5], s[0:1], 3
	s_add_u32 s4, s3, s4
	s_addc_u32 s5, s18, s5
	global_load_dwordx2 v[6:7], v4, s[4:5]
	s_waitcnt vmcnt(0)
	v_pk_mul_f32 v[8:9], s[6:7], v[6:7]
	v_mul_f32_e32 v1, s7, v6
	v_sub_f32_e32 v3, v8, v9
	v_fmac_f32_e32 v1, s6, v7
	v_add_f32_e32 v0, v0, v3
	v_add_f32_e32 v1, v2, v1
	s_branch .LBB319_40
.LBB319_39:
	v_mov_b32_e32 v1, v2
.LBB319_40:
	s_lshl_b64 s[0:1], s[0:1], 3
	s_add_u32 s0, s3, s0
	s_addc_u32 s1, s18, s1
	global_store_dwordx2 v4, v[0:1], s[0:1]
.LBB319_41:
	s_endpgm
	.section	.rodata,"a",@progbits
	.p2align	6, 0x0
	.amdhsa_kernel _ZL20rocblas_gemvt_kernelILb0ELi256EPK19rocblas_complex_numIfES1_KPS1_EviiT2_lPKT1_lilS9_lilS6_lPT3_lili
		.amdhsa_group_segment_fixed_size 2048
		.amdhsa_private_segment_fixed_size 0
		.amdhsa_kernarg_size 140
		.amdhsa_user_sgpr_count 2
		.amdhsa_user_sgpr_dispatch_ptr 0
		.amdhsa_user_sgpr_queue_ptr 0
		.amdhsa_user_sgpr_kernarg_segment_ptr 1
		.amdhsa_user_sgpr_dispatch_id 0
		.amdhsa_user_sgpr_kernarg_preload_length 0
		.amdhsa_user_sgpr_kernarg_preload_offset 0
		.amdhsa_user_sgpr_private_segment_size 0
		.amdhsa_uses_dynamic_stack 0
		.amdhsa_enable_private_segment 0
		.amdhsa_system_sgpr_workgroup_id_x 1
		.amdhsa_system_sgpr_workgroup_id_y 0
		.amdhsa_system_sgpr_workgroup_id_z 1
		.amdhsa_system_sgpr_workgroup_info 0
		.amdhsa_system_vgpr_workitem_id 0
		.amdhsa_next_free_vgpr 18
		.amdhsa_next_free_sgpr 24
		.amdhsa_accum_offset 20
		.amdhsa_reserve_vcc 1
		.amdhsa_float_round_mode_32 0
		.amdhsa_float_round_mode_16_64 0
		.amdhsa_float_denorm_mode_32 3
		.amdhsa_float_denorm_mode_16_64 3
		.amdhsa_dx10_clamp 1
		.amdhsa_ieee_mode 1
		.amdhsa_fp16_overflow 0
		.amdhsa_tg_split 0
		.amdhsa_exception_fp_ieee_invalid_op 0
		.amdhsa_exception_fp_denorm_src 0
		.amdhsa_exception_fp_ieee_div_zero 0
		.amdhsa_exception_fp_ieee_overflow 0
		.amdhsa_exception_fp_ieee_underflow 0
		.amdhsa_exception_fp_ieee_inexact 0
		.amdhsa_exception_int_div_zero 0
	.end_amdhsa_kernel
	.section	.text._ZL20rocblas_gemvt_kernelILb0ELi256EPK19rocblas_complex_numIfES1_KPS1_EviiT2_lPKT1_lilS9_lilS6_lPT3_lili,"axG",@progbits,_ZL20rocblas_gemvt_kernelILb0ELi256EPK19rocblas_complex_numIfES1_KPS1_EviiT2_lPKT1_lilS9_lilS6_lPT3_lili,comdat
.Lfunc_end319:
	.size	_ZL20rocblas_gemvt_kernelILb0ELi256EPK19rocblas_complex_numIfES1_KPS1_EviiT2_lPKT1_lilS9_lilS6_lPT3_lili, .Lfunc_end319-_ZL20rocblas_gemvt_kernelILb0ELi256EPK19rocblas_complex_numIfES1_KPS1_EviiT2_lPKT1_lilS9_lilS6_lPT3_lili
                                        ; -- End function
	.section	.AMDGPU.csdata,"",@progbits
; Kernel info:
; codeLenInByte = 1468
; NumSgprs: 30
; NumVgprs: 18
; NumAgprs: 0
; TotalNumVgprs: 18
; ScratchSize: 0
; MemoryBound: 0
; FloatMode: 240
; IeeeMode: 1
; LDSByteSize: 2048 bytes/workgroup (compile time only)
; SGPRBlocks: 3
; VGPRBlocks: 2
; NumSGPRsForWavesPerEU: 30
; NumVGPRsForWavesPerEU: 18
; AccumOffset: 20
; Occupancy: 8
; WaveLimiterHint : 1
; COMPUTE_PGM_RSRC2:SCRATCH_EN: 0
; COMPUTE_PGM_RSRC2:USER_SGPR: 2
; COMPUTE_PGM_RSRC2:TRAP_HANDLER: 0
; COMPUTE_PGM_RSRC2:TGID_X_EN: 1
; COMPUTE_PGM_RSRC2:TGID_Y_EN: 0
; COMPUTE_PGM_RSRC2:TGID_Z_EN: 1
; COMPUTE_PGM_RSRC2:TIDIG_COMP_CNT: 0
; COMPUTE_PGM_RSRC3_GFX90A:ACCUM_OFFSET: 4
; COMPUTE_PGM_RSRC3_GFX90A:TG_SPLIT: 0
	.section	.text._ZL32rocblas_gemvt_warp_reduce_kernelILb0ELi1024EiPK19rocblas_complex_numIfES3_KPS1_EviiT3_lPKT2_lT1_lS9_lSA_lS6_lPT4_lSA_li,"axG",@progbits,_ZL32rocblas_gemvt_warp_reduce_kernelILb0ELi1024EiPK19rocblas_complex_numIfES3_KPS1_EviiT3_lPKT2_lT1_lS9_lSA_lS6_lPT4_lSA_li,comdat
	.globl	_ZL32rocblas_gemvt_warp_reduce_kernelILb0ELi1024EiPK19rocblas_complex_numIfES3_KPS1_EviiT3_lPKT2_lT1_lS9_lSA_lS6_lPT4_lSA_li ; -- Begin function _ZL32rocblas_gemvt_warp_reduce_kernelILb0ELi1024EiPK19rocblas_complex_numIfES3_KPS1_EviiT3_lPKT2_lT1_lS9_lSA_lS6_lPT4_lSA_li
	.p2align	8
	.type	_ZL32rocblas_gemvt_warp_reduce_kernelILb0ELi1024EiPK19rocblas_complex_numIfES3_KPS1_EviiT3_lPKT2_lT1_lS9_lSA_lS6_lPT4_lSA_li,@function
_ZL32rocblas_gemvt_warp_reduce_kernelILb0ELi1024EiPK19rocblas_complex_numIfES3_KPS1_EviiT3_lPKT2_lT1_lS9_lSA_lS6_lPT4_lSA_li: ; @_ZL32rocblas_gemvt_warp_reduce_kernelILb0ELi1024EiPK19rocblas_complex_numIfES3_KPS1_EviiT3_lPKT2_lT1_lS9_lSA_lS6_lPT4_lSA_li
; %bb.0:
	s_load_dwordx8 s[12:19], s[0:1], 0x8
	s_load_dwordx8 s[4:11], s[0:1], 0x58
	s_mov_b32 s22, s3
	s_waitcnt lgkmcnt(0)
	s_mul_i32 s3, s3, s15
	s_mul_hi_u32 s15, s22, s14
	s_add_i32 s15, s15, s3
	s_mul_i32 s14, s22, s14
	s_lshl_b64 s[14:15], s[14:15], 3
	s_add_u32 s12, s12, s14
	s_mul_i32 s3, s22, s7
	s_mul_hi_u32 s7, s22, s6
	s_addc_u32 s13, s13, s15
	s_add_i32 s7, s7, s3
	s_mul_i32 s6, s22, s6
	s_lshl_b64 s[6:7], s[6:7], 3
	s_add_u32 s4, s4, s6
	s_load_dwordx2 s[12:13], s[12:13], 0x0
	s_addc_u32 s5, s5, s7
	s_load_dwordx2 s[6:7], s[4:5], 0x0
	s_waitcnt lgkmcnt(0)
	v_cmp_eq_f32_e64 s[4:5], s12, 0
	v_cmp_eq_f32_e64 s[14:15], s13, 0
	s_and_b64 s[4:5], s[4:5], s[14:15]
	v_cmp_eq_f32_e64 s[14:15], s6, 1.0
	v_cmp_eq_f32_e64 s[20:21], s7, 0
	s_and_b64 s[14:15], s[14:15], s[20:21]
	s_and_b64 s[4:5], s[4:5], s[14:15]
	s_and_b64 vcc, exec, s[4:5]
	s_cbranch_vccnz .LBB320_25
; %bb.1:
	s_or_b32 s3, s12, s13
	s_bitset0_b32 s3, 31
	s_cmp_lg_u32 s3, 0
	s_cselect_b64 s[24:25], -1, 0
	s_cmp_eq_u32 s3, 0
	s_cselect_b64 s[4:5], -1, 0
	s_mov_b32 s23, 0
	s_mov_b64 s[14:15], 0
	s_and_b64 vcc, exec, s[4:5]
	s_mov_b64 s[20:21], 0
	s_cbranch_vccnz .LBB320_3
; %bb.2:
	s_lshl_b64 s[20:21], s[22:23], 3
	s_add_u32 s16, s16, s20
	s_addc_u32 s17, s17, s21
	s_load_dwordx2 s[16:17], s[16:17], 0x0
	s_lshl_b64 s[18:19], s[18:19], 3
	s_waitcnt lgkmcnt(0)
	s_add_u32 s20, s16, s18
	s_addc_u32 s21, s17, s19
.LBB320_3:
	s_andn2_b64 vcc, exec, s[24:25]
	s_cbranch_vccnz .LBB320_5
; %bb.4:
	s_load_dwordx4 s[16:19], s[0:1], 0x38
	s_lshl_b64 s[14:15], s[22:23], 3
	s_waitcnt lgkmcnt(0)
	s_add_u32 s14, s16, s14
	s_addc_u32 s15, s17, s15
	s_load_dwordx2 s[14:15], s[14:15], 0x0
	s_lshl_b64 s[16:17], s[18:19], 3
	s_waitcnt lgkmcnt(0)
	s_add_u32 s14, s14, s16
	s_addc_u32 s15, s15, s17
.LBB320_5:
	s_lshl_b64 s[16:17], s[22:23], 3
	s_add_u32 s8, s8, s16
	s_addc_u32 s9, s9, s17
	s_load_dwordx2 s[18:19], s[8:9], 0x0
	s_load_dword s17, s[0:1], 0x78
	s_lshl_b64 s[10:11], s[10:11], 3
	s_mov_b64 s[8:9], -1
	s_waitcnt lgkmcnt(0)
	s_add_u32 s3, s18, s10
	s_addc_u32 s16, s19, s11
	s_andn2_b64 vcc, exec, s[4:5]
	v_cmp_eq_u32_e64 s[4:5], 0, v0
	s_cbranch_vccnz .LBB320_11
; %bb.6:
	s_and_saveexec_b64 s[8:9], s[4:5]
	s_cbranch_execz .LBB320_10
; %bb.7:
	v_cmp_neq_f32_e64 s[10:11], s6, 0
	v_cmp_neq_f32_e64 s[18:19], s7, 0
	s_mul_i32 s4, s2, s17
	s_or_b64 s[10:11], s[10:11], s[18:19]
	s_ashr_i32 s5, s4, 31
	v_mov_b32_e32 v1, 0
	s_andn2_b64 vcc, exec, s[10:11]
	v_mov_b32_e32 v2, 0
	v_mov_b32_e32 v3, 0
	s_cbranch_vccnz .LBB320_9
; %bb.8:
	s_lshl_b64 s[10:11], s[4:5], 3
	s_add_u32 s10, s3, s10
	s_addc_u32 s11, s16, s11
	s_load_dwordx2 s[10:11], s[10:11], 0x0
	s_waitcnt lgkmcnt(0)
	v_mov_b64_e32 v[4:5], s[10:11]
	v_pk_mul_f32 v[6:7], s[6:7], v[4:5] op_sel:[0,1]
	s_nop 0
	v_pk_fma_f32 v[2:3], s[6:7], v[4:5], v[6:7] op_sel:[0,0,1] op_sel_hi:[1,1,0] neg_lo:[0,0,1] neg_hi:[0,0,1]
	v_pk_fma_f32 v[4:5], s[6:7], v[4:5], v[6:7] op_sel:[0,0,1] op_sel_hi:[1,0,0]
	s_nop 0
	v_mov_b32_e32 v3, v5
.LBB320_9:
	s_lshl_b64 s[4:5], s[4:5], 3
	s_add_u32 s4, s3, s4
	s_addc_u32 s5, s16, s5
	global_store_dwordx2 v1, v[2:3], s[4:5]
.LBB320_10:
	s_or_b64 exec, exec, s[8:9]
	s_mov_b64 s[8:9], 0
.LBB320_11:
	s_andn2_b64 vcc, exec, s[8:9]
	s_cbranch_vccnz .LBB320_25
; %bb.12:
	s_load_dword s19, s[0:1], 0x0
	s_load_dword s5, s[0:1], 0x28
	;; [unrolled: 1-line block ×3, first 2 shown]
	v_mov_b32_e32 v6, 0
	v_mov_b32_e32 v3, v6
	s_waitcnt lgkmcnt(0)
	v_cmp_gt_i32_e32 vcc, s19, v0
	s_mul_i32 s0, s2, s5
	s_ashr_i32 s1, s0, 31
	s_lshl_b64 s[0:1], s[0:1], 3
	v_cndmask_b32_e32 v1, 0, v0, vcc
	s_add_u32 s0, s0, s20
	v_lshlrev_b32_e32 v2, 3, v1
	s_addc_u32 s1, s1, s21
	v_lshl_add_u64 v[2:3], s[0:1], 0, v[2:3]
	s_ashr_i32 s0, s19, 31
	s_lshr_b32 s0, s0, 22
	s_mov_b32 s4, 0
	s_add_i32 s0, s19, s0
	s_and_b32 s0, s0, 0xfffffc00
	s_mov_b32 s5, s4
	v_cmp_gt_i32_e32 vcc, s0, v0
	v_mov_b64_e32 v[4:5], s[4:5]
	s_and_saveexec_b64 s[4:5], vcc
	s_cbranch_execz .LBB320_16
; %bb.13:
	v_mul_lo_u32 v4, v0, s18
	s_lshl_b32 s1, s18, 10
	s_mov_b64 s[8:9], 0
	s_mov_b64 s[10:11], 0x2000
	v_mov_b64_e32 v[8:9], v[2:3]
	v_mov_b32_e32 v1, v0
	v_mov_b32_e32 v7, v6
.LBB320_14:                             ; =>This Inner Loop Header: Depth=1
	v_ashrrev_i32_e32 v5, 31, v4
	v_lshl_add_u64 v[12:13], v[4:5], 3, s[14:15]
	flat_load_dwordx2 v[10:11], v[8:9]
	v_add_u32_e32 v1, 0x400, v1
	flat_load_dwordx2 v[12:13], v[12:13]
	v_cmp_le_i32_e32 vcc, s0, v1
	v_lshl_add_u64 v[8:9], v[8:9], 0, s[10:11]
	v_add_u32_e32 v4, s1, v4
	s_or_b64 s[8:9], vcc, s[8:9]
	s_waitcnt vmcnt(0) lgkmcnt(0)
	v_mul_f32_e32 v5, v13, v11
	v_mul_f32_e32 v15, v12, v11
	v_fma_f32 v14, v12, v10, -v5
	v_fmac_f32_e32 v15, v13, v10
	v_pk_add_f32 v[6:7], v[6:7], v[14:15]
	s_andn2_b64 exec, exec, s[8:9]
	s_cbranch_execnz .LBB320_14
; %bb.15:
	s_or_b64 exec, exec, s[8:9]
	v_mov_b64_e32 v[4:5], v[6:7]
.LBB320_16:
	s_or_b64 exec, exec, s[4:5]
	v_or_b32_e32 v1, s0, v0
	v_cmp_gt_i32_e32 vcc, s19, v1
	s_and_saveexec_b64 s[4:5], vcc
	s_cbranch_execz .LBB320_18
; %bb.17:
	v_mul_lo_u32 v6, v1, s18
	s_ashr_i32 s1, s0, 31
	v_ashrrev_i32_e32 v7, 31, v6
	v_lshl_add_u64 v[2:3], s[0:1], 3, v[2:3]
	v_lshl_add_u64 v[6:7], v[6:7], 3, s[14:15]
	flat_load_dwordx2 v[2:3], v[2:3]
	s_nop 0
	flat_load_dwordx2 v[6:7], v[6:7]
	s_waitcnt vmcnt(0) lgkmcnt(0)
	v_pk_mul_f32 v[8:9], v[6:7], v[2:3] op_sel:[0,1]
	s_nop 0
	v_pk_fma_f32 v[10:11], v[6:7], v[2:3], v[8:9] op_sel:[0,0,1] op_sel_hi:[1,1,0] neg_lo:[0,0,1] neg_hi:[0,0,1]
	v_pk_fma_f32 v[2:3], v[6:7], v[2:3], v[8:9] op_sel:[0,0,1] op_sel_hi:[1,0,0]
	s_nop 0
	v_mov_b32_e32 v11, v3
	v_pk_add_f32 v[4:5], v[4:5], v[10:11]
.LBB320_18:
	s_or_b64 exec, exec, s[4:5]
	v_and_b32_e32 v6, 63, v0
	v_cmp_gt_u32_e32 vcc, 64, v0
	v_lshlrev_b32_e32 v1, 3, v6
	s_and_saveexec_b64 s[0:1], vcc
	s_cbranch_execz .LBB320_20
; %bb.19:
	v_mov_b32_e32 v2, 0
	v_mov_b32_e32 v3, v2
	ds_write_b64 v1, v[2:3]
.LBB320_20:
	s_or_b64 exec, exec, s[0:1]
	v_mbcnt_lo_u32_b32 v2, -1, 0
	v_mbcnt_hi_u32_b32 v10, -1, v2
	v_and_b32_e32 v11, 63, v10
	v_cmp_gt_u32_e64 s[0:1], 32, v11
	s_mov_b32 s4, 0
	s_waitcnt lgkmcnt(0)
	v_cndmask_b32_e64 v2, 0, 1, s[0:1]
	v_lshlrev_b32_e32 v2, 5, v2
	v_add_lshl_u32 v3, v2, v10, 2
	ds_bpermute_b32 v2, v3, v4
	ds_bpermute_b32 v3, v3, v5
	v_cmp_gt_u32_e64 s[0:1], 48, v11
	s_barrier
	s_waitcnt lgkmcnt(0)
	v_cndmask_b32_e64 v7, 0, 1, s[0:1]
	v_lshlrev_b32_e32 v7, 4, v7
	v_add_lshl_u32 v7, v7, v10, 2
	v_pk_add_f32 v[2:3], v[4:5], v[2:3]
	ds_bpermute_b32 v4, v7, v2
	ds_bpermute_b32 v5, v7, v3
	v_cmp_gt_u32_e64 s[0:1], 56, v11
	s_waitcnt lgkmcnt(0)
	v_pk_add_f32 v[2:3], v[2:3], v[4:5]
	v_cndmask_b32_e64 v7, 0, 1, s[0:1]
	v_lshlrev_b32_e32 v7, 3, v7
	v_add_lshl_u32 v7, v7, v10, 2
	ds_bpermute_b32 v4, v7, v2
	ds_bpermute_b32 v5, v7, v3
	v_cmp_gt_u32_e64 s[0:1], 60, v11
	s_waitcnt lgkmcnt(0)
	v_pk_add_f32 v[2:3], v[2:3], v[4:5]
	v_cndmask_b32_e64 v8, 0, 1, s[0:1]
	v_lshlrev_b32_e32 v8, 2, v8
	v_add_lshl_u32 v8, v8, v10, 2
	;; [unrolled: 8-line block ×3, first 2 shown]
	ds_bpermute_b32 v4, v9, v2
	ds_bpermute_b32 v5, v9, v3
	v_cmp_ne_u32_e64 s[0:1], 63, v11
	s_waitcnt lgkmcnt(0)
	v_pk_add_f32 v[2:3], v[2:3], v[4:5]
	v_addc_co_u32_e64 v4, s[0:1], 0, v10, s[0:1]
	v_lshlrev_b32_e32 v10, 2, v4
	ds_bpermute_b32 v4, v10, v2
	ds_bpermute_b32 v5, v10, v3
	v_cmp_eq_u32_e64 s[0:1], 0, v6
	s_and_saveexec_b64 s[8:9], s[0:1]
	s_cbranch_execz .LBB320_22
; %bb.21:
	v_lshrrev_b32_e32 v6, 3, v0
	v_and_b32_e32 v6, 0x78, v6
	s_waitcnt lgkmcnt(0)
	v_pk_add_f32 v[2:3], v[2:3], v[4:5]
	ds_write_b64 v6, v[2:3]
.LBB320_22:
	s_or_b64 exec, exec, s[8:9]
	s_mov_b32 s5, s4
	v_cmp_gt_u32_e64 s[0:1], 16, v0
	v_mov_b64_e32 v[2:3], s[4:5]
	s_waitcnt lgkmcnt(0)
	s_barrier
	s_and_saveexec_b64 s[4:5], s[0:1]
	s_cbranch_execnz .LBB320_26
; %bb.23:
	s_or_b64 exec, exec, s[4:5]
	s_and_saveexec_b64 s[0:1], vcc
	s_cbranch_execnz .LBB320_27
.LBB320_24:
	s_or_b64 exec, exec, s[0:1]
	v_cmp_eq_u32_e32 vcc, 0, v0
	s_and_saveexec_b64 s[0:1], vcc
	s_cbranch_execnz .LBB320_28
.LBB320_25:
	s_endpgm
.LBB320_26:
	ds_read_b64 v[2:3], v1
	s_or_b64 exec, exec, s[4:5]
	s_and_saveexec_b64 s[0:1], vcc
	s_cbranch_execz .LBB320_24
.LBB320_27:
	s_waitcnt lgkmcnt(0)
	ds_bpermute_b32 v4, v7, v2
	ds_bpermute_b32 v5, v7, v3
	s_waitcnt lgkmcnt(0)
	v_pk_add_f32 v[2:3], v[2:3], v[4:5]
	ds_bpermute_b32 v4, v8, v2
	ds_bpermute_b32 v5, v8, v3
	s_waitcnt lgkmcnt(0)
	v_pk_add_f32 v[2:3], v[2:3], v[4:5]
	;; [unrolled: 4-line block ×4, first 2 shown]
	s_or_b64 exec, exec, s[0:1]
	v_cmp_eq_u32_e32 vcc, 0, v0
	s_and_saveexec_b64 s[0:1], vcc
	s_cbranch_execz .LBB320_25
.LBB320_28:
	v_cmp_neq_f32_e64 s[4:5], s6, 0
	v_cmp_neq_f32_e64 s[8:9], s7, 0
	s_waitcnt lgkmcnt(0)
	v_pk_mul_f32 v[4:5], v[2:3], s[12:13] op_sel:[1,0]
	s_mul_i32 s0, s2, s17
	s_or_b64 s[4:5], s[4:5], s[8:9]
	v_pk_fma_f32 v[0:1], v[2:3], s[12:13], v[4:5] op_sel:[0,0,1] op_sel_hi:[0,1,0] neg_lo:[0,0,1] neg_hi:[0,0,1]
	v_pk_fma_f32 v[2:3], v[2:3], s[12:13], v[4:5] op_sel:[0,0,1] op_sel_hi:[0,1,0]
	s_andn2_b64 vcc, exec, s[4:5]
	s_ashr_i32 s1, s0, 31
	s_cbranch_vccnz .LBB320_30
; %bb.29:
	s_lshl_b64 s[4:5], s[0:1], 3
	s_add_u32 s4, s3, s4
	s_addc_u32 s5, s16, s5
	v_mov_b32_e32 v1, 0
	global_load_dwordx2 v[4:5], v1, s[4:5]
	v_mov_b32_e32 v1, v3
	s_waitcnt vmcnt(0)
	v_pk_mul_f32 v[2:3], s[6:7], v[4:5] op_sel:[0,1]
	s_nop 0
	v_pk_fma_f32 v[6:7], s[6:7], v[4:5], v[2:3] op_sel:[0,0,1] op_sel_hi:[1,1,0] neg_lo:[0,0,1] neg_hi:[0,0,1]
	v_pk_fma_f32 v[2:3], s[6:7], v[4:5], v[2:3] op_sel:[0,0,1] op_sel_hi:[1,0,0]
	s_nop 0
	v_mov_b32_e32 v7, v3
	v_pk_add_f32 v[0:1], v[0:1], v[6:7]
	s_nop 0
	v_mov_b32_e32 v3, v1
.LBB320_30:
	s_lshl_b64 s[0:1], s[0:1], 3
	s_add_u32 s0, s3, s0
	s_addc_u32 s1, s16, s1
	v_mov_b32_e32 v2, 0
	v_mov_b32_e32 v1, v3
	global_store_dwordx2 v2, v[0:1], s[0:1]
	s_endpgm
	.section	.rodata,"a",@progbits
	.p2align	6, 0x0
	.amdhsa_kernel _ZL32rocblas_gemvt_warp_reduce_kernelILb0ELi1024EiPK19rocblas_complex_numIfES3_KPS1_EviiT3_lPKT2_lT1_lS9_lSA_lS6_lPT4_lSA_li
		.amdhsa_group_segment_fixed_size 512
		.amdhsa_private_segment_fixed_size 0
		.amdhsa_kernarg_size 140
		.amdhsa_user_sgpr_count 2
		.amdhsa_user_sgpr_dispatch_ptr 0
		.amdhsa_user_sgpr_queue_ptr 0
		.amdhsa_user_sgpr_kernarg_segment_ptr 1
		.amdhsa_user_sgpr_dispatch_id 0
		.amdhsa_user_sgpr_kernarg_preload_length 0
		.amdhsa_user_sgpr_kernarg_preload_offset 0
		.amdhsa_user_sgpr_private_segment_size 0
		.amdhsa_uses_dynamic_stack 0
		.amdhsa_enable_private_segment 0
		.amdhsa_system_sgpr_workgroup_id_x 1
		.amdhsa_system_sgpr_workgroup_id_y 0
		.amdhsa_system_sgpr_workgroup_id_z 1
		.amdhsa_system_sgpr_workgroup_info 0
		.amdhsa_system_vgpr_workitem_id 0
		.amdhsa_next_free_vgpr 16
		.amdhsa_next_free_sgpr 26
		.amdhsa_accum_offset 16
		.amdhsa_reserve_vcc 1
		.amdhsa_float_round_mode_32 0
		.amdhsa_float_round_mode_16_64 0
		.amdhsa_float_denorm_mode_32 3
		.amdhsa_float_denorm_mode_16_64 3
		.amdhsa_dx10_clamp 1
		.amdhsa_ieee_mode 1
		.amdhsa_fp16_overflow 0
		.amdhsa_tg_split 0
		.amdhsa_exception_fp_ieee_invalid_op 0
		.amdhsa_exception_fp_denorm_src 0
		.amdhsa_exception_fp_ieee_div_zero 0
		.amdhsa_exception_fp_ieee_overflow 0
		.amdhsa_exception_fp_ieee_underflow 0
		.amdhsa_exception_fp_ieee_inexact 0
		.amdhsa_exception_int_div_zero 0
	.end_amdhsa_kernel
	.section	.text._ZL32rocblas_gemvt_warp_reduce_kernelILb0ELi1024EiPK19rocblas_complex_numIfES3_KPS1_EviiT3_lPKT2_lT1_lS9_lSA_lS6_lPT4_lSA_li,"axG",@progbits,_ZL32rocblas_gemvt_warp_reduce_kernelILb0ELi1024EiPK19rocblas_complex_numIfES3_KPS1_EviiT3_lPKT2_lT1_lS9_lSA_lS6_lPT4_lSA_li,comdat
.Lfunc_end320:
	.size	_ZL32rocblas_gemvt_warp_reduce_kernelILb0ELi1024EiPK19rocblas_complex_numIfES3_KPS1_EviiT3_lPKT2_lT1_lS9_lSA_lS6_lPT4_lSA_li, .Lfunc_end320-_ZL32rocblas_gemvt_warp_reduce_kernelILb0ELi1024EiPK19rocblas_complex_numIfES3_KPS1_EviiT3_lPKT2_lT1_lS9_lSA_lS6_lPT4_lSA_li
                                        ; -- End function
	.section	.AMDGPU.csdata,"",@progbits
; Kernel info:
; codeLenInByte = 1728
; NumSgprs: 32
; NumVgprs: 16
; NumAgprs: 0
; TotalNumVgprs: 16
; ScratchSize: 0
; MemoryBound: 0
; FloatMode: 240
; IeeeMode: 1
; LDSByteSize: 512 bytes/workgroup (compile time only)
; SGPRBlocks: 3
; VGPRBlocks: 1
; NumSGPRsForWavesPerEU: 32
; NumVGPRsForWavesPerEU: 16
; AccumOffset: 16
; Occupancy: 8
; WaveLimiterHint : 1
; COMPUTE_PGM_RSRC2:SCRATCH_EN: 0
; COMPUTE_PGM_RSRC2:USER_SGPR: 2
; COMPUTE_PGM_RSRC2:TRAP_HANDLER: 0
; COMPUTE_PGM_RSRC2:TGID_X_EN: 1
; COMPUTE_PGM_RSRC2:TGID_Y_EN: 0
; COMPUTE_PGM_RSRC2:TGID_Z_EN: 1
; COMPUTE_PGM_RSRC2:TIDIG_COMP_CNT: 0
; COMPUTE_PGM_RSRC3_GFX90A:ACCUM_OFFSET: 3
; COMPUTE_PGM_RSRC3_GFX90A:TG_SPLIT: 0
	.section	.text._ZL32rocblas_gemvt_warp_reduce_kernelILb0ELi1024ElPK19rocblas_complex_numIfES3_KPS1_EviiT3_lPKT2_lT1_lS9_lSA_lS6_lPT4_lSA_li,"axG",@progbits,_ZL32rocblas_gemvt_warp_reduce_kernelILb0ELi1024ElPK19rocblas_complex_numIfES3_KPS1_EviiT3_lPKT2_lT1_lS9_lSA_lS6_lPT4_lSA_li,comdat
	.globl	_ZL32rocblas_gemvt_warp_reduce_kernelILb0ELi1024ElPK19rocblas_complex_numIfES3_KPS1_EviiT3_lPKT2_lT1_lS9_lSA_lS6_lPT4_lSA_li ; -- Begin function _ZL32rocblas_gemvt_warp_reduce_kernelILb0ELi1024ElPK19rocblas_complex_numIfES3_KPS1_EviiT3_lPKT2_lT1_lS9_lSA_lS6_lPT4_lSA_li
	.p2align	8
	.type	_ZL32rocblas_gemvt_warp_reduce_kernelILb0ELi1024ElPK19rocblas_complex_numIfES3_KPS1_EviiT3_lPKT2_lT1_lS9_lSA_lS6_lPT4_lSA_li,@function
_ZL32rocblas_gemvt_warp_reduce_kernelILb0ELi1024ElPK19rocblas_complex_numIfES3_KPS1_EviiT3_lPKT2_lT1_lS9_lSA_lS6_lPT4_lSA_li: ; @_ZL32rocblas_gemvt_warp_reduce_kernelILb0ELi1024ElPK19rocblas_complex_numIfES3_KPS1_EviiT3_lPKT2_lT1_lS9_lSA_lS6_lPT4_lSA_li
; %bb.0:
	s_load_dwordx8 s[12:19], s[0:1], 0x8
	s_load_dwordx8 s[4:11], s[0:1], 0x58
	s_mov_b32 s28, s3
	s_waitcnt lgkmcnt(0)
	s_mul_i32 s3, s3, s15
	s_mul_hi_u32 s15, s28, s14
	s_add_i32 s15, s15, s3
	s_mul_i32 s14, s28, s14
	s_lshl_b64 s[14:15], s[14:15], 3
	s_add_u32 s12, s12, s14
	s_mul_i32 s3, s28, s7
	s_mul_hi_u32 s7, s28, s6
	s_addc_u32 s13, s13, s15
	s_add_i32 s7, s7, s3
	s_mul_i32 s6, s28, s6
	s_lshl_b64 s[6:7], s[6:7], 3
	s_add_u32 s4, s4, s6
	s_load_dwordx2 s[14:15], s[12:13], 0x0
	s_addc_u32 s5, s5, s7
	s_load_dwordx2 s[12:13], s[4:5], 0x0
	s_waitcnt lgkmcnt(0)
	v_cmp_eq_f32_e64 s[4:5], s14, 0
	v_cmp_eq_f32_e64 s[6:7], s15, 0
	s_and_b64 s[4:5], s[4:5], s[6:7]
	v_cmp_eq_f32_e64 s[6:7], s12, 1.0
	v_cmp_eq_f32_e64 s[20:21], s13, 0
	s_and_b64 s[6:7], s[6:7], s[20:21]
	s_and_b64 s[4:5], s[4:5], s[6:7]
	s_and_b64 vcc, exec, s[4:5]
	s_cbranch_vccnz .LBB321_25
; %bb.1:
	s_or_b32 s3, s14, s15
	s_load_dwordx2 s[24:25], s[0:1], 0x28
	s_load_dwordx2 s[20:21], s[0:1], 0x78
	s_bitset0_b32 s3, 31
	s_cmp_lg_u32 s3, 0
	s_cselect_b64 s[34:35], -1, 0
	s_cmp_eq_u32 s3, 0
	s_cselect_b64 s[30:31], -1, 0
	s_mov_b32 s29, 0
	s_mov_b64 s[22:23], 0
	s_and_b64 vcc, exec, s[30:31]
	s_mov_b64 s[26:27], 0
	s_cbranch_vccnz .LBB321_3
; %bb.2:
	s_lshl_b64 s[4:5], s[28:29], 3
	s_add_u32 s4, s16, s4
	s_addc_u32 s5, s17, s5
	s_load_dwordx2 s[4:5], s[4:5], 0x0
	s_lshl_b64 s[6:7], s[18:19], 3
	s_waitcnt lgkmcnt(0)
	s_add_u32 s26, s4, s6
	s_addc_u32 s27, s5, s7
.LBB321_3:
	s_load_dwordx4 s[4:7], s[0:1], 0x38
	s_load_dwordx2 s[16:17], s[0:1], 0x48
	s_andn2_b64 vcc, exec, s[34:35]
	s_cbranch_vccnz .LBB321_5
; %bb.4:
	s_lshl_b64 s[18:19], s[28:29], 3
	s_waitcnt lgkmcnt(0)
	s_add_u32 s4, s4, s18
	s_addc_u32 s5, s5, s19
	s_load_dwordx2 s[4:5], s[4:5], 0x0
	s_lshl_b64 s[6:7], s[6:7], 3
	s_waitcnt lgkmcnt(0)
	s_add_u32 s22, s4, s6
	s_addc_u32 s23, s5, s7
.LBB321_5:
	s_waitcnt lgkmcnt(0)
	s_lshl_b64 s[4:5], s[28:29], 3
	s_add_u32 s4, s8, s4
	s_addc_u32 s5, s9, s5
	s_load_dwordx2 s[4:5], s[4:5], 0x0
	s_lshl_b64 s[8:9], s[10:11], 3
	s_mov_b64 s[6:7], -1
	s_waitcnt lgkmcnt(0)
	s_add_u32 s3, s4, s8
	s_addc_u32 s18, s5, s9
	s_andn2_b64 vcc, exec, s[30:31]
	v_cmp_eq_u32_e64 s[4:5], 0, v0
	s_cbranch_vccnz .LBB321_11
; %bb.6:
	s_and_saveexec_b64 s[6:7], s[4:5]
	s_cbranch_execz .LBB321_10
; %bb.7:
	v_cmp_neq_f32_e64 s[8:9], s12, 0
	v_cmp_neq_f32_e64 s[10:11], s13, 0
	s_ashr_i32 s4, s2, 31
	s_mul_i32 s5, s2, s21
	s_mul_hi_u32 s19, s2, s20
	s_add_i32 s5, s19, s5
	s_mul_i32 s4, s4, s20
	s_or_b64 s[8:9], s[8:9], s[10:11]
	s_add_i32 s5, s5, s4
	s_mul_i32 s4, s2, s20
	v_mov_b32_e32 v1, 0
	s_andn2_b64 vcc, exec, s[8:9]
	v_mov_b32_e32 v2, 0
	v_mov_b32_e32 v3, 0
	s_cbranch_vccnz .LBB321_9
; %bb.8:
	s_lshl_b64 s[8:9], s[4:5], 3
	s_add_u32 s8, s3, s8
	s_addc_u32 s9, s18, s9
	s_load_dwordx2 s[8:9], s[8:9], 0x0
	s_waitcnt lgkmcnt(0)
	v_mov_b64_e32 v[4:5], s[8:9]
	v_pk_mul_f32 v[6:7], s[12:13], v[4:5] op_sel:[0,1]
	s_nop 0
	v_pk_fma_f32 v[2:3], s[12:13], v[4:5], v[6:7] op_sel:[0,0,1] op_sel_hi:[1,1,0] neg_lo:[0,0,1] neg_hi:[0,0,1]
	v_pk_fma_f32 v[4:5], s[12:13], v[4:5], v[6:7] op_sel:[0,0,1] op_sel_hi:[1,0,0]
	s_nop 0
	v_mov_b32_e32 v3, v5
.LBB321_9:
	s_lshl_b64 s[4:5], s[4:5], 3
	s_add_u32 s4, s3, s4
	s_addc_u32 s5, s18, s5
	global_store_dwordx2 v1, v[2:3], s[4:5]
.LBB321_10:
	s_or_b64 exec, exec, s[6:7]
	s_mov_b64 s[6:7], 0
.LBB321_11:
	s_andn2_b64 vcc, exec, s[6:7]
	s_cbranch_vccnz .LBB321_25
; %bb.12:
	s_load_dword s1, s[0:1], 0x0
	s_ashr_i32 s19, s2, 31
	s_mul_i32 s0, s2, s25
	s_mul_hi_u32 s5, s2, s24
	s_add_i32 s0, s5, s0
	s_mul_i32 s5, s19, s24
	s_add_i32 s7, s0, s5
	s_mul_i32 s6, s2, s24
	s_lshl_b64 s[6:7], s[6:7], 3
	s_add_u32 s6, s6, s26
	s_addc_u32 s7, s7, s27
	s_waitcnt lgkmcnt(0)
	s_ashr_i32 s0, s1, 31
	v_cmp_gt_i32_e32 vcc, s1, v0
	s_lshr_b32 s0, s0, 22
	s_mov_b32 s4, 0
	v_mov_b32_e32 v2, 0
	v_cndmask_b32_e32 v1, 0, v0, vcc
	s_add_i32 s0, s1, s0
	v_mov_b32_e32 v5, v2
	v_lshlrev_b32_e32 v4, 3, v1
	s_and_b32 s0, s0, 0xfffffc00
	s_mov_b32 s5, s4
	v_lshl_add_u64 v[4:5], s[6:7], 0, v[4:5]
	v_cmp_gt_i32_e32 vcc, s0, v0
	v_mov_b64_e32 v[6:7], s[4:5]
	s_and_saveexec_b64 s[4:5], vcc
	s_cbranch_execz .LBB321_16
; %bb.13:
	v_mad_u64_u32 v[6:7], s[6:7], s16, v0, 0
	v_mov_b32_e32 v8, v7
	v_mad_u64_u32 v[8:9], s[6:7], s17, v0, v[8:9]
	v_mov_b32_e32 v7, v8
	v_lshl_add_u64 v[6:7], v[6:7], 3, s[22:23]
	s_lshl_b64 s[8:9], s[16:17], 13
	s_mov_b64 s[6:7], 0
	s_mov_b64 s[10:11], 0x2000
	v_mov_b64_e32 v[8:9], v[4:5]
	v_mov_b32_e32 v1, v0
	v_mov_b32_e32 v3, v2
.LBB321_14:                             ; =>This Inner Loop Header: Depth=1
	flat_load_dwordx2 v[10:11], v[8:9]
	flat_load_dwordx2 v[12:13], v[6:7]
	v_add_u32_e32 v1, 0x400, v1
	v_cmp_le_i32_e32 vcc, s0, v1
	v_lshl_add_u64 v[8:9], v[8:9], 0, s[10:11]
	v_lshl_add_u64 v[6:7], v[6:7], 0, s[8:9]
	s_or_b64 s[6:7], vcc, s[6:7]
	s_waitcnt vmcnt(0) lgkmcnt(0)
	v_mul_f32_e32 v14, v13, v11
	v_mul_f32_e32 v15, v12, v11
	v_fma_f32 v14, v12, v10, -v14
	v_fmac_f32_e32 v15, v13, v10
	v_pk_add_f32 v[2:3], v[2:3], v[14:15]
	s_andn2_b64 exec, exec, s[6:7]
	s_cbranch_execnz .LBB321_14
; %bb.15:
	s_or_b64 exec, exec, s[6:7]
	v_mov_b64_e32 v[6:7], v[2:3]
.LBB321_16:
	s_or_b64 exec, exec, s[4:5]
	v_or_b32_e32 v1, s0, v0
	v_cmp_gt_i32_e32 vcc, s1, v1
	s_and_saveexec_b64 s[4:5], vcc
	s_cbranch_execz .LBB321_18
; %bb.17:
	s_ashr_i32 s1, s0, 31
	v_lshl_add_u64 v[2:3], s[0:1], 3, v[4:5]
	v_ashrrev_i32_e32 v4, 31, v1
	v_mul_lo_u32 v8, v1, s17
	v_mul_lo_u32 v9, v4, s16
	v_mad_u64_u32 v[4:5], s[0:1], v1, s16, 0
	v_add3_u32 v5, v5, v8, v9
	v_lshl_add_u64 v[4:5], v[4:5], 3, s[22:23]
	flat_load_dwordx2 v[2:3], v[2:3]
	s_nop 0
	flat_load_dwordx2 v[4:5], v[4:5]
	s_waitcnt vmcnt(0) lgkmcnt(0)
	v_pk_mul_f32 v[8:9], v[4:5], v[2:3] op_sel:[0,1]
	s_nop 0
	v_pk_fma_f32 v[10:11], v[4:5], v[2:3], v[8:9] op_sel:[0,0,1] op_sel_hi:[1,1,0] neg_lo:[0,0,1] neg_hi:[0,0,1]
	v_pk_fma_f32 v[2:3], v[4:5], v[2:3], v[8:9] op_sel:[0,0,1] op_sel_hi:[1,0,0]
	s_nop 0
	v_mov_b32_e32 v11, v3
	v_pk_add_f32 v[6:7], v[6:7], v[10:11]
.LBB321_18:
	s_or_b64 exec, exec, s[4:5]
	v_and_b32_e32 v8, 63, v0
	v_cmp_gt_u32_e32 vcc, 64, v0
	v_lshlrev_b32_e32 v1, 3, v8
	s_and_saveexec_b64 s[0:1], vcc
	s_cbranch_execz .LBB321_20
; %bb.19:
	v_mov_b32_e32 v2, 0
	v_mov_b32_e32 v3, v2
	ds_write_b64 v1, v[2:3]
.LBB321_20:
	s_or_b64 exec, exec, s[0:1]
	v_mbcnt_lo_u32_b32 v2, -1, 0
	v_mbcnt_hi_u32_b32 v10, -1, v2
	v_and_b32_e32 v11, 63, v10
	v_cmp_gt_u32_e64 s[0:1], 32, v11
	s_mov_b32 s4, 0
	s_waitcnt lgkmcnt(0)
	v_cndmask_b32_e64 v2, 0, 1, s[0:1]
	v_lshlrev_b32_e32 v2, 5, v2
	v_add_lshl_u32 v3, v2, v10, 2
	ds_bpermute_b32 v2, v3, v6
	ds_bpermute_b32 v3, v3, v7
	v_cmp_gt_u32_e64 s[0:1], 48, v11
	s_barrier
	s_waitcnt lgkmcnt(0)
	v_cndmask_b32_e64 v4, 0, 1, s[0:1]
	v_lshlrev_b32_e32 v4, 4, v4
	v_add_lshl_u32 v5, v4, v10, 2
	v_pk_add_f32 v[2:3], v[6:7], v[2:3]
	ds_bpermute_b32 v4, v5, v2
	ds_bpermute_b32 v5, v5, v3
	v_cmp_gt_u32_e64 s[0:1], 56, v11
	s_waitcnt lgkmcnt(0)
	v_pk_add_f32 v[2:3], v[2:3], v[4:5]
	v_cndmask_b32_e64 v6, 0, 1, s[0:1]
	v_lshlrev_b32_e32 v6, 3, v6
	v_add_lshl_u32 v6, v6, v10, 2
	ds_bpermute_b32 v4, v6, v2
	ds_bpermute_b32 v5, v6, v3
	v_cmp_gt_u32_e64 s[0:1], 60, v11
	s_waitcnt lgkmcnt(0)
	v_pk_add_f32 v[2:3], v[2:3], v[4:5]
	v_cndmask_b32_e64 v7, 0, 1, s[0:1]
	v_lshlrev_b32_e32 v7, 2, v7
	v_add_lshl_u32 v7, v7, v10, 2
	;; [unrolled: 8-line block ×3, first 2 shown]
	ds_bpermute_b32 v4, v9, v2
	ds_bpermute_b32 v5, v9, v3
	v_cmp_ne_u32_e64 s[0:1], 63, v11
	s_waitcnt lgkmcnt(0)
	v_pk_add_f32 v[2:3], v[2:3], v[4:5]
	v_addc_co_u32_e64 v4, s[0:1], 0, v10, s[0:1]
	v_lshlrev_b32_e32 v10, 2, v4
	ds_bpermute_b32 v4, v10, v2
	ds_bpermute_b32 v5, v10, v3
	v_cmp_eq_u32_e64 s[0:1], 0, v8
	s_and_saveexec_b64 s[6:7], s[0:1]
	s_cbranch_execz .LBB321_22
; %bb.21:
	v_lshrrev_b32_e32 v8, 3, v0
	v_and_b32_e32 v8, 0x78, v8
	s_waitcnt lgkmcnt(0)
	v_pk_add_f32 v[2:3], v[2:3], v[4:5]
	ds_write_b64 v8, v[2:3]
.LBB321_22:
	s_or_b64 exec, exec, s[6:7]
	s_mov_b32 s5, s4
	v_cmp_gt_u32_e64 s[0:1], 16, v0
	v_mov_b64_e32 v[2:3], s[4:5]
	s_waitcnt lgkmcnt(0)
	s_barrier
	s_and_saveexec_b64 s[4:5], s[0:1]
	s_cbranch_execnz .LBB321_26
; %bb.23:
	s_or_b64 exec, exec, s[4:5]
	s_and_saveexec_b64 s[0:1], vcc
	s_cbranch_execnz .LBB321_27
.LBB321_24:
	s_or_b64 exec, exec, s[0:1]
	v_cmp_eq_u32_e32 vcc, 0, v0
	s_and_saveexec_b64 s[0:1], vcc
	s_cbranch_execnz .LBB321_28
.LBB321_25:
	s_endpgm
.LBB321_26:
	ds_read_b64 v[2:3], v1
	s_or_b64 exec, exec, s[4:5]
	s_and_saveexec_b64 s[0:1], vcc
	s_cbranch_execz .LBB321_24
.LBB321_27:
	s_waitcnt lgkmcnt(0)
	ds_bpermute_b32 v4, v6, v2
	ds_bpermute_b32 v5, v6, v3
	s_waitcnt lgkmcnt(0)
	v_pk_add_f32 v[2:3], v[2:3], v[4:5]
	ds_bpermute_b32 v4, v7, v2
	ds_bpermute_b32 v5, v7, v3
	s_waitcnt lgkmcnt(0)
	v_pk_add_f32 v[2:3], v[2:3], v[4:5]
	;; [unrolled: 4-line block ×4, first 2 shown]
	s_or_b64 exec, exec, s[0:1]
	v_cmp_eq_u32_e32 vcc, 0, v0
	s_and_saveexec_b64 s[0:1], vcc
	s_cbranch_execz .LBB321_25
.LBB321_28:
	v_cmp_neq_f32_e64 s[4:5], s12, 0
	v_cmp_neq_f32_e64 s[6:7], s13, 0
	s_mul_i32 s0, s2, s21
	s_mul_hi_u32 s1, s2, s20
	s_waitcnt lgkmcnt(0)
	v_pk_mul_f32 v[4:5], v[2:3], s[14:15] op_sel:[1,0]
	s_add_i32 s0, s1, s0
	s_mul_i32 s1, s19, s20
	s_or_b64 s[4:5], s[4:5], s[6:7]
	v_pk_fma_f32 v[0:1], v[2:3], s[14:15], v[4:5] op_sel:[0,0,1] op_sel_hi:[0,1,0] neg_lo:[0,0,1] neg_hi:[0,0,1]
	v_pk_fma_f32 v[2:3], v[2:3], s[14:15], v[4:5] op_sel:[0,0,1] op_sel_hi:[0,1,0]
	s_add_i32 s1, s0, s1
	s_andn2_b64 vcc, exec, s[4:5]
	s_mul_i32 s0, s2, s20
	s_cbranch_vccnz .LBB321_30
; %bb.29:
	s_lshl_b64 s[4:5], s[0:1], 3
	s_add_u32 s4, s3, s4
	s_addc_u32 s5, s18, s5
	v_mov_b32_e32 v1, 0
	global_load_dwordx2 v[4:5], v1, s[4:5]
	v_mov_b32_e32 v1, v3
	s_waitcnt vmcnt(0)
	v_pk_mul_f32 v[2:3], s[12:13], v[4:5] op_sel:[0,1]
	s_nop 0
	v_pk_fma_f32 v[6:7], s[12:13], v[4:5], v[2:3] op_sel:[0,0,1] op_sel_hi:[1,1,0] neg_lo:[0,0,1] neg_hi:[0,0,1]
	v_pk_fma_f32 v[2:3], s[12:13], v[4:5], v[2:3] op_sel:[0,0,1] op_sel_hi:[1,0,0]
	s_nop 0
	v_mov_b32_e32 v7, v3
	v_pk_add_f32 v[0:1], v[0:1], v[6:7]
	s_nop 0
	v_mov_b32_e32 v3, v1
.LBB321_30:
	s_lshl_b64 s[0:1], s[0:1], 3
	s_add_u32 s0, s3, s0
	s_addc_u32 s1, s18, s1
	v_mov_b32_e32 v2, 0
	v_mov_b32_e32 v1, v3
	global_store_dwordx2 v2, v[0:1], s[0:1]
	s_endpgm
	.section	.rodata,"a",@progbits
	.p2align	6, 0x0
	.amdhsa_kernel _ZL32rocblas_gemvt_warp_reduce_kernelILb0ELi1024ElPK19rocblas_complex_numIfES3_KPS1_EviiT3_lPKT2_lT1_lS9_lSA_lS6_lPT4_lSA_li
		.amdhsa_group_segment_fixed_size 512
		.amdhsa_private_segment_fixed_size 0
		.amdhsa_kernarg_size 140
		.amdhsa_user_sgpr_count 2
		.amdhsa_user_sgpr_dispatch_ptr 0
		.amdhsa_user_sgpr_queue_ptr 0
		.amdhsa_user_sgpr_kernarg_segment_ptr 1
		.amdhsa_user_sgpr_dispatch_id 0
		.amdhsa_user_sgpr_kernarg_preload_length 0
		.amdhsa_user_sgpr_kernarg_preload_offset 0
		.amdhsa_user_sgpr_private_segment_size 0
		.amdhsa_uses_dynamic_stack 0
		.amdhsa_enable_private_segment 0
		.amdhsa_system_sgpr_workgroup_id_x 1
		.amdhsa_system_sgpr_workgroup_id_y 0
		.amdhsa_system_sgpr_workgroup_id_z 1
		.amdhsa_system_sgpr_workgroup_info 0
		.amdhsa_system_vgpr_workitem_id 0
		.amdhsa_next_free_vgpr 16
		.amdhsa_next_free_sgpr 36
		.amdhsa_accum_offset 16
		.amdhsa_reserve_vcc 1
		.amdhsa_float_round_mode_32 0
		.amdhsa_float_round_mode_16_64 0
		.amdhsa_float_denorm_mode_32 3
		.amdhsa_float_denorm_mode_16_64 3
		.amdhsa_dx10_clamp 1
		.amdhsa_ieee_mode 1
		.amdhsa_fp16_overflow 0
		.amdhsa_tg_split 0
		.amdhsa_exception_fp_ieee_invalid_op 0
		.amdhsa_exception_fp_denorm_src 0
		.amdhsa_exception_fp_ieee_div_zero 0
		.amdhsa_exception_fp_ieee_overflow 0
		.amdhsa_exception_fp_ieee_underflow 0
		.amdhsa_exception_fp_ieee_inexact 0
		.amdhsa_exception_int_div_zero 0
	.end_amdhsa_kernel
	.section	.text._ZL32rocblas_gemvt_warp_reduce_kernelILb0ELi1024ElPK19rocblas_complex_numIfES3_KPS1_EviiT3_lPKT2_lT1_lS9_lSA_lS6_lPT4_lSA_li,"axG",@progbits,_ZL32rocblas_gemvt_warp_reduce_kernelILb0ELi1024ElPK19rocblas_complex_numIfES3_KPS1_EviiT3_lPKT2_lT1_lS9_lSA_lS6_lPT4_lSA_li,comdat
.Lfunc_end321:
	.size	_ZL32rocblas_gemvt_warp_reduce_kernelILb0ELi1024ElPK19rocblas_complex_numIfES3_KPS1_EviiT3_lPKT2_lT1_lS9_lSA_lS6_lPT4_lSA_li, .Lfunc_end321-_ZL32rocblas_gemvt_warp_reduce_kernelILb0ELi1024ElPK19rocblas_complex_numIfES3_KPS1_EviiT3_lPKT2_lT1_lS9_lSA_lS6_lPT4_lSA_li
                                        ; -- End function
	.section	.AMDGPU.csdata,"",@progbits
; Kernel info:
; codeLenInByte = 1828
; NumSgprs: 42
; NumVgprs: 16
; NumAgprs: 0
; TotalNumVgprs: 16
; ScratchSize: 0
; MemoryBound: 0
; FloatMode: 240
; IeeeMode: 1
; LDSByteSize: 512 bytes/workgroup (compile time only)
; SGPRBlocks: 5
; VGPRBlocks: 1
; NumSGPRsForWavesPerEU: 42
; NumVGPRsForWavesPerEU: 16
; AccumOffset: 16
; Occupancy: 8
; WaveLimiterHint : 1
; COMPUTE_PGM_RSRC2:SCRATCH_EN: 0
; COMPUTE_PGM_RSRC2:USER_SGPR: 2
; COMPUTE_PGM_RSRC2:TRAP_HANDLER: 0
; COMPUTE_PGM_RSRC2:TGID_X_EN: 1
; COMPUTE_PGM_RSRC2:TGID_Y_EN: 0
; COMPUTE_PGM_RSRC2:TGID_Z_EN: 1
; COMPUTE_PGM_RSRC2:TIDIG_COMP_CNT: 0
; COMPUTE_PGM_RSRC3_GFX90A:ACCUM_OFFSET: 3
; COMPUTE_PGM_RSRC3_GFX90A:TG_SPLIT: 0
	.section	.text._ZL32rocblas_gemvt_warp_reduce_kernelILb0ELi1024EiPK19rocblas_complex_numIfES1_KPS1_EviiT3_lPKT2_lT1_lS9_lSA_lS6_lPT4_lSA_li,"axG",@progbits,_ZL32rocblas_gemvt_warp_reduce_kernelILb0ELi1024EiPK19rocblas_complex_numIfES1_KPS1_EviiT3_lPKT2_lT1_lS9_lSA_lS6_lPT4_lSA_li,comdat
	.globl	_ZL32rocblas_gemvt_warp_reduce_kernelILb0ELi1024EiPK19rocblas_complex_numIfES1_KPS1_EviiT3_lPKT2_lT1_lS9_lSA_lS6_lPT4_lSA_li ; -- Begin function _ZL32rocblas_gemvt_warp_reduce_kernelILb0ELi1024EiPK19rocblas_complex_numIfES1_KPS1_EviiT3_lPKT2_lT1_lS9_lSA_lS6_lPT4_lSA_li
	.p2align	8
	.type	_ZL32rocblas_gemvt_warp_reduce_kernelILb0ELi1024EiPK19rocblas_complex_numIfES1_KPS1_EviiT3_lPKT2_lT1_lS9_lSA_lS6_lPT4_lSA_li,@function
_ZL32rocblas_gemvt_warp_reduce_kernelILb0ELi1024EiPK19rocblas_complex_numIfES1_KPS1_EviiT3_lPKT2_lT1_lS9_lSA_lS6_lPT4_lSA_li: ; @_ZL32rocblas_gemvt_warp_reduce_kernelILb0ELi1024EiPK19rocblas_complex_numIfES1_KPS1_EviiT3_lPKT2_lT1_lS9_lSA_lS6_lPT4_lSA_li
; %bb.0:
	s_load_dwordx2 s[8:9], s[0:1], 0x8
	s_load_dwordx2 s[6:7], s[0:1], 0x58
	s_waitcnt lgkmcnt(0)
	v_cmp_eq_f32_e64 s[10:11], s8, 0
	v_cmp_eq_f32_e64 s[12:13], s9, 0
	s_and_b64 s[10:11], s[10:11], s[12:13]
	v_cmp_eq_f32_e64 s[12:13], s6, 1.0
	v_cmp_eq_f32_e64 s[14:15], s7, 0
	s_and_b64 s[12:13], s[12:13], s[14:15]
	s_and_b64 s[10:11], s[10:11], s[12:13]
	s_and_b64 vcc, exec, s[10:11]
	s_cbranch_vccnz .LBB322_27
; %bb.1:
	s_mov_b32 s4, s3
	s_or_b32 s3, s8, s9
	s_bitset0_b32 s3, 31
	s_cmp_lg_u32 s3, 0
	s_cselect_b64 s[10:11], -1, 0
	s_cmp_eq_u32 s3, 0
	s_cselect_b64 s[14:15], -1, 0
	s_and_b64 vcc, exec, s[10:11]
	s_cbranch_vccnz .LBB322_3
; %bb.2:
	s_mov_b32 s5, 0
	s_mov_b64 s[12:13], 0
	s_cbranch_execz .LBB322_4
	s_branch .LBB322_5
.LBB322_3:
                                        ; implicit-def: $sgpr12_sgpr13
.LBB322_4:
	s_load_dwordx4 s[16:19], s[0:1], 0x18
	s_mov_b32 s5, 0
	s_lshl_b64 s[12:13], s[4:5], 3
	s_waitcnt lgkmcnt(0)
	s_add_u32 s12, s16, s12
	s_addc_u32 s13, s17, s13
	s_load_dwordx2 s[12:13], s[12:13], 0x0
	s_lshl_b64 s[16:17], s[18:19], 3
	s_waitcnt lgkmcnt(0)
	s_add_u32 s12, s12, s16
	s_addc_u32 s13, s13, s17
.LBB322_5:
	s_andn2_b64 vcc, exec, s[10:11]
	s_mov_b64 s[10:11], 0
	s_cbranch_vccnz .LBB322_7
; %bb.6:
	s_load_dwordx4 s[16:19], s[0:1], 0x38
	s_lshl_b64 s[10:11], s[4:5], 3
	s_waitcnt lgkmcnt(0)
	s_add_u32 s10, s16, s10
	s_addc_u32 s11, s17, s11
	s_load_dwordx2 s[10:11], s[10:11], 0x0
	s_lshl_b64 s[16:17], s[18:19], 3
	s_waitcnt lgkmcnt(0)
	s_add_u32 s10, s10, s16
	s_addc_u32 s11, s11, s17
.LBB322_7:
	s_load_dwordx4 s[20:23], s[0:1], 0x68
	s_load_dword s19, s[0:1], 0x78
	s_lshl_b64 s[4:5], s[4:5], 3
	s_mov_b64 s[16:17], -1
	s_waitcnt lgkmcnt(0)
	s_add_u32 s4, s20, s4
	s_addc_u32 s5, s21, s5
	s_load_dwordx2 s[4:5], s[4:5], 0x0
	s_lshl_b64 s[20:21], s[22:23], 3
	s_waitcnt lgkmcnt(0)
	s_add_u32 s3, s4, s20
	s_addc_u32 s18, s5, s21
	s_andn2_b64 vcc, exec, s[14:15]
	v_cmp_eq_u32_e64 s[4:5], 0, v0
	s_cbranch_vccnz .LBB322_13
; %bb.8:
	s_and_saveexec_b64 s[14:15], s[4:5]
	s_cbranch_execz .LBB322_12
; %bb.9:
	v_cmp_neq_f32_e64 s[16:17], s6, 0
	v_cmp_neq_f32_e64 s[20:21], s7, 0
	s_mul_i32 s4, s2, s19
	s_or_b64 s[16:17], s[16:17], s[20:21]
	s_ashr_i32 s5, s4, 31
	v_mov_b32_e32 v1, 0
	s_andn2_b64 vcc, exec, s[16:17]
	v_mov_b32_e32 v2, 0
	v_mov_b32_e32 v3, 0
	s_cbranch_vccnz .LBB322_11
; %bb.10:
	s_lshl_b64 s[16:17], s[4:5], 3
	s_add_u32 s16, s3, s16
	s_addc_u32 s17, s18, s17
	s_load_dwordx2 s[16:17], s[16:17], 0x0
	s_waitcnt lgkmcnt(0)
	v_mov_b64_e32 v[4:5], s[16:17]
	v_pk_mul_f32 v[6:7], s[6:7], v[4:5] op_sel:[0,1]
	s_nop 0
	v_pk_fma_f32 v[2:3], s[6:7], v[4:5], v[6:7] op_sel:[0,0,1] op_sel_hi:[1,1,0] neg_lo:[0,0,1] neg_hi:[0,0,1]
	v_pk_fma_f32 v[4:5], s[6:7], v[4:5], v[6:7] op_sel:[0,0,1] op_sel_hi:[1,0,0]
	s_nop 0
	v_mov_b32_e32 v3, v5
.LBB322_11:
	s_lshl_b64 s[4:5], s[4:5], 3
	s_add_u32 s4, s3, s4
	s_addc_u32 s5, s18, s5
	global_store_dwordx2 v1, v[2:3], s[4:5]
.LBB322_12:
	s_or_b64 exec, exec, s[14:15]
	s_mov_b64 s[16:17], 0
.LBB322_13:
	s_andn2_b64 vcc, exec, s[16:17]
	s_cbranch_vccnz .LBB322_27
; %bb.14:
	s_load_dword s17, s[0:1], 0x0
	s_load_dword s5, s[0:1], 0x28
	;; [unrolled: 1-line block ×3, first 2 shown]
	v_mov_b32_e32 v6, 0
	v_mov_b32_e32 v3, v6
	s_waitcnt lgkmcnt(0)
	v_cmp_gt_i32_e32 vcc, s17, v0
	s_mul_i32 s0, s2, s5
	s_ashr_i32 s1, s0, 31
	s_lshl_b64 s[0:1], s[0:1], 3
	v_cndmask_b32_e32 v1, 0, v0, vcc
	s_add_u32 s0, s0, s12
	v_lshlrev_b32_e32 v2, 3, v1
	s_addc_u32 s1, s1, s13
	v_lshl_add_u64 v[2:3], s[0:1], 0, v[2:3]
	s_ashr_i32 s0, s17, 31
	s_lshr_b32 s0, s0, 22
	s_mov_b32 s4, 0
	s_add_i32 s0, s17, s0
	s_and_b32 s0, s0, 0xfffffc00
	s_mov_b32 s5, s4
	v_cmp_gt_i32_e32 vcc, s0, v0
	v_mov_b64_e32 v[4:5], s[4:5]
	s_and_saveexec_b64 s[4:5], vcc
	s_cbranch_execz .LBB322_18
; %bb.15:
	v_mul_lo_u32 v4, v0, s16
	s_lshl_b32 s1, s16, 10
	s_mov_b64 s[12:13], 0
	s_mov_b64 s[14:15], 0x2000
	v_mov_b64_e32 v[8:9], v[2:3]
	v_mov_b32_e32 v1, v0
	v_mov_b32_e32 v7, v6
.LBB322_16:                             ; =>This Inner Loop Header: Depth=1
	v_ashrrev_i32_e32 v5, 31, v4
	v_lshl_add_u64 v[12:13], v[4:5], 3, s[10:11]
	flat_load_dwordx2 v[10:11], v[8:9]
	v_add_u32_e32 v1, 0x400, v1
	flat_load_dwordx2 v[12:13], v[12:13]
	v_cmp_le_i32_e32 vcc, s0, v1
	v_lshl_add_u64 v[8:9], v[8:9], 0, s[14:15]
	v_add_u32_e32 v4, s1, v4
	s_or_b64 s[12:13], vcc, s[12:13]
	s_waitcnt vmcnt(0) lgkmcnt(0)
	v_mul_f32_e32 v5, v13, v11
	v_mul_f32_e32 v15, v12, v11
	v_fma_f32 v14, v12, v10, -v5
	v_fmac_f32_e32 v15, v13, v10
	v_pk_add_f32 v[6:7], v[6:7], v[14:15]
	s_andn2_b64 exec, exec, s[12:13]
	s_cbranch_execnz .LBB322_16
; %bb.17:
	s_or_b64 exec, exec, s[12:13]
	v_mov_b64_e32 v[4:5], v[6:7]
.LBB322_18:
	s_or_b64 exec, exec, s[4:5]
	v_or_b32_e32 v1, s0, v0
	v_cmp_gt_i32_e32 vcc, s17, v1
	s_and_saveexec_b64 s[4:5], vcc
	s_cbranch_execz .LBB322_20
; %bb.19:
	v_mul_lo_u32 v6, v1, s16
	s_ashr_i32 s1, s0, 31
	v_ashrrev_i32_e32 v7, 31, v6
	v_lshl_add_u64 v[2:3], s[0:1], 3, v[2:3]
	v_lshl_add_u64 v[6:7], v[6:7], 3, s[10:11]
	flat_load_dwordx2 v[2:3], v[2:3]
	s_nop 0
	flat_load_dwordx2 v[6:7], v[6:7]
	s_waitcnt vmcnt(0) lgkmcnt(0)
	v_pk_mul_f32 v[8:9], v[6:7], v[2:3] op_sel:[0,1]
	s_nop 0
	v_pk_fma_f32 v[10:11], v[6:7], v[2:3], v[8:9] op_sel:[0,0,1] op_sel_hi:[1,1,0] neg_lo:[0,0,1] neg_hi:[0,0,1]
	v_pk_fma_f32 v[2:3], v[6:7], v[2:3], v[8:9] op_sel:[0,0,1] op_sel_hi:[1,0,0]
	s_nop 0
	v_mov_b32_e32 v11, v3
	v_pk_add_f32 v[4:5], v[4:5], v[10:11]
.LBB322_20:
	s_or_b64 exec, exec, s[4:5]
	v_and_b32_e32 v6, 63, v0
	v_cmp_gt_u32_e32 vcc, 64, v0
	v_lshlrev_b32_e32 v1, 3, v6
	s_and_saveexec_b64 s[0:1], vcc
	s_cbranch_execz .LBB322_22
; %bb.21:
	v_mov_b32_e32 v2, 0
	v_mov_b32_e32 v3, v2
	ds_write_b64 v1, v[2:3]
.LBB322_22:
	s_or_b64 exec, exec, s[0:1]
	v_mbcnt_lo_u32_b32 v2, -1, 0
	v_mbcnt_hi_u32_b32 v10, -1, v2
	v_and_b32_e32 v11, 63, v10
	v_cmp_gt_u32_e64 s[0:1], 32, v11
	s_mov_b32 s4, 0
	s_waitcnt lgkmcnt(0)
	v_cndmask_b32_e64 v2, 0, 1, s[0:1]
	v_lshlrev_b32_e32 v2, 5, v2
	v_add_lshl_u32 v3, v2, v10, 2
	ds_bpermute_b32 v2, v3, v4
	ds_bpermute_b32 v3, v3, v5
	v_cmp_gt_u32_e64 s[0:1], 48, v11
	s_barrier
	s_waitcnt lgkmcnt(0)
	v_cndmask_b32_e64 v7, 0, 1, s[0:1]
	v_lshlrev_b32_e32 v7, 4, v7
	v_add_lshl_u32 v7, v7, v10, 2
	v_pk_add_f32 v[2:3], v[4:5], v[2:3]
	ds_bpermute_b32 v4, v7, v2
	ds_bpermute_b32 v5, v7, v3
	v_cmp_gt_u32_e64 s[0:1], 56, v11
	s_waitcnt lgkmcnt(0)
	v_pk_add_f32 v[2:3], v[2:3], v[4:5]
	v_cndmask_b32_e64 v7, 0, 1, s[0:1]
	v_lshlrev_b32_e32 v7, 3, v7
	v_add_lshl_u32 v7, v7, v10, 2
	ds_bpermute_b32 v4, v7, v2
	ds_bpermute_b32 v5, v7, v3
	v_cmp_gt_u32_e64 s[0:1], 60, v11
	s_waitcnt lgkmcnt(0)
	v_pk_add_f32 v[2:3], v[2:3], v[4:5]
	v_cndmask_b32_e64 v8, 0, 1, s[0:1]
	v_lshlrev_b32_e32 v8, 2, v8
	v_add_lshl_u32 v8, v8, v10, 2
	;; [unrolled: 8-line block ×3, first 2 shown]
	ds_bpermute_b32 v4, v9, v2
	ds_bpermute_b32 v5, v9, v3
	v_cmp_ne_u32_e64 s[0:1], 63, v11
	s_waitcnt lgkmcnt(0)
	v_pk_add_f32 v[2:3], v[2:3], v[4:5]
	v_addc_co_u32_e64 v4, s[0:1], 0, v10, s[0:1]
	v_lshlrev_b32_e32 v10, 2, v4
	ds_bpermute_b32 v4, v10, v2
	ds_bpermute_b32 v5, v10, v3
	v_cmp_eq_u32_e64 s[0:1], 0, v6
	s_and_saveexec_b64 s[10:11], s[0:1]
	s_cbranch_execz .LBB322_24
; %bb.23:
	v_lshrrev_b32_e32 v6, 3, v0
	v_and_b32_e32 v6, 0x78, v6
	s_waitcnt lgkmcnt(0)
	v_pk_add_f32 v[2:3], v[2:3], v[4:5]
	ds_write_b64 v6, v[2:3]
.LBB322_24:
	s_or_b64 exec, exec, s[10:11]
	s_mov_b32 s5, s4
	v_cmp_gt_u32_e64 s[0:1], 16, v0
	v_mov_b64_e32 v[2:3], s[4:5]
	s_waitcnt lgkmcnt(0)
	s_barrier
	s_and_saveexec_b64 s[4:5], s[0:1]
	s_cbranch_execnz .LBB322_28
; %bb.25:
	s_or_b64 exec, exec, s[4:5]
	s_and_saveexec_b64 s[0:1], vcc
	s_cbranch_execnz .LBB322_29
.LBB322_26:
	s_or_b64 exec, exec, s[0:1]
	v_cmp_eq_u32_e32 vcc, 0, v0
	s_and_saveexec_b64 s[0:1], vcc
	s_cbranch_execnz .LBB322_30
.LBB322_27:
	s_endpgm
.LBB322_28:
	ds_read_b64 v[2:3], v1
	s_or_b64 exec, exec, s[4:5]
	s_and_saveexec_b64 s[0:1], vcc
	s_cbranch_execz .LBB322_26
.LBB322_29:
	s_waitcnt lgkmcnt(0)
	ds_bpermute_b32 v4, v7, v2
	ds_bpermute_b32 v5, v7, v3
	s_waitcnt lgkmcnt(0)
	v_pk_add_f32 v[2:3], v[2:3], v[4:5]
	ds_bpermute_b32 v4, v8, v2
	ds_bpermute_b32 v5, v8, v3
	s_waitcnt lgkmcnt(0)
	v_pk_add_f32 v[2:3], v[2:3], v[4:5]
	;; [unrolled: 4-line block ×4, first 2 shown]
	s_or_b64 exec, exec, s[0:1]
	v_cmp_eq_u32_e32 vcc, 0, v0
	s_and_saveexec_b64 s[0:1], vcc
	s_cbranch_execz .LBB322_27
.LBB322_30:
	v_cmp_neq_f32_e64 s[4:5], s6, 0
	v_cmp_neq_f32_e64 s[10:11], s7, 0
	s_waitcnt lgkmcnt(0)
	v_pk_mul_f32 v[4:5], v[2:3], s[8:9] op_sel:[1,0]
	s_mul_i32 s0, s2, s19
	s_or_b64 s[4:5], s[4:5], s[10:11]
	v_pk_fma_f32 v[0:1], v[2:3], s[8:9], v[4:5] op_sel:[0,0,1] op_sel_hi:[0,1,0] neg_lo:[0,0,1] neg_hi:[0,0,1]
	v_pk_fma_f32 v[2:3], v[2:3], s[8:9], v[4:5] op_sel:[0,0,1] op_sel_hi:[0,1,0]
	s_andn2_b64 vcc, exec, s[4:5]
	s_ashr_i32 s1, s0, 31
	s_cbranch_vccnz .LBB322_32
; %bb.31:
	s_lshl_b64 s[4:5], s[0:1], 3
	s_add_u32 s4, s3, s4
	s_addc_u32 s5, s18, s5
	v_mov_b32_e32 v1, 0
	global_load_dwordx2 v[4:5], v1, s[4:5]
	v_mov_b32_e32 v1, v3
	s_waitcnt vmcnt(0)
	v_pk_mul_f32 v[2:3], s[6:7], v[4:5] op_sel:[0,1]
	s_nop 0
	v_pk_fma_f32 v[6:7], s[6:7], v[4:5], v[2:3] op_sel:[0,0,1] op_sel_hi:[1,1,0] neg_lo:[0,0,1] neg_hi:[0,0,1]
	v_pk_fma_f32 v[2:3], s[6:7], v[4:5], v[2:3] op_sel:[0,0,1] op_sel_hi:[1,0,0]
	s_nop 0
	v_mov_b32_e32 v7, v3
	v_pk_add_f32 v[0:1], v[0:1], v[6:7]
	s_nop 0
	v_mov_b32_e32 v3, v1
.LBB322_32:
	s_lshl_b64 s[0:1], s[0:1], 3
	s_add_u32 s0, s3, s0
	s_addc_u32 s1, s18, s1
	v_mov_b32_e32 v2, 0
	v_mov_b32_e32 v1, v3
	global_store_dwordx2 v2, v[0:1], s[0:1]
	s_endpgm
	.section	.rodata,"a",@progbits
	.p2align	6, 0x0
	.amdhsa_kernel _ZL32rocblas_gemvt_warp_reduce_kernelILb0ELi1024EiPK19rocblas_complex_numIfES1_KPS1_EviiT3_lPKT2_lT1_lS9_lSA_lS6_lPT4_lSA_li
		.amdhsa_group_segment_fixed_size 512
		.amdhsa_private_segment_fixed_size 0
		.amdhsa_kernarg_size 140
		.amdhsa_user_sgpr_count 2
		.amdhsa_user_sgpr_dispatch_ptr 0
		.amdhsa_user_sgpr_queue_ptr 0
		.amdhsa_user_sgpr_kernarg_segment_ptr 1
		.amdhsa_user_sgpr_dispatch_id 0
		.amdhsa_user_sgpr_kernarg_preload_length 0
		.amdhsa_user_sgpr_kernarg_preload_offset 0
		.amdhsa_user_sgpr_private_segment_size 0
		.amdhsa_uses_dynamic_stack 0
		.amdhsa_enable_private_segment 0
		.amdhsa_system_sgpr_workgroup_id_x 1
		.amdhsa_system_sgpr_workgroup_id_y 0
		.amdhsa_system_sgpr_workgroup_id_z 1
		.amdhsa_system_sgpr_workgroup_info 0
		.amdhsa_system_vgpr_workitem_id 0
		.amdhsa_next_free_vgpr 16
		.amdhsa_next_free_sgpr 24
		.amdhsa_accum_offset 16
		.amdhsa_reserve_vcc 1
		.amdhsa_float_round_mode_32 0
		.amdhsa_float_round_mode_16_64 0
		.amdhsa_float_denorm_mode_32 3
		.amdhsa_float_denorm_mode_16_64 3
		.amdhsa_dx10_clamp 1
		.amdhsa_ieee_mode 1
		.amdhsa_fp16_overflow 0
		.amdhsa_tg_split 0
		.amdhsa_exception_fp_ieee_invalid_op 0
		.amdhsa_exception_fp_denorm_src 0
		.amdhsa_exception_fp_ieee_div_zero 0
		.amdhsa_exception_fp_ieee_overflow 0
		.amdhsa_exception_fp_ieee_underflow 0
		.amdhsa_exception_fp_ieee_inexact 0
		.amdhsa_exception_int_div_zero 0
	.end_amdhsa_kernel
	.section	.text._ZL32rocblas_gemvt_warp_reduce_kernelILb0ELi1024EiPK19rocblas_complex_numIfES1_KPS1_EviiT3_lPKT2_lT1_lS9_lSA_lS6_lPT4_lSA_li,"axG",@progbits,_ZL32rocblas_gemvt_warp_reduce_kernelILb0ELi1024EiPK19rocblas_complex_numIfES1_KPS1_EviiT3_lPKT2_lT1_lS9_lSA_lS6_lPT4_lSA_li,comdat
.Lfunc_end322:
	.size	_ZL32rocblas_gemvt_warp_reduce_kernelILb0ELi1024EiPK19rocblas_complex_numIfES1_KPS1_EviiT3_lPKT2_lT1_lS9_lSA_lS6_lPT4_lSA_li, .Lfunc_end322-_ZL32rocblas_gemvt_warp_reduce_kernelILb0ELi1024EiPK19rocblas_complex_numIfES1_KPS1_EviiT3_lPKT2_lT1_lS9_lSA_lS6_lPT4_lSA_li
                                        ; -- End function
	.section	.AMDGPU.csdata,"",@progbits
; Kernel info:
; codeLenInByte = 1688
; NumSgprs: 30
; NumVgprs: 16
; NumAgprs: 0
; TotalNumVgprs: 16
; ScratchSize: 0
; MemoryBound: 0
; FloatMode: 240
; IeeeMode: 1
; LDSByteSize: 512 bytes/workgroup (compile time only)
; SGPRBlocks: 3
; VGPRBlocks: 1
; NumSGPRsForWavesPerEU: 30
; NumVGPRsForWavesPerEU: 16
; AccumOffset: 16
; Occupancy: 8
; WaveLimiterHint : 1
; COMPUTE_PGM_RSRC2:SCRATCH_EN: 0
; COMPUTE_PGM_RSRC2:USER_SGPR: 2
; COMPUTE_PGM_RSRC2:TRAP_HANDLER: 0
; COMPUTE_PGM_RSRC2:TGID_X_EN: 1
; COMPUTE_PGM_RSRC2:TGID_Y_EN: 0
; COMPUTE_PGM_RSRC2:TGID_Z_EN: 1
; COMPUTE_PGM_RSRC2:TIDIG_COMP_CNT: 0
; COMPUTE_PGM_RSRC3_GFX90A:ACCUM_OFFSET: 3
; COMPUTE_PGM_RSRC3_GFX90A:TG_SPLIT: 0
	.section	.text._ZL32rocblas_gemvt_warp_reduce_kernelILb0ELi1024ElPK19rocblas_complex_numIfES1_KPS1_EviiT3_lPKT2_lT1_lS9_lSA_lS6_lPT4_lSA_li,"axG",@progbits,_ZL32rocblas_gemvt_warp_reduce_kernelILb0ELi1024ElPK19rocblas_complex_numIfES1_KPS1_EviiT3_lPKT2_lT1_lS9_lSA_lS6_lPT4_lSA_li,comdat
	.globl	_ZL32rocblas_gemvt_warp_reduce_kernelILb0ELi1024ElPK19rocblas_complex_numIfES1_KPS1_EviiT3_lPKT2_lT1_lS9_lSA_lS6_lPT4_lSA_li ; -- Begin function _ZL32rocblas_gemvt_warp_reduce_kernelILb0ELi1024ElPK19rocblas_complex_numIfES1_KPS1_EviiT3_lPKT2_lT1_lS9_lSA_lS6_lPT4_lSA_li
	.p2align	8
	.type	_ZL32rocblas_gemvt_warp_reduce_kernelILb0ELi1024ElPK19rocblas_complex_numIfES1_KPS1_EviiT3_lPKT2_lT1_lS9_lSA_lS6_lPT4_lSA_li,@function
_ZL32rocblas_gemvt_warp_reduce_kernelILb0ELi1024ElPK19rocblas_complex_numIfES1_KPS1_EviiT3_lPKT2_lT1_lS9_lSA_lS6_lPT4_lSA_li: ; @_ZL32rocblas_gemvt_warp_reduce_kernelILb0ELi1024ElPK19rocblas_complex_numIfES1_KPS1_EviiT3_lPKT2_lT1_lS9_lSA_lS6_lPT4_lSA_li
; %bb.0:
	s_load_dwordx2 s[10:11], s[0:1], 0x8
	s_load_dwordx2 s[8:9], s[0:1], 0x58
	s_waitcnt lgkmcnt(0)
	v_cmp_eq_f32_e64 s[4:5], s10, 0
	v_cmp_eq_f32_e64 s[6:7], s11, 0
	s_and_b64 s[4:5], s[4:5], s[6:7]
	v_cmp_eq_f32_e64 s[6:7], s8, 1.0
	v_cmp_eq_f32_e64 s[12:13], s9, 0
	s_and_b64 s[6:7], s[6:7], s[12:13]
	s_and_b64 s[4:5], s[4:5], s[6:7]
	s_and_b64 vcc, exec, s[4:5]
	s_cbranch_vccnz .LBB323_27
; %bb.1:
	s_mov_b32 s20, s3
	s_load_dwordx4 s[4:7], s[0:1], 0x18
	s_load_dwordx2 s[16:17], s[0:1], 0x28
	s_or_b32 s3, s10, s11
	s_bitset0_b32 s3, 31
	s_cmp_lg_u32 s3, 0
	s_cselect_b64 s[14:15], -1, 0
	s_cmp_eq_u32 s3, 0
	s_cselect_b64 s[22:23], -1, 0
	s_and_b64 vcc, exec, s[14:15]
	s_cbranch_vccnz .LBB323_3
; %bb.2:
	s_mov_b32 s21, 0
	s_mov_b64 s[18:19], 0
	s_cbranch_execz .LBB323_4
	s_branch .LBB323_5
.LBB323_3:
                                        ; implicit-def: $sgpr18_sgpr19
.LBB323_4:
	s_mov_b32 s21, 0
	s_lshl_b64 s[12:13], s[20:21], 3
	s_waitcnt lgkmcnt(0)
	s_add_u32 s4, s4, s12
	s_addc_u32 s5, s5, s13
	s_load_dwordx2 s[4:5], s[4:5], 0x0
	s_lshl_b64 s[6:7], s[6:7], 3
	s_waitcnt lgkmcnt(0)
	s_add_u32 s18, s4, s6
	s_addc_u32 s19, s5, s7
.LBB323_5:
	s_waitcnt lgkmcnt(0)
	s_load_dwordx4 s[4:7], s[0:1], 0x38
	s_load_dwordx2 s[12:13], s[0:1], 0x48
	s_andn2_b64 vcc, exec, s[14:15]
	s_mov_b64 s[14:15], 0
	s_cbranch_vccnz .LBB323_7
; %bb.6:
	s_lshl_b64 s[14:15], s[20:21], 3
	s_waitcnt lgkmcnt(0)
	s_add_u32 s4, s4, s14
	s_addc_u32 s5, s5, s15
	s_load_dwordx2 s[4:5], s[4:5], 0x0
	s_lshl_b64 s[6:7], s[6:7], 3
	s_waitcnt lgkmcnt(0)
	s_add_u32 s14, s4, s6
	s_addc_u32 s15, s5, s7
.LBB323_7:
	s_load_dwordx4 s[24:27], s[0:1], 0x68
	s_waitcnt lgkmcnt(0)
	s_load_dwordx2 s[6:7], s[0:1], 0x78
	s_lshl_b64 s[4:5], s[20:21], 3
	s_mov_b64 s[20:21], -1
	s_add_u32 s4, s24, s4
	s_addc_u32 s5, s25, s5
	s_load_dwordx2 s[4:5], s[4:5], 0x0
	s_lshl_b64 s[24:25], s[26:27], 3
	s_waitcnt lgkmcnt(0)
	s_add_u32 s3, s4, s24
	s_addc_u32 s24, s5, s25
	s_andn2_b64 vcc, exec, s[22:23]
	v_cmp_eq_u32_e64 s[4:5], 0, v0
	s_cbranch_vccnz .LBB323_13
; %bb.8:
	s_and_saveexec_b64 s[20:21], s[4:5]
	s_cbranch_execz .LBB323_12
; %bb.9:
	v_cmp_neq_f32_e64 s[22:23], s8, 0
	v_cmp_neq_f32_e64 s[26:27], s9, 0
	s_ashr_i32 s4, s2, 31
	s_mul_i32 s5, s2, s7
	s_mul_hi_u32 s25, s2, s6
	s_add_i32 s5, s25, s5
	s_mul_i32 s4, s4, s6
	s_or_b64 s[22:23], s[22:23], s[26:27]
	s_add_i32 s5, s5, s4
	s_mul_i32 s4, s2, s6
	v_mov_b32_e32 v1, 0
	s_andn2_b64 vcc, exec, s[22:23]
	v_mov_b32_e32 v2, 0
	v_mov_b32_e32 v3, 0
	s_cbranch_vccnz .LBB323_11
; %bb.10:
	s_lshl_b64 s[22:23], s[4:5], 3
	s_add_u32 s22, s3, s22
	s_addc_u32 s23, s24, s23
	s_load_dwordx2 s[22:23], s[22:23], 0x0
	s_waitcnt lgkmcnt(0)
	v_mov_b64_e32 v[4:5], s[22:23]
	v_pk_mul_f32 v[6:7], s[8:9], v[4:5] op_sel:[0,1]
	s_nop 0
	v_pk_fma_f32 v[2:3], s[8:9], v[4:5], v[6:7] op_sel:[0,0,1] op_sel_hi:[1,1,0] neg_lo:[0,0,1] neg_hi:[0,0,1]
	v_pk_fma_f32 v[4:5], s[8:9], v[4:5], v[6:7] op_sel:[0,0,1] op_sel_hi:[1,0,0]
	s_nop 0
	v_mov_b32_e32 v3, v5
.LBB323_11:
	s_lshl_b64 s[4:5], s[4:5], 3
	s_add_u32 s4, s3, s4
	s_addc_u32 s5, s24, s5
	global_store_dwordx2 v1, v[2:3], s[4:5]
.LBB323_12:
	s_or_b64 exec, exec, s[20:21]
	s_mov_b64 s[20:21], 0
.LBB323_13:
	s_andn2_b64 vcc, exec, s[20:21]
	s_cbranch_vccnz .LBB323_27
; %bb.14:
	s_load_dword s1, s[0:1], 0x0
	s_ashr_i32 s22, s2, 31
	s_mul_i32 s0, s2, s17
	s_mul_hi_u32 s5, s2, s16
	s_add_i32 s0, s5, s0
	s_mul_i32 s5, s22, s16
	s_add_i32 s17, s0, s5
	s_mul_i32 s16, s2, s16
	s_lshl_b64 s[16:17], s[16:17], 3
	s_add_u32 s16, s16, s18
	s_addc_u32 s17, s17, s19
	s_waitcnt lgkmcnt(0)
	s_ashr_i32 s0, s1, 31
	v_cmp_gt_i32_e32 vcc, s1, v0
	s_lshr_b32 s0, s0, 22
	s_mov_b32 s4, 0
	v_mov_b32_e32 v2, 0
	v_cndmask_b32_e32 v1, 0, v0, vcc
	s_add_i32 s0, s1, s0
	v_mov_b32_e32 v5, v2
	v_lshlrev_b32_e32 v4, 3, v1
	s_and_b32 s0, s0, 0xfffffc00
	s_mov_b32 s5, s4
	v_lshl_add_u64 v[4:5], s[16:17], 0, v[4:5]
	v_cmp_gt_i32_e32 vcc, s0, v0
	v_mov_b64_e32 v[6:7], s[4:5]
	s_and_saveexec_b64 s[4:5], vcc
	s_cbranch_execz .LBB323_18
; %bb.15:
	v_mad_u64_u32 v[6:7], s[16:17], s12, v0, 0
	v_mov_b32_e32 v8, v7
	v_mad_u64_u32 v[8:9], s[16:17], s13, v0, v[8:9]
	v_mov_b32_e32 v7, v8
	v_lshl_add_u64 v[6:7], v[6:7], 3, s[14:15]
	s_lshl_b64 s[18:19], s[12:13], 13
	s_mov_b64 s[16:17], 0
	s_mov_b64 s[20:21], 0x2000
	v_mov_b64_e32 v[8:9], v[4:5]
	v_mov_b32_e32 v1, v0
	v_mov_b32_e32 v3, v2
.LBB323_16:                             ; =>This Inner Loop Header: Depth=1
	flat_load_dwordx2 v[10:11], v[8:9]
	flat_load_dwordx2 v[12:13], v[6:7]
	v_add_u32_e32 v1, 0x400, v1
	v_cmp_le_i32_e32 vcc, s0, v1
	v_lshl_add_u64 v[8:9], v[8:9], 0, s[20:21]
	v_lshl_add_u64 v[6:7], v[6:7], 0, s[18:19]
	s_or_b64 s[16:17], vcc, s[16:17]
	s_waitcnt vmcnt(0) lgkmcnt(0)
	v_mul_f32_e32 v14, v13, v11
	v_mul_f32_e32 v15, v12, v11
	v_fma_f32 v14, v12, v10, -v14
	v_fmac_f32_e32 v15, v13, v10
	v_pk_add_f32 v[2:3], v[2:3], v[14:15]
	s_andn2_b64 exec, exec, s[16:17]
	s_cbranch_execnz .LBB323_16
; %bb.17:
	s_or_b64 exec, exec, s[16:17]
	v_mov_b64_e32 v[6:7], v[2:3]
.LBB323_18:
	s_or_b64 exec, exec, s[4:5]
	v_or_b32_e32 v1, s0, v0
	v_cmp_gt_i32_e32 vcc, s1, v1
	s_and_saveexec_b64 s[4:5], vcc
	s_cbranch_execz .LBB323_20
; %bb.19:
	s_ashr_i32 s1, s0, 31
	v_lshl_add_u64 v[2:3], s[0:1], 3, v[4:5]
	v_ashrrev_i32_e32 v4, 31, v1
	v_mul_lo_u32 v8, v1, s13
	v_mul_lo_u32 v9, v4, s12
	v_mad_u64_u32 v[4:5], s[0:1], v1, s12, 0
	v_add3_u32 v5, v5, v8, v9
	v_lshl_add_u64 v[4:5], v[4:5], 3, s[14:15]
	flat_load_dwordx2 v[2:3], v[2:3]
	s_nop 0
	flat_load_dwordx2 v[4:5], v[4:5]
	s_waitcnt vmcnt(0) lgkmcnt(0)
	v_pk_mul_f32 v[8:9], v[4:5], v[2:3] op_sel:[0,1]
	s_nop 0
	v_pk_fma_f32 v[10:11], v[4:5], v[2:3], v[8:9] op_sel:[0,0,1] op_sel_hi:[1,1,0] neg_lo:[0,0,1] neg_hi:[0,0,1]
	v_pk_fma_f32 v[2:3], v[4:5], v[2:3], v[8:9] op_sel:[0,0,1] op_sel_hi:[1,0,0]
	s_nop 0
	v_mov_b32_e32 v11, v3
	v_pk_add_f32 v[6:7], v[6:7], v[10:11]
.LBB323_20:
	s_or_b64 exec, exec, s[4:5]
	v_and_b32_e32 v8, 63, v0
	v_cmp_gt_u32_e32 vcc, 64, v0
	v_lshlrev_b32_e32 v1, 3, v8
	s_and_saveexec_b64 s[0:1], vcc
	s_cbranch_execz .LBB323_22
; %bb.21:
	v_mov_b32_e32 v2, 0
	v_mov_b32_e32 v3, v2
	ds_write_b64 v1, v[2:3]
.LBB323_22:
	s_or_b64 exec, exec, s[0:1]
	v_mbcnt_lo_u32_b32 v2, -1, 0
	v_mbcnt_hi_u32_b32 v10, -1, v2
	v_and_b32_e32 v11, 63, v10
	v_cmp_gt_u32_e64 s[0:1], 32, v11
	s_mov_b32 s4, 0
	s_waitcnt lgkmcnt(0)
	v_cndmask_b32_e64 v2, 0, 1, s[0:1]
	v_lshlrev_b32_e32 v2, 5, v2
	v_add_lshl_u32 v3, v2, v10, 2
	ds_bpermute_b32 v2, v3, v6
	ds_bpermute_b32 v3, v3, v7
	v_cmp_gt_u32_e64 s[0:1], 48, v11
	s_barrier
	s_waitcnt lgkmcnt(0)
	v_cndmask_b32_e64 v4, 0, 1, s[0:1]
	v_lshlrev_b32_e32 v4, 4, v4
	v_add_lshl_u32 v5, v4, v10, 2
	v_pk_add_f32 v[2:3], v[6:7], v[2:3]
	ds_bpermute_b32 v4, v5, v2
	ds_bpermute_b32 v5, v5, v3
	v_cmp_gt_u32_e64 s[0:1], 56, v11
	s_waitcnt lgkmcnt(0)
	v_pk_add_f32 v[2:3], v[2:3], v[4:5]
	v_cndmask_b32_e64 v6, 0, 1, s[0:1]
	v_lshlrev_b32_e32 v6, 3, v6
	v_add_lshl_u32 v6, v6, v10, 2
	ds_bpermute_b32 v4, v6, v2
	ds_bpermute_b32 v5, v6, v3
	v_cmp_gt_u32_e64 s[0:1], 60, v11
	s_waitcnt lgkmcnt(0)
	v_pk_add_f32 v[2:3], v[2:3], v[4:5]
	v_cndmask_b32_e64 v7, 0, 1, s[0:1]
	v_lshlrev_b32_e32 v7, 2, v7
	v_add_lshl_u32 v7, v7, v10, 2
	;; [unrolled: 8-line block ×3, first 2 shown]
	ds_bpermute_b32 v4, v9, v2
	ds_bpermute_b32 v5, v9, v3
	v_cmp_ne_u32_e64 s[0:1], 63, v11
	s_waitcnt lgkmcnt(0)
	v_pk_add_f32 v[2:3], v[2:3], v[4:5]
	v_addc_co_u32_e64 v4, s[0:1], 0, v10, s[0:1]
	v_lshlrev_b32_e32 v10, 2, v4
	ds_bpermute_b32 v4, v10, v2
	ds_bpermute_b32 v5, v10, v3
	v_cmp_eq_u32_e64 s[0:1], 0, v8
	s_and_saveexec_b64 s[12:13], s[0:1]
	s_cbranch_execz .LBB323_24
; %bb.23:
	v_lshrrev_b32_e32 v8, 3, v0
	v_and_b32_e32 v8, 0x78, v8
	s_waitcnt lgkmcnt(0)
	v_pk_add_f32 v[2:3], v[2:3], v[4:5]
	ds_write_b64 v8, v[2:3]
.LBB323_24:
	s_or_b64 exec, exec, s[12:13]
	s_mov_b32 s5, s4
	v_cmp_gt_u32_e64 s[0:1], 16, v0
	v_mov_b64_e32 v[2:3], s[4:5]
	s_waitcnt lgkmcnt(0)
	s_barrier
	s_and_saveexec_b64 s[4:5], s[0:1]
	s_cbranch_execnz .LBB323_28
; %bb.25:
	s_or_b64 exec, exec, s[4:5]
	s_and_saveexec_b64 s[0:1], vcc
	s_cbranch_execnz .LBB323_29
.LBB323_26:
	s_or_b64 exec, exec, s[0:1]
	v_cmp_eq_u32_e32 vcc, 0, v0
	s_and_saveexec_b64 s[0:1], vcc
	s_cbranch_execnz .LBB323_30
.LBB323_27:
	s_endpgm
.LBB323_28:
	ds_read_b64 v[2:3], v1
	s_or_b64 exec, exec, s[4:5]
	s_and_saveexec_b64 s[0:1], vcc
	s_cbranch_execz .LBB323_26
.LBB323_29:
	s_waitcnt lgkmcnt(0)
	ds_bpermute_b32 v4, v6, v2
	ds_bpermute_b32 v5, v6, v3
	s_waitcnt lgkmcnt(0)
	v_pk_add_f32 v[2:3], v[2:3], v[4:5]
	ds_bpermute_b32 v4, v7, v2
	ds_bpermute_b32 v5, v7, v3
	s_waitcnt lgkmcnt(0)
	v_pk_add_f32 v[2:3], v[2:3], v[4:5]
	;; [unrolled: 4-line block ×4, first 2 shown]
	s_or_b64 exec, exec, s[0:1]
	v_cmp_eq_u32_e32 vcc, 0, v0
	s_and_saveexec_b64 s[0:1], vcc
	s_cbranch_execz .LBB323_27
.LBB323_30:
	v_cmp_neq_f32_e64 s[4:5], s8, 0
	v_cmp_neq_f32_e64 s[12:13], s9, 0
	s_mul_i32 s0, s2, s7
	s_mul_hi_u32 s1, s2, s6
	s_waitcnt lgkmcnt(0)
	v_pk_mul_f32 v[4:5], v[2:3], s[10:11] op_sel:[1,0]
	s_add_i32 s0, s1, s0
	s_mul_i32 s1, s22, s6
	s_or_b64 s[4:5], s[4:5], s[12:13]
	v_pk_fma_f32 v[0:1], v[2:3], s[10:11], v[4:5] op_sel:[0,0,1] op_sel_hi:[0,1,0] neg_lo:[0,0,1] neg_hi:[0,0,1]
	v_pk_fma_f32 v[2:3], v[2:3], s[10:11], v[4:5] op_sel:[0,0,1] op_sel_hi:[0,1,0]
	s_add_i32 s1, s0, s1
	s_andn2_b64 vcc, exec, s[4:5]
	s_mul_i32 s0, s2, s6
	s_cbranch_vccnz .LBB323_32
; %bb.31:
	s_lshl_b64 s[4:5], s[0:1], 3
	s_add_u32 s4, s3, s4
	s_addc_u32 s5, s24, s5
	v_mov_b32_e32 v1, 0
	global_load_dwordx2 v[4:5], v1, s[4:5]
	v_mov_b32_e32 v1, v3
	s_waitcnt vmcnt(0)
	v_pk_mul_f32 v[2:3], s[8:9], v[4:5] op_sel:[0,1]
	s_nop 0
	v_pk_fma_f32 v[6:7], s[8:9], v[4:5], v[2:3] op_sel:[0,0,1] op_sel_hi:[1,1,0] neg_lo:[0,0,1] neg_hi:[0,0,1]
	v_pk_fma_f32 v[2:3], s[8:9], v[4:5], v[2:3] op_sel:[0,0,1] op_sel_hi:[1,0,0]
	s_nop 0
	v_mov_b32_e32 v7, v3
	v_pk_add_f32 v[0:1], v[0:1], v[6:7]
	s_nop 0
	v_mov_b32_e32 v3, v1
.LBB323_32:
	s_lshl_b64 s[0:1], s[0:1], 3
	s_add_u32 s0, s3, s0
	s_addc_u32 s1, s24, s1
	v_mov_b32_e32 v2, 0
	v_mov_b32_e32 v1, v3
	global_store_dwordx2 v2, v[0:1], s[0:1]
	s_endpgm
	.section	.rodata,"a",@progbits
	.p2align	6, 0x0
	.amdhsa_kernel _ZL32rocblas_gemvt_warp_reduce_kernelILb0ELi1024ElPK19rocblas_complex_numIfES1_KPS1_EviiT3_lPKT2_lT1_lS9_lSA_lS6_lPT4_lSA_li
		.amdhsa_group_segment_fixed_size 512
		.amdhsa_private_segment_fixed_size 0
		.amdhsa_kernarg_size 140
		.amdhsa_user_sgpr_count 2
		.amdhsa_user_sgpr_dispatch_ptr 0
		.amdhsa_user_sgpr_queue_ptr 0
		.amdhsa_user_sgpr_kernarg_segment_ptr 1
		.amdhsa_user_sgpr_dispatch_id 0
		.amdhsa_user_sgpr_kernarg_preload_length 0
		.amdhsa_user_sgpr_kernarg_preload_offset 0
		.amdhsa_user_sgpr_private_segment_size 0
		.amdhsa_uses_dynamic_stack 0
		.amdhsa_enable_private_segment 0
		.amdhsa_system_sgpr_workgroup_id_x 1
		.amdhsa_system_sgpr_workgroup_id_y 0
		.amdhsa_system_sgpr_workgroup_id_z 1
		.amdhsa_system_sgpr_workgroup_info 0
		.amdhsa_system_vgpr_workitem_id 0
		.amdhsa_next_free_vgpr 16
		.amdhsa_next_free_sgpr 28
		.amdhsa_accum_offset 16
		.amdhsa_reserve_vcc 1
		.amdhsa_float_round_mode_32 0
		.amdhsa_float_round_mode_16_64 0
		.amdhsa_float_denorm_mode_32 3
		.amdhsa_float_denorm_mode_16_64 3
		.amdhsa_dx10_clamp 1
		.amdhsa_ieee_mode 1
		.amdhsa_fp16_overflow 0
		.amdhsa_tg_split 0
		.amdhsa_exception_fp_ieee_invalid_op 0
		.amdhsa_exception_fp_denorm_src 0
		.amdhsa_exception_fp_ieee_div_zero 0
		.amdhsa_exception_fp_ieee_overflow 0
		.amdhsa_exception_fp_ieee_underflow 0
		.amdhsa_exception_fp_ieee_inexact 0
		.amdhsa_exception_int_div_zero 0
	.end_amdhsa_kernel
	.section	.text._ZL32rocblas_gemvt_warp_reduce_kernelILb0ELi1024ElPK19rocblas_complex_numIfES1_KPS1_EviiT3_lPKT2_lT1_lS9_lSA_lS6_lPT4_lSA_li,"axG",@progbits,_ZL32rocblas_gemvt_warp_reduce_kernelILb0ELi1024ElPK19rocblas_complex_numIfES1_KPS1_EviiT3_lPKT2_lT1_lS9_lSA_lS6_lPT4_lSA_li,comdat
.Lfunc_end323:
	.size	_ZL32rocblas_gemvt_warp_reduce_kernelILb0ELi1024ElPK19rocblas_complex_numIfES1_KPS1_EviiT3_lPKT2_lT1_lS9_lSA_lS6_lPT4_lSA_li, .Lfunc_end323-_ZL32rocblas_gemvt_warp_reduce_kernelILb0ELi1024ElPK19rocblas_complex_numIfES1_KPS1_EviiT3_lPKT2_lT1_lS9_lSA_lS6_lPT4_lSA_li
                                        ; -- End function
	.section	.AMDGPU.csdata,"",@progbits
; Kernel info:
; codeLenInByte = 1788
; NumSgprs: 34
; NumVgprs: 16
; NumAgprs: 0
; TotalNumVgprs: 16
; ScratchSize: 0
; MemoryBound: 0
; FloatMode: 240
; IeeeMode: 1
; LDSByteSize: 512 bytes/workgroup (compile time only)
; SGPRBlocks: 4
; VGPRBlocks: 1
; NumSGPRsForWavesPerEU: 34
; NumVGPRsForWavesPerEU: 16
; AccumOffset: 16
; Occupancy: 8
; WaveLimiterHint : 1
; COMPUTE_PGM_RSRC2:SCRATCH_EN: 0
; COMPUTE_PGM_RSRC2:USER_SGPR: 2
; COMPUTE_PGM_RSRC2:TRAP_HANDLER: 0
; COMPUTE_PGM_RSRC2:TGID_X_EN: 1
; COMPUTE_PGM_RSRC2:TGID_Y_EN: 0
; COMPUTE_PGM_RSRC2:TGID_Z_EN: 1
; COMPUTE_PGM_RSRC2:TIDIG_COMP_CNT: 0
; COMPUTE_PGM_RSRC3_GFX90A:ACCUM_OFFSET: 3
; COMPUTE_PGM_RSRC3_GFX90A:TG_SPLIT: 0
	.section	.text._ZL22rocblas_gemvtsm_kernelILb1ELi256EPK19rocblas_complex_numIfES3_KPS1_EviiT2_lPKT1_lilS9_lilS6_lPT3_lil,"axG",@progbits,_ZL22rocblas_gemvtsm_kernelILb1ELi256EPK19rocblas_complex_numIfES3_KPS1_EviiT2_lPKT1_lilS9_lilS6_lPT3_lil,comdat
	.globl	_ZL22rocblas_gemvtsm_kernelILb1ELi256EPK19rocblas_complex_numIfES3_KPS1_EviiT2_lPKT1_lilS9_lilS6_lPT3_lil ; -- Begin function _ZL22rocblas_gemvtsm_kernelILb1ELi256EPK19rocblas_complex_numIfES3_KPS1_EviiT2_lPKT1_lilS9_lilS6_lPT3_lil
	.p2align	8
	.type	_ZL22rocblas_gemvtsm_kernelILb1ELi256EPK19rocblas_complex_numIfES3_KPS1_EviiT2_lPKT1_lilS9_lilS6_lPT3_lil,@function
_ZL22rocblas_gemvtsm_kernelILb1ELi256EPK19rocblas_complex_numIfES3_KPS1_EviiT2_lPKT1_lilS9_lilS6_lPT3_lil: ; @_ZL22rocblas_gemvtsm_kernelILb1ELi256EPK19rocblas_complex_numIfES3_KPS1_EviiT2_lPKT1_lilS9_lilS6_lPT3_lil
; %bb.0:
	s_load_dwordx8 s[12:19], s[0:1], 0x8
	s_load_dwordx8 s[4:11], s[0:1], 0x58
	s_waitcnt lgkmcnt(0)
	s_mul_i32 s3, s2, s15
	s_mul_hi_u32 s15, s2, s14
	s_add_i32 s15, s15, s3
	s_mul_i32 s14, s2, s14
	s_lshl_b64 s[14:15], s[14:15], 3
	s_add_u32 s12, s12, s14
	s_mul_i32 s3, s2, s7
	s_mul_hi_u32 s7, s2, s6
	s_addc_u32 s13, s13, s15
	s_add_i32 s7, s7, s3
	s_mul_i32 s6, s2, s6
	s_lshl_b64 s[6:7], s[6:7], 3
	s_add_u32 s4, s4, s6
	s_load_dwordx2 s[20:21], s[12:13], 0x0
	s_addc_u32 s5, s5, s7
	s_load_dwordx2 s[6:7], s[4:5], 0x0
	s_waitcnt lgkmcnt(0)
	v_cmp_eq_f32_e64 s[4:5], s20, 0
	v_cmp_eq_f32_e64 s[12:13], s21, 0
	s_and_b64 s[4:5], s[4:5], s[12:13]
	v_cmp_eq_f32_e64 s[12:13], s6, 1.0
	v_cmp_eq_f32_e64 s[14:15], s7, 0
	s_and_b64 s[12:13], s[12:13], s[14:15]
	s_and_b64 s[4:5], s[4:5], s[12:13]
	s_and_b64 vcc, exec, s[4:5]
	s_cbranch_vccnz .LBB324_38
; %bb.1:
	s_or_b32 s4, s20, s21
	s_bitset0_b32 s4, 31
	s_cmp_lg_u32 s4, 0
	s_cselect_b64 s[12:13], -1, 0
	s_cmp_eq_u32 s4, 0
	s_cselect_b64 s[24:25], -1, 0
	s_mov_b32 s3, 0
	s_mov_b64 s[22:23], 0
	s_and_b64 vcc, exec, s[24:25]
	s_mov_b64 s[4:5], 0
	s_cbranch_vccnz .LBB324_3
; %bb.2:
	s_lshl_b64 s[4:5], s[2:3], 3
	s_add_u32 s4, s16, s4
	s_addc_u32 s5, s17, s5
	s_load_dwordx2 s[4:5], s[4:5], 0x0
	s_lshl_b64 s[14:15], s[18:19], 3
	s_waitcnt lgkmcnt(0)
	s_add_u32 s4, s4, s14
	s_addc_u32 s5, s5, s15
.LBB324_3:
	s_andn2_b64 vcc, exec, s[12:13]
	s_cbranch_vccnz .LBB324_5
; %bb.4:
	s_load_dwordx4 s[12:15], s[0:1], 0x38
	s_lshl_b64 s[16:17], s[2:3], 3
	s_waitcnt lgkmcnt(0)
	s_add_u32 s12, s12, s16
	s_addc_u32 s13, s13, s17
	s_load_dwordx2 s[12:13], s[12:13], 0x0
	s_lshl_b64 s[14:15], s[14:15], 3
	s_waitcnt lgkmcnt(0)
	s_add_u32 s22, s12, s14
	s_addc_u32 s23, s13, s15
.LBB324_5:
	s_lshl_b64 s[2:3], s[2:3], 3
	s_add_u32 s2, s8, s2
	s_addc_u32 s3, s9, s3
	s_load_dwordx2 s[12:13], s[0:1], 0x0
	s_load_dword s14, s[0:1], 0x78
	s_andn2_b64 vcc, exec, s[24:25]
	s_load_dwordx2 s[2:3], s[2:3], 0x0
	s_mov_b64 s[8:9], -1
	s_cbranch_vccnz .LBB324_20
; %bb.6:
	v_cmp_neq_f32_e64 s[8:9], s6, 0
	v_cmp_neq_f32_e64 s[16:17], s7, 0
	s_or_b64 s[18:19], s[8:9], s[16:17]
	s_waitcnt lgkmcnt(0)
	s_cmp_gt_i32 s13, 0
	s_mov_b64 s[16:17], -1
	s_cselect_b64 s[8:9], -1, 0
	s_and_b64 vcc, exec, s[18:19]
	s_cbranch_vccnz .LBB324_13
; %bb.7:
	s_andn2_b64 vcc, exec, s[8:9]
	s_cbranch_vccnz .LBB324_12
; %bb.8:
	v_mad_i64_i32 v[2:3], s[16:17], s14, v0, 0
	s_ashr_i32 s15, s14, 31
	s_lshl_b64 s[16:17], s[10:11], 3
	s_add_u32 s16, s2, s16
	s_addc_u32 s17, s3, s17
	v_lshl_add_u64 v[2:3], v[2:3], 3, s[16:17]
	s_lshl_b64 s[16:17], s[14:15], 11
	s_mov_b32 s15, 0
	v_mov_b32_e32 v4, 0
	s_branch .LBB324_10
.LBB324_9:                              ;   in Loop: Header=BB324_10 Depth=1
	s_or_b64 exec, exec, s[18:19]
	s_addk_i32 s15, 0x100
	s_cmp_ge_i32 s15, s13
	v_lshl_add_u64 v[2:3], v[2:3], 0, s[16:17]
	s_cbranch_scc1 .LBB324_12
.LBB324_10:                             ; =>This Inner Loop Header: Depth=1
	v_add_u32_e32 v1, s15, v0
	v_cmp_gt_i32_e32 vcc, s13, v1
	s_and_saveexec_b64 s[18:19], vcc
	s_cbranch_execz .LBB324_9
; %bb.11:                               ;   in Loop: Header=BB324_10 Depth=1
	v_mov_b32_e32 v5, v4
	global_store_dwordx2 v[2:3], v[4:5], off
	s_branch .LBB324_9
.LBB324_12:
	s_mov_b64 s[16:17], 0
.LBB324_13:
	s_andn2_b64 vcc, exec, s[16:17]
	s_cbranch_vccnz .LBB324_19
; %bb.14:
	s_andn2_b64 vcc, exec, s[8:9]
	s_cbranch_vccnz .LBB324_19
; %bb.15:
	v_mad_i64_i32 v[2:3], s[8:9], s14, v0, 0
	s_ashr_i32 s15, s14, 31
	s_lshl_b64 s[8:9], s[10:11], 3
	s_add_u32 s8, s2, s8
	s_addc_u32 s9, s3, s9
	v_lshl_add_u64 v[2:3], v[2:3], 3, s[8:9]
	v_lshl_add_u64 v[2:3], v[2:3], 0, 4
	s_lshl_b64 s[8:9], s[14:15], 11
	s_mov_b32 s15, 0
	s_branch .LBB324_17
.LBB324_16:                             ;   in Loop: Header=BB324_17 Depth=1
	s_or_b64 exec, exec, s[16:17]
	s_addk_i32 s15, 0x100
	s_cmp_ge_i32 s15, s13
	v_lshl_add_u64 v[2:3], v[2:3], 0, s[8:9]
	s_cbranch_scc1 .LBB324_19
.LBB324_17:                             ; =>This Inner Loop Header: Depth=1
	v_add_u32_e32 v1, s15, v0
	v_cmp_gt_i32_e32 vcc, s13, v1
	s_and_saveexec_b64 s[16:17], vcc
	s_cbranch_execz .LBB324_16
; %bb.18:                               ;   in Loop: Header=BB324_17 Depth=1
	global_load_dwordx2 v[4:5], v[2:3], off offset:-4
	s_waitcnt vmcnt(0)
	v_mul_f32_e32 v1, s7, v5
	v_mul_f32_e32 v7, s6, v5
	v_fma_f32 v6, s6, v4, -v1
	v_fmac_f32_e32 v7, s7, v4
	global_store_dwordx2 v[2:3], v[6:7], off offset:-4
	s_branch .LBB324_16
.LBB324_19:
	s_mov_b64 s[8:9], 0
.LBB324_20:
	s_andn2_b64 vcc, exec, s[8:9]
	s_cbranch_vccnz .LBB324_38
; %bb.21:
	s_waitcnt lgkmcnt(0)
	v_cmp_gt_i32_e32 vcc, s12, v0
	s_and_saveexec_b64 s[8:9], vcc
	s_cbranch_execz .LBB324_23
; %bb.22:
	s_load_dword s15, s[0:1], 0x48
	s_waitcnt lgkmcnt(0)
	v_mad_i64_i32 v[2:3], s[16:17], s15, v0, 0
	v_lshl_add_u64 v[2:3], v[2:3], 3, s[22:23]
	flat_load_dwordx2 v[2:3], v[2:3]
	s_waitcnt vmcnt(0) lgkmcnt(0)
	v_mul_f32_e32 v1, s21, v3
	v_mul_f32_e32 v5, s20, v3
	v_fma_f32 v4, v2, s20, -v1
	v_fmac_f32_e32 v5, s21, v2
	v_lshlrev_b32_e32 v1, 3, v0
	ds_write_b64 v1, v[4:5]
.LBB324_23:
	s_or_b64 exec, exec, s[8:9]
	s_cmp_lt_i32 s13, 1
	s_waitcnt lgkmcnt(0)
	s_barrier
	s_cbranch_scc1 .LBB324_38
; %bb.24:
	s_load_dword s0, s[0:1], 0x28
	s_lshl_b64 s[8:9], s[10:11], 3
	s_add_u32 s8, s2, s8
	s_addc_u32 s9, s3, s9
	v_cmp_neq_f32_e64 s[2:3], s6, 0
	v_cmp_neq_f32_e64 s[16:17], s7, 0
	s_ashr_i32 s15, s14, 31
	s_waitcnt lgkmcnt(0)
	s_ashr_i32 s1, s0, 31
	s_or_b64 s[2:3], s[2:3], s[16:17]
	s_cmp_gt_i32 s12, 0
	s_cselect_b64 s[20:21], -1, 0
	s_and_b32 s25, s12, 7
	s_cmp_gt_u32 s12, 7
	s_cselect_b64 s[22:23], -1, 0
	s_and_b32 s12, s12, 0x7ffffff8
	s_cmp_lg_u32 s25, 0
	v_mad_i64_i32 v[2:3], s[18:19], s0, v0, 0
	v_cndmask_b32_e64 v1, 0, 1, s[2:3]
	s_cselect_b64 s[16:17], -1, 0
	s_lshl_b64 s[18:19], s[0:1], 11
	v_cmp_ne_u32_e64 s[0:1], 1, v1
	v_cndmask_b32_e64 v1, 0, 1, s[20:21]
	v_cmp_ne_u32_e64 s[2:3], 1, v1
	v_cndmask_b32_e64 v1, 0, 1, s[22:23]
	s_mov_b32 s11, 0
	s_mov_b32 s24, s7
	v_lshl_add_u64 v[2:3], v[2:3], 3, s[4:5]
	v_cmp_ne_u32_e64 s[4:5], 1, v1
	s_mov_b32 s26, 0
	s_branch .LBB324_27
.LBB324_25:                             ;   in Loop: Header=BB324_27 Depth=1
	global_store_dwordx2 v[4:5], v[6:7], off
.LBB324_26:                             ;   in Loop: Header=BB324_27 Depth=1
	s_or_b64 exec, exec, s[20:21]
	s_addk_i32 s26, 0x100
	s_cmp_ge_i32 s26, s13
	v_lshl_add_u64 v[2:3], v[2:3], 0, s[18:19]
	s_cbranch_scc1 .LBB324_38
.LBB324_27:                             ; =>This Loop Header: Depth=1
                                        ;     Child Loop BB324_33 Depth 2
                                        ;     Child Loop BB324_37 Depth 2
	v_add_u32_e32 v1, s26, v0
	v_cmp_gt_i32_e32 vcc, s13, v1
	s_and_saveexec_b64 s[20:21], vcc
	s_cbranch_execz .LBB324_26
; %bb.28:                               ;   in Loop: Header=BB324_27 Depth=1
	v_mad_u64_u32 v[4:5], s[22:23], v1, s14, 0
	v_mov_b32_e32 v6, v5
	v_mad_u64_u32 v[6:7], s[22:23], v1, s15, v[6:7]
	v_mov_b32_e32 v5, v6
	s_and_b64 vcc, exec, s[0:1]
	v_mov_b32_e32 v6, 0
	v_lshl_add_u64 v[4:5], v[4:5], 3, s[8:9]
	v_mov_b32_e32 v7, 0
	s_cbranch_vccnz .LBB324_30
; %bb.29:                               ;   in Loop: Header=BB324_27 Depth=1
	global_load_dwordx2 v[8:9], v[4:5], off
	s_waitcnt vmcnt(0)
	v_pk_mul_f32 v[10:11], s[6:7], v[8:9]
	v_mul_f32_e32 v7, s24, v8
	v_sub_f32_e32 v6, v10, v11
	v_fmac_f32_e32 v7, s6, v9
.LBB324_30:                             ;   in Loop: Header=BB324_27 Depth=1
	s_and_b64 vcc, exec, s[2:3]
	s_cbranch_vccnz .LBB324_25
; %bb.31:                               ;   in Loop: Header=BB324_27 Depth=1
	s_mov_b32 s10, 0
	s_and_b64 vcc, exec, s[4:5]
	s_cbranch_vccnz .LBB324_35
; %bb.32:                               ;   in Loop: Header=BB324_27 Depth=1
	s_mov_b32 s22, 0
	v_mov_b64_e32 v[8:9], v[2:3]
.LBB324_33:                             ;   Parent Loop BB324_27 Depth=1
                                        ; =>  This Inner Loop Header: Depth=2
	flat_load_dwordx4 v[10:13], v[8:9]
	flat_load_dwordx4 v[14:17], v[8:9] offset:16
	flat_load_dwordx4 v[18:21], v[8:9] offset:32
	flat_load_dwordx4 v[22:25], v[8:9] offset:48
	v_mov_b32_e32 v1, s10
	ds_read_b128 v[26:29], v1
	ds_read_b128 v[30:33], v1 offset:16
	ds_read_b128 v[34:37], v1 offset:32
	;; [unrolled: 1-line block ×3, first 2 shown]
	s_add_i32 s22, s22, 8
	s_add_i32 s10, s10, 64
	v_lshl_add_u64 v[8:9], v[8:9], 0, 64
	s_cmp_eq_u32 s12, s22
	s_waitcnt vmcnt(0) lgkmcnt(0)
	v_mul_f32_e32 v1, v11, v27
	v_mul_f32_e32 v11, v11, v26
	;; [unrolled: 1-line block ×4, first 2 shown]
	v_fmac_f32_e32 v1, v10, v26
	v_fma_f32 v10, v10, v27, -v11
	v_mul_f32_e32 v43, v15, v31
	v_mul_f32_e32 v15, v15, v30
	v_fmac_f32_e32 v42, v12, v28
	v_fma_f32 v11, v12, v29, -v13
	v_add_f32_e32 v1, v6, v1
	v_add_f32_e32 v6, v7, v10
	v_mul_f32_e32 v44, v17, v33
	v_mul_f32_e32 v17, v17, v32
	v_fmac_f32_e32 v43, v14, v30
	v_fma_f32 v12, v14, v31, -v15
	v_add_f32_e32 v1, v1, v42
	v_add_f32_e32 v6, v6, v11
	;; [unrolled: 6-line block ×6, first 2 shown]
	v_fmac_f32_e32 v48, v24, v40
	v_fma_f32 v17, v24, v41, -v25
	v_add_f32_e32 v1, v1, v47
	v_add_f32_e32 v7, v6, v16
	;; [unrolled: 1-line block ×4, first 2 shown]
	s_cbranch_scc0 .LBB324_33
; %bb.34:                               ;   in Loop: Header=BB324_27 Depth=1
	s_mov_b32 s10, s12
.LBB324_35:                             ;   in Loop: Header=BB324_27 Depth=1
	s_andn2_b64 vcc, exec, s[16:17]
	s_cbranch_vccnz .LBB324_25
; %bb.36:                               ;   in Loop: Header=BB324_27 Depth=1
	s_lshl_b32 s27, s10, 3
	s_lshl_b64 s[22:23], s[10:11], 3
	s_mov_b32 s10, s25
.LBB324_37:                             ;   Parent Loop BB324_27 Depth=1
                                        ; =>  This Inner Loop Header: Depth=2
	v_lshl_add_u64 v[8:9], v[2:3], 0, s[22:23]
	flat_load_dwordx2 v[8:9], v[8:9]
	v_mov_b32_e32 v1, s27
	ds_read_b64 v[10:11], v1
	s_add_i32 s27, s27, 8
	s_add_u32 s22, s22, 8
	s_addc_u32 s23, s23, 0
	s_add_i32 s10, s10, -1
	s_cmp_lg_u32 s10, 0
	s_waitcnt vmcnt(0) lgkmcnt(0)
	v_mul_f32_e32 v1, v9, v11
	v_mul_f32_e32 v9, v9, v10
	v_fmac_f32_e32 v1, v8, v10
	v_fma_f32 v8, v8, v11, -v9
	v_add_f32_e32 v6, v6, v1
	v_add_f32_e32 v7, v7, v8
	s_cbranch_scc1 .LBB324_37
	s_branch .LBB324_25
.LBB324_38:
	s_endpgm
	.section	.rodata,"a",@progbits
	.p2align	6, 0x0
	.amdhsa_kernel _ZL22rocblas_gemvtsm_kernelILb1ELi256EPK19rocblas_complex_numIfES3_KPS1_EviiT2_lPKT1_lilS9_lilS6_lPT3_lil
		.amdhsa_group_segment_fixed_size 512
		.amdhsa_private_segment_fixed_size 0
		.amdhsa_kernarg_size 136
		.amdhsa_user_sgpr_count 2
		.amdhsa_user_sgpr_dispatch_ptr 0
		.amdhsa_user_sgpr_queue_ptr 0
		.amdhsa_user_sgpr_kernarg_segment_ptr 1
		.amdhsa_user_sgpr_dispatch_id 0
		.amdhsa_user_sgpr_kernarg_preload_length 0
		.amdhsa_user_sgpr_kernarg_preload_offset 0
		.amdhsa_user_sgpr_private_segment_size 0
		.amdhsa_uses_dynamic_stack 0
		.amdhsa_enable_private_segment 0
		.amdhsa_system_sgpr_workgroup_id_x 1
		.amdhsa_system_sgpr_workgroup_id_y 0
		.amdhsa_system_sgpr_workgroup_id_z 0
		.amdhsa_system_sgpr_workgroup_info 0
		.amdhsa_system_vgpr_workitem_id 0
		.amdhsa_next_free_vgpr 49
		.amdhsa_next_free_sgpr 28
		.amdhsa_accum_offset 52
		.amdhsa_reserve_vcc 1
		.amdhsa_float_round_mode_32 0
		.amdhsa_float_round_mode_16_64 0
		.amdhsa_float_denorm_mode_32 3
		.amdhsa_float_denorm_mode_16_64 3
		.amdhsa_dx10_clamp 1
		.amdhsa_ieee_mode 1
		.amdhsa_fp16_overflow 0
		.amdhsa_tg_split 0
		.amdhsa_exception_fp_ieee_invalid_op 0
		.amdhsa_exception_fp_denorm_src 0
		.amdhsa_exception_fp_ieee_div_zero 0
		.amdhsa_exception_fp_ieee_overflow 0
		.amdhsa_exception_fp_ieee_underflow 0
		.amdhsa_exception_fp_ieee_inexact 0
		.amdhsa_exception_int_div_zero 0
	.end_amdhsa_kernel
	.section	.text._ZL22rocblas_gemvtsm_kernelILb1ELi256EPK19rocblas_complex_numIfES3_KPS1_EviiT2_lPKT1_lilS9_lilS6_lPT3_lil,"axG",@progbits,_ZL22rocblas_gemvtsm_kernelILb1ELi256EPK19rocblas_complex_numIfES3_KPS1_EviiT2_lPKT1_lilS9_lilS6_lPT3_lil,comdat
.Lfunc_end324:
	.size	_ZL22rocblas_gemvtsm_kernelILb1ELi256EPK19rocblas_complex_numIfES3_KPS1_EviiT2_lPKT1_lilS9_lilS6_lPT3_lil, .Lfunc_end324-_ZL22rocblas_gemvtsm_kernelILb1ELi256EPK19rocblas_complex_numIfES3_KPS1_EviiT2_lPKT1_lilS9_lilS6_lPT3_lil
                                        ; -- End function
	.section	.AMDGPU.csdata,"",@progbits
; Kernel info:
; codeLenInByte = 1528
; NumSgprs: 34
; NumVgprs: 49
; NumAgprs: 0
; TotalNumVgprs: 49
; ScratchSize: 0
; MemoryBound: 0
; FloatMode: 240
; IeeeMode: 1
; LDSByteSize: 512 bytes/workgroup (compile time only)
; SGPRBlocks: 4
; VGPRBlocks: 6
; NumSGPRsForWavesPerEU: 34
; NumVGPRsForWavesPerEU: 49
; AccumOffset: 52
; Occupancy: 8
; WaveLimiterHint : 1
; COMPUTE_PGM_RSRC2:SCRATCH_EN: 0
; COMPUTE_PGM_RSRC2:USER_SGPR: 2
; COMPUTE_PGM_RSRC2:TRAP_HANDLER: 0
; COMPUTE_PGM_RSRC2:TGID_X_EN: 1
; COMPUTE_PGM_RSRC2:TGID_Y_EN: 0
; COMPUTE_PGM_RSRC2:TGID_Z_EN: 0
; COMPUTE_PGM_RSRC2:TIDIG_COMP_CNT: 0
; COMPUTE_PGM_RSRC3_GFX90A:ACCUM_OFFSET: 12
; COMPUTE_PGM_RSRC3_GFX90A:TG_SPLIT: 0
	.section	.text._ZL22rocblas_gemvtsm_kernelILb1ELi256EPK19rocblas_complex_numIfES1_KPS1_EviiT2_lPKT1_lilS9_lilS6_lPT3_lil,"axG",@progbits,_ZL22rocblas_gemvtsm_kernelILb1ELi256EPK19rocblas_complex_numIfES1_KPS1_EviiT2_lPKT1_lilS9_lilS6_lPT3_lil,comdat
	.globl	_ZL22rocblas_gemvtsm_kernelILb1ELi256EPK19rocblas_complex_numIfES1_KPS1_EviiT2_lPKT1_lilS9_lilS6_lPT3_lil ; -- Begin function _ZL22rocblas_gemvtsm_kernelILb1ELi256EPK19rocblas_complex_numIfES1_KPS1_EviiT2_lPKT1_lilS9_lilS6_lPT3_lil
	.p2align	8
	.type	_ZL22rocblas_gemvtsm_kernelILb1ELi256EPK19rocblas_complex_numIfES1_KPS1_EviiT2_lPKT1_lilS9_lilS6_lPT3_lil,@function
_ZL22rocblas_gemvtsm_kernelILb1ELi256EPK19rocblas_complex_numIfES1_KPS1_EviiT2_lPKT1_lilS9_lilS6_lPT3_lil: ; @_ZL22rocblas_gemvtsm_kernelILb1ELi256EPK19rocblas_complex_numIfES1_KPS1_EviiT2_lPKT1_lilS9_lilS6_lPT3_lil
; %bb.0:
	s_load_dwordx4 s[8:11], s[0:1], 0x0
	s_load_dwordx2 s[12:13], s[0:1], 0x58
	s_waitcnt lgkmcnt(0)
	v_cmp_eq_f32_e64 s[4:5], s10, 0
	v_cmp_eq_f32_e64 s[6:7], s11, 0
	s_and_b64 s[4:5], s[4:5], s[6:7]
	v_cmp_eq_f32_e64 s[6:7], s12, 1.0
	v_cmp_eq_f32_e64 s[14:15], s13, 0
	s_and_b64 s[6:7], s[6:7], s[14:15]
	s_and_b64 s[4:5], s[4:5], s[6:7]
	s_and_b64 vcc, exec, s[4:5]
	s_cbranch_vccnz .LBB325_40
; %bb.1:
	s_or_b32 s3, s10, s11
	s_bitset0_b32 s3, 31
	s_cmp_lg_u32 s3, 0
	s_cselect_b64 s[4:5], -1, 0
	s_cmp_eq_u32 s3, 0
	s_cselect_b64 s[20:21], -1, 0
	s_and_b64 vcc, exec, s[4:5]
	s_cbranch_vccnz .LBB325_3
; %bb.2:
	s_mov_b32 s3, 0
	s_mov_b64 s[18:19], 0
	s_cbranch_execz .LBB325_4
	s_branch .LBB325_5
.LBB325_3:
                                        ; implicit-def: $sgpr18_sgpr19
.LBB325_4:
	s_load_dwordx4 s[16:19], s[0:1], 0x18
	s_mov_b32 s3, 0
	s_lshl_b64 s[6:7], s[2:3], 3
	s_waitcnt lgkmcnt(0)
	s_add_u32 s6, s16, s6
	s_addc_u32 s7, s17, s7
	s_load_dwordx2 s[6:7], s[6:7], 0x0
	s_lshl_b64 s[14:15], s[18:19], 3
	s_waitcnt lgkmcnt(0)
	s_add_u32 s18, s6, s14
	s_addc_u32 s19, s7, s15
.LBB325_5:
	s_andn2_b64 vcc, exec, s[4:5]
	s_mov_b64 s[16:17], 0
	s_cbranch_vccnz .LBB325_7
; %bb.6:
	s_load_dwordx4 s[4:7], s[0:1], 0x38
	s_lshl_b64 s[14:15], s[2:3], 3
	s_waitcnt lgkmcnt(0)
	s_add_u32 s4, s4, s14
	s_addc_u32 s5, s5, s15
	s_load_dwordx2 s[4:5], s[4:5], 0x0
	s_lshl_b64 s[6:7], s[6:7], 3
	s_waitcnt lgkmcnt(0)
	s_add_u32 s16, s4, s6
	s_addc_u32 s17, s5, s7
.LBB325_7:
	s_load_dwordx4 s[4:7], s[0:1], 0x68
	s_load_dword s14, s[0:1], 0x78
	s_lshl_b64 s[2:3], s[2:3], 3
	s_waitcnt lgkmcnt(0)
	s_add_u32 s2, s4, s2
	s_addc_u32 s3, s5, s3
	s_load_dwordx2 s[2:3], s[2:3], 0x0
	s_andn2_b64 vcc, exec, s[20:21]
	s_mov_b64 s[4:5], -1
	s_cbranch_vccnz .LBB325_22
; %bb.8:
	v_cmp_neq_f32_e64 s[4:5], s12, 0
	v_cmp_neq_f32_e64 s[20:21], s13, 0
	s_or_b64 s[22:23], s[4:5], s[20:21]
	s_cmp_gt_i32 s9, 0
	s_mov_b64 s[20:21], -1
	s_cselect_b64 s[4:5], -1, 0
	s_and_b64 vcc, exec, s[22:23]
	s_cbranch_vccnz .LBB325_15
; %bb.9:
	s_andn2_b64 vcc, exec, s[4:5]
	s_cbranch_vccnz .LBB325_14
; %bb.10:
	v_mad_i64_i32 v[2:3], s[20:21], s14, v0, 0
	s_ashr_i32 s15, s14, 31
	s_lshl_b64 s[20:21], s[6:7], 3
	s_waitcnt lgkmcnt(0)
	s_add_u32 s20, s2, s20
	s_addc_u32 s21, s3, s21
	v_lshl_add_u64 v[2:3], v[2:3], 3, s[20:21]
	s_lshl_b64 s[20:21], s[14:15], 11
	s_mov_b32 s15, 0
	v_mov_b32_e32 v4, 0
	s_branch .LBB325_12
.LBB325_11:                             ;   in Loop: Header=BB325_12 Depth=1
	s_or_b64 exec, exec, s[22:23]
	s_addk_i32 s15, 0x100
	s_cmp_ge_i32 s15, s9
	v_lshl_add_u64 v[2:3], v[2:3], 0, s[20:21]
	s_cbranch_scc1 .LBB325_14
.LBB325_12:                             ; =>This Inner Loop Header: Depth=1
	v_add_u32_e32 v1, s15, v0
	v_cmp_gt_i32_e32 vcc, s9, v1
	s_and_saveexec_b64 s[22:23], vcc
	s_cbranch_execz .LBB325_11
; %bb.13:                               ;   in Loop: Header=BB325_12 Depth=1
	v_mov_b32_e32 v5, v4
	global_store_dwordx2 v[2:3], v[4:5], off
	s_branch .LBB325_11
.LBB325_14:
	s_mov_b64 s[20:21], 0
.LBB325_15:
	s_andn2_b64 vcc, exec, s[20:21]
	s_cbranch_vccnz .LBB325_21
; %bb.16:
	s_andn2_b64 vcc, exec, s[4:5]
	s_cbranch_vccnz .LBB325_21
; %bb.17:
	v_mad_i64_i32 v[2:3], s[4:5], s14, v0, 0
	s_ashr_i32 s15, s14, 31
	s_lshl_b64 s[4:5], s[6:7], 3
	s_waitcnt lgkmcnt(0)
	s_add_u32 s4, s2, s4
	s_addc_u32 s5, s3, s5
	v_lshl_add_u64 v[2:3], v[2:3], 3, s[4:5]
	v_lshl_add_u64 v[2:3], v[2:3], 0, 4
	s_lshl_b64 s[4:5], s[14:15], 11
	s_mov_b32 s15, 0
	s_branch .LBB325_19
.LBB325_18:                             ;   in Loop: Header=BB325_19 Depth=1
	s_or_b64 exec, exec, s[20:21]
	s_addk_i32 s15, 0x100
	s_cmp_ge_i32 s15, s9
	v_lshl_add_u64 v[2:3], v[2:3], 0, s[4:5]
	s_cbranch_scc1 .LBB325_21
.LBB325_19:                             ; =>This Inner Loop Header: Depth=1
	v_add_u32_e32 v1, s15, v0
	v_cmp_gt_i32_e32 vcc, s9, v1
	s_and_saveexec_b64 s[20:21], vcc
	s_cbranch_execz .LBB325_18
; %bb.20:                               ;   in Loop: Header=BB325_19 Depth=1
	global_load_dwordx2 v[4:5], v[2:3], off offset:-4
	s_waitcnt vmcnt(0)
	v_mul_f32_e32 v1, s13, v5
	v_mul_f32_e32 v7, s12, v5
	v_fma_f32 v6, s12, v4, -v1
	v_fmac_f32_e32 v7, s13, v4
	global_store_dwordx2 v[2:3], v[6:7], off offset:-4
	s_branch .LBB325_18
.LBB325_21:
	s_mov_b64 s[4:5], 0
.LBB325_22:
	s_andn2_b64 vcc, exec, s[4:5]
	s_cbranch_vccnz .LBB325_40
; %bb.23:
	v_cmp_gt_i32_e32 vcc, s8, v0
	s_and_saveexec_b64 s[4:5], vcc
	s_cbranch_execz .LBB325_25
; %bb.24:
	s_load_dword s15, s[0:1], 0x48
	s_waitcnt lgkmcnt(0)
	v_mad_i64_i32 v[2:3], s[20:21], s15, v0, 0
	v_lshl_add_u64 v[2:3], v[2:3], 3, s[16:17]
	flat_load_dwordx2 v[2:3], v[2:3]
	s_waitcnt vmcnt(0) lgkmcnt(0)
	v_mul_f32_e32 v1, s11, v3
	v_mul_f32_e32 v5, s10, v3
	v_fma_f32 v4, v2, s10, -v1
	v_fmac_f32_e32 v5, s11, v2
	v_lshlrev_b32_e32 v1, 3, v0
	ds_write_b64 v1, v[4:5]
.LBB325_25:
	s_or_b64 exec, exec, s[4:5]
	s_cmp_lt_i32 s9, 1
	s_waitcnt lgkmcnt(0)
	s_barrier
	s_cbranch_scc1 .LBB325_40
; %bb.26:
	s_load_dword s0, s[0:1], 0x28
	s_lshl_b64 s[4:5], s[6:7], 3
	s_add_u32 s6, s2, s4
	s_addc_u32 s7, s3, s5
	v_cmp_neq_f32_e64 s[2:3], s12, 0
	v_cmp_neq_f32_e64 s[4:5], s13, 0
	s_ashr_i32 s15, s14, 31
	s_waitcnt lgkmcnt(0)
	s_ashr_i32 s1, s0, 31
	s_or_b64 s[2:3], s[2:3], s[4:5]
	s_cmp_gt_i32 s8, 0
	s_cselect_b64 s[4:5], -1, 0
	s_and_b32 s25, s8, 7
	s_cmp_gt_u32 s8, 7
	s_cselect_b64 s[20:21], -1, 0
	s_and_b32 s8, s8, 0x7ffffff8
	s_cmp_lg_u32 s25, 0
	v_mad_i64_i32 v[2:3], s[22:23], s0, v0, 0
	v_cndmask_b32_e64 v1, 0, 1, s[2:3]
	s_cselect_b64 s[16:17], -1, 0
	v_lshl_add_u64 v[2:3], v[2:3], 3, s[18:19]
	s_lshl_b64 s[18:19], s[0:1], 11
	v_cmp_ne_u32_e64 s[0:1], 1, v1
	v_cndmask_b32_e64 v1, 0, 1, s[4:5]
	v_cmp_ne_u32_e64 s[2:3], 1, v1
	v_cndmask_b32_e64 v1, 0, 1, s[20:21]
	s_mov_b32 s11, 0
	s_mov_b32 s24, s13
	v_cmp_ne_u32_e64 s[4:5], 1, v1
	s_mov_b32 s26, 0
	s_branch .LBB325_29
.LBB325_27:                             ;   in Loop: Header=BB325_29 Depth=1
	global_store_dwordx2 v[4:5], v[6:7], off
.LBB325_28:                             ;   in Loop: Header=BB325_29 Depth=1
	s_or_b64 exec, exec, s[20:21]
	s_addk_i32 s26, 0x100
	s_cmp_ge_i32 s26, s9
	v_lshl_add_u64 v[2:3], v[2:3], 0, s[18:19]
	s_cbranch_scc1 .LBB325_40
.LBB325_29:                             ; =>This Loop Header: Depth=1
                                        ;     Child Loop BB325_35 Depth 2
                                        ;     Child Loop BB325_39 Depth 2
	v_add_u32_e32 v1, s26, v0
	v_cmp_gt_i32_e32 vcc, s9, v1
	s_and_saveexec_b64 s[20:21], vcc
	s_cbranch_execz .LBB325_28
; %bb.30:                               ;   in Loop: Header=BB325_29 Depth=1
	v_mad_u64_u32 v[4:5], s[22:23], v1, s14, 0
	v_mov_b32_e32 v6, v5
	v_mad_u64_u32 v[6:7], s[22:23], v1, s15, v[6:7]
	v_mov_b32_e32 v5, v6
	s_and_b64 vcc, exec, s[0:1]
	v_mov_b32_e32 v6, 0
	v_lshl_add_u64 v[4:5], v[4:5], 3, s[6:7]
	v_mov_b32_e32 v7, 0
	s_cbranch_vccnz .LBB325_32
; %bb.31:                               ;   in Loop: Header=BB325_29 Depth=1
	global_load_dwordx2 v[8:9], v[4:5], off
	s_waitcnt vmcnt(0)
	v_pk_mul_f32 v[10:11], s[12:13], v[8:9]
	v_mul_f32_e32 v7, s24, v8
	v_sub_f32_e32 v6, v10, v11
	v_fmac_f32_e32 v7, s12, v9
.LBB325_32:                             ;   in Loop: Header=BB325_29 Depth=1
	s_and_b64 vcc, exec, s[2:3]
	s_cbranch_vccnz .LBB325_27
; %bb.33:                               ;   in Loop: Header=BB325_29 Depth=1
	s_mov_b32 s10, 0
	s_and_b64 vcc, exec, s[4:5]
	s_cbranch_vccnz .LBB325_37
; %bb.34:                               ;   in Loop: Header=BB325_29 Depth=1
	s_mov_b32 s22, 0
	v_mov_b64_e32 v[8:9], v[2:3]
.LBB325_35:                             ;   Parent Loop BB325_29 Depth=1
                                        ; =>  This Inner Loop Header: Depth=2
	flat_load_dwordx4 v[10:13], v[8:9]
	flat_load_dwordx4 v[14:17], v[8:9] offset:16
	flat_load_dwordx4 v[18:21], v[8:9] offset:32
	;; [unrolled: 1-line block ×3, first 2 shown]
	v_mov_b32_e32 v1, s10
	ds_read_b128 v[26:29], v1
	ds_read_b128 v[30:33], v1 offset:16
	ds_read_b128 v[34:37], v1 offset:32
	;; [unrolled: 1-line block ×3, first 2 shown]
	s_add_i32 s22, s22, 8
	s_add_i32 s10, s10, 64
	v_lshl_add_u64 v[8:9], v[8:9], 0, 64
	s_cmp_eq_u32 s8, s22
	s_waitcnt vmcnt(0) lgkmcnt(0)
	v_mul_f32_e32 v1, v11, v27
	v_mul_f32_e32 v11, v11, v26
	;; [unrolled: 1-line block ×4, first 2 shown]
	v_fmac_f32_e32 v1, v10, v26
	v_fma_f32 v10, v10, v27, -v11
	v_mul_f32_e32 v43, v15, v31
	v_mul_f32_e32 v15, v15, v30
	v_fmac_f32_e32 v42, v12, v28
	v_fma_f32 v11, v12, v29, -v13
	v_add_f32_e32 v1, v6, v1
	v_add_f32_e32 v6, v7, v10
	v_mul_f32_e32 v44, v17, v33
	v_mul_f32_e32 v17, v17, v32
	v_fmac_f32_e32 v43, v14, v30
	v_fma_f32 v12, v14, v31, -v15
	v_add_f32_e32 v1, v1, v42
	v_add_f32_e32 v6, v6, v11
	v_mul_f32_e32 v45, v19, v35
	v_mul_f32_e32 v19, v19, v34
	v_fmac_f32_e32 v44, v16, v32
	v_fma_f32 v13, v16, v33, -v17
	v_add_f32_e32 v1, v1, v43
	v_add_f32_e32 v6, v6, v12
	v_mul_f32_e32 v46, v21, v37
	v_mul_f32_e32 v21, v21, v36
	v_fmac_f32_e32 v45, v18, v34
	v_fma_f32 v14, v18, v35, -v19
	v_add_f32_e32 v1, v1, v44
	v_add_f32_e32 v6, v6, v13
	v_mul_f32_e32 v47, v23, v39
	v_mul_f32_e32 v23, v23, v38
	v_fmac_f32_e32 v46, v20, v36
	v_fma_f32 v15, v20, v37, -v21
	v_add_f32_e32 v1, v1, v45
	v_add_f32_e32 v6, v6, v14
	v_mul_f32_e32 v48, v25, v41
	v_mul_f32_e32 v25, v25, v40
	v_fmac_f32_e32 v47, v22, v38
	v_fma_f32 v16, v22, v39, -v23
	v_add_f32_e32 v1, v1, v46
	v_add_f32_e32 v6, v6, v15
	v_fmac_f32_e32 v48, v24, v40
	v_fma_f32 v17, v24, v41, -v25
	v_add_f32_e32 v1, v1, v47
	v_add_f32_e32 v7, v6, v16
	;; [unrolled: 1-line block ×4, first 2 shown]
	s_cbranch_scc0 .LBB325_35
; %bb.36:                               ;   in Loop: Header=BB325_29 Depth=1
	s_mov_b32 s10, s8
.LBB325_37:                             ;   in Loop: Header=BB325_29 Depth=1
	s_andn2_b64 vcc, exec, s[16:17]
	s_cbranch_vccnz .LBB325_27
; %bb.38:                               ;   in Loop: Header=BB325_29 Depth=1
	s_lshl_b32 s27, s10, 3
	s_lshl_b64 s[22:23], s[10:11], 3
	s_mov_b32 s10, s25
.LBB325_39:                             ;   Parent Loop BB325_29 Depth=1
                                        ; =>  This Inner Loop Header: Depth=2
	v_lshl_add_u64 v[8:9], v[2:3], 0, s[22:23]
	flat_load_dwordx2 v[8:9], v[8:9]
	v_mov_b32_e32 v1, s27
	ds_read_b64 v[10:11], v1
	s_add_i32 s27, s27, 8
	s_add_u32 s22, s22, 8
	s_addc_u32 s23, s23, 0
	s_add_i32 s10, s10, -1
	s_cmp_lg_u32 s10, 0
	s_waitcnt vmcnt(0) lgkmcnt(0)
	v_mul_f32_e32 v1, v9, v11
	v_mul_f32_e32 v9, v9, v10
	v_fmac_f32_e32 v1, v8, v10
	v_fma_f32 v8, v8, v11, -v9
	v_add_f32_e32 v6, v6, v1
	v_add_f32_e32 v7, v7, v8
	s_cbranch_scc1 .LBB325_39
	s_branch .LBB325_27
.LBB325_40:
	s_endpgm
	.section	.rodata,"a",@progbits
	.p2align	6, 0x0
	.amdhsa_kernel _ZL22rocblas_gemvtsm_kernelILb1ELi256EPK19rocblas_complex_numIfES1_KPS1_EviiT2_lPKT1_lilS9_lilS6_lPT3_lil
		.amdhsa_group_segment_fixed_size 512
		.amdhsa_private_segment_fixed_size 0
		.amdhsa_kernarg_size 136
		.amdhsa_user_sgpr_count 2
		.amdhsa_user_sgpr_dispatch_ptr 0
		.amdhsa_user_sgpr_queue_ptr 0
		.amdhsa_user_sgpr_kernarg_segment_ptr 1
		.amdhsa_user_sgpr_dispatch_id 0
		.amdhsa_user_sgpr_kernarg_preload_length 0
		.amdhsa_user_sgpr_kernarg_preload_offset 0
		.amdhsa_user_sgpr_private_segment_size 0
		.amdhsa_uses_dynamic_stack 0
		.amdhsa_enable_private_segment 0
		.amdhsa_system_sgpr_workgroup_id_x 1
		.amdhsa_system_sgpr_workgroup_id_y 0
		.amdhsa_system_sgpr_workgroup_id_z 0
		.amdhsa_system_sgpr_workgroup_info 0
		.amdhsa_system_vgpr_workitem_id 0
		.amdhsa_next_free_vgpr 49
		.amdhsa_next_free_sgpr 28
		.amdhsa_accum_offset 52
		.amdhsa_reserve_vcc 1
		.amdhsa_float_round_mode_32 0
		.amdhsa_float_round_mode_16_64 0
		.amdhsa_float_denorm_mode_32 3
		.amdhsa_float_denorm_mode_16_64 3
		.amdhsa_dx10_clamp 1
		.amdhsa_ieee_mode 1
		.amdhsa_fp16_overflow 0
		.amdhsa_tg_split 0
		.amdhsa_exception_fp_ieee_invalid_op 0
		.amdhsa_exception_fp_denorm_src 0
		.amdhsa_exception_fp_ieee_div_zero 0
		.amdhsa_exception_fp_ieee_overflow 0
		.amdhsa_exception_fp_ieee_underflow 0
		.amdhsa_exception_fp_ieee_inexact 0
		.amdhsa_exception_int_div_zero 0
	.end_amdhsa_kernel
	.section	.text._ZL22rocblas_gemvtsm_kernelILb1ELi256EPK19rocblas_complex_numIfES1_KPS1_EviiT2_lPKT1_lilS9_lilS6_lPT3_lil,"axG",@progbits,_ZL22rocblas_gemvtsm_kernelILb1ELi256EPK19rocblas_complex_numIfES1_KPS1_EviiT2_lPKT1_lilS9_lilS6_lPT3_lil,comdat
.Lfunc_end325:
	.size	_ZL22rocblas_gemvtsm_kernelILb1ELi256EPK19rocblas_complex_numIfES1_KPS1_EviiT2_lPKT1_lilS9_lilS6_lPT3_lil, .Lfunc_end325-_ZL22rocblas_gemvtsm_kernelILb1ELi256EPK19rocblas_complex_numIfES1_KPS1_EviiT2_lPKT1_lilS9_lilS6_lPT3_lil
                                        ; -- End function
	.section	.AMDGPU.csdata,"",@progbits
; Kernel info:
; codeLenInByte = 1480
; NumSgprs: 34
; NumVgprs: 49
; NumAgprs: 0
; TotalNumVgprs: 49
; ScratchSize: 0
; MemoryBound: 0
; FloatMode: 240
; IeeeMode: 1
; LDSByteSize: 512 bytes/workgroup (compile time only)
; SGPRBlocks: 4
; VGPRBlocks: 6
; NumSGPRsForWavesPerEU: 34
; NumVGPRsForWavesPerEU: 49
; AccumOffset: 52
; Occupancy: 8
; WaveLimiterHint : 1
; COMPUTE_PGM_RSRC2:SCRATCH_EN: 0
; COMPUTE_PGM_RSRC2:USER_SGPR: 2
; COMPUTE_PGM_RSRC2:TRAP_HANDLER: 0
; COMPUTE_PGM_RSRC2:TGID_X_EN: 1
; COMPUTE_PGM_RSRC2:TGID_Y_EN: 0
; COMPUTE_PGM_RSRC2:TGID_Z_EN: 0
; COMPUTE_PGM_RSRC2:TIDIG_COMP_CNT: 0
; COMPUTE_PGM_RSRC3_GFX90A:ACCUM_OFFSET: 12
; COMPUTE_PGM_RSRC3_GFX90A:TG_SPLIT: 0
	.section	.text._ZL23rocblas_gemvt_sn_kernelILb1ELi256ELi4EiPK19rocblas_complex_numIfES3_S1_EviiT4_lPKT3_lilS7_lilPT5_i,"axG",@progbits,_ZL23rocblas_gemvt_sn_kernelILb1ELi256ELi4EiPK19rocblas_complex_numIfES3_S1_EviiT4_lPKT3_lilS7_lilPT5_i,comdat
	.globl	_ZL23rocblas_gemvt_sn_kernelILb1ELi256ELi4EiPK19rocblas_complex_numIfES3_S1_EviiT4_lPKT3_lilS7_lilPT5_i ; -- Begin function _ZL23rocblas_gemvt_sn_kernelILb1ELi256ELi4EiPK19rocblas_complex_numIfES3_S1_EviiT4_lPKT3_lilS7_lilPT5_i
	.p2align	8
	.type	_ZL23rocblas_gemvt_sn_kernelILb1ELi256ELi4EiPK19rocblas_complex_numIfES3_S1_EviiT4_lPKT3_lilS7_lilPT5_i,@function
_ZL23rocblas_gemvt_sn_kernelILb1ELi256ELi4EiPK19rocblas_complex_numIfES3_S1_EviiT4_lPKT3_lilS7_lilPT5_i: ; @_ZL23rocblas_gemvt_sn_kernelILb1ELi256ELi4EiPK19rocblas_complex_numIfES3_S1_EviiT4_lPKT3_lilS7_lilPT5_i
; %bb.0:
	s_load_dwordx8 s[4:11], s[0:1], 0x8
	s_mov_b32 s12, s3
	s_mov_b32 s13, 0
	s_mov_b64 s[16:17], 0
	s_waitcnt lgkmcnt(0)
	s_mul_i32 s3, s3, s7
	s_mul_hi_u32 s7, s12, s6
	s_add_i32 s7, s7, s3
	s_mul_i32 s6, s12, s6
	s_lshl_b64 s[6:7], s[6:7], 3
	s_add_u32 s4, s4, s6
	s_addc_u32 s5, s5, s7
	s_load_dwordx2 s[14:15], s[4:5], 0x0
	s_mov_b64 s[6:7], 0
	s_waitcnt lgkmcnt(0)
	s_or_b32 s3, s14, s15
	s_bitset0_b32 s3, 31
	s_cmp_lg_u32 s3, 0
	s_cselect_b64 s[18:19], -1, 0
	s_cmp_eq_u32 s3, 0
	s_cselect_b64 s[4:5], -1, 0
	s_and_b64 vcc, exec, s[4:5]
	s_cbranch_vccnz .LBB326_2
; %bb.1:
	s_lshl_b64 s[6:7], s[12:13], 3
	s_add_u32 s6, s8, s6
	s_addc_u32 s7, s9, s7
	s_load_dwordx2 s[6:7], s[6:7], 0x0
	s_lshl_b64 s[8:9], s[10:11], 3
	s_waitcnt lgkmcnt(0)
	s_add_u32 s6, s6, s8
	s_addc_u32 s7, s7, s9
.LBB326_2:
	s_andn2_b64 vcc, exec, s[18:19]
	s_cbranch_vccnz .LBB326_4
; %bb.3:
	s_load_dwordx4 s[8:11], s[0:1], 0x38
	s_lshl_b64 s[16:17], s[12:13], 3
	s_waitcnt lgkmcnt(0)
	s_add_u32 s8, s8, s16
	s_addc_u32 s9, s9, s17
	s_load_dwordx2 s[8:9], s[8:9], 0x0
	s_lshl_b64 s[10:11], s[10:11], 3
	s_waitcnt lgkmcnt(0)
	s_add_u32 s16, s8, s10
	s_addc_u32 s17, s9, s11
.LBB326_4:
	s_load_dwordx2 s[18:19], s[0:1], 0x0
	s_load_dwordx2 s[8:9], s[0:1], 0x58
	s_load_dword s20, s[0:1], 0x68
	s_mov_b32 s21, 0
	s_waitcnt lgkmcnt(0)
	s_ashr_i32 s26, s19, 31
	s_mul_hi_u32 s3, s19, s12
	s_mul_i32 s10, s26, s12
	s_add_i32 s11, s3, s10
	s_mul_i32 s10, s19, s12
	s_mul_i32 s3, s11, s20
	s_mul_hi_u32 s12, s10, s20
	s_add_i32 s13, s12, s3
	s_mul_i32 s12, s10, s20
	s_lshl_b64 s[12:13], s[12:13], 3
	s_add_u32 s43, s8, s12
	s_addc_u32 s44, s9, s13
	s_mov_b64 s[12:13], -1
	s_andn2_b64 vcc, exec, s[4:5]
	v_cmp_eq_u32_e64 s[4:5], 0, v0
	s_cbranch_vccnz .LBB326_14
; %bb.5:
	s_cmp_gt_i32 s19, 0
	s_cselect_b64 s[12:13], -1, 0
	s_and_b64 s[12:13], s[4:5], s[12:13]
	s_and_saveexec_b64 s[4:5], s[12:13]
	s_cbranch_execz .LBB326_13
; %bb.6:
	s_cmp_gt_u32 s19, 3
	s_cselect_b64 s[12:13], -1, 0
	s_cmp_eq_u32 s20, 1
	s_cselect_b64 s[28:29], -1, 0
	s_mov_b32 s3, 0
	s_and_b64 s[12:13], s[12:13], s[28:29]
	s_mov_b32 s22, 1
	s_mov_b64 s[24:25], -1
	s_andn2_b64 vcc, exec, s[12:13]
	s_mov_b32 s12, s3
	s_cbranch_vccnz .LBB326_10
; %bb.7:
	s_lshl_b64 s[24:25], s[2:3], 3
	s_add_u32 s13, s43, s24
	s_addc_u32 s27, s44, s25
	s_mov_b32 s25, 0
	s_and_b32 s12, s19, 0x7ffffffc
	s_mov_b32 s24, s25
	v_mov_b32_e32 v1, 0
	v_mov_b64_e32 v[2:3], s[24:25]
	s_mov_b32 s28, s12
.LBB326_8:                              ; =>This Inner Loop Header: Depth=1
	s_add_i32 s30, s22, 2
	s_add_i32 s34, s24, 2
	s_lshl_b64 s[36:37], s[24:25], 3
	s_mov_b32 s23, s25
	s_add_u32 s36, s13, s36
	s_addc_u32 s37, s27, s37
	s_lshl_b64 s[38:39], s[22:23], 3
	s_mov_b32 s35, s25
	s_add_u32 s38, s13, s38
	s_addc_u32 s39, s27, s39
	s_lshl_b64 s[34:35], s[34:35], 3
	s_mov_b32 s31, s25
	s_add_u32 s34, s13, s34
	s_addc_u32 s35, s27, s35
	s_lshl_b64 s[30:31], s[30:31], 3
	s_add_u32 s30, s13, s30
	s_addc_u32 s31, s27, s31
	s_add_i32 s24, s24, 4
	s_add_i32 s22, s22, 4
	s_add_i32 s28, s28, -4
	s_cmp_lg_u32 s28, 0
	global_store_dwordx2 v1, v[2:3], s[36:37]
	global_store_dwordx2 v1, v[2:3], s[38:39]
	;; [unrolled: 1-line block ×4, first 2 shown]
	s_cbranch_scc1 .LBB326_8
; %bb.9:
	s_cmp_lg_u32 s12, s19
	s_cselect_b64 s[24:25], -1, 0
.LBB326_10:
	s_and_b64 vcc, exec, s[24:25]
	s_cbranch_vccz .LBB326_13
; %bb.11:
	s_mov_b32 s13, 0
	s_sub_i32 s22, s19, s12
	s_lshl_b64 s[10:11], s[10:11], 3
	s_lshl_b64 s[12:13], s[12:13], 3
	s_add_u32 s10, s10, s12
	s_addc_u32 s11, s11, s13
	s_mul_i32 s11, s11, s20
	s_mul_hi_u32 s12, s10, s20
	s_add_i32 s12, s12, s11
	s_mul_i32 s13, s10, s20
	s_lshl_b64 s[10:11], s[2:3], 3
	s_add_u32 s3, s13, s10
	s_addc_u32 s10, s12, s11
	s_add_u32 s8, s8, s3
	v_mov_b32_e32 v2, 0
	s_addc_u32 s9, s9, s10
	s_lshl_b64 s[10:11], s[20:21], 3
	v_mov_b32_e32 v3, v2
.LBB326_12:                             ; =>This Inner Loop Header: Depth=1
	s_add_i32 s22, s22, -1
	global_store_dwordx2 v2, v[2:3], s[8:9]
	s_add_u32 s8, s8, s10
	s_addc_u32 s9, s9, s11
	s_cmp_eq_u32 s22, 0
	s_cbranch_scc0 .LBB326_12
.LBB326_13:
	s_or_b64 exec, exec, s[4:5]
	s_mov_b64 s[12:13], 0
.LBB326_14:
	s_andn2_b64 vcc, exec, s[12:13]
	s_cbranch_vccnz .LBB326_85
; %bb.15:
	s_load_dword s21, s[0:1], 0x28
	s_load_dword s27, s[0:1], 0x48
	s_lshl_b32 s0, s2, 10
	v_lshl_or_b32 v2, v0, 2, s0
	s_lshr_b32 s0, s26, 30
	s_add_i32 s0, s19, s0
	s_and_b32 s3, s0, -4
	s_ashr_i32 s0, s18, 31
	s_lshr_b32 s0, s0, 30
	s_add_i32 s0, s18, s0
	s_and_b32 s0, s0, -4
	v_ashrrev_i32_e32 v3, 31, v2
	s_sub_i32 s33, s18, s0
	v_lshl_add_u64 v[14:15], v[2:3], 3, s[6:7]
	s_cmp_lt_i32 s3, 1
	v_add_u32_e32 v37, 4, v2
	v_add_u32_e32 v38, s33, v2
	v_and_b32_e32 v1, 63, v0
	v_cmp_gt_u32_e64 s[0:1], 64, v0
	v_mbcnt_lo_u32_b32 v36, -1, 0
	v_cmp_gt_u32_e64 s[4:5], 4, v0
	v_lshrrev_b32_e32 v17, 3, v0
	s_waitcnt lgkmcnt(0)
	v_mul_lo_u32 v16, v2, s27
	s_cbranch_scc1 .LBB326_62
; %bb.16:
	v_mbcnt_hi_u32_b32 v3, -1, v36
	v_and_b32_e32 v4, 63, v3
	v_cmp_gt_u32_e32 vcc, 32, v4
	v_mul_lo_u32 v18, v2, s27
	v_add_u32_e32 v2, s27, v18
	v_cndmask_b32_e64 v5, 0, 1, vcc
	v_lshlrev_b32_e32 v5, 5, v5
	v_cmp_gt_u32_e32 vcc, 48, v4
	v_add_lshl_u32 v39, v5, v3, 2
	s_cmp_gt_i32 s33, 0
	v_cndmask_b32_e64 v5, 0, 1, vcc
	v_lshlrev_b32_e32 v5, 4, v5
	v_cmp_gt_u32_e32 vcc, 56, v4
	v_add_lshl_u32 v40, v5, v3, 2
	v_ashrrev_i32_e32 v19, 31, v18
	v_cndmask_b32_e64 v5, 0, 1, vcc
	v_lshlrev_b32_e32 v5, 3, v5
	v_cmp_gt_u32_e32 vcc, 60, v4
	v_add_lshl_u32 v41, v5, v3, 2
	v_cmp_ge_i32_e64 s[6:7], s18, v37
	v_cndmask_b32_e64 v5, 0, 1, vcc
	v_lshlrev_b32_e32 v5, 2, v5
	v_cmp_gt_u32_e32 vcc, 62, v4
	v_add_lshl_u32 v42, v5, v3, 2
	v_cmp_ge_i32_e64 s[8:9], s18, v38
	v_cndmask_b32_e64 v5, 0, 1, vcc
	v_lshlrev_b32_e32 v5, 1, v5
	v_cmp_ne_u32_e32 vcc, 63, v4
	v_add_lshl_u32 v43, v5, v3, 2
	s_mov_b32 s22, 0
	v_addc_co_u32_e32 v3, vcc, 0, v3, vcc
	v_lshlrev_b32_e32 v44, 2, v3
	v_ashrrev_i32_e32 v3, 31, v2
	v_lshl_add_u64 v[22:23], v[2:3], 3, s[16:17]
	v_add_u32_e32 v2, s27, v2
	v_ashrrev_i32_e32 v3, 31, v2
	v_lshl_add_u64 v[24:25], v[2:3], 3, s[16:17]
	v_add_u32_e32 v2, s27, v2
	v_ashrrev_i32_e32 v3, 31, v2
	s_cselect_b64 s[24:25], -1, 0
	v_cmp_eq_u32_e64 s[10:11], 0, v1
	v_lshlrev_b32_e32 v45, 3, v1
	v_and_b32_e32 v46, 24, v17
	v_cmp_eq_u32_e64 s[12:13], 0, v0
	v_lshl_add_u64 v[20:21], v[18:19], 3, s[16:17]
	v_lshl_add_u64 v[26:27], v[2:3], 3, s[16:17]
	s_mov_b32 s26, s15
	s_lshl_b32 s45, s21, 2
	s_lshl_b32 s46, s21, 1
	s_mul_i32 s47, s21, 3
	v_mov_b32_e32 v28, 0
	s_mov_b32 s28, 0
	s_mov_b32 s48, s21
	;; [unrolled: 1-line block ×3, first 2 shown]
	s_branch .LBB326_18
.LBB326_17:                             ;   in Loop: Header=BB326_18 Depth=1
	s_or_b64 exec, exec, s[30:31]
	s_add_i32 s42, s42, 4
	s_add_i32 s48, s48, s45
	;; [unrolled: 1-line block ×5, first 2 shown]
	s_cmp_ge_i32 s42, s3
	s_cbranch_scc1 .LBB326_63
.LBB326_18:                             ; =>This Loop Header: Depth=1
                                        ;     Child Loop BB326_49 Depth 2
                                        ;     Child Loop BB326_51 Depth 2
                                        ; implicit-def: $vgpr13
                                        ; implicit-def: $vgpr11
                                        ; implicit-def: $vgpr7
                                        ; implicit-def: $vgpr3
	s_and_saveexec_b64 s[30:31], s[6:7]
	s_xor_b64 s[30:31], exec, s[30:31]
	s_cbranch_execnz .LBB326_45
; %bb.19:                               ;   in Loop: Header=BB326_18 Depth=1
	s_andn2_saveexec_b64 s[30:31], s[30:31]
	s_cbranch_execnz .LBB326_46
.LBB326_20:                             ;   in Loop: Header=BB326_18 Depth=1
	s_or_b64 exec, exec, s[30:31]
	s_and_saveexec_b64 s[30:31], s[0:1]
	s_cbranch_execz .LBB326_22
.LBB326_21:                             ;   in Loop: Header=BB326_18 Depth=1
	v_mov_b32_e32 v29, v28
	ds_write_b64 v45, v[28:29]
.LBB326_22:                             ;   in Loop: Header=BB326_18 Depth=1
	s_or_b64 exec, exec, s[30:31]
	ds_bpermute_b32 v4, v39, v12
	ds_bpermute_b32 v5, v39, v13
	s_waitcnt lgkmcnt(0)
	s_barrier
	v_pk_add_f32 v[4:5], v[12:13], v[4:5]
	ds_bpermute_b32 v8, v40, v4
	ds_bpermute_b32 v9, v40, v5
	s_waitcnt lgkmcnt(0)
	v_pk_add_f32 v[4:5], v[4:5], v[8:9]
	ds_bpermute_b32 v8, v41, v4
	ds_bpermute_b32 v9, v41, v5
	s_waitcnt lgkmcnt(0)
	;; [unrolled: 4-line block ×4, first 2 shown]
	v_pk_add_f32 v[4:5], v[4:5], v[8:9]
	ds_bpermute_b32 v8, v44, v4
	ds_bpermute_b32 v9, v44, v5
	s_and_saveexec_b64 s[30:31], s[10:11]
	s_cbranch_execz .LBB326_24
; %bb.23:                               ;   in Loop: Header=BB326_18 Depth=1
	s_waitcnt lgkmcnt(0)
	v_pk_add_f32 v[4:5], v[4:5], v[8:9]
	ds_write_b64 v46, v[4:5]
.LBB326_24:                             ;   in Loop: Header=BB326_18 Depth=1
	s_or_b64 exec, exec, s[30:31]
	s_mov_b32 s23, s22
	v_mov_b64_e32 v[4:5], s[22:23]
	s_waitcnt lgkmcnt(0)
	s_barrier
	s_and_saveexec_b64 s[30:31], s[4:5]
	s_cbranch_execnz .LBB326_53
; %bb.25:                               ;   in Loop: Header=BB326_18 Depth=1
	s_or_b64 exec, exec, s[30:31]
	s_and_saveexec_b64 s[30:31], s[0:1]
	s_cbranch_execnz .LBB326_54
.LBB326_26:                             ;   in Loop: Header=BB326_18 Depth=1
	s_or_b64 exec, exec, s[30:31]
	s_and_saveexec_b64 s[30:31], s[0:1]
	s_cbranch_execz .LBB326_28
.LBB326_27:                             ;   in Loop: Header=BB326_18 Depth=1
	v_mov_b32_e32 v29, v28
	ds_write_b64 v45, v[28:29]
.LBB326_28:                             ;   in Loop: Header=BB326_18 Depth=1
	s_or_b64 exec, exec, s[30:31]
	ds_bpermute_b32 v8, v39, v10
	ds_bpermute_b32 v9, v39, v11
	s_waitcnt lgkmcnt(0)
	s_barrier
	v_pk_add_f32 v[8:9], v[10:11], v[8:9]
	ds_bpermute_b32 v10, v40, v8
	ds_bpermute_b32 v11, v40, v9
	s_waitcnt lgkmcnt(0)
	v_pk_add_f32 v[8:9], v[8:9], v[10:11]
	ds_bpermute_b32 v10, v41, v8
	ds_bpermute_b32 v11, v41, v9
	s_waitcnt lgkmcnt(0)
	;; [unrolled: 4-line block ×4, first 2 shown]
	v_pk_add_f32 v[8:9], v[8:9], v[10:11]
	ds_bpermute_b32 v10, v44, v8
	ds_bpermute_b32 v11, v44, v9
	s_and_saveexec_b64 s[30:31], s[10:11]
	s_cbranch_execz .LBB326_30
; %bb.29:                               ;   in Loop: Header=BB326_18 Depth=1
	s_waitcnt lgkmcnt(0)
	v_pk_add_f32 v[8:9], v[8:9], v[10:11]
	ds_write_b64 v46, v[8:9]
.LBB326_30:                             ;   in Loop: Header=BB326_18 Depth=1
	s_or_b64 exec, exec, s[30:31]
	s_mov_b32 s23, s22
	v_mov_b64_e32 v[8:9], s[22:23]
	s_waitcnt lgkmcnt(0)
	s_barrier
	s_and_saveexec_b64 s[30:31], s[4:5]
	s_cbranch_execnz .LBB326_55
; %bb.31:                               ;   in Loop: Header=BB326_18 Depth=1
	s_or_b64 exec, exec, s[30:31]
	s_and_saveexec_b64 s[30:31], s[0:1]
	s_cbranch_execnz .LBB326_56
.LBB326_32:                             ;   in Loop: Header=BB326_18 Depth=1
	s_or_b64 exec, exec, s[30:31]
	s_and_saveexec_b64 s[30:31], s[0:1]
	s_cbranch_execz .LBB326_34
.LBB326_33:                             ;   in Loop: Header=BB326_18 Depth=1
	v_mov_b32_e32 v29, v28
	ds_write_b64 v45, v[28:29]
.LBB326_34:                             ;   in Loop: Header=BB326_18 Depth=1
	s_or_b64 exec, exec, s[30:31]
	ds_bpermute_b32 v10, v39, v6
	ds_bpermute_b32 v11, v39, v7
	s_waitcnt lgkmcnt(0)
	s_barrier
	v_pk_add_f32 v[6:7], v[6:7], v[10:11]
	ds_bpermute_b32 v10, v40, v6
	ds_bpermute_b32 v11, v40, v7
	s_waitcnt lgkmcnt(0)
	v_pk_add_f32 v[6:7], v[6:7], v[10:11]
	ds_bpermute_b32 v10, v41, v6
	ds_bpermute_b32 v11, v41, v7
	s_waitcnt lgkmcnt(0)
	;; [unrolled: 4-line block ×4, first 2 shown]
	v_pk_add_f32 v[6:7], v[6:7], v[10:11]
	ds_bpermute_b32 v10, v44, v6
	ds_bpermute_b32 v11, v44, v7
	s_and_saveexec_b64 s[30:31], s[10:11]
	s_cbranch_execz .LBB326_36
; %bb.35:                               ;   in Loop: Header=BB326_18 Depth=1
	s_waitcnt lgkmcnt(0)
	v_pk_add_f32 v[6:7], v[6:7], v[10:11]
	ds_write_b64 v46, v[6:7]
.LBB326_36:                             ;   in Loop: Header=BB326_18 Depth=1
	s_or_b64 exec, exec, s[30:31]
	s_mov_b32 s23, s22
	v_mov_b64_e32 v[6:7], s[22:23]
	s_waitcnt lgkmcnt(0)
	s_barrier
	s_and_saveexec_b64 s[30:31], s[4:5]
	s_cbranch_execnz .LBB326_57
; %bb.37:                               ;   in Loop: Header=BB326_18 Depth=1
	s_or_b64 exec, exec, s[30:31]
	s_and_saveexec_b64 s[30:31], s[0:1]
	s_cbranch_execnz .LBB326_58
.LBB326_38:                             ;   in Loop: Header=BB326_18 Depth=1
	s_or_b64 exec, exec, s[30:31]
	s_and_saveexec_b64 s[30:31], s[0:1]
	s_cbranch_execz .LBB326_40
.LBB326_39:                             ;   in Loop: Header=BB326_18 Depth=1
	v_mov_b32_e32 v29, v28
	ds_write_b64 v45, v[28:29]
.LBB326_40:                             ;   in Loop: Header=BB326_18 Depth=1
	s_or_b64 exec, exec, s[30:31]
	ds_bpermute_b32 v10, v39, v2
	ds_bpermute_b32 v11, v39, v3
	s_waitcnt lgkmcnt(0)
	s_barrier
	v_pk_add_f32 v[2:3], v[2:3], v[10:11]
	ds_bpermute_b32 v10, v40, v2
	ds_bpermute_b32 v11, v40, v3
	s_waitcnt lgkmcnt(0)
	v_pk_add_f32 v[2:3], v[2:3], v[10:11]
	ds_bpermute_b32 v10, v41, v2
	ds_bpermute_b32 v11, v41, v3
	s_waitcnt lgkmcnt(0)
	;; [unrolled: 4-line block ×4, first 2 shown]
	v_pk_add_f32 v[2:3], v[2:3], v[10:11]
	ds_bpermute_b32 v10, v44, v2
	ds_bpermute_b32 v11, v44, v3
	s_and_saveexec_b64 s[30:31], s[10:11]
	s_cbranch_execz .LBB326_42
; %bb.41:                               ;   in Loop: Header=BB326_18 Depth=1
	s_waitcnt lgkmcnt(0)
	v_pk_add_f32 v[2:3], v[2:3], v[10:11]
	ds_write_b64 v46, v[2:3]
.LBB326_42:                             ;   in Loop: Header=BB326_18 Depth=1
	s_or_b64 exec, exec, s[30:31]
	s_mov_b32 s23, s22
	v_mov_b64_e32 v[2:3], s[22:23]
	s_waitcnt lgkmcnt(0)
	s_barrier
	s_and_saveexec_b64 s[30:31], s[4:5]
	s_cbranch_execnz .LBB326_59
; %bb.43:                               ;   in Loop: Header=BB326_18 Depth=1
	s_or_b64 exec, exec, s[30:31]
	s_and_saveexec_b64 s[30:31], s[0:1]
	s_cbranch_execnz .LBB326_60
.LBB326_44:                             ;   in Loop: Header=BB326_18 Depth=1
	s_or_b64 exec, exec, s[30:31]
	s_and_saveexec_b64 s[30:31], s[12:13]
	s_cbranch_execz .LBB326_17
	s_branch .LBB326_61
.LBB326_45:                             ;   in Loop: Header=BB326_18 Depth=1
	s_mul_i32 s34, s42, s21
	s_ashr_i32 s35, s34, 31
	v_lshl_add_u64 v[68:69], s[34:35], 3, v[14:15]
	s_add_i32 s34, s34, s21
	flat_load_dwordx2 v[48:49], v[20:21]
	flat_load_dwordx2 v[50:51], v[22:23]
	flat_load_dwordx4 v[32:35], v[68:69]
	s_ashr_i32 s35, s34, 31
	v_lshl_add_u64 v[70:71], s[34:35], 3, v[14:15]
	s_add_i32 s34, s34, s21
	flat_load_dwordx4 v[52:55], v[70:71]
	s_ashr_i32 s35, s34, 31
	v_lshl_add_u64 v[30:31], s[34:35], 3, v[14:15]
	flat_load_dwordx4 v[56:59], v[30:31]
	s_add_i32 s34, s34, s21
	s_ashr_i32 s35, s34, 31
	v_lshl_add_u64 v[72:73], s[34:35], 3, v[14:15]
	flat_load_dwordx4 v[60:63], v[72:73]
	s_waitcnt lgkmcnt(0)
	flat_load_dwordx2 v[2:3], v[24:25]
	flat_load_dwordx4 v[64:67], v[68:69] offset:16
	flat_load_dwordx2 v[4:5], v[26:27]
	flat_load_dwordx4 v[10:13], v[70:71] offset:16
	flat_load_dwordx4 v[6:9], v[72:73] offset:16
	s_waitcnt vmcnt(0) lgkmcnt(0)
	v_mul_f32_e32 v19, v33, v48
	v_fma_f32 v69, v32, v49, -v19
	v_mul_f32_e32 v19, v35, v50
	v_fma_f32 v71, v34, v51, -v19
	;; [unrolled: 2-line block ×4, first 2 shown]
	v_mul_f32_e32 v19, v57, v48
	v_mul_f32_e32 v68, v33, v49
	;; [unrolled: 1-line block ×5, first 2 shown]
	v_fma_f32 v35, v56, v49, -v19
	v_mul_f32_e32 v19, v59, v50
	v_fmac_f32_e32 v68, v32, v48
	v_fmac_f32_e32 v70, v34, v50
	;; [unrolled: 1-line block ×4, first 2 shown]
	v_mul_f32_e32 v34, v57, v49
	v_mul_f32_e32 v32, v59, v51
	v_fma_f32 v33, v58, v51, -v19
	v_mul_f32_e32 v52, v61, v49
	v_mul_f32_e32 v19, v61, v48
	;; [unrolled: 1-line block ×3, first 2 shown]
	scratch_store_dwordx4 off, v[48:51], off
	v_fmac_f32_e32 v34, v56, v48
	v_fmac_f32_e32 v32, v58, v50
	v_fma_f32 v53, v60, v49, -v19
	v_mul_f32_e32 v19, v63, v50
	v_fmac_f32_e32 v52, v60, v48
	v_fmac_f32_e32 v54, v62, v50
	v_pk_mul_f32 v[48:49], v[2:3], v[64:65] op_sel:[0,1]
	v_mov_b32_e32 v50, v67
	v_pk_fma_f32 v[56:57], v[2:3], v[64:65], v[48:49] op_sel:[0,0,1] op_sel_hi:[1,1,0]
	v_pk_fma_f32 v[58:59], v[2:3], v[64:65], v[48:49] op_sel:[0,0,1] op_sel_hi:[1,0,0] neg_lo:[0,0,1] neg_hi:[0,0,1]
	v_pk_mul_f32 v[48:49], v[4:5], v[50:51] op_sel_hi:[1,0]
	v_fma_f32 v55, v62, v51, -v19
	v_pk_fma_f32 v[60:61], v[4:5], v[66:67], v[48:49] op_sel:[0,0,1] op_sel_hi:[1,1,0]
	v_pk_fma_f32 v[62:63], v[4:5], v[66:67], v[48:49] op_sel:[0,0,1] op_sel_hi:[1,0,0] neg_lo:[0,0,1] neg_hi:[0,0,1]
	flat_load_dwordx4 v[48:51], v[30:31] offset:16
	v_pk_mul_f32 v[30:31], v[2:3], v[10:11] op_sel:[0,1]
	v_mov_b32_e32 v58, v13
	v_mov_b32_e32 v57, v59
	v_pk_fma_f32 v[66:67], v[2:3], v[10:11], v[30:31] op_sel:[0,0,1] op_sel_hi:[1,1,0]
	v_pk_fma_f32 v[10:11], v[2:3], v[10:11], v[30:31] op_sel:[0,0,1] op_sel_hi:[1,0,0] neg_lo:[0,0,1] neg_hi:[0,0,1]
	v_pk_mul_f32 v[30:31], v[4:5], v[58:59] op_sel_hi:[1,0]
	v_mov_b32_e32 v61, v63
	v_pk_mul_f32 v[58:59], v[2:3], v[6:7] op_sel:[0,1]
	v_pk_add_f32 v[62:63], v[72:73], 0 op_sel_hi:[1,0]
	v_mov_b32_e32 v67, v11
	v_pk_fma_f32 v[10:11], v[4:5], v[12:13], v[30:31] op_sel:[0,0,1] op_sel_hi:[1,1,0]
	v_pk_fma_f32 v[12:13], v[4:5], v[12:13], v[30:31] op_sel:[0,0,1] op_sel_hi:[1,0,0] neg_lo:[0,0,1] neg_hi:[0,0,1]
	v_pk_fma_f32 v[30:31], v[2:3], v[6:7], v[58:59] op_sel:[0,0,1] op_sel_hi:[1,1,0]
	v_pk_fma_f32 v[6:7], v[2:3], v[6:7], v[58:59] op_sel:[0,0,1] op_sel_hi:[1,0,0] neg_lo:[0,0,1] neg_hi:[0,0,1]
	v_pk_add_f32 v[58:59], v[62:63], v[74:75]
	v_mov_b32_e32 v11, v13
	v_mov_b32_e32 v31, v7
	v_pk_add_f32 v[6:7], v[58:59], v[66:67]
	scratch_store_dwordx4 off, v[2:5], off offset:16
	v_pk_add_f32 v[10:11], v[6:7], v[10:11]
	v_pk_add_f32 v[6:7], v[34:35], 0 op_sel_hi:[1,0]
	v_pk_add_f32 v[64:65], v[68:69], 0 op_sel_hi:[1,0]
	v_pk_add_f32 v[6:7], v[6:7], v[32:33]
	v_pk_add_f32 v[52:53], v[52:53], 0 op_sel_hi:[1,0]
	v_pk_add_f32 v[64:65], v[64:65], v[70:71]
	v_pk_add_f32 v[52:53], v[52:53], v[54:55]
	;; [unrolled: 1-line block ×5, first 2 shown]
	s_waitcnt vmcnt(0) lgkmcnt(0)
	v_pk_mul_f32 v[32:33], v[2:3], v[48:49] op_sel:[0,1]
	s_nop 0
	v_pk_fma_f32 v[34:35], v[2:3], v[48:49], v[32:33] op_sel:[0,0,1] op_sel_hi:[1,1,0]
	v_pk_fma_f32 v[2:3], v[2:3], v[48:49], v[32:33] op_sel:[0,0,1] op_sel_hi:[1,0,0] neg_lo:[0,0,1] neg_hi:[0,0,1]
	s_nop 0
	v_mov_b32_e32 v35, v3
	v_pk_add_f32 v[2:3], v[6:7], v[34:35]
	v_mov_b32_e32 v6, v51
	v_pk_mul_f32 v[6:7], v[4:5], v[6:7] op_sel_hi:[1,0]
	s_nop 0
	v_pk_fma_f32 v[32:33], v[4:5], v[50:51], v[6:7] op_sel:[0,0,1] op_sel_hi:[1,1,0]
	v_pk_fma_f32 v[6:7], v[4:5], v[50:51], v[6:7] op_sel:[0,0,1] op_sel_hi:[1,0,0] neg_lo:[0,0,1] neg_hi:[0,0,1]
	s_nop 0
	v_mov_b32_e32 v33, v7
	v_pk_add_f32 v[6:7], v[2:3], v[32:33]
	v_mov_b32_e32 v2, v9
	v_pk_mul_f32 v[2:3], v[4:5], v[2:3] op_sel_hi:[1,0]
	s_nop 0
	v_pk_fma_f32 v[32:33], v[4:5], v[8:9], v[2:3] op_sel:[0,0,1] op_sel_hi:[1,1,0]
	v_pk_fma_f32 v[2:3], v[4:5], v[8:9], v[2:3] op_sel:[0,0,1] op_sel_hi:[1,0,0] neg_lo:[0,0,1] neg_hi:[0,0,1]
	s_nop 0
	v_mov_b32_e32 v33, v3
	v_pk_add_f32 v[2:3], v[30:31], v[32:33]
	s_andn2_saveexec_b64 s[30:31], s[30:31]
	s_cbranch_execz .LBB326_20
.LBB326_46:                             ;   in Loop: Header=BB326_18 Depth=1
	v_mov_b32_e32 v13, 0
	v_mov_b32_e32 v12, 0
	;; [unrolled: 1-line block ×6, first 2 shown]
	s_waitcnt lgkmcnt(0)
	v_mov_b32_e32 v3, 0
	v_mov_b32_e32 v2, 0
	s_and_saveexec_b64 s[34:35], s[8:9]
	s_cbranch_execz .LBB326_52
; %bb.47:                               ;   in Loop: Header=BB326_18 Depth=1
	v_mov_b32_e32 v13, 0
	s_andn2_b64 vcc, exec, s[24:25]
	v_mov_b32_e32 v12, v13
	v_mov_b32_e32 v11, v13
	;; [unrolled: 1-line block ×7, first 2 shown]
	s_cbranch_vccnz .LBB326_52
; %bb.48:                               ;   in Loop: Header=BB326_18 Depth=1
	v_mov_b32_e32 v4, 0
	v_mov_b32_e32 v2, v18
	s_mov_b32 s23, s33
.LBB326_49:                             ;   Parent Loop BB326_18 Depth=1
                                        ; =>  This Inner Loop Header: Depth=2
	v_ashrrev_i32_e32 v3, 31, v2
	v_lshl_add_u64 v[6:7], v[2:3], 3, s[16:17]
	flat_load_dwordx2 v[6:7], v[6:7]
	s_add_i32 s23, s23, -1
	v_add_u32_e32 v2, s27, v2
	s_cmp_eq_u32 s23, 0
	s_waitcnt vmcnt(0) lgkmcnt(0)
	scratch_store_dwordx2 v4, v[6:7], off
	v_add_u32_e32 v4, 8, v4
	s_cbranch_scc0 .LBB326_49
; %bb.50:                               ;   in Loop: Header=BB326_18 Depth=1
	s_ashr_i32 s29, s28, 31
	v_mov_b32_e32 v2, 0
	v_lshl_add_u64 v[4:5], s[28:29], 3, v[14:15]
	v_mov_b32_e32 v8, 0
	s_mov_b32 s36, s47
	s_mov_b32 s38, s46
	;; [unrolled: 1-line block ×4, first 2 shown]
	v_mov_b32_e32 v3, v2
	v_mov_b32_e32 v6, v2
	;; [unrolled: 1-line block ×7, first 2 shown]
.LBB326_51:                             ;   Parent Loop BB326_18 Depth=1
                                        ; =>  This Inner Loop Header: Depth=2
	flat_load_dwordx2 v[30:31], v[4:5]
	s_ashr_i32 s41, s40, 31
	scratch_load_dwordx2 v[32:33], v8, off
	s_ashr_i32 s39, s38, 31
	s_ashr_i32 s37, s36, 31
	v_lshl_add_u64 v[34:35], s[40:41], 3, v[14:15]
	v_lshl_add_u64 v[48:49], s[38:39], 3, v[14:15]
	;; [unrolled: 1-line block ×3, first 2 shown]
	flat_load_dwordx2 v[52:53], v[34:35]
	flat_load_dwordx2 v[54:55], v[48:49]
	;; [unrolled: 1-line block ×3, first 2 shown]
	s_add_i32 s23, s23, -1
	s_add_i32 s40, s40, 1
	s_add_i32 s38, s38, 1
	;; [unrolled: 1-line block ×3, first 2 shown]
	v_add_u32_e32 v8, 8, v8
	v_lshl_add_u64 v[4:5], v[4:5], 0, 8
	s_cmp_lg_u32 s23, 0
	s_waitcnt vmcnt(0) lgkmcnt(0)
	v_pk_mul_f32 v[34:35], v[32:33], v[30:31] op_sel:[0,1]
	s_nop 0
	v_pk_fma_f32 v[48:49], v[32:33], v[30:31], v[34:35] op_sel:[0,0,1] op_sel_hi:[1,1,0]
	v_pk_fma_f32 v[30:31], v[32:33], v[30:31], v[34:35] op_sel:[0,0,1] op_sel_hi:[1,0,0] neg_lo:[0,0,1] neg_hi:[0,0,1]
	v_pk_mul_f32 v[34:35], v[32:33], v[54:55] op_sel:[0,1]
	v_mov_b32_e32 v49, v31
	v_pk_mul_f32 v[30:31], v[32:33], v[52:53] op_sel:[0,1]
	v_pk_mul_f32 v[50:51], v[32:33], v[56:57] op_sel:[0,1]
	v_pk_add_f32 v[12:13], v[12:13], v[48:49]
	v_pk_fma_f32 v[48:49], v[32:33], v[52:53], v[30:31] op_sel:[0,0,1] op_sel_hi:[1,1,0]
	v_pk_fma_f32 v[30:31], v[32:33], v[52:53], v[30:31] op_sel:[0,0,1] op_sel_hi:[1,0,0] neg_lo:[0,0,1] neg_hi:[0,0,1]
	v_pk_fma_f32 v[52:53], v[32:33], v[54:55], v[34:35] op_sel:[0,0,1] op_sel_hi:[1,1,0]
	v_pk_fma_f32 v[34:35], v[32:33], v[54:55], v[34:35] op_sel:[0,0,1] op_sel_hi:[1,0,0] neg_lo:[0,0,1] neg_hi:[0,0,1]
	;; [unrolled: 2-line block ×3, first 2 shown]
	v_mov_b32_e32 v49, v31
	v_mov_b32_e32 v53, v35
	;; [unrolled: 1-line block ×3, first 2 shown]
	v_pk_add_f32 v[10:11], v[10:11], v[48:49]
	v_pk_add_f32 v[6:7], v[6:7], v[52:53]
	;; [unrolled: 1-line block ×3, first 2 shown]
	s_cbranch_scc1 .LBB326_51
.LBB326_52:                             ;   in Loop: Header=BB326_18 Depth=1
	s_or_b64 exec, exec, s[34:35]
	s_or_b64 exec, exec, s[30:31]
	s_and_saveexec_b64 s[30:31], s[0:1]
	s_cbranch_execnz .LBB326_21
	s_branch .LBB326_22
.LBB326_53:                             ;   in Loop: Header=BB326_18 Depth=1
	ds_read_b64 v[4:5], v45
	s_or_b64 exec, exec, s[30:31]
	s_and_saveexec_b64 s[30:31], s[0:1]
	s_cbranch_execz .LBB326_26
.LBB326_54:                             ;   in Loop: Header=BB326_18 Depth=1
	s_waitcnt lgkmcnt(0)
	ds_bpermute_b32 v8, v43, v4
	ds_bpermute_b32 v9, v43, v5
	s_waitcnt lgkmcnt(0)
	v_pk_add_f32 v[4:5], v[4:5], v[8:9]
	ds_bpermute_b32 v8, v44, v4
	ds_bpermute_b32 v9, v44, v5
	s_waitcnt lgkmcnt(0)
	v_pk_add_f32 v[4:5], v[4:5], v[8:9]
	s_or_b64 exec, exec, s[30:31]
	s_and_saveexec_b64 s[30:31], s[0:1]
	s_cbranch_execnz .LBB326_27
	s_branch .LBB326_28
.LBB326_55:                             ;   in Loop: Header=BB326_18 Depth=1
	ds_read_b64 v[8:9], v45
	s_or_b64 exec, exec, s[30:31]
	s_and_saveexec_b64 s[30:31], s[0:1]
	s_cbranch_execz .LBB326_32
.LBB326_56:                             ;   in Loop: Header=BB326_18 Depth=1
	s_waitcnt lgkmcnt(0)
	ds_bpermute_b32 v10, v43, v8
	ds_bpermute_b32 v11, v43, v9
	s_waitcnt lgkmcnt(0)
	v_pk_add_f32 v[8:9], v[8:9], v[10:11]
	ds_bpermute_b32 v10, v44, v8
	ds_bpermute_b32 v11, v44, v9
	s_waitcnt lgkmcnt(0)
	v_pk_add_f32 v[8:9], v[8:9], v[10:11]
	s_or_b64 exec, exec, s[30:31]
	s_and_saveexec_b64 s[30:31], s[0:1]
	s_cbranch_execnz .LBB326_33
	s_branch .LBB326_34
.LBB326_57:                             ;   in Loop: Header=BB326_18 Depth=1
	ds_read_b64 v[6:7], v45
	s_or_b64 exec, exec, s[30:31]
	s_and_saveexec_b64 s[30:31], s[0:1]
	s_cbranch_execz .LBB326_38
.LBB326_58:                             ;   in Loop: Header=BB326_18 Depth=1
	s_waitcnt lgkmcnt(0)
	ds_bpermute_b32 v10, v43, v6
	ds_bpermute_b32 v11, v43, v7
	s_waitcnt lgkmcnt(0)
	v_pk_add_f32 v[6:7], v[6:7], v[10:11]
	ds_bpermute_b32 v10, v44, v6
	ds_bpermute_b32 v11, v44, v7
	s_waitcnt lgkmcnt(0)
	v_pk_add_f32 v[6:7], v[6:7], v[10:11]
	s_or_b64 exec, exec, s[30:31]
	s_and_saveexec_b64 s[30:31], s[0:1]
	s_cbranch_execnz .LBB326_39
	s_branch .LBB326_40
.LBB326_59:                             ;   in Loop: Header=BB326_18 Depth=1
	ds_read_b64 v[2:3], v45
	s_or_b64 exec, exec, s[30:31]
	s_and_saveexec_b64 s[30:31], s[0:1]
	s_cbranch_execz .LBB326_44
.LBB326_60:                             ;   in Loop: Header=BB326_18 Depth=1
	s_waitcnt lgkmcnt(0)
	ds_bpermute_b32 v10, v43, v2
	ds_bpermute_b32 v11, v43, v3
	s_waitcnt lgkmcnt(0)
	v_pk_add_f32 v[2:3], v[2:3], v[10:11]
	ds_bpermute_b32 v10, v44, v2
	ds_bpermute_b32 v11, v44, v3
	s_waitcnt lgkmcnt(0)
	v_pk_add_f32 v[2:3], v[2:3], v[10:11]
	s_or_b64 exec, exec, s[30:31]
	s_and_saveexec_b64 s[30:31], s[12:13]
	s_cbranch_execz .LBB326_17
.LBB326_61:                             ;   in Loop: Header=BB326_18 Depth=1
	s_mul_i32 s23, s42, s20
	v_pk_mul_f32 v[10:11], v[4:5], s[14:15]
	v_mov_b32_e32 v12, v5
	s_add_i32 s34, s23, s2
	s_mov_b32 s35, s22
	v_mov_b32_e32 v10, v11
	v_pk_mul_f32 v[12:13], v[12:13], s[14:15]
	s_lshl_b64 s[36:37], s[34:35], 3
	v_pk_fma_f32 v[10:11], v[4:5], s[14:15], v[10:11] neg_lo:[0,0,1] neg_hi:[0,0,1]
	v_pk_fma_f32 v[4:5], v[4:5], s[26:27], v[12:13]
	s_add_u32 s36, s43, s36
	s_addc_u32 s37, s44, s37
	v_mov_b32_e32 v11, v4
	global_store_dwordx2 v28, v[10:11], s[36:37]
	v_pk_mul_f32 v[4:5], v[8:9], s[14:15]
	v_mov_b32_e32 v10, v9
	s_add_i32 s34, s34, s20
	v_mov_b32_e32 v4, v5
	v_pk_mul_f32 v[10:11], v[10:11], s[14:15]
	s_lshl_b64 s[36:37], s[34:35], 3
	v_pk_fma_f32 v[4:5], v[8:9], s[14:15], v[4:5] neg_lo:[0,0,1] neg_hi:[0,0,1]
	v_pk_fma_f32 v[8:9], v[8:9], s[26:27], v[10:11]
	s_add_u32 s36, s43, s36
	s_addc_u32 s37, s44, s37
	v_mov_b32_e32 v5, v8
	global_store_dwordx2 v28, v[4:5], s[36:37]
	v_pk_mul_f32 v[4:5], v[6:7], s[14:15]
	v_mov_b32_e32 v8, v7
	s_add_i32 s34, s34, s20
	v_mov_b32_e32 v4, v5
	v_pk_mul_f32 v[8:9], v[8:9], s[14:15]
	s_lshl_b64 s[36:37], s[34:35], 3
	v_pk_fma_f32 v[4:5], v[6:7], s[14:15], v[4:5] neg_lo:[0,0,1] neg_hi:[0,0,1]
	v_pk_fma_f32 v[6:7], v[6:7], s[26:27], v[8:9]
	s_add_u32 s36, s43, s36
	s_addc_u32 s37, s44, s37
	v_mov_b32_e32 v5, v6
	s_add_i32 s34, s34, s20
	global_store_dwordx2 v28, v[4:5], s[36:37]
	s_waitcnt lgkmcnt(0)
	v_pk_mul_f32 v[4:5], v[2:3], s[14:15] op_sel:[1,0]
	s_lshl_b64 s[34:35], s[34:35], 3
	s_add_u32 s34, s43, s34
	v_pk_fma_f32 v[6:7], v[2:3], s[14:15], v[4:5] op_sel:[0,0,1] op_sel_hi:[1,1,0] neg_lo:[0,0,1] neg_hi:[0,0,1]
	v_pk_fma_f32 v[2:3], v[2:3], s[14:15], v[4:5] op_sel:[0,0,1] op_sel_hi:[0,1,0]
	s_addc_u32 s35, s44, s35
	v_mov_b32_e32 v7, v3
	global_store_dwordx2 v28, v[6:7], s[34:35]
	s_branch .LBB326_17
.LBB326_62:
	s_mov_b32 s42, 0
.LBB326_63:
	s_cmp_ge_i32 s42, s19
	s_cbranch_scc1 .LBB326_85
; %bb.64:
	s_waitcnt lgkmcnt(0)
	v_mbcnt_hi_u32_b32 v2, -1, v36
	v_and_b32_e32 v3, 63, v2
	v_cmp_gt_u32_e64 s[4:5], 32, v3
	s_mov_b32 s12, 0
	s_cmp_gt_i32 s33, 0
	v_cndmask_b32_e64 v4, 0, 1, s[4:5]
	v_lshlrev_b32_e32 v4, 5, v4
	v_cmp_gt_u32_e64 s[4:5], 48, v3
	v_add_lshl_u32 v19, v4, v2, 2
	s_mov_b32 s3, s12
	v_cndmask_b32_e64 v4, 0, 1, s[4:5]
	v_lshlrev_b32_e32 v4, 4, v4
	v_cmp_gt_u32_e64 s[4:5], 56, v3
	v_add_lshl_u32 v20, v4, v2, 2
	s_cselect_b64 s[22:23], -1, 0
	v_cndmask_b32_e64 v4, 0, 1, s[4:5]
	v_lshlrev_b32_e32 v4, 3, v4
	v_cmp_gt_u32_e64 s[4:5], 60, v3
	v_add_lshl_u32 v21, v4, v2, 2
	s_lshl_b64 s[2:3], s[2:3], 3
	v_cndmask_b32_e64 v4, 0, 1, s[4:5]
	v_lshlrev_b32_e32 v4, 2, v4
	v_cmp_gt_u32_e64 s[4:5], 62, v3
	v_add_lshl_u32 v22, v4, v2, 2
	v_cmp_ge_i32_e32 vcc, s18, v37
	v_cndmask_b32_e64 v4, 0, 1, s[4:5]
	v_lshlrev_b32_e32 v4, 1, v4
	v_add_lshl_u32 v23, v4, v2, 2
	v_add_u32_e32 v4, s27, v16
	v_cmp_ne_u32_e64 s[4:5], 63, v3
	v_add_u32_e32 v6, s27, v4
	v_ashrrev_i32_e32 v5, 31, v4
	v_addc_co_u32_e64 v2, s[4:5], 0, v2, s[4:5]
	v_ashrrev_i32_e32 v7, 31, v6
	v_lshlrev_b32_e32 v24, 2, v2
	v_lshl_add_u64 v[2:3], v[4:5], 3, s[16:17]
	v_lshl_add_u64 v[4:5], v[6:7], 3, s[16:17]
	v_add_u32_e32 v6, s27, v6
	v_cmp_ge_i32_e64 s[10:11], s18, v38
	v_and_b32_e32 v25, 24, v17
	s_add_u32 s18, s43, s2
	v_ashrrev_i32_e32 v17, 31, v16
	v_ashrrev_i32_e32 v7, 31, v6
	v_cmp_gt_u32_e64 s[0:1], 64, v0
	v_lshlrev_b32_e32 v18, 3, v1
	v_cmp_eq_u32_e64 s[4:5], 0, v1
	v_cmp_gt_u32_e64 s[6:7], 4, v0
	v_cmp_eq_u32_e64 s[8:9], 0, v0
	s_addc_u32 s26, s44, s3
	v_lshl_add_u64 v[0:1], v[16:17], 3, s[16:17]
	v_lshl_add_u64 v[6:7], v[6:7], 3, s[16:17]
	s_and_b64 s[2:3], s[22:23], s[10:11]
	s_mul_i32 s10, s42, s21
	v_mov_b32_e32 v8, 0
	s_branch .LBB326_66
.LBB326_65:                             ;   in Loop: Header=BB326_66 Depth=1
	s_or_b64 exec, exec, s[22:23]
	s_add_i32 s42, s42, 1
	s_add_i32 s10, s10, s21
	s_cmp_lt_i32 s42, s19
	s_cbranch_scc0 .LBB326_85
.LBB326_66:                             ; =>This Loop Header: Depth=1
                                        ;     Child Loop BB326_78 Depth 2
                                        ;     Child Loop BB326_80 Depth 2
                                        ; implicit-def: $vgpr11
	s_and_saveexec_b64 s[22:23], vcc
	s_xor_b64 s[22:23], exec, s[22:23]
	s_cbranch_execnz .LBB326_75
; %bb.67:                               ;   in Loop: Header=BB326_66 Depth=1
	s_andn2_saveexec_b64 s[22:23], s[22:23]
	s_cbranch_execnz .LBB326_76
.LBB326_68:                             ;   in Loop: Header=BB326_66 Depth=1
	s_or_b64 exec, exec, s[22:23]
	s_and_saveexec_b64 s[22:23], s[0:1]
	s_cbranch_execz .LBB326_70
.LBB326_69:                             ;   in Loop: Header=BB326_66 Depth=1
	v_mov_b32_e32 v9, v8
	ds_write_b64 v18, v[8:9]
.LBB326_70:                             ;   in Loop: Header=BB326_66 Depth=1
	s_or_b64 exec, exec, s[22:23]
	s_waitcnt lgkmcnt(0)
	ds_bpermute_b32 v12, v19, v10
	ds_bpermute_b32 v13, v19, v11
	s_waitcnt lgkmcnt(0)
	s_barrier
	v_pk_add_f32 v[10:11], v[10:11], v[12:13]
	ds_bpermute_b32 v12, v20, v10
	ds_bpermute_b32 v13, v20, v11
	s_waitcnt lgkmcnt(0)
	v_pk_add_f32 v[10:11], v[10:11], v[12:13]
	ds_bpermute_b32 v12, v21, v10
	ds_bpermute_b32 v13, v21, v11
	s_waitcnt lgkmcnt(0)
	;; [unrolled: 4-line block ×4, first 2 shown]
	v_pk_add_f32 v[10:11], v[10:11], v[12:13]
	ds_bpermute_b32 v12, v24, v10
	ds_bpermute_b32 v13, v24, v11
	s_and_saveexec_b64 s[22:23], s[4:5]
	s_cbranch_execz .LBB326_72
; %bb.71:                               ;   in Loop: Header=BB326_66 Depth=1
	s_waitcnt lgkmcnt(0)
	v_pk_add_f32 v[10:11], v[10:11], v[12:13]
	ds_write_b64 v25, v[10:11]
.LBB326_72:                             ;   in Loop: Header=BB326_66 Depth=1
	s_or_b64 exec, exec, s[22:23]
	s_mov_b32 s13, s12
	v_mov_b64_e32 v[10:11], s[12:13]
	s_waitcnt lgkmcnt(0)
	s_barrier
	s_and_saveexec_b64 s[22:23], s[6:7]
	s_cbranch_execnz .LBB326_82
; %bb.73:                               ;   in Loop: Header=BB326_66 Depth=1
	s_or_b64 exec, exec, s[22:23]
	s_and_saveexec_b64 s[22:23], s[0:1]
	s_cbranch_execnz .LBB326_83
.LBB326_74:                             ;   in Loop: Header=BB326_66 Depth=1
	s_or_b64 exec, exec, s[22:23]
	s_and_saveexec_b64 s[22:23], s[8:9]
	s_cbranch_execz .LBB326_65
	s_branch .LBB326_84
.LBB326_75:                             ;   in Loop: Header=BB326_66 Depth=1
	s_mul_i32 s24, s42, s21
	s_ashr_i32 s25, s24, 31
	v_lshl_add_u64 v[38:39], s[24:25], 3, v[14:15]
	s_waitcnt lgkmcnt(0)
	flat_load_dwordx2 v[10:11], v[0:1]
	flat_load_dwordx2 v[12:13], v[2:3]
	;; [unrolled: 1-line block ×4, first 2 shown]
	flat_load_dwordx4 v[30:33], v[38:39]
	flat_load_dwordx4 v[34:37], v[38:39] offset:16
	s_waitcnt vmcnt(0) lgkmcnt(0)
	scratch_store_dwordx4 off, v[10:13], off
	scratch_store_dwordx4 off, v[26:29], off offset:16
	v_mul_f32_e32 v40, v31, v11
	v_mul_f32_e32 v9, v31, v10
	v_mov_b32_e32 v38, v27
	v_mul_f32_e32 v42, v33, v13
	v_mul_f32_e32 v17, v33, v12
	v_pk_mul_f32 v[44:45], v[34:35], v[26:27] op_sel_hi:[1,0]
	v_fmac_f32_e32 v40, v30, v10
	v_fma_f32 v41, v30, v11, -v9
	v_pk_mul_f32 v[46:47], v[36:37], v[28:29] op_sel:[0,1]
	v_fmac_f32_e32 v42, v32, v12
	v_fma_f32 v43, v32, v13, -v17
	v_pk_fma_f32 v[10:11], v[34:35], v[38:39], v[44:45] op_sel:[1,0,0] op_sel_hi:[0,1,1]
	v_pk_fma_f32 v[12:13], v[34:35], v[26:27], v[44:45] op_sel:[1,1,0] op_sel_hi:[0,1,1] neg_lo:[0,0,1] neg_hi:[0,0,1]
	v_pk_add_f32 v[30:31], v[40:41], 0 op_sel_hi:[1,0]
	v_pk_fma_f32 v[26:27], v[36:37], v[28:29], v[46:47] op_sel:[0,0,1] op_sel_hi:[1,1,0]
	v_pk_fma_f32 v[28:29], v[36:37], v[28:29], v[46:47] op_sel:[0,0,1] op_sel_hi:[1,0,0] neg_lo:[1,0,0] neg_hi:[1,0,0]
	v_mov_b32_e32 v11, v13
	v_pk_add_f32 v[12:13], v[30:31], v[42:43]
	v_mov_b32_e32 v27, v29
	v_pk_add_f32 v[10:11], v[12:13], v[10:11]
	s_nop 0
	v_pk_add_f32 v[10:11], v[10:11], v[26:27]
	s_andn2_saveexec_b64 s[22:23], s[22:23]
	s_cbranch_execz .LBB326_68
.LBB326_76:                             ;   in Loop: Header=BB326_66 Depth=1
	s_waitcnt lgkmcnt(0)
	v_mov_b32_e32 v11, 0
	v_mov_b32_e32 v10, v11
	s_and_saveexec_b64 s[24:25], s[2:3]
	s_cbranch_execz .LBB326_81
; %bb.77:                               ;   in Loop: Header=BB326_66 Depth=1
	v_mov_b32_e32 v9, 0
	v_mov_b32_e32 v10, v16
	s_mov_b32 s11, s33
.LBB326_78:                             ;   Parent Loop BB326_66 Depth=1
                                        ; =>  This Inner Loop Header: Depth=2
	v_ashrrev_i32_e32 v11, 31, v10
	v_lshl_add_u64 v[12:13], v[10:11], 3, s[16:17]
	flat_load_dwordx2 v[12:13], v[12:13]
	s_add_i32 s11, s11, -1
	v_add_u32_e32 v10, s27, v10
	s_cmp_eq_u32 s11, 0
	s_waitcnt vmcnt(0) lgkmcnt(0)
	scratch_store_dwordx2 v9, v[12:13], off
	v_add_u32_e32 v9, 8, v9
	s_cbranch_scc0 .LBB326_78
; %bb.79:                               ;   in Loop: Header=BB326_66 Depth=1
	s_ashr_i32 s11, s10, 31
	v_mov_b32_e32 v10, 0
	v_lshl_add_u64 v[12:13], s[10:11], 3, v[14:15]
	v_mov_b32_e32 v9, 0
	s_mov_b32 s11, s33
	v_mov_b32_e32 v11, v10
.LBB326_80:                             ;   Parent Loop BB326_66 Depth=1
                                        ; =>  This Inner Loop Header: Depth=2
	flat_load_dwordx2 v[26:27], v[12:13]
	scratch_load_dwordx2 v[28:29], v9, off
	s_add_i32 s11, s11, -1
	v_add_u32_e32 v9, 8, v9
	v_lshl_add_u64 v[12:13], v[12:13], 0, 8
	s_cmp_lg_u32 s11, 0
	s_waitcnt vmcnt(0) lgkmcnt(0)
	v_pk_mul_f32 v[30:31], v[26:27], v[28:29] op_sel:[1,0]
	s_nop 0
	v_pk_fma_f32 v[32:33], v[26:27], v[28:29], v[30:31] op_sel:[0,0,1] op_sel_hi:[1,1,0]
	v_pk_fma_f32 v[26:27], v[26:27], v[28:29], v[30:31] op_sel:[0,0,1] op_sel_hi:[0,1,0] neg_lo:[0,0,1] neg_hi:[0,0,1]
	v_mov_b32_e32 v33, v27
	v_pk_add_f32 v[10:11], v[10:11], v[32:33]
	s_cbranch_scc1 .LBB326_80
.LBB326_81:                             ;   in Loop: Header=BB326_66 Depth=1
	s_or_b64 exec, exec, s[24:25]
	s_or_b64 exec, exec, s[22:23]
	s_and_saveexec_b64 s[22:23], s[0:1]
	s_cbranch_execnz .LBB326_69
	s_branch .LBB326_70
.LBB326_82:                             ;   in Loop: Header=BB326_66 Depth=1
	ds_read_b64 v[10:11], v18
	s_or_b64 exec, exec, s[22:23]
	s_and_saveexec_b64 s[22:23], s[0:1]
	s_cbranch_execz .LBB326_74
.LBB326_83:                             ;   in Loop: Header=BB326_66 Depth=1
	s_waitcnt lgkmcnt(0)
	ds_bpermute_b32 v12, v23, v10
	ds_bpermute_b32 v13, v23, v11
	s_waitcnt lgkmcnt(0)
	v_pk_add_f32 v[10:11], v[10:11], v[12:13]
	ds_bpermute_b32 v12, v24, v10
	ds_bpermute_b32 v13, v24, v11
	s_waitcnt lgkmcnt(0)
	v_pk_add_f32 v[10:11], v[10:11], v[12:13]
	s_or_b64 exec, exec, s[22:23]
	s_and_saveexec_b64 s[22:23], s[8:9]
	s_cbranch_execz .LBB326_65
.LBB326_84:                             ;   in Loop: Header=BB326_66 Depth=1
	s_mul_hi_u32 s25, s42, s20
	s_mul_i32 s24, s42, s20
	s_waitcnt lgkmcnt(0)
	v_pk_mul_f32 v[12:13], v[10:11], s[14:15] op_sel:[1,0]
	s_lshl_b64 s[24:25], s[24:25], 3
	s_add_u32 s24, s18, s24
	v_pk_fma_f32 v[26:27], v[10:11], s[14:15], v[12:13] op_sel:[0,0,1] op_sel_hi:[1,1,0] neg_lo:[0,0,1] neg_hi:[0,0,1]
	v_pk_fma_f32 v[10:11], v[10:11], s[14:15], v[12:13] op_sel:[0,0,1] op_sel_hi:[0,1,0]
	s_addc_u32 s25, s26, s25
	v_mov_b32_e32 v27, v11
	global_store_dwordx2 v8, v[26:27], s[24:25]
	s_branch .LBB326_65
.LBB326_85:
	s_endpgm
	.section	.rodata,"a",@progbits
	.p2align	6, 0x0
	.amdhsa_kernel _ZL23rocblas_gemvt_sn_kernelILb1ELi256ELi4EiPK19rocblas_complex_numIfES3_S1_EviiT4_lPKT3_lilS7_lilPT5_i
		.amdhsa_group_segment_fixed_size 512
		.amdhsa_private_segment_fixed_size 48
		.amdhsa_kernarg_size 360
		.amdhsa_user_sgpr_count 2
		.amdhsa_user_sgpr_dispatch_ptr 0
		.amdhsa_user_sgpr_queue_ptr 0
		.amdhsa_user_sgpr_kernarg_segment_ptr 1
		.amdhsa_user_sgpr_dispatch_id 0
		.amdhsa_user_sgpr_kernarg_preload_length 0
		.amdhsa_user_sgpr_kernarg_preload_offset 0
		.amdhsa_user_sgpr_private_segment_size 0
		.amdhsa_uses_dynamic_stack 0
		.amdhsa_enable_private_segment 1
		.amdhsa_system_sgpr_workgroup_id_x 1
		.amdhsa_system_sgpr_workgroup_id_y 0
		.amdhsa_system_sgpr_workgroup_id_z 1
		.amdhsa_system_sgpr_workgroup_info 0
		.amdhsa_system_vgpr_workitem_id 0
		.amdhsa_next_free_vgpr 76
		.amdhsa_next_free_sgpr 49
		.amdhsa_accum_offset 76
		.amdhsa_reserve_vcc 1
		.amdhsa_float_round_mode_32 0
		.amdhsa_float_round_mode_16_64 0
		.amdhsa_float_denorm_mode_32 3
		.amdhsa_float_denorm_mode_16_64 3
		.amdhsa_dx10_clamp 1
		.amdhsa_ieee_mode 1
		.amdhsa_fp16_overflow 0
		.amdhsa_tg_split 0
		.amdhsa_exception_fp_ieee_invalid_op 0
		.amdhsa_exception_fp_denorm_src 0
		.amdhsa_exception_fp_ieee_div_zero 0
		.amdhsa_exception_fp_ieee_overflow 0
		.amdhsa_exception_fp_ieee_underflow 0
		.amdhsa_exception_fp_ieee_inexact 0
		.amdhsa_exception_int_div_zero 0
	.end_amdhsa_kernel
	.section	.text._ZL23rocblas_gemvt_sn_kernelILb1ELi256ELi4EiPK19rocblas_complex_numIfES3_S1_EviiT4_lPKT3_lilS7_lilPT5_i,"axG",@progbits,_ZL23rocblas_gemvt_sn_kernelILb1ELi256ELi4EiPK19rocblas_complex_numIfES3_S1_EviiT4_lPKT3_lilS7_lilPT5_i,comdat
.Lfunc_end326:
	.size	_ZL23rocblas_gemvt_sn_kernelILb1ELi256ELi4EiPK19rocblas_complex_numIfES3_S1_EviiT4_lPKT3_lilS7_lilPT5_i, .Lfunc_end326-_ZL23rocblas_gemvt_sn_kernelILb1ELi256ELi4EiPK19rocblas_complex_numIfES3_S1_EviiT4_lPKT3_lilS7_lilPT5_i
                                        ; -- End function
	.section	.AMDGPU.csdata,"",@progbits
; Kernel info:
; codeLenInByte = 5336
; NumSgprs: 55
; NumVgprs: 76
; NumAgprs: 0
; TotalNumVgprs: 76
; ScratchSize: 48
; MemoryBound: 0
; FloatMode: 240
; IeeeMode: 1
; LDSByteSize: 512 bytes/workgroup (compile time only)
; SGPRBlocks: 6
; VGPRBlocks: 9
; NumSGPRsForWavesPerEU: 55
; NumVGPRsForWavesPerEU: 76
; AccumOffset: 76
; Occupancy: 6
; WaveLimiterHint : 0
; COMPUTE_PGM_RSRC2:SCRATCH_EN: 1
; COMPUTE_PGM_RSRC2:USER_SGPR: 2
; COMPUTE_PGM_RSRC2:TRAP_HANDLER: 0
; COMPUTE_PGM_RSRC2:TGID_X_EN: 1
; COMPUTE_PGM_RSRC2:TGID_Y_EN: 0
; COMPUTE_PGM_RSRC2:TGID_Z_EN: 1
; COMPUTE_PGM_RSRC2:TIDIG_COMP_CNT: 0
; COMPUTE_PGM_RSRC3_GFX90A:ACCUM_OFFSET: 18
; COMPUTE_PGM_RSRC3_GFX90A:TG_SPLIT: 0
	.section	.text._ZL23rocblas_gemvt_sn_kernelILb1ELi256ELi4ElPK19rocblas_complex_numIfES3_S1_EviiT4_lPKT3_lilS7_lilPT5_i,"axG",@progbits,_ZL23rocblas_gemvt_sn_kernelILb1ELi256ELi4ElPK19rocblas_complex_numIfES3_S1_EviiT4_lPKT3_lilS7_lilPT5_i,comdat
	.globl	_ZL23rocblas_gemvt_sn_kernelILb1ELi256ELi4ElPK19rocblas_complex_numIfES3_S1_EviiT4_lPKT3_lilS7_lilPT5_i ; -- Begin function _ZL23rocblas_gemvt_sn_kernelILb1ELi256ELi4ElPK19rocblas_complex_numIfES3_S1_EviiT4_lPKT3_lilS7_lilPT5_i
	.p2align	8
	.type	_ZL23rocblas_gemvt_sn_kernelILb1ELi256ELi4ElPK19rocblas_complex_numIfES3_S1_EviiT4_lPKT3_lilS7_lilPT5_i,@function
_ZL23rocblas_gemvt_sn_kernelILb1ELi256ELi4ElPK19rocblas_complex_numIfES3_S1_EviiT4_lPKT3_lilS7_lilPT5_i: ; @_ZL23rocblas_gemvt_sn_kernelILb1ELi256ELi4ElPK19rocblas_complex_numIfES3_S1_EviiT4_lPKT3_lilS7_lilPT5_i
; %bb.0:
	s_load_dwordx8 s[4:11], s[0:1], 0x8
	s_mov_b32 s12, s3
	s_mov_b32 s13, 0
	s_mov_b64 s[24:25], 0
	s_mov_b64 s[22:23], 0
	s_waitcnt lgkmcnt(0)
	s_mul_i32 s3, s3, s7
	s_mul_hi_u32 s7, s12, s6
	s_add_i32 s7, s7, s3
	s_mul_i32 s6, s12, s6
	s_lshl_b64 s[6:7], s[6:7], 3
	s_add_u32 s4, s4, s6
	s_addc_u32 s5, s5, s7
	s_load_dwordx2 s[14:15], s[4:5], 0x0
	s_waitcnt lgkmcnt(0)
	s_or_b32 s3, s14, s15
	s_bitset0_b32 s3, 31
	s_cmp_lg_u32 s3, 0
	s_cselect_b64 s[6:7], -1, 0
	s_cmp_eq_u32 s3, 0
	s_cselect_b64 s[4:5], -1, 0
	s_and_b64 vcc, exec, s[4:5]
	s_cbranch_vccnz .LBB327_2
; %bb.1:
	s_lshl_b64 s[16:17], s[12:13], 3
	s_add_u32 s8, s8, s16
	s_addc_u32 s9, s9, s17
	s_load_dwordx2 s[8:9], s[8:9], 0x0
	s_lshl_b64 s[10:11], s[10:11], 3
	s_waitcnt lgkmcnt(0)
	s_add_u32 s22, s8, s10
	s_addc_u32 s23, s9, s11
.LBB327_2:
	s_andn2_b64 vcc, exec, s[6:7]
	s_cbranch_vccnz .LBB327_4
; %bb.3:
	s_load_dwordx4 s[8:11], s[0:1], 0x38
	s_lshl_b64 s[6:7], s[12:13], 3
	s_waitcnt lgkmcnt(0)
	s_add_u32 s6, s8, s6
	s_addc_u32 s7, s9, s7
	s_load_dwordx2 s[6:7], s[6:7], 0x0
	s_lshl_b64 s[8:9], s[10:11], 3
	s_waitcnt lgkmcnt(0)
	s_add_u32 s24, s6, s8
	s_addc_u32 s25, s7, s9
.LBB327_4:
	s_load_dwordx2 s[16:17], s[0:1], 0x0
	s_load_dwordx2 s[6:7], s[0:1], 0x58
	s_load_dword s18, s[0:1], 0x68
	s_mov_b32 s19, 0
	s_waitcnt lgkmcnt(0)
	s_ashr_i32 s28, s17, 31
	s_mul_hi_u32 s3, s17, s12
	s_mul_i32 s8, s28, s12
	s_add_i32 s9, s3, s8
	s_mul_i32 s8, s17, s12
	s_mul_i32 s3, s9, s18
	s_mul_hi_u32 s10, s8, s18
	s_add_i32 s11, s10, s3
	s_mul_i32 s10, s8, s18
	s_lshl_b64 s[10:11], s[10:11], 3
	s_add_u32 s35, s6, s10
	s_addc_u32 s46, s7, s11
	s_mov_b64 s[10:11], -1
	s_andn2_b64 vcc, exec, s[4:5]
	v_cmp_eq_u32_e64 s[4:5], 0, v0
	s_cbranch_vccnz .LBB327_14
; %bb.5:
	s_cmp_gt_i32 s17, 0
	s_cselect_b64 s[10:11], -1, 0
	s_and_b64 s[10:11], s[4:5], s[10:11]
	s_and_saveexec_b64 s[4:5], s[10:11]
	s_cbranch_execz .LBB327_13
; %bb.6:
	s_cmp_gt_u32 s17, 3
	s_cselect_b64 s[10:11], -1, 0
	s_cmp_eq_u32 s18, 1
	s_cselect_b64 s[26:27], -1, 0
	s_mov_b32 s3, 0
	s_and_b64 s[10:11], s[10:11], s[26:27]
	s_mov_b32 s12, 1
	s_mov_b64 s[20:21], -1
	s_andn2_b64 vcc, exec, s[10:11]
	s_mov_b32 s10, s3
	s_cbranch_vccnz .LBB327_10
; %bb.7:
	s_lshl_b64 s[20:21], s[2:3], 3
	s_add_u32 s11, s35, s20
	s_addc_u32 s26, s46, s21
	s_mov_b32 s21, 0
	s_and_b32 s10, s17, 0x7ffffffc
	s_mov_b32 s20, s21
	v_mov_b32_e32 v1, 0
	v_mov_b64_e32 v[2:3], s[20:21]
	s_mov_b32 s27, s10
.LBB327_8:                              ; =>This Inner Loop Header: Depth=1
	s_add_i32 s30, s12, 2
	s_add_i32 s36, s20, 2
	s_lshl_b64 s[38:39], s[20:21], 3
	s_mov_b32 s13, s21
	s_add_u32 s38, s11, s38
	s_addc_u32 s39, s26, s39
	s_lshl_b64 s[40:41], s[12:13], 3
	s_mov_b32 s37, s21
	s_add_u32 s40, s11, s40
	s_addc_u32 s41, s26, s41
	;; [unrolled: 4-line block ×3, first 2 shown]
	s_lshl_b64 s[30:31], s[30:31], 3
	s_add_u32 s30, s11, s30
	s_addc_u32 s31, s26, s31
	s_add_i32 s20, s20, 4
	s_add_i32 s12, s12, 4
	s_add_i32 s27, s27, -4
	s_cmp_lg_u32 s27, 0
	global_store_dwordx2 v1, v[2:3], s[38:39]
	global_store_dwordx2 v1, v[2:3], s[40:41]
	;; [unrolled: 1-line block ×4, first 2 shown]
	s_cbranch_scc1 .LBB327_8
; %bb.9:
	s_cmp_lg_u32 s10, s17
	s_cselect_b64 s[20:21], -1, 0
.LBB327_10:
	s_and_b64 vcc, exec, s[20:21]
	s_cbranch_vccz .LBB327_13
; %bb.11:
	s_mov_b32 s11, 0
	s_sub_i32 s12, s17, s10
	s_lshl_b64 s[8:9], s[8:9], 3
	s_lshl_b64 s[10:11], s[10:11], 3
	s_add_u32 s8, s8, s10
	s_addc_u32 s9, s9, s11
	s_mul_i32 s9, s9, s18
	s_mul_hi_u32 s10, s8, s18
	s_add_i32 s10, s10, s9
	s_mul_i32 s11, s8, s18
	s_lshl_b64 s[8:9], s[2:3], 3
	s_add_u32 s3, s11, s8
	s_addc_u32 s8, s10, s9
	s_add_u32 s6, s6, s3
	v_mov_b32_e32 v2, 0
	s_addc_u32 s7, s7, s8
	s_lshl_b64 s[8:9], s[18:19], 3
	v_mov_b32_e32 v3, v2
.LBB327_12:                             ; =>This Inner Loop Header: Depth=1
	s_add_i32 s12, s12, -1
	global_store_dwordx2 v2, v[2:3], s[6:7]
	s_add_u32 s6, s6, s8
	s_addc_u32 s7, s7, s9
	s_cmp_eq_u32 s12, 0
	s_cbranch_scc0 .LBB327_12
.LBB327_13:
	s_or_b64 exec, exec, s[4:5]
	s_mov_b64 s[10:11], 0
.LBB327_14:
	s_andn2_b64 vcc, exec, s[10:11]
	s_cbranch_vccnz .LBB327_85
; %bb.15:
	s_load_dword s20, s[0:1], 0x28
	s_load_dword s26, s[0:1], 0x48
	s_lshl_b32 s0, s2, 10
	v_lshl_or_b32 v20, v0, 2, s0
	s_lshr_b32 s0, s28, 30
	s_add_i32 s0, s17, s0
	s_and_b32 s47, s0, -4
	s_ashr_i32 s0, s16, 31
	s_lshr_b32 s0, s0, 30
	s_add_i32 s0, s16, s0
	s_and_b32 s0, s0, -4
	s_waitcnt lgkmcnt(0)
	s_ashr_i32 s21, s20, 31
	s_ashr_i32 s27, s26, 31
	v_ashrrev_i32_e32 v21, 31, v20
	s_sub_i32 s19, s16, s0
	v_lshl_add_u64 v[18:19], v[20:21], 3, s[22:23]
	s_cmp_lt_i32 s47, 1
	v_add_u32_e32 v49, 4, v20
	v_add_u32_e32 v50, s19, v20
	v_and_b32_e32 v1, 63, v0
	v_cmp_gt_u32_e64 s[0:1], 64, v0
	v_mbcnt_lo_u32_b32 v48, -1, 0
	v_cmp_gt_u32_e64 s[4:5], 4, v0
	v_lshrrev_b32_e32 v47, 3, v0
	v_or_b32_e32 v46, 1, v20
	v_or_b32_e32 v45, 2, v20
	;; [unrolled: 1-line block ×3, first 2 shown]
	s_cbranch_scc1 .LBB327_62
; %bb.16:
	v_mbcnt_hi_u32_b32 v2, -1, v48
	v_and_b32_e32 v3, 63, v2
	v_cmp_gt_u32_e32 vcc, 32, v3
	s_mov_b32 s28, 0
	s_cmp_gt_i32 s19, 0
	v_cndmask_b32_e64 v4, 0, 1, vcc
	v_lshlrev_b32_e32 v4, 5, v4
	v_cmp_gt_u32_e32 vcc, 48, v3
	v_add_lshl_u32 v51, v4, v2, 2
	s_mov_b32 s3, s28
	v_cndmask_b32_e64 v4, 0, 1, vcc
	v_lshlrev_b32_e32 v4, 4, v4
	v_cmp_gt_u32_e32 vcc, 56, v3
	v_add_lshl_u32 v52, v4, v2, 2
	s_cselect_b64 s[30:31], -1, 0
	v_cndmask_b32_e64 v4, 0, 1, vcc
	v_lshlrev_b32_e32 v4, 3, v4
	v_cmp_gt_u32_e32 vcc, 60, v3
	v_add_lshl_u32 v53, v4, v2, 2
	s_lshl_b64 s[36:37], s[2:3], 3
	v_cndmask_b32_e64 v4, 0, 1, vcc
	v_lshlrev_b32_e32 v4, 2, v4
	v_cmp_gt_u32_e32 vcc, 62, v3
	v_add_lshl_u32 v54, v4, v2, 2
	s_add_u32 s3, s35, s36
	v_cndmask_b32_e64 v4, 0, 1, vcc
	v_lshlrev_b32_e32 v4, 1, v4
	v_cmp_ne_u32_e32 vcc, 63, v3
	v_add_lshl_u32 v55, v4, v2, 2
	s_addc_u32 s48, s46, s37
	v_addc_co_u32_e32 v2, vcc, 0, v2, vcc
	v_lshlrev_b32_e32 v56, 2, v2
	v_mad_i64_i32 v[2:3], s[36:37], s26, v20, 0
	v_lshl_add_u64 v[22:23], v[2:3], 3, s[24:25]
	v_mad_i64_i32 v[2:3], s[36:37], s26, v46, 0
	v_lshl_add_u64 v[24:25], v[2:3], 3, s[24:25]
	;; [unrolled: 2-line block ×3, first 2 shown]
	v_mad_i64_i32 v[2:3], s[36:37], s26, v44, 0
	v_cmp_ge_i32_e64 s[6:7], s16, v49
	v_cmp_ge_i32_e64 s[8:9], s16, v50
	v_cmp_eq_u32_e64 s[10:11], 0, v1
	v_lshlrev_b32_e32 v57, 3, v1
	v_and_b32_e32 v58, 24, v47
	v_cmp_eq_u32_e64 s[12:13], 0, v0
	v_lshl_add_u64 v[28:29], v[2:3], 3, s[24:25]
	s_mov_b32 s34, s15
	s_lshl_b64 s[36:37], s[26:27], 3
	s_lshl_b64 s[38:39], s[20:21], 5
	;; [unrolled: 1-line block ×3, first 2 shown]
	v_mov_b32_e32 v30, 0
	v_mov_b64_e32 v[32:33], v[18:19]
	s_mov_b32 s33, 0
	s_branch .LBB327_18
.LBB327_17:                             ;   in Loop: Header=BB327_18 Depth=1
	s_or_b64 exec, exec, s[42:43]
	s_add_i32 s33, s33, 4
	s_cmp_ge_i32 s33, s47
	v_lshl_add_u64 v[32:33], v[32:33], 0, s[38:39]
	s_cbranch_scc1 .LBB327_63
.LBB327_18:                             ; =>This Loop Header: Depth=1
                                        ;     Child Loop BB327_49 Depth 2
                                        ;     Child Loop BB327_51 Depth 2
                                        ; implicit-def: $vgpr15
                                        ; implicit-def: $vgpr11
                                        ; implicit-def: $vgpr7
                                        ; implicit-def: $vgpr3
	s_and_saveexec_b64 s[42:43], s[6:7]
	s_xor_b64 s[42:43], exec, s[42:43]
	s_cbranch_execnz .LBB327_45
; %bb.19:                               ;   in Loop: Header=BB327_18 Depth=1
	s_andn2_saveexec_b64 s[42:43], s[42:43]
	s_cbranch_execnz .LBB327_46
.LBB327_20:                             ;   in Loop: Header=BB327_18 Depth=1
	s_or_b64 exec, exec, s[42:43]
	s_and_saveexec_b64 s[42:43], s[0:1]
	s_cbranch_execz .LBB327_22
.LBB327_21:                             ;   in Loop: Header=BB327_18 Depth=1
	v_mov_b32_e32 v31, v30
	ds_write_b64 v57, v[30:31]
.LBB327_22:                             ;   in Loop: Header=BB327_18 Depth=1
	s_or_b64 exec, exec, s[42:43]
	ds_bpermute_b32 v4, v51, v14
	ds_bpermute_b32 v5, v51, v15
	s_waitcnt lgkmcnt(0)
	s_barrier
	v_pk_add_f32 v[4:5], v[14:15], v[4:5]
	ds_bpermute_b32 v8, v52, v4
	ds_bpermute_b32 v9, v52, v5
	s_waitcnt lgkmcnt(0)
	v_pk_add_f32 v[4:5], v[4:5], v[8:9]
	ds_bpermute_b32 v8, v53, v4
	ds_bpermute_b32 v9, v53, v5
	s_waitcnt lgkmcnt(0)
	;; [unrolled: 4-line block ×4, first 2 shown]
	v_pk_add_f32 v[4:5], v[4:5], v[8:9]
	ds_bpermute_b32 v8, v56, v4
	ds_bpermute_b32 v9, v56, v5
	s_and_saveexec_b64 s[42:43], s[10:11]
	s_cbranch_execz .LBB327_24
; %bb.23:                               ;   in Loop: Header=BB327_18 Depth=1
	s_waitcnt lgkmcnt(0)
	v_pk_add_f32 v[4:5], v[4:5], v[8:9]
	ds_write_b64 v58, v[4:5]
.LBB327_24:                             ;   in Loop: Header=BB327_18 Depth=1
	s_or_b64 exec, exec, s[42:43]
	s_mov_b32 s29, s28
	v_mov_b64_e32 v[4:5], s[28:29]
	s_waitcnt lgkmcnt(0)
	s_barrier
	s_and_saveexec_b64 s[42:43], s[4:5]
	s_cbranch_execnz .LBB327_53
; %bb.25:                               ;   in Loop: Header=BB327_18 Depth=1
	s_or_b64 exec, exec, s[42:43]
	s_and_saveexec_b64 s[42:43], s[0:1]
	s_cbranch_execnz .LBB327_54
.LBB327_26:                             ;   in Loop: Header=BB327_18 Depth=1
	s_or_b64 exec, exec, s[42:43]
	s_and_saveexec_b64 s[42:43], s[0:1]
	s_cbranch_execz .LBB327_28
.LBB327_27:                             ;   in Loop: Header=BB327_18 Depth=1
	v_mov_b32_e32 v31, v30
	ds_write_b64 v57, v[30:31]
.LBB327_28:                             ;   in Loop: Header=BB327_18 Depth=1
	s_or_b64 exec, exec, s[42:43]
	ds_bpermute_b32 v8, v51, v10
	ds_bpermute_b32 v9, v51, v11
	s_waitcnt lgkmcnt(0)
	s_barrier
	v_pk_add_f32 v[8:9], v[10:11], v[8:9]
	ds_bpermute_b32 v10, v52, v8
	ds_bpermute_b32 v11, v52, v9
	s_waitcnt lgkmcnt(0)
	v_pk_add_f32 v[8:9], v[8:9], v[10:11]
	ds_bpermute_b32 v10, v53, v8
	ds_bpermute_b32 v11, v53, v9
	s_waitcnt lgkmcnt(0)
	;; [unrolled: 4-line block ×4, first 2 shown]
	v_pk_add_f32 v[8:9], v[8:9], v[10:11]
	ds_bpermute_b32 v10, v56, v8
	ds_bpermute_b32 v11, v56, v9
	s_and_saveexec_b64 s[42:43], s[10:11]
	s_cbranch_execz .LBB327_30
; %bb.29:                               ;   in Loop: Header=BB327_18 Depth=1
	s_waitcnt lgkmcnt(0)
	v_pk_add_f32 v[8:9], v[8:9], v[10:11]
	ds_write_b64 v58, v[8:9]
.LBB327_30:                             ;   in Loop: Header=BB327_18 Depth=1
	s_or_b64 exec, exec, s[42:43]
	s_mov_b32 s29, s28
	v_mov_b64_e32 v[8:9], s[28:29]
	s_waitcnt lgkmcnt(0)
	s_barrier
	s_and_saveexec_b64 s[42:43], s[4:5]
	s_cbranch_execnz .LBB327_55
; %bb.31:                               ;   in Loop: Header=BB327_18 Depth=1
	s_or_b64 exec, exec, s[42:43]
	s_and_saveexec_b64 s[42:43], s[0:1]
	s_cbranch_execnz .LBB327_56
.LBB327_32:                             ;   in Loop: Header=BB327_18 Depth=1
	s_or_b64 exec, exec, s[42:43]
	s_and_saveexec_b64 s[42:43], s[0:1]
	s_cbranch_execz .LBB327_34
.LBB327_33:                             ;   in Loop: Header=BB327_18 Depth=1
	v_mov_b32_e32 v31, v30
	ds_write_b64 v57, v[30:31]
.LBB327_34:                             ;   in Loop: Header=BB327_18 Depth=1
	s_or_b64 exec, exec, s[42:43]
	ds_bpermute_b32 v10, v51, v6
	ds_bpermute_b32 v11, v51, v7
	s_waitcnt lgkmcnt(0)
	s_barrier
	v_pk_add_f32 v[6:7], v[6:7], v[10:11]
	ds_bpermute_b32 v10, v52, v6
	ds_bpermute_b32 v11, v52, v7
	s_waitcnt lgkmcnt(0)
	v_pk_add_f32 v[6:7], v[6:7], v[10:11]
	ds_bpermute_b32 v10, v53, v6
	ds_bpermute_b32 v11, v53, v7
	s_waitcnt lgkmcnt(0)
	;; [unrolled: 4-line block ×4, first 2 shown]
	v_pk_add_f32 v[6:7], v[6:7], v[10:11]
	ds_bpermute_b32 v10, v56, v6
	ds_bpermute_b32 v11, v56, v7
	s_and_saveexec_b64 s[42:43], s[10:11]
	s_cbranch_execz .LBB327_36
; %bb.35:                               ;   in Loop: Header=BB327_18 Depth=1
	s_waitcnt lgkmcnt(0)
	v_pk_add_f32 v[6:7], v[6:7], v[10:11]
	ds_write_b64 v58, v[6:7]
.LBB327_36:                             ;   in Loop: Header=BB327_18 Depth=1
	s_or_b64 exec, exec, s[42:43]
	s_mov_b32 s29, s28
	v_mov_b64_e32 v[6:7], s[28:29]
	s_waitcnt lgkmcnt(0)
	s_barrier
	s_and_saveexec_b64 s[42:43], s[4:5]
	s_cbranch_execnz .LBB327_57
; %bb.37:                               ;   in Loop: Header=BB327_18 Depth=1
	s_or_b64 exec, exec, s[42:43]
	s_and_saveexec_b64 s[42:43], s[0:1]
	s_cbranch_execnz .LBB327_58
.LBB327_38:                             ;   in Loop: Header=BB327_18 Depth=1
	s_or_b64 exec, exec, s[42:43]
	s_and_saveexec_b64 s[42:43], s[0:1]
	s_cbranch_execz .LBB327_40
.LBB327_39:                             ;   in Loop: Header=BB327_18 Depth=1
	v_mov_b32_e32 v31, v30
	ds_write_b64 v57, v[30:31]
.LBB327_40:                             ;   in Loop: Header=BB327_18 Depth=1
	s_or_b64 exec, exec, s[42:43]
	ds_bpermute_b32 v10, v51, v2
	ds_bpermute_b32 v11, v51, v3
	s_waitcnt lgkmcnt(0)
	s_barrier
	v_pk_add_f32 v[2:3], v[2:3], v[10:11]
	ds_bpermute_b32 v10, v52, v2
	ds_bpermute_b32 v11, v52, v3
	s_waitcnt lgkmcnt(0)
	v_pk_add_f32 v[2:3], v[2:3], v[10:11]
	ds_bpermute_b32 v10, v53, v2
	ds_bpermute_b32 v11, v53, v3
	s_waitcnt lgkmcnt(0)
	;; [unrolled: 4-line block ×4, first 2 shown]
	v_pk_add_f32 v[2:3], v[2:3], v[10:11]
	ds_bpermute_b32 v10, v56, v2
	ds_bpermute_b32 v11, v56, v3
	s_and_saveexec_b64 s[42:43], s[10:11]
	s_cbranch_execz .LBB327_42
; %bb.41:                               ;   in Loop: Header=BB327_18 Depth=1
	s_waitcnt lgkmcnt(0)
	v_pk_add_f32 v[2:3], v[2:3], v[10:11]
	ds_write_b64 v58, v[2:3]
.LBB327_42:                             ;   in Loop: Header=BB327_18 Depth=1
	s_or_b64 exec, exec, s[42:43]
	s_mov_b32 s29, s28
	v_mov_b64_e32 v[2:3], s[28:29]
	s_waitcnt lgkmcnt(0)
	s_barrier
	s_and_saveexec_b64 s[42:43], s[4:5]
	s_cbranch_execnz .LBB327_59
; %bb.43:                               ;   in Loop: Header=BB327_18 Depth=1
	s_or_b64 exec, exec, s[42:43]
	s_and_saveexec_b64 s[42:43], s[0:1]
	s_cbranch_execnz .LBB327_60
.LBB327_44:                             ;   in Loop: Header=BB327_18 Depth=1
	s_or_b64 exec, exec, s[42:43]
	s_and_saveexec_b64 s[42:43], s[12:13]
	s_cbranch_execz .LBB327_17
	s_branch .LBB327_61
.LBB327_45:                             ;   in Loop: Header=BB327_18 Depth=1
	flat_load_dwordx2 v[6:7], v[22:23]
	flat_load_dwordx2 v[8:9], v[24:25]
	s_mul_i32 s29, s33, s21
	s_mul_hi_u32 s44, s33, s20
	s_add_i32 s45, s44, s29
	s_mul_i32 s44, s33, s20
	s_or_b32 s29, s33, 1
	v_lshl_add_u64 v[64:65], s[44:45], 3, v[18:19]
	s_mul_i32 s44, s29, s21
	s_mul_hi_u32 s45, s29, s20
	s_add_i32 s45, s45, s44
	s_mul_i32 s44, s29, s20
	v_lshl_add_u64 v[68:69], s[44:45], 3, v[18:19]
	s_or_b32 s29, s33, 2
	s_mul_i32 s44, s29, s21
	s_mul_hi_u32 s45, s29, s20
	s_add_i32 s45, s45, s44
	s_mul_i32 s44, s29, s20
	s_or_b32 s29, s33, 3
	s_waitcnt vmcnt(0) lgkmcnt(0)
	scratch_store_dwordx4 off, v[6:9], off
	flat_load_dwordx2 v[2:3], v[26:27]
	flat_load_dwordx2 v[4:5], v[28:29]
	flat_load_dwordx4 v[10:13], v[64:65]
	flat_load_dwordx4 v[14:17], v[68:69]
	s_waitcnt vmcnt(0) lgkmcnt(0)
	v_mul_f32_e32 v66, v11, v7
	v_mul_f32_e32 v11, v11, v6
	v_fmac_f32_e32 v66, v10, v6
	v_fma_f32 v67, v10, v7, -v11
	v_mul_f32_e32 v36, v15, v7
	v_mul_f32_e32 v10, v15, v6
	v_fmac_f32_e32 v36, v14, v6
	v_fma_f32 v37, v14, v7, -v10
	v_lshl_add_u64 v[14:15], s[44:45], 3, v[18:19]
	s_mul_i32 s44, s29, s21
	s_mul_hi_u32 s45, s29, s20
	s_add_i32 s45, s45, s44
	s_mul_i32 s44, s29, s20
	v_lshl_add_u64 v[70:71], s[44:45], 3, v[18:19]
	flat_load_dwordx4 v[40:43], v[14:15]
	flat_load_dwordx4 v[60:63], v[70:71]
	v_mul_f32_e32 v74, v13, v9
	scratch_store_dwordx4 off, v[2:5], off offset:16
	v_fmac_f32_e32 v74, v12, v8
	v_pk_add_f32 v[36:37], v[36:37], 0 op_sel_hi:[1,0]
	s_waitcnt vmcnt(0) lgkmcnt(0)
	v_mul_f32_e32 v34, v41, v7
	v_mul_f32_e32 v72, v61, v7
	v_fmac_f32_e32 v34, v40, v6
	v_mul_f32_e32 v10, v41, v6
	v_fmac_f32_e32 v72, v60, v6
	v_mul_f32_e32 v6, v61, v6
	v_fma_f32 v73, v60, v7, -v6
	v_mul_f32_e32 v6, v13, v8
	v_fma_f32 v75, v12, v9, -v6
	;; [unrolled: 2-line block ×3, first 2 shown]
	v_mul_f32_e32 v38, v43, v9
	v_mul_f32_e32 v6, v43, v8
	v_fma_f32 v35, v40, v7, -v10
	v_mul_f32_e32 v40, v17, v9
	v_fmac_f32_e32 v38, v42, v8
	v_fma_f32 v39, v42, v9, -v6
	v_mul_f32_e32 v42, v63, v9
	v_mul_f32_e32 v6, v63, v8
	v_fmac_f32_e32 v40, v16, v8
	v_fmac_f32_e32 v42, v62, v8
	v_fma_f32 v43, v62, v9, -v6
	flat_load_dwordx4 v[60:63], v[64:65] offset:16
	flat_load_dwordx4 v[10:13], v[68:69] offset:16
	;; [unrolled: 1-line block ×3, first 2 shown]
                                        ; kill: killed $vgpr68_vgpr69
                                        ; kill: killed $vgpr64_vgpr65
                                        ; kill: killed $vgpr14_vgpr15
	s_nop 0
	flat_load_dwordx4 v[14:17], v[70:71] offset:16
	v_pk_add_f32 v[64:65], v[72:73], 0 op_sel_hi:[1,0]
	v_pk_add_f32 v[36:37], v[36:37], v[40:41]
	v_pk_add_f32 v[42:43], v[64:65], v[42:43]
	s_waitcnt vmcnt(0) lgkmcnt(0)
	v_pk_mul_f32 v[40:41], v[2:3], v[10:11] op_sel:[0,1]
	v_pk_mul_f32 v[64:65], v[2:3], v[14:15] op_sel:[0,1]
	s_nop 0
	v_pk_fma_f32 v[68:69], v[2:3], v[14:15], v[64:65] op_sel:[0,0,1] op_sel_hi:[1,1,0]
	v_pk_fma_f32 v[14:15], v[2:3], v[14:15], v[64:65] op_sel:[0,0,1] op_sel_hi:[1,0,0] neg_lo:[0,0,1] neg_hi:[0,0,1]
	v_pk_mul_f32 v[64:65], v[2:3], v[60:61] op_sel:[0,1]
	v_mov_b32_e32 v69, v15
	v_pk_add_f32 v[14:15], v[66:67], 0 op_sel_hi:[1,0]
	v_pk_fma_f32 v[66:67], v[2:3], v[60:61], v[64:65] op_sel:[0,0,1] op_sel_hi:[1,1,0]
	v_pk_fma_f32 v[60:61], v[2:3], v[60:61], v[64:65] op_sel:[0,0,1] op_sel_hi:[1,0,0] neg_lo:[0,0,1] neg_hi:[0,0,1]
	v_pk_add_f32 v[14:15], v[14:15], v[74:75]
	v_mov_b32_e32 v60, v63
	v_mov_b32_e32 v67, v61
	v_pk_mul_f32 v[60:61], v[4:5], v[60:61] op_sel_hi:[1,0]
	v_pk_add_f32 v[42:43], v[42:43], v[68:69]
	v_pk_fma_f32 v[64:65], v[4:5], v[62:63], v[60:61] op_sel:[0,0,1] op_sel_hi:[1,1,0]
	v_pk_fma_f32 v[60:61], v[4:5], v[62:63], v[60:61] op_sel:[0,0,1] op_sel_hi:[1,0,0] neg_lo:[0,0,1] neg_hi:[0,0,1]
	v_pk_add_f32 v[14:15], v[14:15], v[66:67]
	v_mov_b32_e32 v65, v61
	v_pk_fma_f32 v[60:61], v[2:3], v[10:11], v[40:41] op_sel:[0,0,1] op_sel_hi:[1,1,0]
	v_pk_fma_f32 v[10:11], v[2:3], v[10:11], v[40:41] op_sel:[0,0,1] op_sel_hi:[1,0,0] neg_lo:[0,0,1] neg_hi:[0,0,1]
	v_pk_add_f32 v[14:15], v[14:15], v[64:65]
	v_mov_b32_e32 v61, v11
	v_pk_add_f32 v[10:11], v[36:37], v[60:61]
	v_mov_b32_e32 v36, v13
	v_pk_mul_f32 v[36:37], v[4:5], v[36:37] op_sel_hi:[1,0]
	s_nop 0
	v_pk_fma_f32 v[40:41], v[4:5], v[12:13], v[36:37] op_sel:[0,0,1] op_sel_hi:[1,1,0]
	v_pk_fma_f32 v[12:13], v[4:5], v[12:13], v[36:37] op_sel:[0,0,1] op_sel_hi:[1,0,0] neg_lo:[0,0,1] neg_hi:[0,0,1]
	s_nop 0
	v_mov_b32_e32 v41, v13
	v_pk_add_f32 v[12:13], v[34:35], 0 op_sel_hi:[1,0]
	v_pk_mul_f32 v[34:35], v[2:3], v[6:7] op_sel:[0,1]
	v_pk_add_f32 v[12:13], v[12:13], v[38:39]
	v_pk_fma_f32 v[36:37], v[2:3], v[6:7], v[34:35] op_sel:[0,0,1] op_sel_hi:[1,1,0]
	v_pk_fma_f32 v[2:3], v[2:3], v[6:7], v[34:35] op_sel:[0,0,1] op_sel_hi:[1,0,0] neg_lo:[0,0,1] neg_hi:[0,0,1]
	v_mov_b32_e32 v6, v9
	v_mov_b32_e32 v37, v3
	v_pk_mul_f32 v[6:7], v[4:5], v[6:7] op_sel_hi:[1,0]
	v_pk_add_f32 v[2:3], v[12:13], v[36:37]
	v_pk_fma_f32 v[12:13], v[4:5], v[8:9], v[6:7] op_sel:[0,0,1] op_sel_hi:[1,1,0]
	v_pk_fma_f32 v[6:7], v[4:5], v[8:9], v[6:7] op_sel:[0,0,1] op_sel_hi:[1,0,0] neg_lo:[0,0,1] neg_hi:[0,0,1]
	v_pk_add_f32 v[10:11], v[10:11], v[40:41]
	v_mov_b32_e32 v13, v7
	v_pk_add_f32 v[6:7], v[2:3], v[12:13]
	v_mov_b32_e32 v2, v17
	v_pk_mul_f32 v[2:3], v[4:5], v[2:3] op_sel_hi:[1,0]
	s_nop 0
	v_pk_fma_f32 v[8:9], v[4:5], v[16:17], v[2:3] op_sel:[0,0,1] op_sel_hi:[1,1,0]
	v_pk_fma_f32 v[2:3], v[4:5], v[16:17], v[2:3] op_sel:[0,0,1] op_sel_hi:[1,0,0] neg_lo:[0,0,1] neg_hi:[0,0,1]
	s_nop 0
	v_mov_b32_e32 v9, v3
	v_pk_add_f32 v[2:3], v[42:43], v[8:9]
	s_andn2_saveexec_b64 s[42:43], s[42:43]
	s_cbranch_execz .LBB327_20
.LBB327_46:                             ;   in Loop: Header=BB327_18 Depth=1
	v_mov_b32_e32 v15, 0
	v_mov_b32_e32 v14, 0
	;; [unrolled: 1-line block ×6, first 2 shown]
	s_waitcnt lgkmcnt(0)
	v_mov_b32_e32 v3, 0
	v_mov_b32_e32 v2, 0
	s_and_saveexec_b64 s[44:45], s[8:9]
	s_cbranch_execz .LBB327_52
; %bb.47:                               ;   in Loop: Header=BB327_18 Depth=1
	v_mov_b32_e32 v15, 0
	s_andn2_b64 vcc, exec, s[30:31]
	v_mov_b32_e32 v14, v15
	v_mov_b32_e32 v11, v15
	;; [unrolled: 1-line block ×7, first 2 shown]
	s_cbranch_vccnz .LBB327_52
; %bb.48:                               ;   in Loop: Header=BB327_18 Depth=1
	v_mov_b32_e32 v4, 0
	v_mov_b64_e32 v[2:3], v[22:23]
	s_mov_b32 s29, s19
.LBB327_49:                             ;   Parent Loop BB327_18 Depth=1
                                        ; =>  This Inner Loop Header: Depth=2
	flat_load_dwordx2 v[6:7], v[2:3]
	s_add_i32 s29, s29, -1
	v_lshl_add_u64 v[2:3], v[2:3], 0, s[36:37]
	s_cmp_eq_u32 s29, 0
	s_waitcnt vmcnt(0) lgkmcnt(0)
	scratch_store_dwordx2 v4, v[6:7], off
	v_add_u32_e32 v4, 8, v4
	s_cbranch_scc0 .LBB327_49
; %bb.50:                               ;   in Loop: Header=BB327_18 Depth=1
	v_mov_b32_e32 v2, 0
	v_mov_b32_e32 v8, 0
	v_mov_b64_e32 v[4:5], v[32:33]
	s_mov_b32 s29, s19
	v_mov_b32_e32 v3, v2
	v_mov_b32_e32 v6, v2
	;; [unrolled: 1-line block ×7, first 2 shown]
.LBB327_51:                             ;   Parent Loop BB327_18 Depth=1
                                        ; =>  This Inner Loop Header: Depth=2
	flat_load_dwordx2 v[12:13], v[4:5]
	scratch_load_dwordx2 v[16:17], v8, off
	v_lshl_add_u64 v[34:35], v[4:5], 0, s[40:41]
	flat_load_dwordx2 v[36:37], v[34:35]
	v_lshl_add_u64 v[34:35], v[34:35], 0, s[40:41]
	flat_load_dwordx2 v[38:39], v[34:35]
	;; [unrolled: 2-line block ×3, first 2 shown]
	s_add_i32 s29, s29, -1
	v_add_u32_e32 v8, 8, v8
	s_cmp_lg_u32 s29, 0
	v_lshl_add_u64 v[4:5], v[4:5], 0, 8
	s_waitcnt vmcnt(0) lgkmcnt(0)
	v_pk_mul_f32 v[40:41], v[16:17], v[12:13] op_sel:[0,1]
	s_nop 0
	v_pk_fma_f32 v[42:43], v[16:17], v[12:13], v[40:41] op_sel:[0,0,1] op_sel_hi:[1,1,0]
	v_pk_fma_f32 v[12:13], v[16:17], v[12:13], v[40:41] op_sel:[0,0,1] op_sel_hi:[1,0,0] neg_lo:[0,0,1] neg_hi:[0,0,1]
	v_pk_mul_f32 v[40:41], v[16:17], v[36:37] op_sel:[0,1]
	v_mov_b32_e32 v43, v13
	v_pk_fma_f32 v[12:13], v[16:17], v[36:37], v[40:41] op_sel:[0,0,1] op_sel_hi:[1,1,0]
	v_pk_fma_f32 v[36:37], v[16:17], v[36:37], v[40:41] op_sel:[0,0,1] op_sel_hi:[1,0,0] neg_lo:[0,0,1] neg_hi:[0,0,1]
	v_pk_mul_f32 v[40:41], v[16:17], v[38:39] op_sel:[0,1]
	v_mov_b32_e32 v13, v37
	v_pk_fma_f32 v[36:37], v[16:17], v[38:39], v[40:41] op_sel:[0,0,1] op_sel_hi:[1,1,0]
	v_pk_fma_f32 v[38:39], v[16:17], v[38:39], v[40:41] op_sel:[0,0,1] op_sel_hi:[1,0,0] neg_lo:[0,0,1] neg_hi:[0,0,1]
	v_pk_mul_f32 v[40:41], v[16:17], v[34:35] op_sel:[0,1]
	v_pk_add_f32 v[10:11], v[10:11], v[12:13]
	v_pk_fma_f32 v[12:13], v[16:17], v[34:35], v[40:41] op_sel:[0,0,1] op_sel_hi:[1,1,0]
	v_pk_fma_f32 v[16:17], v[16:17], v[34:35], v[40:41] op_sel:[0,0,1] op_sel_hi:[1,0,0] neg_lo:[0,0,1] neg_hi:[0,0,1]
	v_mov_b32_e32 v37, v39
	v_mov_b32_e32 v13, v17
	v_pk_add_f32 v[14:15], v[14:15], v[42:43]
	v_pk_add_f32 v[6:7], v[6:7], v[36:37]
	v_pk_add_f32 v[2:3], v[2:3], v[12:13]
	s_cbranch_scc1 .LBB327_51
.LBB327_52:                             ;   in Loop: Header=BB327_18 Depth=1
	s_or_b64 exec, exec, s[44:45]
	s_or_b64 exec, exec, s[42:43]
	s_and_saveexec_b64 s[42:43], s[0:1]
	s_cbranch_execnz .LBB327_21
	s_branch .LBB327_22
.LBB327_53:                             ;   in Loop: Header=BB327_18 Depth=1
	ds_read_b64 v[4:5], v57
	s_or_b64 exec, exec, s[42:43]
	s_and_saveexec_b64 s[42:43], s[0:1]
	s_cbranch_execz .LBB327_26
.LBB327_54:                             ;   in Loop: Header=BB327_18 Depth=1
	s_waitcnt lgkmcnt(0)
	ds_bpermute_b32 v8, v55, v4
	ds_bpermute_b32 v9, v55, v5
	s_waitcnt lgkmcnt(0)
	v_pk_add_f32 v[4:5], v[4:5], v[8:9]
	ds_bpermute_b32 v8, v56, v4
	ds_bpermute_b32 v9, v56, v5
	s_waitcnt lgkmcnt(0)
	v_pk_add_f32 v[4:5], v[4:5], v[8:9]
	s_or_b64 exec, exec, s[42:43]
	s_and_saveexec_b64 s[42:43], s[0:1]
	s_cbranch_execnz .LBB327_27
	s_branch .LBB327_28
.LBB327_55:                             ;   in Loop: Header=BB327_18 Depth=1
	ds_read_b64 v[8:9], v57
	s_or_b64 exec, exec, s[42:43]
	s_and_saveexec_b64 s[42:43], s[0:1]
	s_cbranch_execz .LBB327_32
.LBB327_56:                             ;   in Loop: Header=BB327_18 Depth=1
	s_waitcnt lgkmcnt(0)
	ds_bpermute_b32 v10, v55, v8
	ds_bpermute_b32 v11, v55, v9
	s_waitcnt lgkmcnt(0)
	v_pk_add_f32 v[8:9], v[8:9], v[10:11]
	ds_bpermute_b32 v10, v56, v8
	ds_bpermute_b32 v11, v56, v9
	s_waitcnt lgkmcnt(0)
	v_pk_add_f32 v[8:9], v[8:9], v[10:11]
	s_or_b64 exec, exec, s[42:43]
	s_and_saveexec_b64 s[42:43], s[0:1]
	s_cbranch_execnz .LBB327_33
	s_branch .LBB327_34
.LBB327_57:                             ;   in Loop: Header=BB327_18 Depth=1
	ds_read_b64 v[6:7], v57
	s_or_b64 exec, exec, s[42:43]
	s_and_saveexec_b64 s[42:43], s[0:1]
	s_cbranch_execz .LBB327_38
.LBB327_58:                             ;   in Loop: Header=BB327_18 Depth=1
	s_waitcnt lgkmcnt(0)
	ds_bpermute_b32 v10, v55, v6
	ds_bpermute_b32 v11, v55, v7
	s_waitcnt lgkmcnt(0)
	v_pk_add_f32 v[6:7], v[6:7], v[10:11]
	ds_bpermute_b32 v10, v56, v6
	ds_bpermute_b32 v11, v56, v7
	s_waitcnt lgkmcnt(0)
	v_pk_add_f32 v[6:7], v[6:7], v[10:11]
	s_or_b64 exec, exec, s[42:43]
	s_and_saveexec_b64 s[42:43], s[0:1]
	s_cbranch_execnz .LBB327_39
	s_branch .LBB327_40
.LBB327_59:                             ;   in Loop: Header=BB327_18 Depth=1
	ds_read_b64 v[2:3], v57
	s_or_b64 exec, exec, s[42:43]
	s_and_saveexec_b64 s[42:43], s[0:1]
	s_cbranch_execz .LBB327_44
.LBB327_60:                             ;   in Loop: Header=BB327_18 Depth=1
	s_waitcnt lgkmcnt(0)
	ds_bpermute_b32 v10, v55, v2
	ds_bpermute_b32 v11, v55, v3
	s_waitcnt lgkmcnt(0)
	v_pk_add_f32 v[2:3], v[2:3], v[10:11]
	ds_bpermute_b32 v10, v56, v2
	ds_bpermute_b32 v11, v56, v3
	s_waitcnt lgkmcnt(0)
	v_pk_add_f32 v[2:3], v[2:3], v[10:11]
	s_or_b64 exec, exec, s[42:43]
	s_and_saveexec_b64 s[42:43], s[12:13]
	s_cbranch_execz .LBB327_17
.LBB327_61:                             ;   in Loop: Header=BB327_18 Depth=1
	v_pk_mul_f32 v[10:11], v[4:5], s[14:15]
	v_mov_b32_e32 v12, v5
	s_mul_hi_u32 s45, s33, s18
	s_mul_i32 s44, s33, s18
	v_mov_b32_e32 v10, v11
	v_pk_mul_f32 v[12:13], v[12:13], s[14:15]
	s_lshl_b64 s[44:45], s[44:45], 3
	v_pk_fma_f32 v[10:11], v[4:5], s[14:15], v[10:11] neg_lo:[0,0,1] neg_hi:[0,0,1]
	v_pk_fma_f32 v[4:5], v[4:5], s[34:35], v[12:13]
	s_add_u32 s44, s3, s44
	s_addc_u32 s45, s48, s45
	v_mov_b32_e32 v11, v4
	s_or_b32 s29, s33, 1
	global_store_dwordx2 v30, v[10:11], s[44:45]
	v_pk_mul_f32 v[4:5], v[8:9], s[14:15]
	v_mov_b32_e32 v10, v9
	s_mul_hi_u32 s45, s29, s18
	s_mul_i32 s44, s29, s18
	v_mov_b32_e32 v4, v5
	v_pk_mul_f32 v[10:11], v[10:11], s[14:15]
	s_lshl_b64 s[44:45], s[44:45], 3
	v_pk_fma_f32 v[4:5], v[8:9], s[14:15], v[4:5] neg_lo:[0,0,1] neg_hi:[0,0,1]
	v_pk_fma_f32 v[8:9], v[8:9], s[34:35], v[10:11]
	s_add_u32 s44, s3, s44
	s_addc_u32 s45, s48, s45
	v_mov_b32_e32 v5, v8
	s_or_b32 s29, s33, 2
	global_store_dwordx2 v30, v[4:5], s[44:45]
	;; [unrolled: 14-line block ×3, first 2 shown]
	s_mul_hi_u32 s45, s29, s18
	s_mul_i32 s44, s29, s18
	s_waitcnt lgkmcnt(0)
	v_pk_mul_f32 v[4:5], v[2:3], s[14:15] op_sel:[1,0]
	s_lshl_b64 s[44:45], s[44:45], 3
	s_add_u32 s44, s3, s44
	v_pk_fma_f32 v[6:7], v[2:3], s[14:15], v[4:5] op_sel:[0,0,1] op_sel_hi:[1,1,0] neg_lo:[0,0,1] neg_hi:[0,0,1]
	v_pk_fma_f32 v[2:3], v[2:3], s[14:15], v[4:5] op_sel:[0,0,1] op_sel_hi:[0,1,0]
	s_addc_u32 s45, s48, s45
	v_mov_b32_e32 v7, v3
	global_store_dwordx2 v30, v[6:7], s[44:45]
	s_branch .LBB327_17
.LBB327_62:
	s_mov_b32 s33, 0
.LBB327_63:
	s_cmp_ge_i32 s33, s17
	s_cbranch_scc1 .LBB327_85
; %bb.64:
	s_waitcnt lgkmcnt(0)
	v_mbcnt_hi_u32_b32 v2, -1, v48
	v_and_b32_e32 v3, 63, v2
	v_cmp_gt_u32_e64 s[4:5], 32, v3
	s_mov_b32 s12, 0
	s_cmp_gt_i32 s19, 0
	v_cndmask_b32_e64 v4, 0, 1, s[4:5]
	v_lshlrev_b32_e32 v4, 5, v4
	v_cmp_gt_u32_e64 s[4:5], 48, v3
	v_add_lshl_u32 v17, v4, v2, 2
	s_mov_b32 s3, s12
	v_cndmask_b32_e64 v4, 0, 1, s[4:5]
	v_lshlrev_b32_e32 v4, 4, v4
	v_cmp_gt_u32_e64 s[4:5], 56, v3
	v_add_lshl_u32 v22, v4, v2, 2
	s_cselect_b64 s[30:31], -1, 0
	v_cndmask_b32_e64 v4, 0, 1, s[4:5]
	v_lshlrev_b32_e32 v4, 3, v4
	v_cmp_gt_u32_e64 s[4:5], 60, v3
	v_add_lshl_u32 v23, v4, v2, 2
	s_lshl_b64 s[2:3], s[2:3], 3
	v_cndmask_b32_e64 v4, 0, 1, s[4:5]
	v_lshlrev_b32_e32 v4, 2, v4
	v_cmp_gt_u32_e64 s[4:5], 62, v3
	v_add_lshl_u32 v24, v4, v2, 2
	v_cmp_ge_i32_e32 vcc, s16, v49
	v_cndmask_b32_e64 v4, 0, 1, s[4:5]
	v_lshlrev_b32_e32 v4, 1, v4
	v_cmp_ne_u32_e64 s[4:5], 63, v3
	v_cmp_ge_i32_e64 s[10:11], s16, v50
	v_add_lshl_u32 v25, v4, v2, 2
	v_addc_co_u32_e64 v2, s[4:5], 0, v2, s[4:5]
	s_add_u32 s16, s35, s2
	v_cmp_gt_u32_e64 s[0:1], 64, v0
	v_lshlrev_b32_e32 v16, 3, v1
	v_lshlrev_b32_e32 v26, 2, v2
	v_cmp_eq_u32_e64 s[4:5], 0, v1
	v_cmp_gt_u32_e64 s[6:7], 4, v0
	v_cmp_eq_u32_e64 s[8:9], 0, v0
	s_addc_u32 s28, s46, s3
	v_mad_i64_i32 v[0:1], s[2:3], s26, v20, 0
	v_mad_i64_i32 v[2:3], s[2:3], s26, v46, 0
	;; [unrolled: 1-line block ×4, first 2 shown]
	v_lshl_add_u64 v[0:1], v[0:1], 3, s[24:25]
	v_lshl_add_u64 v[2:3], v[2:3], 3, s[24:25]
	;; [unrolled: 1-line block ×4, first 2 shown]
	s_mul_i32 s13, s21, s33
	s_mul_hi_u32 s24, s20, s33
	s_add_i32 s25, s24, s13
	s_mul_i32 s24, s20, s33
	s_and_b64 s[2:3], s[30:31], s[10:11]
	s_lshl_b64 s[10:11], s[26:27], 3
	s_lshl_b64 s[24:25], s[24:25], 3
	s_add_u32 s22, s22, s24
	s_addc_u32 s23, s23, s25
	v_and_b32_e32 v27, 24, v47
	v_lshl_add_u64 v[8:9], v[20:21], 3, s[22:23]
	s_lshl_b64 s[22:23], s[20:21], 3
	v_mov_b32_e32 v10, 0
	s_branch .LBB327_66
.LBB327_65:                             ;   in Loop: Header=BB327_66 Depth=1
	s_or_b64 exec, exec, s[24:25]
	s_add_i32 s33, s33, 1
	s_cmp_lt_i32 s33, s17
	v_lshl_add_u64 v[8:9], v[8:9], 0, s[22:23]
	s_cbranch_scc0 .LBB327_85
.LBB327_66:                             ; =>This Loop Header: Depth=1
                                        ;     Child Loop BB327_78 Depth 2
                                        ;     Child Loop BB327_80 Depth 2
                                        ; implicit-def: $vgpr13
	s_and_saveexec_b64 s[24:25], vcc
	s_xor_b64 s[24:25], exec, s[24:25]
	s_cbranch_execnz .LBB327_75
; %bb.67:                               ;   in Loop: Header=BB327_66 Depth=1
	s_andn2_saveexec_b64 s[24:25], s[24:25]
	s_cbranch_execnz .LBB327_76
.LBB327_68:                             ;   in Loop: Header=BB327_66 Depth=1
	s_or_b64 exec, exec, s[24:25]
	s_and_saveexec_b64 s[24:25], s[0:1]
	s_cbranch_execz .LBB327_70
.LBB327_69:                             ;   in Loop: Header=BB327_66 Depth=1
	v_mov_b32_e32 v11, v10
	ds_write_b64 v16, v[10:11]
.LBB327_70:                             ;   in Loop: Header=BB327_66 Depth=1
	s_or_b64 exec, exec, s[24:25]
	s_waitcnt lgkmcnt(0)
	ds_bpermute_b32 v14, v17, v12
	ds_bpermute_b32 v15, v17, v13
	s_waitcnt lgkmcnt(0)
	s_barrier
	v_pk_add_f32 v[12:13], v[12:13], v[14:15]
	ds_bpermute_b32 v14, v22, v12
	ds_bpermute_b32 v15, v22, v13
	s_waitcnt lgkmcnt(0)
	v_pk_add_f32 v[12:13], v[12:13], v[14:15]
	ds_bpermute_b32 v14, v23, v12
	ds_bpermute_b32 v15, v23, v13
	s_waitcnt lgkmcnt(0)
	;; [unrolled: 4-line block ×4, first 2 shown]
	v_pk_add_f32 v[12:13], v[12:13], v[14:15]
	ds_bpermute_b32 v14, v26, v12
	ds_bpermute_b32 v15, v26, v13
	s_and_saveexec_b64 s[24:25], s[4:5]
	s_cbranch_execz .LBB327_72
; %bb.71:                               ;   in Loop: Header=BB327_66 Depth=1
	s_waitcnt lgkmcnt(0)
	v_pk_add_f32 v[12:13], v[12:13], v[14:15]
	ds_write_b64 v27, v[12:13]
.LBB327_72:                             ;   in Loop: Header=BB327_66 Depth=1
	s_or_b64 exec, exec, s[24:25]
	s_mov_b32 s13, s12
	v_mov_b64_e32 v[12:13], s[12:13]
	s_waitcnt lgkmcnt(0)
	s_barrier
	s_and_saveexec_b64 s[24:25], s[6:7]
	s_cbranch_execnz .LBB327_82
; %bb.73:                               ;   in Loop: Header=BB327_66 Depth=1
	s_or_b64 exec, exec, s[24:25]
	s_and_saveexec_b64 s[24:25], s[0:1]
	s_cbranch_execnz .LBB327_83
.LBB327_74:                             ;   in Loop: Header=BB327_66 Depth=1
	s_or_b64 exec, exec, s[24:25]
	s_and_saveexec_b64 s[24:25], s[8:9]
	s_cbranch_execz .LBB327_65
	s_branch .LBB327_84
.LBB327_75:                             ;   in Loop: Header=BB327_66 Depth=1
	s_mul_i32 s13, s33, s21
	s_mul_hi_u32 s26, s33, s20
	s_add_i32 s27, s26, s13
	s_mul_i32 s26, s33, s20
	v_lshl_add_u64 v[20:21], s[26:27], 3, v[18:19]
	flat_load_dwordx2 v[14:15], v[2:3]
	flat_load_dwordx2 v[28:29], v[4:5]
	s_waitcnt lgkmcnt(0)
	flat_load_dwordx2 v[12:13], v[0:1]
	flat_load_dwordx2 v[30:31], v[6:7]
	flat_load_dwordx4 v[32:35], v[20:21]
	flat_load_dwordx4 v[36:39], v[20:21] offset:16
	s_waitcnt vmcnt(0) lgkmcnt(0)
	scratch_store_dwordx4 off, v[12:15], off
	scratch_store_dwordx4 off, v[28:31], off offset:16
	v_mul_f32_e32 v40, v33, v13
	v_mul_f32_e32 v11, v33, v12
	v_mov_b32_e32 v20, v29
	v_mul_f32_e32 v42, v35, v15
	v_mul_f32_e32 v21, v35, v14
	v_pk_mul_f32 v[44:45], v[36:37], v[28:29] op_sel_hi:[1,0]
	v_pk_mul_f32 v[46:47], v[38:39], v[30:31] op_sel:[0,1]
	v_fmac_f32_e32 v40, v32, v12
	v_fma_f32 v41, v32, v13, -v11
	v_fmac_f32_e32 v42, v34, v14
	v_fma_f32 v43, v34, v15, -v21
	v_pk_fma_f32 v[12:13], v[36:37], v[20:21], v[44:45] op_sel:[1,0,0] op_sel_hi:[0,1,1]
	v_pk_fma_f32 v[14:15], v[36:37], v[28:29], v[44:45] op_sel:[1,1,0] op_sel_hi:[0,1,1] neg_lo:[0,0,1] neg_hi:[0,0,1]
	v_pk_fma_f32 v[20:21], v[38:39], v[30:31], v[46:47] op_sel:[0,0,1] op_sel_hi:[1,1,0]
	v_pk_fma_f32 v[28:29], v[38:39], v[30:31], v[46:47] op_sel:[0,0,1] op_sel_hi:[1,0,0] neg_lo:[1,0,0] neg_hi:[1,0,0]
	v_pk_add_f32 v[30:31], v[40:41], 0 op_sel_hi:[1,0]
	v_mov_b32_e32 v13, v15
	v_pk_add_f32 v[14:15], v[30:31], v[42:43]
	v_mov_b32_e32 v21, v29
	v_pk_add_f32 v[12:13], v[14:15], v[12:13]
	s_nop 0
	v_pk_add_f32 v[12:13], v[12:13], v[20:21]
	s_andn2_saveexec_b64 s[24:25], s[24:25]
	s_cbranch_execz .LBB327_68
.LBB327_76:                             ;   in Loop: Header=BB327_66 Depth=1
	s_waitcnt lgkmcnt(0)
	v_mov_b32_e32 v13, 0
	v_mov_b32_e32 v12, v13
	s_and_saveexec_b64 s[26:27], s[2:3]
	s_cbranch_execz .LBB327_81
; %bb.77:                               ;   in Loop: Header=BB327_66 Depth=1
	v_mov_b32_e32 v11, 0
	v_mov_b64_e32 v[12:13], v[0:1]
	s_mov_b32 s13, s19
.LBB327_78:                             ;   Parent Loop BB327_66 Depth=1
                                        ; =>  This Inner Loop Header: Depth=2
	flat_load_dwordx2 v[14:15], v[12:13]
	s_add_i32 s13, s13, -1
	v_lshl_add_u64 v[12:13], v[12:13], 0, s[10:11]
	s_cmp_eq_u32 s13, 0
	s_waitcnt vmcnt(0) lgkmcnt(0)
	scratch_store_dwordx2 v11, v[14:15], off
	v_add_u32_e32 v11, 8, v11
	s_cbranch_scc0 .LBB327_78
; %bb.79:                               ;   in Loop: Header=BB327_66 Depth=1
	v_mov_b32_e32 v12, 0
	v_mov_b32_e32 v11, 0
	v_mov_b64_e32 v[14:15], v[8:9]
	s_mov_b32 s13, s19
	v_mov_b32_e32 v13, v12
.LBB327_80:                             ;   Parent Loop BB327_66 Depth=1
                                        ; =>  This Inner Loop Header: Depth=2
	flat_load_dwordx2 v[20:21], v[14:15]
	scratch_load_dwordx2 v[28:29], v11, off
	s_add_i32 s13, s13, -1
	v_add_u32_e32 v11, 8, v11
	v_lshl_add_u64 v[14:15], v[14:15], 0, 8
	s_cmp_lg_u32 s13, 0
	s_waitcnt vmcnt(0) lgkmcnt(0)
	v_pk_mul_f32 v[30:31], v[20:21], v[28:29] op_sel:[1,0]
	s_nop 0
	v_pk_fma_f32 v[32:33], v[20:21], v[28:29], v[30:31] op_sel:[0,0,1] op_sel_hi:[1,1,0]
	v_pk_fma_f32 v[20:21], v[20:21], v[28:29], v[30:31] op_sel:[0,0,1] op_sel_hi:[0,1,0] neg_lo:[0,0,1] neg_hi:[0,0,1]
	v_mov_b32_e32 v33, v21
	v_pk_add_f32 v[12:13], v[12:13], v[32:33]
	s_cbranch_scc1 .LBB327_80
.LBB327_81:                             ;   in Loop: Header=BB327_66 Depth=1
	s_or_b64 exec, exec, s[26:27]
	s_or_b64 exec, exec, s[24:25]
	s_and_saveexec_b64 s[24:25], s[0:1]
	s_cbranch_execnz .LBB327_69
	s_branch .LBB327_70
.LBB327_82:                             ;   in Loop: Header=BB327_66 Depth=1
	ds_read_b64 v[12:13], v16
	s_or_b64 exec, exec, s[24:25]
	s_and_saveexec_b64 s[24:25], s[0:1]
	s_cbranch_execz .LBB327_74
.LBB327_83:                             ;   in Loop: Header=BB327_66 Depth=1
	s_waitcnt lgkmcnt(0)
	ds_bpermute_b32 v14, v25, v12
	ds_bpermute_b32 v15, v25, v13
	s_waitcnt lgkmcnt(0)
	v_pk_add_f32 v[12:13], v[12:13], v[14:15]
	ds_bpermute_b32 v14, v26, v12
	ds_bpermute_b32 v15, v26, v13
	s_waitcnt lgkmcnt(0)
	v_pk_add_f32 v[12:13], v[12:13], v[14:15]
	s_or_b64 exec, exec, s[24:25]
	s_and_saveexec_b64 s[24:25], s[8:9]
	s_cbranch_execz .LBB327_65
.LBB327_84:                             ;   in Loop: Header=BB327_66 Depth=1
	s_mul_hi_u32 s27, s33, s18
	s_mul_i32 s26, s33, s18
	s_waitcnt lgkmcnt(0)
	v_pk_mul_f32 v[14:15], v[12:13], s[14:15] op_sel:[1,0]
	s_lshl_b64 s[26:27], s[26:27], 3
	s_add_u32 s26, s16, s26
	v_pk_fma_f32 v[20:21], v[12:13], s[14:15], v[14:15] op_sel:[0,0,1] op_sel_hi:[1,1,0] neg_lo:[0,0,1] neg_hi:[0,0,1]
	v_pk_fma_f32 v[12:13], v[12:13], s[14:15], v[14:15] op_sel:[0,0,1] op_sel_hi:[0,1,0]
	s_addc_u32 s27, s28, s27
	v_mov_b32_e32 v21, v13
	global_store_dwordx2 v10, v[20:21], s[26:27]
	s_branch .LBB327_65
.LBB327_85:
	s_endpgm
	.section	.rodata,"a",@progbits
	.p2align	6, 0x0
	.amdhsa_kernel _ZL23rocblas_gemvt_sn_kernelILb1ELi256ELi4ElPK19rocblas_complex_numIfES3_S1_EviiT4_lPKT3_lilS7_lilPT5_i
		.amdhsa_group_segment_fixed_size 512
		.amdhsa_private_segment_fixed_size 48
		.amdhsa_kernarg_size 360
		.amdhsa_user_sgpr_count 2
		.amdhsa_user_sgpr_dispatch_ptr 0
		.amdhsa_user_sgpr_queue_ptr 0
		.amdhsa_user_sgpr_kernarg_segment_ptr 1
		.amdhsa_user_sgpr_dispatch_id 0
		.amdhsa_user_sgpr_kernarg_preload_length 0
		.amdhsa_user_sgpr_kernarg_preload_offset 0
		.amdhsa_user_sgpr_private_segment_size 0
		.amdhsa_uses_dynamic_stack 0
		.amdhsa_enable_private_segment 1
		.amdhsa_system_sgpr_workgroup_id_x 1
		.amdhsa_system_sgpr_workgroup_id_y 0
		.amdhsa_system_sgpr_workgroup_id_z 1
		.amdhsa_system_sgpr_workgroup_info 0
		.amdhsa_system_vgpr_workitem_id 0
		.amdhsa_next_free_vgpr 76
		.amdhsa_next_free_sgpr 49
		.amdhsa_accum_offset 76
		.amdhsa_reserve_vcc 1
		.amdhsa_float_round_mode_32 0
		.amdhsa_float_round_mode_16_64 0
		.amdhsa_float_denorm_mode_32 3
		.amdhsa_float_denorm_mode_16_64 3
		.amdhsa_dx10_clamp 1
		.amdhsa_ieee_mode 1
		.amdhsa_fp16_overflow 0
		.amdhsa_tg_split 0
		.amdhsa_exception_fp_ieee_invalid_op 0
		.amdhsa_exception_fp_denorm_src 0
		.amdhsa_exception_fp_ieee_div_zero 0
		.amdhsa_exception_fp_ieee_overflow 0
		.amdhsa_exception_fp_ieee_underflow 0
		.amdhsa_exception_fp_ieee_inexact 0
		.amdhsa_exception_int_div_zero 0
	.end_amdhsa_kernel
	.section	.text._ZL23rocblas_gemvt_sn_kernelILb1ELi256ELi4ElPK19rocblas_complex_numIfES3_S1_EviiT4_lPKT3_lilS7_lilPT5_i,"axG",@progbits,_ZL23rocblas_gemvt_sn_kernelILb1ELi256ELi4ElPK19rocblas_complex_numIfES3_S1_EviiT4_lPKT3_lilS7_lilPT5_i,comdat
.Lfunc_end327:
	.size	_ZL23rocblas_gemvt_sn_kernelILb1ELi256ELi4ElPK19rocblas_complex_numIfES3_S1_EviiT4_lPKT3_lilS7_lilPT5_i, .Lfunc_end327-_ZL23rocblas_gemvt_sn_kernelILb1ELi256ELi4ElPK19rocblas_complex_numIfES3_S1_EviiT4_lPKT3_lilS7_lilPT5_i
                                        ; -- End function
	.section	.AMDGPU.csdata,"",@progbits
; Kernel info:
; codeLenInByte = 5404
; NumSgprs: 55
; NumVgprs: 76
; NumAgprs: 0
; TotalNumVgprs: 76
; ScratchSize: 48
; MemoryBound: 0
; FloatMode: 240
; IeeeMode: 1
; LDSByteSize: 512 bytes/workgroup (compile time only)
; SGPRBlocks: 6
; VGPRBlocks: 9
; NumSGPRsForWavesPerEU: 55
; NumVGPRsForWavesPerEU: 76
; AccumOffset: 76
; Occupancy: 6
; WaveLimiterHint : 0
; COMPUTE_PGM_RSRC2:SCRATCH_EN: 1
; COMPUTE_PGM_RSRC2:USER_SGPR: 2
; COMPUTE_PGM_RSRC2:TRAP_HANDLER: 0
; COMPUTE_PGM_RSRC2:TGID_X_EN: 1
; COMPUTE_PGM_RSRC2:TGID_Y_EN: 0
; COMPUTE_PGM_RSRC2:TGID_Z_EN: 1
; COMPUTE_PGM_RSRC2:TIDIG_COMP_CNT: 0
; COMPUTE_PGM_RSRC3_GFX90A:ACCUM_OFFSET: 18
; COMPUTE_PGM_RSRC3_GFX90A:TG_SPLIT: 0
	.section	.text._ZL23rocblas_gemvt_sn_kernelILb1ELi256ELi4EiPK19rocblas_complex_numIfES1_S1_EviiT4_lPKT3_lilS7_lilPT5_i,"axG",@progbits,_ZL23rocblas_gemvt_sn_kernelILb1ELi256ELi4EiPK19rocblas_complex_numIfES1_S1_EviiT4_lPKT3_lilS7_lilPT5_i,comdat
	.globl	_ZL23rocblas_gemvt_sn_kernelILb1ELi256ELi4EiPK19rocblas_complex_numIfES1_S1_EviiT4_lPKT3_lilS7_lilPT5_i ; -- Begin function _ZL23rocblas_gemvt_sn_kernelILb1ELi256ELi4EiPK19rocblas_complex_numIfES1_S1_EviiT4_lPKT3_lilS7_lilPT5_i
	.p2align	8
	.type	_ZL23rocblas_gemvt_sn_kernelILb1ELi256ELi4EiPK19rocblas_complex_numIfES1_S1_EviiT4_lPKT3_lilS7_lilPT5_i,@function
_ZL23rocblas_gemvt_sn_kernelILb1ELi256ELi4EiPK19rocblas_complex_numIfES1_S1_EviiT4_lPKT3_lilS7_lilPT5_i: ; @_ZL23rocblas_gemvt_sn_kernelILb1ELi256ELi4EiPK19rocblas_complex_numIfES1_S1_EviiT4_lPKT3_lilS7_lilPT5_i
; %bb.0:
	s_load_dwordx4 s[16:19], s[0:1], 0x0
	s_mov_b32 s4, s3
	s_mov_b32 s5, 0
	s_waitcnt lgkmcnt(0)
	s_or_b32 s3, s18, s19
	s_bitset0_b32 s3, 31
	s_cmp_lg_u32 s3, 0
	s_cselect_b64 s[8:9], -1, 0
	s_cmp_eq_u32 s3, 0
	s_cselect_b64 s[12:13], -1, 0
	s_and_b64 vcc, exec, s[8:9]
	s_cbranch_vccnz .LBB328_2
; %bb.1:
	s_mov_b64 s[6:7], 0
	s_cbranch_execz .LBB328_3
	s_branch .LBB328_4
.LBB328_2:
                                        ; implicit-def: $sgpr6_sgpr7
.LBB328_3:
	s_load_dwordx4 s[20:23], s[0:1], 0x18
	s_lshl_b64 s[6:7], s[4:5], 3
	s_waitcnt lgkmcnt(0)
	s_add_u32 s6, s20, s6
	s_addc_u32 s7, s21, s7
	s_load_dwordx2 s[6:7], s[6:7], 0x0
	s_lshl_b64 s[10:11], s[22:23], 3
	s_waitcnt lgkmcnt(0)
	s_add_u32 s6, s6, s10
	s_addc_u32 s7, s7, s11
.LBB328_4:
	s_andn2_b64 vcc, exec, s[8:9]
	s_mov_b64 s[14:15], 0
	s_cbranch_vccnz .LBB328_6
; %bb.5:
	s_load_dwordx4 s[8:11], s[0:1], 0x38
	s_lshl_b64 s[14:15], s[4:5], 3
	s_waitcnt lgkmcnt(0)
	s_add_u32 s8, s8, s14
	s_addc_u32 s9, s9, s15
	s_load_dwordx2 s[8:9], s[8:9], 0x0
	s_lshl_b64 s[10:11], s[10:11], 3
	s_waitcnt lgkmcnt(0)
	s_add_u32 s14, s8, s10
	s_addc_u32 s15, s9, s11
.LBB328_6:
	s_load_dwordx2 s[8:9], s[0:1], 0x58
	s_load_dword s20, s[0:1], 0x68
	s_ashr_i32 s26, s17, 31
	s_mul_hi_u32 s3, s4, s17
	s_mul_i32 s10, s4, s26
	s_add_i32 s3, s3, s10
	s_mul_i32 s5, s5, s17
	s_add_i32 s11, s3, s5
	s_mul_i32 s10, s4, s17
	s_waitcnt lgkmcnt(0)
	s_mul_i32 s3, s11, s20
	s_mul_hi_u32 s4, s10, s20
	s_add_i32 s5, s4, s3
	s_mul_i32 s4, s10, s20
	s_lshl_b64 s[4:5], s[4:5], 3
	s_add_u32 s43, s8, s4
	s_mov_b32 s21, 0
	s_addc_u32 s44, s9, s5
	s_mov_b64 s[22:23], -1
	s_andn2_b64 vcc, exec, s[12:13]
	v_cmp_eq_u32_e64 s[4:5], 0, v0
	s_cbranch_vccnz .LBB328_16
; %bb.7:
	s_cmp_gt_i32 s17, 0
	s_cselect_b64 s[12:13], -1, 0
	s_and_b64 s[12:13], s[4:5], s[12:13]
	s_and_saveexec_b64 s[4:5], s[12:13]
	s_cbranch_execz .LBB328_15
; %bb.8:
	s_cmp_gt_u32 s17, 3
	s_cselect_b64 s[12:13], -1, 0
	s_cmp_eq_u32 s20, 1
	s_cselect_b64 s[28:29], -1, 0
	s_mov_b32 s3, 0
	s_and_b64 s[12:13], s[12:13], s[28:29]
	s_mov_b32 s22, 1
	s_mov_b64 s[24:25], -1
	s_andn2_b64 vcc, exec, s[12:13]
	s_mov_b32 s12, s3
	s_cbranch_vccnz .LBB328_12
; %bb.9:
	s_lshl_b64 s[24:25], s[2:3], 3
	s_add_u32 s13, s43, s24
	s_addc_u32 s27, s44, s25
	s_mov_b32 s25, 0
	s_and_b32 s12, s17, 0x7ffffffc
	s_mov_b32 s24, s25
	v_mov_b32_e32 v1, 0
	v_mov_b64_e32 v[2:3], s[24:25]
	s_mov_b32 s28, s12
.LBB328_10:                             ; =>This Inner Loop Header: Depth=1
	s_add_i32 s30, s22, 2
	s_add_i32 s34, s24, 2
	s_lshl_b64 s[36:37], s[24:25], 3
	s_mov_b32 s23, s25
	s_add_u32 s36, s13, s36
	s_addc_u32 s37, s27, s37
	s_lshl_b64 s[38:39], s[22:23], 3
	s_mov_b32 s35, s25
	s_add_u32 s38, s13, s38
	s_addc_u32 s39, s27, s39
	;; [unrolled: 4-line block ×3, first 2 shown]
	s_lshl_b64 s[30:31], s[30:31], 3
	s_add_u32 s30, s13, s30
	s_addc_u32 s31, s27, s31
	s_add_i32 s24, s24, 4
	s_add_i32 s22, s22, 4
	s_add_i32 s28, s28, -4
	s_cmp_lg_u32 s28, 0
	global_store_dwordx2 v1, v[2:3], s[36:37]
	global_store_dwordx2 v1, v[2:3], s[38:39]
	;; [unrolled: 1-line block ×4, first 2 shown]
	s_cbranch_scc1 .LBB328_10
; %bb.11:
	s_cmp_lg_u32 s12, s17
	s_cselect_b64 s[24:25], -1, 0
.LBB328_12:
	s_and_b64 vcc, exec, s[24:25]
	s_cbranch_vccz .LBB328_15
; %bb.13:
	s_mov_b32 s13, 0
	s_sub_i32 s22, s17, s12
	s_lshl_b64 s[10:11], s[10:11], 3
	s_lshl_b64 s[12:13], s[12:13], 3
	s_add_u32 s10, s10, s12
	s_addc_u32 s11, s11, s13
	s_mul_i32 s11, s11, s20
	s_mul_hi_u32 s12, s10, s20
	s_add_i32 s12, s12, s11
	s_mul_i32 s13, s10, s20
	s_lshl_b64 s[10:11], s[2:3], 3
	s_add_u32 s3, s13, s10
	s_addc_u32 s10, s12, s11
	s_add_u32 s8, s8, s3
	v_mov_b32_e32 v2, 0
	s_addc_u32 s9, s9, s10
	s_lshl_b64 s[10:11], s[20:21], 3
	v_mov_b32_e32 v3, v2
.LBB328_14:                             ; =>This Inner Loop Header: Depth=1
	s_add_i32 s22, s22, -1
	global_store_dwordx2 v2, v[2:3], s[8:9]
	s_add_u32 s8, s8, s10
	s_addc_u32 s9, s9, s11
	s_cmp_eq_u32 s22, 0
	s_cbranch_scc0 .LBB328_14
.LBB328_15:
	s_or_b64 exec, exec, s[4:5]
	s_mov_b64 s[22:23], 0
.LBB328_16:
	s_andn2_b64 vcc, exec, s[22:23]
	s_cbranch_vccnz .LBB328_87
; %bb.17:
	s_load_dword s21, s[0:1], 0x28
	s_load_dword s27, s[0:1], 0x48
	s_lshl_b32 s0, s2, 10
	v_lshl_or_b32 v2, v0, 2, s0
	s_lshr_b32 s0, s26, 30
	s_add_i32 s0, s17, s0
	s_and_b32 s3, s0, -4
	s_ashr_i32 s0, s16, 31
	s_lshr_b32 s0, s0, 30
	s_add_i32 s0, s16, s0
	s_and_b32 s0, s0, -4
	v_ashrrev_i32_e32 v3, 31, v2
	s_sub_i32 s33, s16, s0
	v_lshl_add_u64 v[6:7], v[2:3], 3, s[6:7]
	s_cmp_lt_i32 s3, 1
	v_add_u32_e32 v59, 4, v2
	v_add_u32_e32 v60, s33, v2
	v_and_b32_e32 v1, 63, v0
	v_cmp_gt_u32_e64 s[0:1], 64, v0
	v_mbcnt_lo_u32_b32 v58, -1, 0
	v_cmp_gt_u32_e64 s[4:5], 4, v0
	v_lshrrev_b32_e32 v9, 3, v0
	s_waitcnt lgkmcnt(0)
	v_mul_lo_u32 v8, v2, s27
	s_cbranch_scc1 .LBB328_64
; %bb.18:
	v_mbcnt_hi_u32_b32 v3, -1, v58
	v_and_b32_e32 v4, 63, v3
	v_cmp_gt_u32_e32 vcc, 32, v4
	v_mul_lo_u32 v10, v2, s27
	v_add_u32_e32 v2, s27, v10
	v_cndmask_b32_e64 v5, 0, 1, vcc
	v_lshlrev_b32_e32 v5, 5, v5
	v_cmp_gt_u32_e32 vcc, 48, v4
	v_add_lshl_u32 v61, v5, v3, 2
	s_cmp_gt_i32 s33, 0
	v_cndmask_b32_e64 v5, 0, 1, vcc
	v_lshlrev_b32_e32 v5, 4, v5
	v_cmp_gt_u32_e32 vcc, 56, v4
	v_add_lshl_u32 v62, v5, v3, 2
	v_ashrrev_i32_e32 v11, 31, v10
	v_cndmask_b32_e64 v5, 0, 1, vcc
	v_lshlrev_b32_e32 v5, 3, v5
	v_cmp_gt_u32_e32 vcc, 60, v4
	v_add_lshl_u32 v63, v5, v3, 2
	v_cmp_ge_i32_e64 s[6:7], s16, v59
	v_cndmask_b32_e64 v5, 0, 1, vcc
	v_lshlrev_b32_e32 v5, 2, v5
	v_cmp_gt_u32_e32 vcc, 62, v4
	v_add_lshl_u32 v64, v5, v3, 2
	v_cmp_ge_i32_e64 s[8:9], s16, v60
	v_cndmask_b32_e64 v5, 0, 1, vcc
	v_lshlrev_b32_e32 v5, 1, v5
	v_cmp_ne_u32_e32 vcc, 63, v4
	v_add_lshl_u32 v65, v5, v3, 2
	s_mov_b32 s22, 0
	v_addc_co_u32_e32 v3, vcc, 0, v3, vcc
	v_lshlrev_b32_e32 v66, 2, v3
	v_ashrrev_i32_e32 v3, 31, v2
	v_lshl_add_u64 v[14:15], v[2:3], 3, s[14:15]
	v_add_u32_e32 v2, s27, v2
	v_ashrrev_i32_e32 v3, 31, v2
	v_lshl_add_u64 v[16:17], v[2:3], 3, s[14:15]
	v_add_u32_e32 v2, s27, v2
	v_ashrrev_i32_e32 v3, 31, v2
	s_cselect_b64 s[24:25], -1, 0
	v_cmp_eq_u32_e64 s[10:11], 0, v1
	v_lshlrev_b32_e32 v67, 3, v1
	v_and_b32_e32 v68, 24, v9
	v_cmp_eq_u32_e64 s[12:13], 0, v0
	v_lshl_add_u64 v[12:13], v[10:11], 3, s[14:15]
	v_lshl_add_u64 v[18:19], v[2:3], 3, s[14:15]
	s_mov_b32 s26, s19
	s_lshl_b32 s45, s21, 2
	s_lshl_b32 s46, s21, 1
	s_mul_i32 s47, s21, 3
	v_mov_b32_e32 v20, 0
	s_mov_b32 s28, 0
	s_mov_b32 s48, s21
	;; [unrolled: 1-line block ×3, first 2 shown]
	s_branch .LBB328_20
.LBB328_19:                             ;   in Loop: Header=BB328_20 Depth=1
	s_or_b64 exec, exec, s[30:31]
	s_add_i32 s42, s42, 4
	s_add_i32 s48, s48, s45
	;; [unrolled: 1-line block ×5, first 2 shown]
	s_cmp_ge_i32 s42, s3
	s_cbranch_scc1 .LBB328_65
.LBB328_20:                             ; =>This Loop Header: Depth=1
                                        ;     Child Loop BB328_51 Depth 2
                                        ;     Child Loop BB328_53 Depth 2
                                        ; implicit-def: $vgpr25
                                        ; implicit-def: $vgpr23
                                        ; implicit-def: $vgpr5
                                        ; implicit-def: $vgpr3
	s_and_saveexec_b64 s[30:31], s[6:7]
	s_xor_b64 s[30:31], exec, s[30:31]
	s_cbranch_execnz .LBB328_47
; %bb.21:                               ;   in Loop: Header=BB328_20 Depth=1
	s_andn2_saveexec_b64 s[30:31], s[30:31]
	s_cbranch_execnz .LBB328_48
.LBB328_22:                             ;   in Loop: Header=BB328_20 Depth=1
	s_or_b64 exec, exec, s[30:31]
	s_and_saveexec_b64 s[30:31], s[0:1]
	s_cbranch_execz .LBB328_24
.LBB328_23:                             ;   in Loop: Header=BB328_20 Depth=1
	v_mov_b32_e32 v21, v20
	ds_write_b64 v67, v[20:21]
.LBB328_24:                             ;   in Loop: Header=BB328_20 Depth=1
	s_or_b64 exec, exec, s[30:31]
	ds_bpermute_b32 v26, v61, v24
	ds_bpermute_b32 v27, v61, v25
	s_waitcnt lgkmcnt(0)
	s_barrier
	v_pk_add_f32 v[24:25], v[24:25], v[26:27]
	ds_bpermute_b32 v26, v62, v24
	ds_bpermute_b32 v27, v62, v25
	s_waitcnt lgkmcnt(0)
	v_pk_add_f32 v[24:25], v[24:25], v[26:27]
	ds_bpermute_b32 v26, v63, v24
	ds_bpermute_b32 v27, v63, v25
	s_waitcnt lgkmcnt(0)
	;; [unrolled: 4-line block ×4, first 2 shown]
	v_pk_add_f32 v[24:25], v[24:25], v[26:27]
	ds_bpermute_b32 v26, v66, v24
	ds_bpermute_b32 v27, v66, v25
	s_and_saveexec_b64 s[30:31], s[10:11]
	s_cbranch_execz .LBB328_26
; %bb.25:                               ;   in Loop: Header=BB328_20 Depth=1
	s_waitcnt lgkmcnt(0)
	v_pk_add_f32 v[24:25], v[24:25], v[26:27]
	ds_write_b64 v68, v[24:25]
.LBB328_26:                             ;   in Loop: Header=BB328_20 Depth=1
	s_or_b64 exec, exec, s[30:31]
	s_mov_b32 s23, s22
	v_mov_b64_e32 v[24:25], s[22:23]
	s_waitcnt lgkmcnt(0)
	s_barrier
	s_and_saveexec_b64 s[30:31], s[4:5]
	s_cbranch_execnz .LBB328_55
; %bb.27:                               ;   in Loop: Header=BB328_20 Depth=1
	s_or_b64 exec, exec, s[30:31]
	s_and_saveexec_b64 s[30:31], s[0:1]
	s_cbranch_execnz .LBB328_56
.LBB328_28:                             ;   in Loop: Header=BB328_20 Depth=1
	s_or_b64 exec, exec, s[30:31]
	s_and_saveexec_b64 s[30:31], s[0:1]
	s_cbranch_execz .LBB328_30
.LBB328_29:                             ;   in Loop: Header=BB328_20 Depth=1
	v_mov_b32_e32 v21, v20
	ds_write_b64 v67, v[20:21]
.LBB328_30:                             ;   in Loop: Header=BB328_20 Depth=1
	s_or_b64 exec, exec, s[30:31]
	ds_bpermute_b32 v26, v61, v22
	ds_bpermute_b32 v27, v61, v23
	s_waitcnt lgkmcnt(0)
	s_barrier
	v_pk_add_f32 v[22:23], v[22:23], v[26:27]
	ds_bpermute_b32 v26, v62, v22
	ds_bpermute_b32 v27, v62, v23
	s_waitcnt lgkmcnt(0)
	v_pk_add_f32 v[22:23], v[22:23], v[26:27]
	ds_bpermute_b32 v26, v63, v22
	ds_bpermute_b32 v27, v63, v23
	s_waitcnt lgkmcnt(0)
	;; [unrolled: 4-line block ×4, first 2 shown]
	v_pk_add_f32 v[22:23], v[22:23], v[26:27]
	ds_bpermute_b32 v26, v66, v22
	ds_bpermute_b32 v27, v66, v23
	s_and_saveexec_b64 s[30:31], s[10:11]
	s_cbranch_execz .LBB328_32
; %bb.31:                               ;   in Loop: Header=BB328_20 Depth=1
	s_waitcnt lgkmcnt(0)
	v_pk_add_f32 v[22:23], v[22:23], v[26:27]
	ds_write_b64 v68, v[22:23]
.LBB328_32:                             ;   in Loop: Header=BB328_20 Depth=1
	s_or_b64 exec, exec, s[30:31]
	s_mov_b32 s23, s22
	v_mov_b64_e32 v[22:23], s[22:23]
	s_waitcnt lgkmcnt(0)
	s_barrier
	s_and_saveexec_b64 s[30:31], s[4:5]
	s_cbranch_execnz .LBB328_57
; %bb.33:                               ;   in Loop: Header=BB328_20 Depth=1
	s_or_b64 exec, exec, s[30:31]
	s_and_saveexec_b64 s[30:31], s[0:1]
	s_cbranch_execnz .LBB328_58
.LBB328_34:                             ;   in Loop: Header=BB328_20 Depth=1
	s_or_b64 exec, exec, s[30:31]
	s_and_saveexec_b64 s[30:31], s[0:1]
	s_cbranch_execz .LBB328_36
.LBB328_35:                             ;   in Loop: Header=BB328_20 Depth=1
	v_mov_b32_e32 v21, v20
	ds_write_b64 v67, v[20:21]
.LBB328_36:                             ;   in Loop: Header=BB328_20 Depth=1
	s_or_b64 exec, exec, s[30:31]
	ds_bpermute_b32 v26, v61, v4
	ds_bpermute_b32 v27, v61, v5
	s_waitcnt lgkmcnt(0)
	s_barrier
	v_pk_add_f32 v[4:5], v[4:5], v[26:27]
	ds_bpermute_b32 v26, v62, v4
	ds_bpermute_b32 v27, v62, v5
	s_waitcnt lgkmcnt(0)
	v_pk_add_f32 v[4:5], v[4:5], v[26:27]
	ds_bpermute_b32 v26, v63, v4
	ds_bpermute_b32 v27, v63, v5
	s_waitcnt lgkmcnt(0)
	;; [unrolled: 4-line block ×4, first 2 shown]
	v_pk_add_f32 v[4:5], v[4:5], v[26:27]
	ds_bpermute_b32 v26, v66, v4
	ds_bpermute_b32 v27, v66, v5
	s_and_saveexec_b64 s[30:31], s[10:11]
	s_cbranch_execz .LBB328_38
; %bb.37:                               ;   in Loop: Header=BB328_20 Depth=1
	s_waitcnt lgkmcnt(0)
	v_pk_add_f32 v[4:5], v[4:5], v[26:27]
	ds_write_b64 v68, v[4:5]
.LBB328_38:                             ;   in Loop: Header=BB328_20 Depth=1
	s_or_b64 exec, exec, s[30:31]
	s_mov_b32 s23, s22
	v_mov_b64_e32 v[4:5], s[22:23]
	s_waitcnt lgkmcnt(0)
	s_barrier
	s_and_saveexec_b64 s[30:31], s[4:5]
	s_cbranch_execnz .LBB328_59
; %bb.39:                               ;   in Loop: Header=BB328_20 Depth=1
	s_or_b64 exec, exec, s[30:31]
	s_and_saveexec_b64 s[30:31], s[0:1]
	s_cbranch_execnz .LBB328_60
.LBB328_40:                             ;   in Loop: Header=BB328_20 Depth=1
	s_or_b64 exec, exec, s[30:31]
	s_and_saveexec_b64 s[30:31], s[0:1]
	s_cbranch_execz .LBB328_42
.LBB328_41:                             ;   in Loop: Header=BB328_20 Depth=1
	v_mov_b32_e32 v21, v20
	ds_write_b64 v67, v[20:21]
.LBB328_42:                             ;   in Loop: Header=BB328_20 Depth=1
	s_or_b64 exec, exec, s[30:31]
	ds_bpermute_b32 v26, v61, v2
	ds_bpermute_b32 v27, v61, v3
	s_waitcnt lgkmcnt(0)
	s_barrier
	v_pk_add_f32 v[2:3], v[2:3], v[26:27]
	ds_bpermute_b32 v26, v62, v2
	ds_bpermute_b32 v27, v62, v3
	s_waitcnt lgkmcnt(0)
	v_pk_add_f32 v[2:3], v[2:3], v[26:27]
	ds_bpermute_b32 v26, v63, v2
	ds_bpermute_b32 v27, v63, v3
	s_waitcnt lgkmcnt(0)
	;; [unrolled: 4-line block ×4, first 2 shown]
	v_pk_add_f32 v[2:3], v[2:3], v[26:27]
	ds_bpermute_b32 v26, v66, v2
	ds_bpermute_b32 v27, v66, v3
	s_and_saveexec_b64 s[30:31], s[10:11]
	s_cbranch_execz .LBB328_44
; %bb.43:                               ;   in Loop: Header=BB328_20 Depth=1
	s_waitcnt lgkmcnt(0)
	v_pk_add_f32 v[2:3], v[2:3], v[26:27]
	ds_write_b64 v68, v[2:3]
.LBB328_44:                             ;   in Loop: Header=BB328_20 Depth=1
	s_or_b64 exec, exec, s[30:31]
	s_mov_b32 s23, s22
	v_mov_b64_e32 v[2:3], s[22:23]
	s_waitcnt lgkmcnt(0)
	s_barrier
	s_and_saveexec_b64 s[30:31], s[4:5]
	s_cbranch_execnz .LBB328_61
; %bb.45:                               ;   in Loop: Header=BB328_20 Depth=1
	s_or_b64 exec, exec, s[30:31]
	s_and_saveexec_b64 s[30:31], s[0:1]
	s_cbranch_execnz .LBB328_62
.LBB328_46:                             ;   in Loop: Header=BB328_20 Depth=1
	s_or_b64 exec, exec, s[30:31]
	s_and_saveexec_b64 s[30:31], s[12:13]
	s_cbranch_execz .LBB328_19
	s_branch .LBB328_63
.LBB328_47:                             ;   in Loop: Header=BB328_20 Depth=1
	flat_load_dwordx2 v[34:35], v[12:13]
	flat_load_dwordx2 v[36:37], v[14:15]
	s_waitcnt lgkmcnt(0)
	flat_load_dwordx2 v[2:3], v[16:17]
	flat_load_dwordx2 v[4:5], v[18:19]
	s_mul_i32 s34, s42, s21
	s_ashr_i32 s35, s34, 31
	s_add_i32 s36, s34, s21
	v_lshl_add_u64 v[22:23], s[34:35], 3, v[6:7]
	s_add_i32 s34, s36, s21
	s_ashr_i32 s37, s36, 31
	s_ashr_i32 s35, s34, 31
	v_lshl_add_u64 v[24:25], s[36:37], 3, v[6:7]
	v_lshl_add_u64 v[56:57], s[34:35], 3, v[6:7]
	s_add_i32 s34, s34, s21
	s_ashr_i32 s35, s34, 31
	v_lshl_add_u64 v[54:55], s[34:35], 3, v[6:7]
	s_waitcnt vmcnt(0) lgkmcnt(0)
	scratch_store_dwordx4 off, v[34:37], off
	scratch_store_dwordx4 off, v[2:5], off offset:16
	flat_load_dwordx4 v[28:31], v[22:23]
	flat_load_dwordx4 v[38:41], v[24:25]
	;; [unrolled: 1-line block ×4, first 2 shown]
	flat_load_dwordx4 v[70:73], v[22:23] offset:16
	flat_load_dwordx4 v[74:77], v[24:25] offset:16
	s_waitcnt vmcnt(0) lgkmcnt(0)
	v_mul_f32_e32 v22, v29, v35
	v_mul_f32_e32 v11, v29, v34
	v_mul_f32_e32 v25, v31, v36
	v_mul_f32_e32 v26, v31, v37
	v_mul_f32_e32 v24, v39, v35
	v_mul_f32_e32 v21, v39, v34
	v_fma_f32 v23, v28, v35, -v11
	v_fma_f32 v27, v30, v37, -v25
	v_fmac_f32_e32 v22, v28, v34
	v_fmac_f32_e32 v26, v30, v36
	v_mul_f32_e32 v30, v45, v35
	v_mul_f32_e32 v11, v45, v34
	;; [unrolled: 1-line block ×5, first 2 shown]
	v_fma_f32 v25, v38, v35, -v21
	v_fma_f32 v29, v40, v37, -v28
	v_mul_f32_e32 v28, v41, v37
	v_fmac_f32_e32 v24, v38, v34
	v_mul_f32_e32 v21, v49, v34
	v_fma_f32 v31, v44, v35, -v11
	v_fma_f32 v33, v46, v37, -v32
	v_mul_f32_e32 v32, v47, v37
	v_fmac_f32_e32 v30, v44, v34
	v_mul_f32_e32 v44, v51, v37
	v_mul_f32_e32 v11, v51, v36
	v_pk_mul_f32 v[38:39], v[2:3], v[70:71] op_sel:[0,1]
	v_fmac_f32_e32 v42, v48, v34
	v_mov_b32_e32 v34, v73
	v_fmac_f32_e32 v28, v40, v36
	v_fmac_f32_e32 v32, v46, v36
	;; [unrolled: 1-line block ×3, first 2 shown]
	v_fma_f32 v45, v50, v37, -v11
	v_pk_fma_f32 v[36:37], v[2:3], v[70:71], v[38:39] op_sel:[0,0,1] op_sel_hi:[1,1,0]
	v_pk_fma_f32 v[50:51], v[2:3], v[70:71], v[38:39] op_sel:[0,0,1] op_sel_hi:[1,0,0] neg_lo:[0,0,1] neg_hi:[0,0,1]
	v_pk_mul_f32 v[38:39], v[4:5], v[34:35] op_sel_hi:[1,0]
	v_fma_f32 v43, v48, v35, -v21
	v_pk_fma_f32 v[34:35], v[4:5], v[72:73], v[38:39] op_sel:[0,0,1] op_sel_hi:[1,1,0]
	v_pk_fma_f32 v[46:47], v[4:5], v[72:73], v[38:39] op_sel:[0,0,1] op_sel_hi:[1,0,0] neg_lo:[0,0,1] neg_hi:[0,0,1]
	flat_load_dwordx4 v[70:73], v[56:57] offset:16
	v_pk_mul_f32 v[48:49], v[2:3], v[74:75] op_sel:[0,1]
	v_mov_b32_e32 v38, v77
	v_pk_fma_f32 v[40:41], v[2:3], v[74:75], v[48:49] op_sel:[0,0,1] op_sel_hi:[1,1,0]
	v_pk_fma_f32 v[52:53], v[2:3], v[74:75], v[48:49] op_sel:[0,0,1] op_sel_hi:[1,0,0] neg_lo:[0,0,1] neg_hi:[0,0,1]
	v_pk_mul_f32 v[48:49], v[4:5], v[38:39] op_sel_hi:[1,0]
	v_pk_add_f32 v[22:23], v[22:23], 0 op_sel_hi:[1,0]
	v_pk_fma_f32 v[38:39], v[4:5], v[76:77], v[48:49] op_sel:[0,0,1] op_sel_hi:[1,1,0]
	v_pk_fma_f32 v[48:49], v[4:5], v[76:77], v[48:49] op_sel:[0,0,1] op_sel_hi:[1,0,0] neg_lo:[0,0,1] neg_hi:[0,0,1]
	v_pk_add_f32 v[24:25], v[24:25], 0 op_sel_hi:[1,0]
	v_pk_add_f32 v[30:31], v[30:31], 0 op_sel_hi:[1,0]
	v_mov_b32_e32 v37, v51
	v_mov_b32_e32 v41, v53
	v_pk_add_f32 v[22:23], v[22:23], v[26:27]
	v_pk_add_f32 v[24:25], v[24:25], v[28:29]
	;; [unrolled: 1-line block ×3, first 2 shown]
	v_mov_b32_e32 v35, v47
	v_mov_b32_e32 v39, v49
	s_waitcnt vmcnt(0) lgkmcnt(0)
	v_pk_mul_f32 v[56:57], v[2:3], v[70:71] op_sel:[0,1]
	v_mov_b32_e32 v46, v73
	v_pk_fma_f32 v[74:75], v[2:3], v[70:71], v[56:57] op_sel:[0,0,1] op_sel_hi:[1,1,0]
	v_pk_fma_f32 v[70:71], v[2:3], v[70:71], v[56:57] op_sel:[0,0,1] op_sel_hi:[1,0,0] neg_lo:[0,0,1] neg_hi:[0,0,1]
	v_pk_mul_f32 v[56:57], v[4:5], v[46:47] op_sel_hi:[1,0]
	v_mov_b32_e32 v75, v71
	v_pk_fma_f32 v[76:77], v[4:5], v[72:73], v[56:57] op_sel:[0,0,1] op_sel_hi:[1,1,0]
	v_pk_fma_f32 v[72:73], v[4:5], v[72:73], v[56:57] op_sel:[0,0,1] op_sel_hi:[1,0,0] neg_lo:[0,0,1] neg_hi:[0,0,1]
	flat_load_dwordx4 v[54:57], v[54:55] offset:16
	v_mov_b32_e32 v77, v73
	v_pk_add_f32 v[26:27], v[26:27], v[74:75]
	s_waitcnt vmcnt(0) lgkmcnt(0)
	v_pk_mul_f32 v[78:79], v[2:3], v[54:55] op_sel:[0,1]
	s_nop 0
	v_pk_fma_f32 v[80:81], v[2:3], v[54:55], v[78:79] op_sel:[0,0,1] op_sel_hi:[1,1,0]
	v_pk_fma_f32 v[2:3], v[2:3], v[54:55], v[78:79] op_sel:[0,0,1] op_sel_hi:[1,0,0] neg_lo:[0,0,1] neg_hi:[0,0,1]
	s_nop 0
	v_mov_b32_e32 v2, v57
	v_pk_mul_f32 v[54:55], v[4:5], v[2:3] op_sel_hi:[1,0]
	v_mov_b32_e32 v81, v3
	v_pk_add_f32 v[2:3], v[42:43], 0 op_sel_hi:[1,0]
	v_pk_fma_f32 v[78:79], v[4:5], v[56:57], v[54:55] op_sel:[0,0,1] op_sel_hi:[1,1,0]
	v_pk_fma_f32 v[4:5], v[4:5], v[56:57], v[54:55] op_sel:[0,0,1] op_sel_hi:[1,0,0] neg_lo:[0,0,1] neg_hi:[0,0,1]
	v_pk_add_f32 v[2:3], v[2:3], v[44:45]
	v_mov_b32_e32 v79, v5
	v_pk_add_f32 v[2:3], v[2:3], v[80:81]
	v_pk_add_f32 v[4:5], v[22:23], v[36:37]
	v_pk_add_f32 v[22:23], v[24:25], v[40:41]
	v_pk_add_f32 v[24:25], v[4:5], v[34:35]
	v_pk_add_f32 v[22:23], v[22:23], v[38:39]
	v_pk_add_f32 v[4:5], v[26:27], v[76:77]
	v_pk_add_f32 v[2:3], v[2:3], v[78:79]
	s_andn2_saveexec_b64 s[30:31], s[30:31]
	s_cbranch_execz .LBB328_22
.LBB328_48:                             ;   in Loop: Header=BB328_20 Depth=1
	v_mov_b32_e32 v25, 0
	v_mov_b32_e32 v24, 0
	;; [unrolled: 1-line block ×6, first 2 shown]
	s_waitcnt lgkmcnt(0)
	v_mov_b32_e32 v3, 0
	v_mov_b32_e32 v2, 0
	s_and_saveexec_b64 s[34:35], s[8:9]
	s_cbranch_execz .LBB328_54
; %bb.49:                               ;   in Loop: Header=BB328_20 Depth=1
	v_mov_b32_e32 v25, 0
	s_andn2_b64 vcc, exec, s[24:25]
	v_mov_b32_e32 v24, v25
	v_mov_b32_e32 v23, v25
	;; [unrolled: 1-line block ×7, first 2 shown]
	s_cbranch_vccnz .LBB328_54
; %bb.50:                               ;   in Loop: Header=BB328_20 Depth=1
	v_mov_b32_e32 v4, 0
	v_mov_b32_e32 v2, v10
	s_mov_b32 s23, s33
.LBB328_51:                             ;   Parent Loop BB328_20 Depth=1
                                        ; =>  This Inner Loop Header: Depth=2
	v_ashrrev_i32_e32 v3, 31, v2
	v_lshl_add_u64 v[22:23], v[2:3], 3, s[14:15]
	flat_load_dwordx2 v[22:23], v[22:23]
	s_add_i32 s23, s23, -1
	v_add_u32_e32 v2, s27, v2
	s_cmp_eq_u32 s23, 0
	s_waitcnt vmcnt(0) lgkmcnt(0)
	scratch_store_dwordx2 v4, v[22:23], off
	v_add_u32_e32 v4, 8, v4
	s_cbranch_scc0 .LBB328_51
; %bb.52:                               ;   in Loop: Header=BB328_20 Depth=1
	s_ashr_i32 s29, s28, 31
	v_mov_b32_e32 v2, 0
	v_lshl_add_u64 v[26:27], s[28:29], 3, v[6:7]
	v_mov_b32_e32 v11, 0
	s_mov_b32 s36, s47
	s_mov_b32 s38, s46
	;; [unrolled: 1-line block ×4, first 2 shown]
	v_mov_b32_e32 v3, v2
	v_mov_b32_e32 v4, v2
	;; [unrolled: 1-line block ×7, first 2 shown]
.LBB328_53:                             ;   Parent Loop BB328_20 Depth=1
                                        ; =>  This Inner Loop Header: Depth=2
	flat_load_dwordx2 v[28:29], v[26:27]
	s_ashr_i32 s41, s40, 31
	scratch_load_dwordx2 v[30:31], v11, off
	s_ashr_i32 s39, s38, 31
	s_ashr_i32 s37, s36, 31
	v_lshl_add_u64 v[32:33], s[40:41], 3, v[6:7]
	v_lshl_add_u64 v[34:35], s[38:39], 3, v[6:7]
	;; [unrolled: 1-line block ×3, first 2 shown]
	flat_load_dwordx2 v[38:39], v[32:33]
	flat_load_dwordx2 v[40:41], v[34:35]
	;; [unrolled: 1-line block ×3, first 2 shown]
	s_add_i32 s23, s23, -1
	s_add_i32 s40, s40, 1
	s_add_i32 s38, s38, 1
	;; [unrolled: 1-line block ×3, first 2 shown]
	v_add_u32_e32 v11, 8, v11
	v_lshl_add_u64 v[26:27], v[26:27], 0, 8
	s_cmp_lg_u32 s23, 0
	s_waitcnt vmcnt(0) lgkmcnt(0)
	v_pk_mul_f32 v[32:33], v[30:31], v[28:29] op_sel:[0,1]
	s_nop 0
	v_pk_fma_f32 v[34:35], v[30:31], v[28:29], v[32:33] op_sel:[0,0,1] op_sel_hi:[1,1,0]
	v_pk_fma_f32 v[28:29], v[30:31], v[28:29], v[32:33] op_sel:[0,0,1] op_sel_hi:[1,0,0] neg_lo:[0,0,1] neg_hi:[0,0,1]
	v_pk_mul_f32 v[32:33], v[30:31], v[40:41] op_sel:[0,1]
	v_mov_b32_e32 v35, v29
	v_pk_mul_f32 v[28:29], v[30:31], v[38:39] op_sel:[0,1]
	v_pk_mul_f32 v[36:37], v[30:31], v[42:43] op_sel:[0,1]
	v_pk_add_f32 v[24:25], v[24:25], v[34:35]
	v_pk_fma_f32 v[34:35], v[30:31], v[38:39], v[28:29] op_sel:[0,0,1] op_sel_hi:[1,1,0]
	v_pk_fma_f32 v[28:29], v[30:31], v[38:39], v[28:29] op_sel:[0,0,1] op_sel_hi:[1,0,0] neg_lo:[0,0,1] neg_hi:[0,0,1]
	v_pk_fma_f32 v[38:39], v[30:31], v[40:41], v[32:33] op_sel:[0,0,1] op_sel_hi:[1,1,0]
	v_pk_fma_f32 v[32:33], v[30:31], v[40:41], v[32:33] op_sel:[0,0,1] op_sel_hi:[1,0,0] neg_lo:[0,0,1] neg_hi:[0,0,1]
	v_pk_fma_f32 v[40:41], v[30:31], v[42:43], v[36:37] op_sel:[0,0,1] op_sel_hi:[1,1,0]
	v_pk_fma_f32 v[30:31], v[30:31], v[42:43], v[36:37] op_sel:[0,0,1] op_sel_hi:[1,0,0] neg_lo:[0,0,1] neg_hi:[0,0,1]
	v_mov_b32_e32 v35, v29
	v_mov_b32_e32 v39, v33
	;; [unrolled: 1-line block ×3, first 2 shown]
	v_pk_add_f32 v[22:23], v[22:23], v[34:35]
	v_pk_add_f32 v[4:5], v[4:5], v[38:39]
	v_pk_add_f32 v[2:3], v[2:3], v[40:41]
	s_cbranch_scc1 .LBB328_53
.LBB328_54:                             ;   in Loop: Header=BB328_20 Depth=1
	s_or_b64 exec, exec, s[34:35]
	s_or_b64 exec, exec, s[30:31]
	s_and_saveexec_b64 s[30:31], s[0:1]
	s_cbranch_execnz .LBB328_23
	s_branch .LBB328_24
.LBB328_55:                             ;   in Loop: Header=BB328_20 Depth=1
	ds_read_b64 v[24:25], v67
	s_or_b64 exec, exec, s[30:31]
	s_and_saveexec_b64 s[30:31], s[0:1]
	s_cbranch_execz .LBB328_28
.LBB328_56:                             ;   in Loop: Header=BB328_20 Depth=1
	s_waitcnt lgkmcnt(0)
	ds_bpermute_b32 v26, v65, v24
	ds_bpermute_b32 v27, v65, v25
	s_waitcnt lgkmcnt(0)
	v_pk_add_f32 v[24:25], v[24:25], v[26:27]
	ds_bpermute_b32 v26, v66, v24
	ds_bpermute_b32 v27, v66, v25
	s_waitcnt lgkmcnt(0)
	v_pk_add_f32 v[24:25], v[24:25], v[26:27]
	s_or_b64 exec, exec, s[30:31]
	s_and_saveexec_b64 s[30:31], s[0:1]
	s_cbranch_execnz .LBB328_29
	s_branch .LBB328_30
.LBB328_57:                             ;   in Loop: Header=BB328_20 Depth=1
	ds_read_b64 v[22:23], v67
	s_or_b64 exec, exec, s[30:31]
	s_and_saveexec_b64 s[30:31], s[0:1]
	s_cbranch_execz .LBB328_34
.LBB328_58:                             ;   in Loop: Header=BB328_20 Depth=1
	s_waitcnt lgkmcnt(0)
	ds_bpermute_b32 v26, v65, v22
	ds_bpermute_b32 v27, v65, v23
	s_waitcnt lgkmcnt(0)
	v_pk_add_f32 v[22:23], v[22:23], v[26:27]
	ds_bpermute_b32 v26, v66, v22
	ds_bpermute_b32 v27, v66, v23
	s_waitcnt lgkmcnt(0)
	v_pk_add_f32 v[22:23], v[22:23], v[26:27]
	s_or_b64 exec, exec, s[30:31]
	s_and_saveexec_b64 s[30:31], s[0:1]
	s_cbranch_execnz .LBB328_35
	s_branch .LBB328_36
.LBB328_59:                             ;   in Loop: Header=BB328_20 Depth=1
	ds_read_b64 v[4:5], v67
	s_or_b64 exec, exec, s[30:31]
	s_and_saveexec_b64 s[30:31], s[0:1]
	s_cbranch_execz .LBB328_40
.LBB328_60:                             ;   in Loop: Header=BB328_20 Depth=1
	s_waitcnt lgkmcnt(0)
	ds_bpermute_b32 v26, v65, v4
	ds_bpermute_b32 v27, v65, v5
	s_waitcnt lgkmcnt(0)
	v_pk_add_f32 v[4:5], v[4:5], v[26:27]
	ds_bpermute_b32 v26, v66, v4
	ds_bpermute_b32 v27, v66, v5
	s_waitcnt lgkmcnt(0)
	v_pk_add_f32 v[4:5], v[4:5], v[26:27]
	s_or_b64 exec, exec, s[30:31]
	s_and_saveexec_b64 s[30:31], s[0:1]
	s_cbranch_execnz .LBB328_41
	s_branch .LBB328_42
.LBB328_61:                             ;   in Loop: Header=BB328_20 Depth=1
	ds_read_b64 v[2:3], v67
	s_or_b64 exec, exec, s[30:31]
	s_and_saveexec_b64 s[30:31], s[0:1]
	s_cbranch_execz .LBB328_46
.LBB328_62:                             ;   in Loop: Header=BB328_20 Depth=1
	s_waitcnt lgkmcnt(0)
	ds_bpermute_b32 v26, v65, v2
	ds_bpermute_b32 v27, v65, v3
	s_waitcnt lgkmcnt(0)
	v_pk_add_f32 v[2:3], v[2:3], v[26:27]
	ds_bpermute_b32 v26, v66, v2
	ds_bpermute_b32 v27, v66, v3
	s_waitcnt lgkmcnt(0)
	v_pk_add_f32 v[2:3], v[2:3], v[26:27]
	s_or_b64 exec, exec, s[30:31]
	s_and_saveexec_b64 s[30:31], s[12:13]
	s_cbranch_execz .LBB328_19
.LBB328_63:                             ;   in Loop: Header=BB328_20 Depth=1
	s_mul_i32 s23, s42, s20
	v_pk_mul_f32 v[26:27], v[24:25], s[18:19]
	v_mov_b32_e32 v28, v25
	s_add_i32 s34, s23, s2
	s_mov_b32 s35, s22
	v_mov_b32_e32 v26, v27
	v_pk_mul_f32 v[28:29], v[28:29], s[18:19]
	s_lshl_b64 s[36:37], s[34:35], 3
	v_pk_fma_f32 v[26:27], v[24:25], s[18:19], v[26:27] neg_lo:[0,0,1] neg_hi:[0,0,1]
	v_pk_fma_f32 v[24:25], v[24:25], s[26:27], v[28:29]
	s_add_u32 s36, s43, s36
	s_addc_u32 s37, s44, s37
	v_mov_b32_e32 v27, v24
	global_store_dwordx2 v20, v[26:27], s[36:37]
	v_pk_mul_f32 v[24:25], v[22:23], s[18:19]
	v_mov_b32_e32 v26, v23
	s_add_i32 s34, s34, s20
	v_mov_b32_e32 v24, v25
	v_pk_mul_f32 v[26:27], v[26:27], s[18:19]
	s_lshl_b64 s[36:37], s[34:35], 3
	v_pk_fma_f32 v[24:25], v[22:23], s[18:19], v[24:25] neg_lo:[0,0,1] neg_hi:[0,0,1]
	v_pk_fma_f32 v[22:23], v[22:23], s[26:27], v[26:27]
	s_add_u32 s36, s43, s36
	s_addc_u32 s37, s44, s37
	v_mov_b32_e32 v25, v22
	s_add_i32 s34, s34, s20
	global_store_dwordx2 v20, v[24:25], s[36:37]
	v_pk_mul_f32 v[22:23], v[4:5], s[18:19]
	v_mov_b32_e32 v24, v5
	s_lshl_b64 s[36:37], s[34:35], 3
	v_mov_b32_e32 v22, v23
	v_pk_mul_f32 v[24:25], v[24:25], s[18:19]
	s_add_u32 s36, s43, s36
	v_pk_fma_f32 v[22:23], v[4:5], s[18:19], v[22:23] neg_lo:[0,0,1] neg_hi:[0,0,1]
	v_pk_fma_f32 v[4:5], v[4:5], s[26:27], v[24:25]
	s_addc_u32 s37, s44, s37
	s_add_i32 s34, s34, s20
	v_mov_b32_e32 v23, v4
	s_waitcnt lgkmcnt(0)
	v_pk_mul_f32 v[4:5], v[2:3], s[18:19] op_sel:[1,0]
	s_lshl_b64 s[34:35], s[34:35], 3
	global_store_dwordx2 v20, v[22:23], s[36:37]
	s_add_u32 s34, s43, s34
	v_pk_fma_f32 v[22:23], v[2:3], s[18:19], v[4:5] op_sel:[0,0,1] op_sel_hi:[1,1,0] neg_lo:[0,0,1] neg_hi:[0,0,1]
	v_pk_fma_f32 v[2:3], v[2:3], s[18:19], v[4:5] op_sel:[0,0,1] op_sel_hi:[0,1,0]
	s_addc_u32 s35, s44, s35
	v_mov_b32_e32 v23, v3
	global_store_dwordx2 v20, v[22:23], s[34:35]
	s_branch .LBB328_19
.LBB328_64:
	s_mov_b32 s42, 0
.LBB328_65:
	s_cmp_ge_i32 s42, s17
	s_cbranch_scc1 .LBB328_87
; %bb.66:
	s_waitcnt lgkmcnt(0)
	v_mbcnt_hi_u32_b32 v2, -1, v58
	v_and_b32_e32 v3, 63, v2
	v_cmp_gt_u32_e64 s[4:5], 32, v3
	s_mov_b32 s12, 0
	s_cmp_gt_i32 s33, 0
	v_cndmask_b32_e64 v4, 0, 1, s[4:5]
	v_lshlrev_b32_e32 v4, 5, v4
	v_cmp_gt_u32_e64 s[4:5], 48, v3
	v_add_lshl_u32 v19, v4, v2, 2
	s_mov_b32 s3, s12
	v_cndmask_b32_e64 v4, 0, 1, s[4:5]
	v_lshlrev_b32_e32 v4, 4, v4
	v_cmp_gt_u32_e64 s[4:5], 56, v3
	v_add_lshl_u32 v20, v4, v2, 2
	s_cselect_b64 s[22:23], -1, 0
	v_cndmask_b32_e64 v4, 0, 1, s[4:5]
	v_lshlrev_b32_e32 v4, 3, v4
	v_cmp_gt_u32_e64 s[4:5], 60, v3
	v_add_lshl_u32 v21, v4, v2, 2
	s_lshl_b64 s[2:3], s[2:3], 3
	v_cndmask_b32_e64 v4, 0, 1, s[4:5]
	v_lshlrev_b32_e32 v4, 2, v4
	v_cmp_gt_u32_e64 s[4:5], 62, v3
	v_add_lshl_u32 v22, v4, v2, 2
	v_cmp_ge_i32_e32 vcc, s16, v59
	v_cndmask_b32_e64 v4, 0, 1, s[4:5]
	v_lshlrev_b32_e32 v4, 1, v4
	v_add_lshl_u32 v23, v4, v2, 2
	v_add_u32_e32 v4, s27, v8
	v_cmp_ne_u32_e64 s[4:5], 63, v3
	v_add_u32_e32 v10, s27, v4
	v_ashrrev_i32_e32 v5, 31, v4
	v_addc_co_u32_e64 v2, s[4:5], 0, v2, s[4:5]
	v_ashrrev_i32_e32 v11, 31, v10
	v_lshlrev_b32_e32 v24, 2, v2
	v_lshl_add_u64 v[2:3], v[4:5], 3, s[14:15]
	v_lshl_add_u64 v[4:5], v[10:11], 3, s[14:15]
	v_add_u32_e32 v10, s27, v10
	v_cmp_ge_i32_e64 s[10:11], s16, v60
	v_and_b32_e32 v25, 24, v9
	s_add_u32 s16, s43, s2
	v_ashrrev_i32_e32 v9, 31, v8
	v_ashrrev_i32_e32 v11, 31, v10
	v_cmp_gt_u32_e64 s[0:1], 64, v0
	v_lshlrev_b32_e32 v18, 3, v1
	v_cmp_eq_u32_e64 s[4:5], 0, v1
	v_cmp_gt_u32_e64 s[6:7], 4, v0
	v_cmp_eq_u32_e64 s[8:9], 0, v0
	s_addc_u32 s26, s44, s3
	v_lshl_add_u64 v[0:1], v[8:9], 3, s[14:15]
	v_lshl_add_u64 v[10:11], v[10:11], 3, s[14:15]
	s_and_b64 s[2:3], s[22:23], s[10:11]
	s_mul_i32 s10, s42, s21
	v_mov_b32_e32 v12, 0
	s_branch .LBB328_68
.LBB328_67:                             ;   in Loop: Header=BB328_68 Depth=1
	s_or_b64 exec, exec, s[22:23]
	s_add_i32 s42, s42, 1
	s_add_i32 s10, s10, s21
	s_cmp_lt_i32 s42, s17
	s_cbranch_scc0 .LBB328_87
.LBB328_68:                             ; =>This Loop Header: Depth=1
                                        ;     Child Loop BB328_80 Depth 2
                                        ;     Child Loop BB328_82 Depth 2
                                        ; implicit-def: $vgpr15
	s_and_saveexec_b64 s[22:23], vcc
	s_xor_b64 s[22:23], exec, s[22:23]
	s_cbranch_execnz .LBB328_77
; %bb.69:                               ;   in Loop: Header=BB328_68 Depth=1
	s_andn2_saveexec_b64 s[22:23], s[22:23]
	s_cbranch_execnz .LBB328_78
.LBB328_70:                             ;   in Loop: Header=BB328_68 Depth=1
	s_or_b64 exec, exec, s[22:23]
	s_and_saveexec_b64 s[22:23], s[0:1]
	s_cbranch_execz .LBB328_72
.LBB328_71:                             ;   in Loop: Header=BB328_68 Depth=1
	v_mov_b32_e32 v13, v12
	ds_write_b64 v18, v[12:13]
.LBB328_72:                             ;   in Loop: Header=BB328_68 Depth=1
	s_or_b64 exec, exec, s[22:23]
	s_waitcnt lgkmcnt(0)
	ds_bpermute_b32 v16, v19, v14
	ds_bpermute_b32 v17, v19, v15
	s_waitcnt lgkmcnt(0)
	s_barrier
	v_pk_add_f32 v[14:15], v[14:15], v[16:17]
	ds_bpermute_b32 v16, v20, v14
	ds_bpermute_b32 v17, v20, v15
	s_waitcnt lgkmcnt(0)
	v_pk_add_f32 v[14:15], v[14:15], v[16:17]
	ds_bpermute_b32 v16, v21, v14
	ds_bpermute_b32 v17, v21, v15
	s_waitcnt lgkmcnt(0)
	;; [unrolled: 4-line block ×4, first 2 shown]
	v_pk_add_f32 v[14:15], v[14:15], v[16:17]
	ds_bpermute_b32 v16, v24, v14
	ds_bpermute_b32 v17, v24, v15
	s_and_saveexec_b64 s[22:23], s[4:5]
	s_cbranch_execz .LBB328_74
; %bb.73:                               ;   in Loop: Header=BB328_68 Depth=1
	s_waitcnt lgkmcnt(0)
	v_pk_add_f32 v[14:15], v[14:15], v[16:17]
	ds_write_b64 v25, v[14:15]
.LBB328_74:                             ;   in Loop: Header=BB328_68 Depth=1
	s_or_b64 exec, exec, s[22:23]
	s_mov_b32 s13, s12
	v_mov_b64_e32 v[14:15], s[12:13]
	s_waitcnt lgkmcnt(0)
	s_barrier
	s_and_saveexec_b64 s[22:23], s[6:7]
	s_cbranch_execnz .LBB328_84
; %bb.75:                               ;   in Loop: Header=BB328_68 Depth=1
	s_or_b64 exec, exec, s[22:23]
	s_and_saveexec_b64 s[22:23], s[0:1]
	s_cbranch_execnz .LBB328_85
.LBB328_76:                             ;   in Loop: Header=BB328_68 Depth=1
	s_or_b64 exec, exec, s[22:23]
	s_and_saveexec_b64 s[22:23], s[8:9]
	s_cbranch_execz .LBB328_67
	s_branch .LBB328_86
.LBB328_77:                             ;   in Loop: Header=BB328_68 Depth=1
	s_waitcnt lgkmcnt(0)
	flat_load_dwordx2 v[14:15], v[0:1]
	flat_load_dwordx2 v[16:17], v[2:3]
	flat_load_dwordx2 v[26:27], v[4:5]
	flat_load_dwordx2 v[28:29], v[10:11]
	s_mul_i32 s24, s42, s21
	s_ashr_i32 s25, s24, 31
	v_lshl_add_u64 v[38:39], s[24:25], 3, v[6:7]
	s_waitcnt vmcnt(0) lgkmcnt(0)
	scratch_store_dwordx4 off, v[14:17], off
	scratch_store_dwordx4 off, v[26:29], off offset:16
	flat_load_dwordx4 v[30:33], v[38:39]
	flat_load_dwordx4 v[34:37], v[38:39] offset:16
	v_mov_b32_e32 v38, v27
	s_waitcnt vmcnt(0) lgkmcnt(0)
	v_mul_f32_e32 v40, v31, v15
	v_mul_f32_e32 v9, v31, v14
	;; [unrolled: 1-line block ×4, first 2 shown]
	v_pk_mul_f32 v[44:45], v[34:35], v[26:27] op_sel_hi:[1,0]
	v_fmac_f32_e32 v40, v30, v14
	v_fma_f32 v41, v30, v15, -v9
	v_pk_mul_f32 v[46:47], v[36:37], v[28:29] op_sel:[0,1]
	v_fmac_f32_e32 v42, v32, v16
	v_fma_f32 v43, v32, v17, -v13
	v_pk_fma_f32 v[14:15], v[34:35], v[38:39], v[44:45] op_sel:[1,0,0] op_sel_hi:[0,1,1]
	v_pk_fma_f32 v[16:17], v[34:35], v[26:27], v[44:45] op_sel:[1,1,0] op_sel_hi:[0,1,1] neg_lo:[0,0,1] neg_hi:[0,0,1]
	v_pk_add_f32 v[30:31], v[40:41], 0 op_sel_hi:[1,0]
	v_pk_fma_f32 v[26:27], v[36:37], v[28:29], v[46:47] op_sel:[0,0,1] op_sel_hi:[1,1,0]
	v_pk_fma_f32 v[28:29], v[36:37], v[28:29], v[46:47] op_sel:[0,0,1] op_sel_hi:[1,0,0] neg_lo:[1,0,0] neg_hi:[1,0,0]
	v_mov_b32_e32 v15, v17
	v_pk_add_f32 v[16:17], v[30:31], v[42:43]
	v_mov_b32_e32 v27, v29
	v_pk_add_f32 v[14:15], v[16:17], v[14:15]
	s_nop 0
	v_pk_add_f32 v[14:15], v[14:15], v[26:27]
	s_andn2_saveexec_b64 s[22:23], s[22:23]
	s_cbranch_execz .LBB328_70
.LBB328_78:                             ;   in Loop: Header=BB328_68 Depth=1
	s_waitcnt lgkmcnt(0)
	v_mov_b32_e32 v15, 0
	v_mov_b32_e32 v14, v15
	s_and_saveexec_b64 s[24:25], s[2:3]
	s_cbranch_execz .LBB328_83
; %bb.79:                               ;   in Loop: Header=BB328_68 Depth=1
	v_mov_b32_e32 v9, 0
	v_mov_b32_e32 v14, v8
	s_mov_b32 s11, s33
.LBB328_80:                             ;   Parent Loop BB328_68 Depth=1
                                        ; =>  This Inner Loop Header: Depth=2
	v_ashrrev_i32_e32 v15, 31, v14
	v_lshl_add_u64 v[16:17], v[14:15], 3, s[14:15]
	flat_load_dwordx2 v[16:17], v[16:17]
	s_add_i32 s11, s11, -1
	v_add_u32_e32 v14, s27, v14
	s_cmp_eq_u32 s11, 0
	s_waitcnt vmcnt(0) lgkmcnt(0)
	scratch_store_dwordx2 v9, v[16:17], off
	v_add_u32_e32 v9, 8, v9
	s_cbranch_scc0 .LBB328_80
; %bb.81:                               ;   in Loop: Header=BB328_68 Depth=1
	s_ashr_i32 s11, s10, 31
	v_mov_b32_e32 v14, 0
	v_lshl_add_u64 v[16:17], s[10:11], 3, v[6:7]
	v_mov_b32_e32 v9, 0
	s_mov_b32 s11, s33
	v_mov_b32_e32 v15, v14
.LBB328_82:                             ;   Parent Loop BB328_68 Depth=1
                                        ; =>  This Inner Loop Header: Depth=2
	flat_load_dwordx2 v[26:27], v[16:17]
	scratch_load_dwordx2 v[28:29], v9, off
	s_add_i32 s11, s11, -1
	v_add_u32_e32 v9, 8, v9
	v_lshl_add_u64 v[16:17], v[16:17], 0, 8
	s_cmp_lg_u32 s11, 0
	s_waitcnt vmcnt(0) lgkmcnt(0)
	v_pk_mul_f32 v[30:31], v[26:27], v[28:29] op_sel:[1,0]
	s_nop 0
	v_pk_fma_f32 v[32:33], v[26:27], v[28:29], v[30:31] op_sel:[0,0,1] op_sel_hi:[1,1,0]
	v_pk_fma_f32 v[26:27], v[26:27], v[28:29], v[30:31] op_sel:[0,0,1] op_sel_hi:[0,1,0] neg_lo:[0,0,1] neg_hi:[0,0,1]
	v_mov_b32_e32 v33, v27
	v_pk_add_f32 v[14:15], v[14:15], v[32:33]
	s_cbranch_scc1 .LBB328_82
.LBB328_83:                             ;   in Loop: Header=BB328_68 Depth=1
	s_or_b64 exec, exec, s[24:25]
	s_or_b64 exec, exec, s[22:23]
	s_and_saveexec_b64 s[22:23], s[0:1]
	s_cbranch_execnz .LBB328_71
	s_branch .LBB328_72
.LBB328_84:                             ;   in Loop: Header=BB328_68 Depth=1
	ds_read_b64 v[14:15], v18
	s_or_b64 exec, exec, s[22:23]
	s_and_saveexec_b64 s[22:23], s[0:1]
	s_cbranch_execz .LBB328_76
.LBB328_85:                             ;   in Loop: Header=BB328_68 Depth=1
	s_waitcnt lgkmcnt(0)
	ds_bpermute_b32 v16, v23, v14
	ds_bpermute_b32 v17, v23, v15
	s_waitcnt lgkmcnt(0)
	v_pk_add_f32 v[14:15], v[14:15], v[16:17]
	ds_bpermute_b32 v16, v24, v14
	ds_bpermute_b32 v17, v24, v15
	s_waitcnt lgkmcnt(0)
	v_pk_add_f32 v[14:15], v[14:15], v[16:17]
	s_or_b64 exec, exec, s[22:23]
	s_and_saveexec_b64 s[22:23], s[8:9]
	s_cbranch_execz .LBB328_67
.LBB328_86:                             ;   in Loop: Header=BB328_68 Depth=1
	s_mul_hi_u32 s25, s42, s20
	s_mul_i32 s24, s42, s20
	s_waitcnt lgkmcnt(0)
	v_pk_mul_f32 v[16:17], v[14:15], s[18:19] op_sel:[1,0]
	s_lshl_b64 s[24:25], s[24:25], 3
	s_add_u32 s24, s16, s24
	v_pk_fma_f32 v[26:27], v[14:15], s[18:19], v[16:17] op_sel:[0,0,1] op_sel_hi:[1,1,0] neg_lo:[0,0,1] neg_hi:[0,0,1]
	v_pk_fma_f32 v[14:15], v[14:15], s[18:19], v[16:17] op_sel:[0,0,1] op_sel_hi:[0,1,0]
	s_addc_u32 s25, s26, s25
	v_mov_b32_e32 v27, v15
	global_store_dwordx2 v12, v[26:27], s[24:25]
	s_branch .LBB328_67
.LBB328_87:
	s_endpgm
	.section	.rodata,"a",@progbits
	.p2align	6, 0x0
	.amdhsa_kernel _ZL23rocblas_gemvt_sn_kernelILb1ELi256ELi4EiPK19rocblas_complex_numIfES1_S1_EviiT4_lPKT3_lilS7_lilPT5_i
		.amdhsa_group_segment_fixed_size 512
		.amdhsa_private_segment_fixed_size 48
		.amdhsa_kernarg_size 360
		.amdhsa_user_sgpr_count 2
		.amdhsa_user_sgpr_dispatch_ptr 0
		.amdhsa_user_sgpr_queue_ptr 0
		.amdhsa_user_sgpr_kernarg_segment_ptr 1
		.amdhsa_user_sgpr_dispatch_id 0
		.amdhsa_user_sgpr_kernarg_preload_length 0
		.amdhsa_user_sgpr_kernarg_preload_offset 0
		.amdhsa_user_sgpr_private_segment_size 0
		.amdhsa_uses_dynamic_stack 0
		.amdhsa_enable_private_segment 1
		.amdhsa_system_sgpr_workgroup_id_x 1
		.amdhsa_system_sgpr_workgroup_id_y 0
		.amdhsa_system_sgpr_workgroup_id_z 1
		.amdhsa_system_sgpr_workgroup_info 0
		.amdhsa_system_vgpr_workitem_id 0
		.amdhsa_next_free_vgpr 82
		.amdhsa_next_free_sgpr 49
		.amdhsa_accum_offset 84
		.amdhsa_reserve_vcc 1
		.amdhsa_float_round_mode_32 0
		.amdhsa_float_round_mode_16_64 0
		.amdhsa_float_denorm_mode_32 3
		.amdhsa_float_denorm_mode_16_64 3
		.amdhsa_dx10_clamp 1
		.amdhsa_ieee_mode 1
		.amdhsa_fp16_overflow 0
		.amdhsa_tg_split 0
		.amdhsa_exception_fp_ieee_invalid_op 0
		.amdhsa_exception_fp_denorm_src 0
		.amdhsa_exception_fp_ieee_div_zero 0
		.amdhsa_exception_fp_ieee_overflow 0
		.amdhsa_exception_fp_ieee_underflow 0
		.amdhsa_exception_fp_ieee_inexact 0
		.amdhsa_exception_int_div_zero 0
	.end_amdhsa_kernel
	.section	.text._ZL23rocblas_gemvt_sn_kernelILb1ELi256ELi4EiPK19rocblas_complex_numIfES1_S1_EviiT4_lPKT3_lilS7_lilPT5_i,"axG",@progbits,_ZL23rocblas_gemvt_sn_kernelILb1ELi256ELi4EiPK19rocblas_complex_numIfES1_S1_EviiT4_lPKT3_lilS7_lilPT5_i,comdat
.Lfunc_end328:
	.size	_ZL23rocblas_gemvt_sn_kernelILb1ELi256ELi4EiPK19rocblas_complex_numIfES1_S1_EviiT4_lPKT3_lilS7_lilPT5_i, .Lfunc_end328-_ZL23rocblas_gemvt_sn_kernelILb1ELi256ELi4EiPK19rocblas_complex_numIfES1_S1_EviiT4_lPKT3_lilS7_lilPT5_i
                                        ; -- End function
	.section	.AMDGPU.csdata,"",@progbits
; Kernel info:
; codeLenInByte = 5312
; NumSgprs: 55
; NumVgprs: 82
; NumAgprs: 0
; TotalNumVgprs: 82
; ScratchSize: 48
; MemoryBound: 0
; FloatMode: 240
; IeeeMode: 1
; LDSByteSize: 512 bytes/workgroup (compile time only)
; SGPRBlocks: 6
; VGPRBlocks: 10
; NumSGPRsForWavesPerEU: 55
; NumVGPRsForWavesPerEU: 82
; AccumOffset: 84
; Occupancy: 5
; WaveLimiterHint : 0
; COMPUTE_PGM_RSRC2:SCRATCH_EN: 1
; COMPUTE_PGM_RSRC2:USER_SGPR: 2
; COMPUTE_PGM_RSRC2:TRAP_HANDLER: 0
; COMPUTE_PGM_RSRC2:TGID_X_EN: 1
; COMPUTE_PGM_RSRC2:TGID_Y_EN: 0
; COMPUTE_PGM_RSRC2:TGID_Z_EN: 1
; COMPUTE_PGM_RSRC2:TIDIG_COMP_CNT: 0
; COMPUTE_PGM_RSRC3_GFX90A:ACCUM_OFFSET: 20
; COMPUTE_PGM_RSRC3_GFX90A:TG_SPLIT: 0
	.section	.text._ZL23rocblas_gemvt_sn_kernelILb1ELi256ELi4ElPK19rocblas_complex_numIfES1_S1_EviiT4_lPKT3_lilS7_lilPT5_i,"axG",@progbits,_ZL23rocblas_gemvt_sn_kernelILb1ELi256ELi4ElPK19rocblas_complex_numIfES1_S1_EviiT4_lPKT3_lilS7_lilPT5_i,comdat
	.globl	_ZL23rocblas_gemvt_sn_kernelILb1ELi256ELi4ElPK19rocblas_complex_numIfES1_S1_EviiT4_lPKT3_lilS7_lilPT5_i ; -- Begin function _ZL23rocblas_gemvt_sn_kernelILb1ELi256ELi4ElPK19rocblas_complex_numIfES1_S1_EviiT4_lPKT3_lilS7_lilPT5_i
	.p2align	8
	.type	_ZL23rocblas_gemvt_sn_kernelILb1ELi256ELi4ElPK19rocblas_complex_numIfES1_S1_EviiT4_lPKT3_lilS7_lilPT5_i,@function
_ZL23rocblas_gemvt_sn_kernelILb1ELi256ELi4ElPK19rocblas_complex_numIfES1_S1_EviiT4_lPKT3_lilS7_lilPT5_i: ; @_ZL23rocblas_gemvt_sn_kernelILb1ELi256ELi4ElPK19rocblas_complex_numIfES1_S1_EviiT4_lPKT3_lilS7_lilPT5_i
; %bb.0:
	s_load_dwordx4 s[16:19], s[0:1], 0x0
	s_mov_b32 s4, s3
	s_mov_b32 s5, 0
	s_waitcnt lgkmcnt(0)
	s_or_b32 s3, s18, s19
	s_bitset0_b32 s3, 31
	s_cmp_lg_u32 s3, 0
	s_cselect_b64 s[6:7], -1, 0
	s_cmp_eq_u32 s3, 0
	s_cselect_b64 s[10:11], -1, 0
	s_and_b64 vcc, exec, s[6:7]
	s_cbranch_vccnz .LBB329_2
; %bb.1:
	s_mov_b64 s[22:23], 0
	s_cbranch_execz .LBB329_3
	s_branch .LBB329_4
.LBB329_2:
                                        ; implicit-def: $sgpr22_sgpr23
.LBB329_3:
	s_load_dwordx4 s[12:15], s[0:1], 0x18
	s_lshl_b64 s[8:9], s[4:5], 3
	s_waitcnt lgkmcnt(0)
	s_add_u32 s8, s12, s8
	s_addc_u32 s9, s13, s9
	s_load_dwordx2 s[8:9], s[8:9], 0x0
	s_lshl_b64 s[12:13], s[14:15], 3
	s_waitcnt lgkmcnt(0)
	s_add_u32 s22, s8, s12
	s_addc_u32 s23, s9, s13
.LBB329_4:
	s_andn2_b64 vcc, exec, s[6:7]
	s_mov_b64 s[24:25], 0
	s_cbranch_vccnz .LBB329_6
; %bb.5:
	s_load_dwordx4 s[12:15], s[0:1], 0x38
	s_lshl_b64 s[6:7], s[4:5], 3
	s_waitcnt lgkmcnt(0)
	s_add_u32 s6, s12, s6
	s_addc_u32 s7, s13, s7
	s_load_dwordx2 s[6:7], s[6:7], 0x0
	s_lshl_b64 s[8:9], s[14:15], 3
	s_waitcnt lgkmcnt(0)
	s_add_u32 s24, s6, s8
	s_addc_u32 s25, s7, s9
.LBB329_6:
	s_load_dwordx2 s[6:7], s[0:1], 0x58
	s_load_dword s14, s[0:1], 0x68
	s_ashr_i32 s28, s17, 31
	s_mul_hi_u32 s3, s4, s17
	s_mul_i32 s8, s4, s28
	s_add_i32 s3, s3, s8
	s_mul_i32 s5, s5, s17
	s_add_i32 s9, s3, s5
	s_mul_i32 s8, s4, s17
	s_waitcnt lgkmcnt(0)
	s_mul_i32 s3, s9, s14
	s_mul_hi_u32 s4, s8, s14
	s_add_i32 s5, s4, s3
	s_mul_i32 s4, s8, s14
	s_lshl_b64 s[4:5], s[4:5], 3
	s_add_u32 s35, s6, s4
	s_mov_b32 s15, 0
	s_addc_u32 s46, s7, s5
	s_mov_b64 s[12:13], -1
	s_andn2_b64 vcc, exec, s[10:11]
	v_cmp_eq_u32_e64 s[4:5], 0, v0
	s_cbranch_vccnz .LBB329_16
; %bb.7:
	s_cmp_gt_i32 s17, 0
	s_cselect_b64 s[10:11], -1, 0
	s_and_b64 s[10:11], s[4:5], s[10:11]
	s_and_saveexec_b64 s[4:5], s[10:11]
	s_cbranch_execz .LBB329_15
; %bb.8:
	s_cmp_gt_u32 s17, 3
	s_cselect_b64 s[10:11], -1, 0
	s_cmp_eq_u32 s14, 1
	s_cselect_b64 s[26:27], -1, 0
	s_mov_b32 s3, 0
	s_and_b64 s[10:11], s[10:11], s[26:27]
	s_mov_b32 s12, 1
	s_mov_b64 s[20:21], -1
	s_andn2_b64 vcc, exec, s[10:11]
	s_mov_b32 s10, s3
	s_cbranch_vccnz .LBB329_12
; %bb.9:
	s_lshl_b64 s[20:21], s[2:3], 3
	s_add_u32 s11, s35, s20
	s_addc_u32 s26, s46, s21
	s_mov_b32 s21, 0
	s_and_b32 s10, s17, 0x7ffffffc
	s_mov_b32 s20, s21
	v_mov_b32_e32 v1, 0
	v_mov_b64_e32 v[2:3], s[20:21]
	s_mov_b32 s27, s10
.LBB329_10:                             ; =>This Inner Loop Header: Depth=1
	s_add_i32 s30, s12, 2
	s_add_i32 s36, s20, 2
	s_lshl_b64 s[38:39], s[20:21], 3
	s_mov_b32 s13, s21
	s_add_u32 s38, s11, s38
	s_addc_u32 s39, s26, s39
	s_lshl_b64 s[40:41], s[12:13], 3
	s_mov_b32 s37, s21
	s_add_u32 s40, s11, s40
	s_addc_u32 s41, s26, s41
	;; [unrolled: 4-line block ×3, first 2 shown]
	s_lshl_b64 s[30:31], s[30:31], 3
	s_add_u32 s30, s11, s30
	s_addc_u32 s31, s26, s31
	s_add_i32 s20, s20, 4
	s_add_i32 s12, s12, 4
	s_add_i32 s27, s27, -4
	s_cmp_lg_u32 s27, 0
	global_store_dwordx2 v1, v[2:3], s[38:39]
	global_store_dwordx2 v1, v[2:3], s[40:41]
	;; [unrolled: 1-line block ×4, first 2 shown]
	s_cbranch_scc1 .LBB329_10
; %bb.11:
	s_cmp_lg_u32 s10, s17
	s_cselect_b64 s[20:21], -1, 0
.LBB329_12:
	s_and_b64 vcc, exec, s[20:21]
	s_cbranch_vccz .LBB329_15
; %bb.13:
	s_mov_b32 s11, 0
	s_sub_i32 s12, s17, s10
	s_lshl_b64 s[8:9], s[8:9], 3
	s_lshl_b64 s[10:11], s[10:11], 3
	s_add_u32 s8, s8, s10
	s_addc_u32 s9, s9, s11
	s_mul_i32 s9, s9, s14
	s_mul_hi_u32 s10, s8, s14
	s_add_i32 s10, s10, s9
	s_mul_i32 s11, s8, s14
	s_lshl_b64 s[8:9], s[2:3], 3
	s_add_u32 s3, s11, s8
	s_addc_u32 s8, s10, s9
	s_add_u32 s6, s6, s3
	v_mov_b32_e32 v2, 0
	s_addc_u32 s7, s7, s8
	s_lshl_b64 s[8:9], s[14:15], 3
	v_mov_b32_e32 v3, v2
.LBB329_14:                             ; =>This Inner Loop Header: Depth=1
	s_add_i32 s12, s12, -1
	global_store_dwordx2 v2, v[2:3], s[6:7]
	s_add_u32 s6, s6, s8
	s_addc_u32 s7, s7, s9
	s_cmp_eq_u32 s12, 0
	s_cbranch_scc0 .LBB329_14
.LBB329_15:
	s_or_b64 exec, exec, s[4:5]
	s_mov_b64 s[12:13], 0
.LBB329_16:
	s_andn2_b64 vcc, exec, s[12:13]
	s_cbranch_vccnz .LBB329_87
; %bb.17:
	s_load_dword s20, s[0:1], 0x28
	s_load_dword s26, s[0:1], 0x48
	s_lshl_b32 s0, s2, 10
	v_lshl_or_b32 v20, v0, 2, s0
	s_lshr_b32 s0, s28, 30
	s_add_i32 s0, s17, s0
	s_and_b32 s47, s0, -4
	s_ashr_i32 s0, s16, 31
	s_lshr_b32 s0, s0, 30
	s_add_i32 s0, s16, s0
	s_and_b32 s0, s0, -4
	s_waitcnt lgkmcnt(0)
	s_ashr_i32 s21, s20, 31
	s_ashr_i32 s27, s26, 31
	v_ashrrev_i32_e32 v21, 31, v20
	s_sub_i32 s15, s16, s0
	v_lshl_add_u64 v[18:19], v[20:21], 3, s[22:23]
	s_cmp_lt_i32 s47, 1
	v_add_u32_e32 v51, 4, v20
	v_add_u32_e32 v52, s15, v20
	v_and_b32_e32 v1, 63, v0
	v_cmp_gt_u32_e64 s[0:1], 64, v0
	v_mbcnt_lo_u32_b32 v50, -1, 0
	v_cmp_gt_u32_e64 s[4:5], 4, v0
	v_lshrrev_b32_e32 v49, 3, v0
	v_or_b32_e32 v48, 1, v20
	v_or_b32_e32 v47, 2, v20
	;; [unrolled: 1-line block ×3, first 2 shown]
	s_cbranch_scc1 .LBB329_64
; %bb.18:
	v_mbcnt_hi_u32_b32 v2, -1, v50
	v_and_b32_e32 v3, 63, v2
	v_cmp_gt_u32_e32 vcc, 32, v3
	s_mov_b32 s28, 0
	s_cmp_gt_i32 s15, 0
	v_cndmask_b32_e64 v4, 0, 1, vcc
	v_lshlrev_b32_e32 v4, 5, v4
	v_cmp_gt_u32_e32 vcc, 48, v3
	v_add_lshl_u32 v53, v4, v2, 2
	s_mov_b32 s3, s28
	v_cndmask_b32_e64 v4, 0, 1, vcc
	v_lshlrev_b32_e32 v4, 4, v4
	v_cmp_gt_u32_e32 vcc, 56, v3
	v_add_lshl_u32 v54, v4, v2, 2
	s_cselect_b64 s[30:31], -1, 0
	v_cndmask_b32_e64 v4, 0, 1, vcc
	v_lshlrev_b32_e32 v4, 3, v4
	v_cmp_gt_u32_e32 vcc, 60, v3
	v_add_lshl_u32 v55, v4, v2, 2
	s_lshl_b64 s[36:37], s[2:3], 3
	v_cndmask_b32_e64 v4, 0, 1, vcc
	v_lshlrev_b32_e32 v4, 2, v4
	v_cmp_gt_u32_e32 vcc, 62, v3
	v_add_lshl_u32 v56, v4, v2, 2
	s_add_u32 s3, s35, s36
	v_cndmask_b32_e64 v4, 0, 1, vcc
	v_lshlrev_b32_e32 v4, 1, v4
	v_cmp_ne_u32_e32 vcc, 63, v3
	v_add_lshl_u32 v57, v4, v2, 2
	s_addc_u32 s48, s46, s37
	v_addc_co_u32_e32 v2, vcc, 0, v2, vcc
	v_lshlrev_b32_e32 v58, 2, v2
	v_mad_i64_i32 v[2:3], s[36:37], s26, v20, 0
	v_lshl_add_u64 v[22:23], v[2:3], 3, s[24:25]
	v_mad_i64_i32 v[2:3], s[36:37], s26, v48, 0
	v_lshl_add_u64 v[24:25], v[2:3], 3, s[24:25]
	;; [unrolled: 2-line block ×3, first 2 shown]
	v_mad_i64_i32 v[2:3], s[36:37], s26, v46, 0
	v_cmp_ge_i32_e64 s[6:7], s16, v51
	v_cmp_ge_i32_e64 s[8:9], s16, v52
	v_cmp_eq_u32_e64 s[10:11], 0, v1
	v_lshlrev_b32_e32 v59, 3, v1
	v_and_b32_e32 v60, 24, v49
	v_cmp_eq_u32_e64 s[12:13], 0, v0
	v_lshl_add_u64 v[28:29], v[2:3], 3, s[24:25]
	s_mov_b32 s34, s19
	s_lshl_b64 s[36:37], s[26:27], 3
	s_lshl_b64 s[38:39], s[20:21], 5
	;; [unrolled: 1-line block ×3, first 2 shown]
	v_mov_b32_e32 v30, 0
	v_mov_b64_e32 v[32:33], v[18:19]
	s_mov_b32 s33, 0
	s_branch .LBB329_20
.LBB329_19:                             ;   in Loop: Header=BB329_20 Depth=1
	s_or_b64 exec, exec, s[42:43]
	s_add_i32 s33, s33, 4
	s_cmp_ge_i32 s33, s47
	v_lshl_add_u64 v[32:33], v[32:33], 0, s[38:39]
	s_cbranch_scc1 .LBB329_65
.LBB329_20:                             ; =>This Loop Header: Depth=1
                                        ;     Child Loop BB329_51 Depth 2
                                        ;     Child Loop BB329_53 Depth 2
                                        ; implicit-def: $vgpr35
                                        ; implicit-def: $vgpr7
                                        ; implicit-def: $vgpr3
                                        ; implicit-def: $vgpr5
	s_and_saveexec_b64 s[42:43], s[6:7]
	s_xor_b64 s[42:43], exec, s[42:43]
	s_cbranch_execnz .LBB329_47
; %bb.21:                               ;   in Loop: Header=BB329_20 Depth=1
	s_andn2_saveexec_b64 s[42:43], s[42:43]
	s_cbranch_execnz .LBB329_48
.LBB329_22:                             ;   in Loop: Header=BB329_20 Depth=1
	s_or_b64 exec, exec, s[42:43]
	s_and_saveexec_b64 s[42:43], s[0:1]
	s_cbranch_execz .LBB329_24
.LBB329_23:                             ;   in Loop: Header=BB329_20 Depth=1
	v_mov_b32_e32 v31, v30
	ds_write_b64 v59, v[30:31]
.LBB329_24:                             ;   in Loop: Header=BB329_20 Depth=1
	s_or_b64 exec, exec, s[42:43]
	ds_bpermute_b32 v8, v53, v34
	ds_bpermute_b32 v9, v53, v35
	s_waitcnt lgkmcnt(0)
	s_barrier
	v_pk_add_f32 v[8:9], v[34:35], v[8:9]
	ds_bpermute_b32 v10, v54, v8
	ds_bpermute_b32 v11, v54, v9
	s_waitcnt lgkmcnt(0)
	v_pk_add_f32 v[8:9], v[8:9], v[10:11]
	ds_bpermute_b32 v10, v55, v8
	ds_bpermute_b32 v11, v55, v9
	s_waitcnt lgkmcnt(0)
	v_pk_add_f32 v[8:9], v[8:9], v[10:11]
	ds_bpermute_b32 v10, v56, v8
	ds_bpermute_b32 v11, v56, v9
	s_waitcnt lgkmcnt(0)
	v_pk_add_f32 v[8:9], v[8:9], v[10:11]
	ds_bpermute_b32 v10, v57, v8
	ds_bpermute_b32 v11, v57, v9
	s_waitcnt lgkmcnt(0)
	v_pk_add_f32 v[8:9], v[8:9], v[10:11]
	ds_bpermute_b32 v10, v58, v8
	ds_bpermute_b32 v11, v58, v9
	s_and_saveexec_b64 s[42:43], s[10:11]
	s_cbranch_execz .LBB329_26
; %bb.25:                               ;   in Loop: Header=BB329_20 Depth=1
	s_waitcnt lgkmcnt(0)
	v_pk_add_f32 v[8:9], v[8:9], v[10:11]
	ds_write_b64 v60, v[8:9]
.LBB329_26:                             ;   in Loop: Header=BB329_20 Depth=1
	s_or_b64 exec, exec, s[42:43]
	s_mov_b32 s29, s28
	v_mov_b64_e32 v[8:9], s[28:29]
	s_waitcnt lgkmcnt(0)
	s_barrier
	s_and_saveexec_b64 s[42:43], s[4:5]
	s_cbranch_execnz .LBB329_55
; %bb.27:                               ;   in Loop: Header=BB329_20 Depth=1
	s_or_b64 exec, exec, s[42:43]
	s_and_saveexec_b64 s[42:43], s[0:1]
	s_cbranch_execnz .LBB329_56
.LBB329_28:                             ;   in Loop: Header=BB329_20 Depth=1
	s_or_b64 exec, exec, s[42:43]
	s_and_saveexec_b64 s[42:43], s[0:1]
	s_cbranch_execz .LBB329_30
.LBB329_29:                             ;   in Loop: Header=BB329_20 Depth=1
	v_mov_b32_e32 v31, v30
	ds_write_b64 v59, v[30:31]
.LBB329_30:                             ;   in Loop: Header=BB329_20 Depth=1
	s_or_b64 exec, exec, s[42:43]
	ds_bpermute_b32 v10, v53, v6
	ds_bpermute_b32 v11, v53, v7
	s_waitcnt lgkmcnt(0)
	s_barrier
	v_pk_add_f32 v[6:7], v[6:7], v[10:11]
	ds_bpermute_b32 v10, v54, v6
	ds_bpermute_b32 v11, v54, v7
	s_waitcnt lgkmcnt(0)
	v_pk_add_f32 v[6:7], v[6:7], v[10:11]
	ds_bpermute_b32 v10, v55, v6
	ds_bpermute_b32 v11, v55, v7
	s_waitcnt lgkmcnt(0)
	;; [unrolled: 4-line block ×4, first 2 shown]
	v_pk_add_f32 v[6:7], v[6:7], v[10:11]
	ds_bpermute_b32 v10, v58, v6
	ds_bpermute_b32 v11, v58, v7
	s_and_saveexec_b64 s[42:43], s[10:11]
	s_cbranch_execz .LBB329_32
; %bb.31:                               ;   in Loop: Header=BB329_20 Depth=1
	s_waitcnt lgkmcnt(0)
	v_pk_add_f32 v[6:7], v[6:7], v[10:11]
	ds_write_b64 v60, v[6:7]
.LBB329_32:                             ;   in Loop: Header=BB329_20 Depth=1
	s_or_b64 exec, exec, s[42:43]
	s_mov_b32 s29, s28
	v_mov_b64_e32 v[6:7], s[28:29]
	s_waitcnt lgkmcnt(0)
	s_barrier
	s_and_saveexec_b64 s[42:43], s[4:5]
	s_cbranch_execnz .LBB329_57
; %bb.33:                               ;   in Loop: Header=BB329_20 Depth=1
	s_or_b64 exec, exec, s[42:43]
	s_and_saveexec_b64 s[42:43], s[0:1]
	s_cbranch_execnz .LBB329_58
.LBB329_34:                             ;   in Loop: Header=BB329_20 Depth=1
	s_or_b64 exec, exec, s[42:43]
	s_and_saveexec_b64 s[42:43], s[0:1]
	s_cbranch_execz .LBB329_36
.LBB329_35:                             ;   in Loop: Header=BB329_20 Depth=1
	v_mov_b32_e32 v31, v30
	ds_write_b64 v59, v[30:31]
.LBB329_36:                             ;   in Loop: Header=BB329_20 Depth=1
	s_or_b64 exec, exec, s[42:43]
	ds_bpermute_b32 v10, v53, v2
	ds_bpermute_b32 v11, v53, v3
	s_waitcnt lgkmcnt(0)
	s_barrier
	v_pk_add_f32 v[2:3], v[2:3], v[10:11]
	ds_bpermute_b32 v10, v54, v2
	ds_bpermute_b32 v11, v54, v3
	s_waitcnt lgkmcnt(0)
	v_pk_add_f32 v[2:3], v[2:3], v[10:11]
	ds_bpermute_b32 v10, v55, v2
	ds_bpermute_b32 v11, v55, v3
	s_waitcnt lgkmcnt(0)
	;; [unrolled: 4-line block ×4, first 2 shown]
	v_pk_add_f32 v[2:3], v[2:3], v[10:11]
	ds_bpermute_b32 v10, v58, v2
	ds_bpermute_b32 v11, v58, v3
	s_and_saveexec_b64 s[42:43], s[10:11]
	s_cbranch_execz .LBB329_38
; %bb.37:                               ;   in Loop: Header=BB329_20 Depth=1
	s_waitcnt lgkmcnt(0)
	v_pk_add_f32 v[2:3], v[2:3], v[10:11]
	ds_write_b64 v60, v[2:3]
.LBB329_38:                             ;   in Loop: Header=BB329_20 Depth=1
	s_or_b64 exec, exec, s[42:43]
	s_mov_b32 s29, s28
	v_mov_b64_e32 v[2:3], s[28:29]
	s_waitcnt lgkmcnt(0)
	s_barrier
	s_and_saveexec_b64 s[42:43], s[4:5]
	s_cbranch_execnz .LBB329_59
; %bb.39:                               ;   in Loop: Header=BB329_20 Depth=1
	s_or_b64 exec, exec, s[42:43]
	s_and_saveexec_b64 s[42:43], s[0:1]
	s_cbranch_execnz .LBB329_60
.LBB329_40:                             ;   in Loop: Header=BB329_20 Depth=1
	s_or_b64 exec, exec, s[42:43]
	s_and_saveexec_b64 s[42:43], s[0:1]
	s_cbranch_execz .LBB329_42
.LBB329_41:                             ;   in Loop: Header=BB329_20 Depth=1
	v_mov_b32_e32 v31, v30
	ds_write_b64 v59, v[30:31]
.LBB329_42:                             ;   in Loop: Header=BB329_20 Depth=1
	s_or_b64 exec, exec, s[42:43]
	ds_bpermute_b32 v10, v53, v4
	ds_bpermute_b32 v11, v53, v5
	s_waitcnt lgkmcnt(0)
	s_barrier
	v_pk_add_f32 v[4:5], v[4:5], v[10:11]
	ds_bpermute_b32 v10, v54, v4
	ds_bpermute_b32 v11, v54, v5
	s_waitcnt lgkmcnt(0)
	v_pk_add_f32 v[4:5], v[4:5], v[10:11]
	ds_bpermute_b32 v10, v55, v4
	ds_bpermute_b32 v11, v55, v5
	s_waitcnt lgkmcnt(0)
	;; [unrolled: 4-line block ×4, first 2 shown]
	v_pk_add_f32 v[4:5], v[4:5], v[10:11]
	ds_bpermute_b32 v10, v58, v4
	ds_bpermute_b32 v11, v58, v5
	s_and_saveexec_b64 s[42:43], s[10:11]
	s_cbranch_execz .LBB329_44
; %bb.43:                               ;   in Loop: Header=BB329_20 Depth=1
	s_waitcnt lgkmcnt(0)
	v_pk_add_f32 v[4:5], v[4:5], v[10:11]
	ds_write_b64 v60, v[4:5]
.LBB329_44:                             ;   in Loop: Header=BB329_20 Depth=1
	s_or_b64 exec, exec, s[42:43]
	s_mov_b32 s29, s28
	v_mov_b64_e32 v[4:5], s[28:29]
	s_waitcnt lgkmcnt(0)
	s_barrier
	s_and_saveexec_b64 s[42:43], s[4:5]
	s_cbranch_execnz .LBB329_61
; %bb.45:                               ;   in Loop: Header=BB329_20 Depth=1
	s_or_b64 exec, exec, s[42:43]
	s_and_saveexec_b64 s[42:43], s[0:1]
	s_cbranch_execnz .LBB329_62
.LBB329_46:                             ;   in Loop: Header=BB329_20 Depth=1
	s_or_b64 exec, exec, s[42:43]
	s_and_saveexec_b64 s[42:43], s[12:13]
	s_cbranch_execz .LBB329_19
	s_branch .LBB329_63
.LBB329_47:                             ;   in Loop: Header=BB329_20 Depth=1
	flat_load_dwordx2 v[6:7], v[22:23]
	flat_load_dwordx2 v[8:9], v[24:25]
	s_mul_i32 s29, s33, s21
	s_mul_hi_u32 s44, s33, s20
	s_add_i32 s45, s44, s29
	s_mul_i32 s44, s33, s20
	s_or_b32 s29, s33, 1
	v_lshl_add_u64 v[66:67], s[44:45], 3, v[18:19]
	s_mul_i32 s44, s29, s21
	s_mul_hi_u32 s45, s29, s20
	s_add_i32 s45, s45, s44
	s_mul_i32 s44, s29, s20
	s_or_b32 s29, s33, 2
	v_lshl_add_u64 v[70:71], s[44:45], 3, v[18:19]
	s_mul_i32 s44, s29, s21
	s_mul_hi_u32 s45, s29, s20
	s_add_i32 s45, s45, s44
	s_mul_i32 s44, s29, s20
	v_lshl_add_u64 v[72:73], s[44:45], 3, v[18:19]
	s_or_b32 s29, s33, 3
	s_mul_i32 s44, s29, s21
	s_mul_hi_u32 s45, s29, s20
	s_add_i32 s45, s45, s44
	s_mul_i32 s44, s29, s20
	s_waitcnt vmcnt(0) lgkmcnt(0)
	scratch_store_dwordx4 off, v[6:9], off
	flat_load_dwordx2 v[2:3], v[26:27]
	flat_load_dwordx2 v[4:5], v[28:29]
	s_waitcnt vmcnt(0) lgkmcnt(0)
	scratch_store_dwordx4 off, v[2:5], off offset:16
	flat_load_dwordx4 v[10:13], v[66:67]
	flat_load_dwordx4 v[14:17], v[70:71]
	;; [unrolled: 1-line block ×3, first 2 shown]
	s_waitcnt vmcnt(0) lgkmcnt(0)
	v_mul_f32_e32 v68, v11, v7
	v_mul_f32_e32 v11, v11, v6
	v_fmac_f32_e32 v68, v10, v6
	v_fma_f32 v69, v10, v7, -v11
	v_mul_f32_e32 v10, v15, v6
	v_fma_f32 v41, v14, v7, -v10
	v_mul_f32_e32 v38, v35, v7
	v_mul_f32_e32 v10, v35, v6
	v_fmac_f32_e32 v38, v34, v6
	v_fma_f32 v39, v34, v7, -v10
	v_lshl_add_u64 v[34:35], s[44:45], 3, v[18:19]
	flat_load_dwordx4 v[62:65], v[34:35]
	v_mul_f32_e32 v40, v15, v7
	v_fmac_f32_e32 v40, v14, v6
	v_mul_f32_e32 v42, v37, v9
	v_mul_f32_e32 v76, v13, v9
	;; [unrolled: 1-line block ×3, first 2 shown]
	v_fmac_f32_e32 v42, v36, v8
	v_fmac_f32_e32 v76, v12, v8
	;; [unrolled: 1-line block ×3, first 2 shown]
	s_waitcnt vmcnt(0) lgkmcnt(0)
	v_mul_f32_e32 v74, v63, v7
	v_fmac_f32_e32 v74, v62, v6
	v_mul_f32_e32 v6, v63, v6
	v_fma_f32 v75, v62, v7, -v6
	v_mul_f32_e32 v6, v13, v8
	v_fma_f32 v77, v12, v9, -v6
	;; [unrolled: 2-line block ×4, first 2 shown]
	v_mul_f32_e32 v36, v65, v9
	v_mul_f32_e32 v6, v65, v8
	v_fmac_f32_e32 v36, v64, v8
	v_fma_f32 v37, v64, v9, -v6
	flat_load_dwordx4 v[62:65], v[66:67] offset:16
	flat_load_dwordx4 v[14:17], v[70:71] offset:16
	;; [unrolled: 1-line block ×3, first 2 shown]
                                        ; kill: killed $vgpr72_vgpr73
                                        ; kill: killed $vgpr70_vgpr71
                                        ; kill: killed $vgpr66_vgpr67
	flat_load_dwordx4 v[6:9], v[34:35] offset:16
	v_pk_add_f32 v[34:35], v[74:75], 0 op_sel_hi:[1,0]
	s_nop 0
	v_pk_add_f32 v[34:35], v[34:35], v[36:37]
	s_waitcnt vmcnt(0) lgkmcnt(0)
	v_pk_mul_f32 v[36:37], v[2:3], v[6:7] op_sel:[0,1]
	s_nop 0
	v_pk_fma_f32 v[66:67], v[2:3], v[6:7], v[36:37] op_sel:[0,0,1] op_sel_hi:[1,1,0]
	v_pk_fma_f32 v[6:7], v[2:3], v[6:7], v[36:37] op_sel:[0,0,1] op_sel_hi:[1,0,0] neg_lo:[0,0,1] neg_hi:[0,0,1]
	s_nop 0
	v_mov_b32_e32 v67, v7
	v_pk_add_f32 v[36:37], v[34:35], v[66:67]
	v_pk_mul_f32 v[34:35], v[2:3], v[62:63] op_sel:[0,1]
	v_pk_add_f32 v[6:7], v[68:69], 0 op_sel_hi:[1,0]
	v_pk_fma_f32 v[66:67], v[2:3], v[62:63], v[34:35] op_sel:[0,0,1] op_sel_hi:[1,1,0]
	v_pk_fma_f32 v[34:35], v[2:3], v[62:63], v[34:35] op_sel:[0,0,1] op_sel_hi:[1,0,0] neg_lo:[0,0,1] neg_hi:[0,0,1]
	v_pk_add_f32 v[6:7], v[6:7], v[76:77]
	v_mov_b32_e32 v34, v65
	v_mov_b32_e32 v67, v35
	v_pk_mul_f32 v[34:35], v[4:5], v[34:35] op_sel_hi:[1,0]
	v_pk_add_f32 v[6:7], v[6:7], v[66:67]
	v_pk_fma_f32 v[62:63], v[4:5], v[64:65], v[34:35] op_sel:[0,0,1] op_sel_hi:[1,1,0]
	v_pk_fma_f32 v[34:35], v[4:5], v[64:65], v[34:35] op_sel:[0,0,1] op_sel_hi:[1,0,0] neg_lo:[0,0,1] neg_hi:[0,0,1]
	s_nop 0
	v_mov_b32_e32 v63, v35
	v_pk_add_f32 v[34:35], v[6:7], v[62:63]
	v_pk_add_f32 v[6:7], v[40:41], 0 op_sel_hi:[1,0]
	v_pk_mul_f32 v[40:41], v[2:3], v[14:15] op_sel:[0,1]
	v_pk_add_f32 v[6:7], v[6:7], v[44:45]
	v_pk_fma_f32 v[44:45], v[2:3], v[14:15], v[40:41] op_sel:[0,0,1] op_sel_hi:[1,1,0]
	v_pk_fma_f32 v[14:15], v[2:3], v[14:15], v[40:41] op_sel:[0,0,1] op_sel_hi:[1,0,0] neg_lo:[0,0,1] neg_hi:[0,0,1]
	s_nop 0
	v_mov_b32_e32 v14, v17
	v_mov_b32_e32 v45, v15
	v_pk_mul_f32 v[14:15], v[4:5], v[14:15] op_sel_hi:[1,0]
	v_pk_add_f32 v[6:7], v[6:7], v[44:45]
	v_pk_fma_f32 v[40:41], v[4:5], v[16:17], v[14:15] op_sel:[0,0,1] op_sel_hi:[1,1,0]
	v_pk_fma_f32 v[14:15], v[4:5], v[16:17], v[14:15] op_sel:[0,0,1] op_sel_hi:[1,0,0] neg_lo:[0,0,1] neg_hi:[0,0,1]
	v_pk_mul_f32 v[16:17], v[2:3], v[10:11] op_sel:[0,1]
	v_mov_b32_e32 v41, v15
	v_pk_add_f32 v[14:15], v[38:39], 0 op_sel_hi:[1,0]
	v_pk_fma_f32 v[38:39], v[2:3], v[10:11], v[16:17] op_sel:[0,0,1] op_sel_hi:[1,1,0]
	v_pk_fma_f32 v[2:3], v[2:3], v[10:11], v[16:17] op_sel:[0,0,1] op_sel_hi:[1,0,0] neg_lo:[0,0,1] neg_hi:[0,0,1]
	v_mov_b32_e32 v10, v13
	v_pk_add_f32 v[14:15], v[14:15], v[42:43]
	v_mov_b32_e32 v39, v3
	v_pk_mul_f32 v[10:11], v[4:5], v[10:11] op_sel_hi:[1,0]
	v_pk_add_f32 v[2:3], v[14:15], v[38:39]
	v_pk_fma_f32 v[14:15], v[4:5], v[12:13], v[10:11] op_sel:[0,0,1] op_sel_hi:[1,1,0]
	v_pk_fma_f32 v[10:11], v[4:5], v[12:13], v[10:11] op_sel:[0,0,1] op_sel_hi:[1,0,0] neg_lo:[0,0,1] neg_hi:[0,0,1]
	v_pk_add_f32 v[6:7], v[6:7], v[40:41]
	v_mov_b32_e32 v10, v9
	v_mov_b32_e32 v15, v11
	v_pk_mul_f32 v[10:11], v[4:5], v[10:11] op_sel_hi:[1,0]
	v_pk_add_f32 v[2:3], v[2:3], v[14:15]
	v_pk_fma_f32 v[12:13], v[4:5], v[8:9], v[10:11] op_sel:[0,0,1] op_sel_hi:[1,1,0]
	v_pk_fma_f32 v[4:5], v[4:5], v[8:9], v[10:11] op_sel:[0,0,1] op_sel_hi:[1,0,0] neg_lo:[0,0,1] neg_hi:[0,0,1]
	s_nop 0
	v_mov_b32_e32 v13, v5
	v_pk_add_f32 v[4:5], v[36:37], v[12:13]
	s_andn2_saveexec_b64 s[42:43], s[42:43]
	s_cbranch_execz .LBB329_22
.LBB329_48:                             ;   in Loop: Header=BB329_20 Depth=1
	v_mov_b32_e32 v35, 0
	v_mov_b32_e32 v34, 0
	;; [unrolled: 1-line block ×6, first 2 shown]
	s_waitcnt lgkmcnt(0)
	v_mov_b32_e32 v5, 0
	v_mov_b32_e32 v4, 0
	s_and_saveexec_b64 s[44:45], s[8:9]
	s_cbranch_execz .LBB329_54
; %bb.49:                               ;   in Loop: Header=BB329_20 Depth=1
	v_mov_b32_e32 v35, 0
	s_andn2_b64 vcc, exec, s[30:31]
	v_mov_b32_e32 v34, v35
	v_mov_b32_e32 v7, v35
	;; [unrolled: 1-line block ×7, first 2 shown]
	s_cbranch_vccnz .LBB329_54
; %bb.50:                               ;   in Loop: Header=BB329_20 Depth=1
	v_mov_b32_e32 v4, 0
	v_mov_b64_e32 v[2:3], v[22:23]
	s_mov_b32 s29, s15
.LBB329_51:                             ;   Parent Loop BB329_20 Depth=1
                                        ; =>  This Inner Loop Header: Depth=2
	flat_load_dwordx2 v[6:7], v[2:3]
	s_add_i32 s29, s29, -1
	v_lshl_add_u64 v[2:3], v[2:3], 0, s[36:37]
	s_cmp_eq_u32 s29, 0
	s_waitcnt vmcnt(0) lgkmcnt(0)
	scratch_store_dwordx2 v4, v[6:7], off
	v_add_u32_e32 v4, 8, v4
	s_cbranch_scc0 .LBB329_51
; %bb.52:                               ;   in Loop: Header=BB329_20 Depth=1
	v_mov_b32_e32 v4, 0
	v_mov_b32_e32 v10, 0
	v_mov_b64_e32 v[8:9], v[32:33]
	s_mov_b32 s29, s15
	v_mov_b32_e32 v5, v4
	v_mov_b32_e32 v2, v4
	;; [unrolled: 1-line block ×7, first 2 shown]
.LBB329_53:                             ;   Parent Loop BB329_20 Depth=1
                                        ; =>  This Inner Loop Header: Depth=2
	flat_load_dwordx2 v[12:13], v[8:9]
	scratch_load_dwordx2 v[14:15], v10, off
	v_lshl_add_u64 v[16:17], v[8:9], 0, s[40:41]
	flat_load_dwordx2 v[36:37], v[16:17]
	v_lshl_add_u64 v[16:17], v[16:17], 0, s[40:41]
	flat_load_dwordx2 v[38:39], v[16:17]
	;; [unrolled: 2-line block ×3, first 2 shown]
	s_add_i32 s29, s29, -1
	v_add_u32_e32 v10, 8, v10
	s_cmp_lg_u32 s29, 0
	v_lshl_add_u64 v[8:9], v[8:9], 0, 8
	s_waitcnt vmcnt(0) lgkmcnt(0)
	v_pk_mul_f32 v[40:41], v[14:15], v[12:13] op_sel:[0,1]
	s_nop 0
	v_pk_fma_f32 v[42:43], v[14:15], v[12:13], v[40:41] op_sel:[0,0,1] op_sel_hi:[1,1,0]
	v_pk_fma_f32 v[12:13], v[14:15], v[12:13], v[40:41] op_sel:[0,0,1] op_sel_hi:[1,0,0] neg_lo:[0,0,1] neg_hi:[0,0,1]
	v_pk_mul_f32 v[40:41], v[14:15], v[36:37] op_sel:[0,1]
	v_mov_b32_e32 v43, v13
	v_pk_fma_f32 v[12:13], v[14:15], v[36:37], v[40:41] op_sel:[0,0,1] op_sel_hi:[1,1,0]
	v_pk_fma_f32 v[36:37], v[14:15], v[36:37], v[40:41] op_sel:[0,0,1] op_sel_hi:[1,0,0] neg_lo:[0,0,1] neg_hi:[0,0,1]
	v_pk_mul_f32 v[40:41], v[14:15], v[38:39] op_sel:[0,1]
	v_mov_b32_e32 v13, v37
	v_pk_fma_f32 v[36:37], v[14:15], v[38:39], v[40:41] op_sel:[0,0,1] op_sel_hi:[1,1,0]
	v_pk_fma_f32 v[38:39], v[14:15], v[38:39], v[40:41] op_sel:[0,0,1] op_sel_hi:[1,0,0] neg_lo:[0,0,1] neg_hi:[0,0,1]
	v_pk_mul_f32 v[40:41], v[14:15], v[16:17] op_sel:[0,1]
	v_pk_add_f32 v[6:7], v[6:7], v[12:13]
	v_pk_fma_f32 v[12:13], v[14:15], v[16:17], v[40:41] op_sel:[0,0,1] op_sel_hi:[1,1,0]
	v_pk_fma_f32 v[14:15], v[14:15], v[16:17], v[40:41] op_sel:[0,0,1] op_sel_hi:[1,0,0] neg_lo:[0,0,1] neg_hi:[0,0,1]
	v_mov_b32_e32 v37, v39
	v_mov_b32_e32 v13, v15
	v_pk_add_f32 v[34:35], v[34:35], v[42:43]
	v_pk_add_f32 v[2:3], v[2:3], v[36:37]
	v_pk_add_f32 v[4:5], v[4:5], v[12:13]
	s_cbranch_scc1 .LBB329_53
.LBB329_54:                             ;   in Loop: Header=BB329_20 Depth=1
	s_or_b64 exec, exec, s[44:45]
	s_or_b64 exec, exec, s[42:43]
	s_and_saveexec_b64 s[42:43], s[0:1]
	s_cbranch_execnz .LBB329_23
	s_branch .LBB329_24
.LBB329_55:                             ;   in Loop: Header=BB329_20 Depth=1
	ds_read_b64 v[8:9], v59
	s_or_b64 exec, exec, s[42:43]
	s_and_saveexec_b64 s[42:43], s[0:1]
	s_cbranch_execz .LBB329_28
.LBB329_56:                             ;   in Loop: Header=BB329_20 Depth=1
	s_waitcnt lgkmcnt(0)
	ds_bpermute_b32 v10, v57, v8
	ds_bpermute_b32 v11, v57, v9
	s_waitcnt lgkmcnt(0)
	v_pk_add_f32 v[8:9], v[8:9], v[10:11]
	ds_bpermute_b32 v10, v58, v8
	ds_bpermute_b32 v11, v58, v9
	s_waitcnt lgkmcnt(0)
	v_pk_add_f32 v[8:9], v[8:9], v[10:11]
	s_or_b64 exec, exec, s[42:43]
	s_and_saveexec_b64 s[42:43], s[0:1]
	s_cbranch_execnz .LBB329_29
	s_branch .LBB329_30
.LBB329_57:                             ;   in Loop: Header=BB329_20 Depth=1
	ds_read_b64 v[6:7], v59
	s_or_b64 exec, exec, s[42:43]
	s_and_saveexec_b64 s[42:43], s[0:1]
	s_cbranch_execz .LBB329_34
.LBB329_58:                             ;   in Loop: Header=BB329_20 Depth=1
	s_waitcnt lgkmcnt(0)
	ds_bpermute_b32 v10, v57, v6
	ds_bpermute_b32 v11, v57, v7
	s_waitcnt lgkmcnt(0)
	v_pk_add_f32 v[6:7], v[6:7], v[10:11]
	ds_bpermute_b32 v10, v58, v6
	ds_bpermute_b32 v11, v58, v7
	s_waitcnt lgkmcnt(0)
	v_pk_add_f32 v[6:7], v[6:7], v[10:11]
	s_or_b64 exec, exec, s[42:43]
	s_and_saveexec_b64 s[42:43], s[0:1]
	s_cbranch_execnz .LBB329_35
	s_branch .LBB329_36
.LBB329_59:                             ;   in Loop: Header=BB329_20 Depth=1
	ds_read_b64 v[2:3], v59
	s_or_b64 exec, exec, s[42:43]
	s_and_saveexec_b64 s[42:43], s[0:1]
	s_cbranch_execz .LBB329_40
.LBB329_60:                             ;   in Loop: Header=BB329_20 Depth=1
	s_waitcnt lgkmcnt(0)
	ds_bpermute_b32 v10, v57, v2
	ds_bpermute_b32 v11, v57, v3
	s_waitcnt lgkmcnt(0)
	v_pk_add_f32 v[2:3], v[2:3], v[10:11]
	ds_bpermute_b32 v10, v58, v2
	ds_bpermute_b32 v11, v58, v3
	s_waitcnt lgkmcnt(0)
	v_pk_add_f32 v[2:3], v[2:3], v[10:11]
	s_or_b64 exec, exec, s[42:43]
	s_and_saveexec_b64 s[42:43], s[0:1]
	s_cbranch_execnz .LBB329_41
	s_branch .LBB329_42
.LBB329_61:                             ;   in Loop: Header=BB329_20 Depth=1
	ds_read_b64 v[4:5], v59
	s_or_b64 exec, exec, s[42:43]
	s_and_saveexec_b64 s[42:43], s[0:1]
	s_cbranch_execz .LBB329_46
.LBB329_62:                             ;   in Loop: Header=BB329_20 Depth=1
	s_waitcnt lgkmcnt(0)
	ds_bpermute_b32 v10, v57, v4
	ds_bpermute_b32 v11, v57, v5
	s_waitcnt lgkmcnt(0)
	v_pk_add_f32 v[4:5], v[4:5], v[10:11]
	ds_bpermute_b32 v10, v58, v4
	ds_bpermute_b32 v11, v58, v5
	s_waitcnt lgkmcnt(0)
	v_pk_add_f32 v[4:5], v[4:5], v[10:11]
	s_or_b64 exec, exec, s[42:43]
	s_and_saveexec_b64 s[42:43], s[12:13]
	s_cbranch_execz .LBB329_19
.LBB329_63:                             ;   in Loop: Header=BB329_20 Depth=1
	v_pk_mul_f32 v[10:11], v[8:9], s[18:19]
	v_mov_b32_e32 v12, v9
	s_mul_hi_u32 s45, s33, s14
	s_mul_i32 s44, s33, s14
	v_mov_b32_e32 v10, v11
	v_pk_mul_f32 v[12:13], v[12:13], s[18:19]
	s_lshl_b64 s[44:45], s[44:45], 3
	v_pk_fma_f32 v[10:11], v[8:9], s[18:19], v[10:11] neg_lo:[0,0,1] neg_hi:[0,0,1]
	v_pk_fma_f32 v[8:9], v[8:9], s[34:35], v[12:13]
	s_add_u32 s44, s3, s44
	s_addc_u32 s45, s48, s45
	v_mov_b32_e32 v11, v8
	s_or_b32 s29, s33, 1
	global_store_dwordx2 v30, v[10:11], s[44:45]
	v_pk_mul_f32 v[8:9], v[6:7], s[18:19]
	v_mov_b32_e32 v10, v7
	s_mul_hi_u32 s45, s29, s14
	s_mul_i32 s44, s29, s14
	v_mov_b32_e32 v8, v9
	v_pk_mul_f32 v[10:11], v[10:11], s[18:19]
	s_lshl_b64 s[44:45], s[44:45], 3
	v_pk_fma_f32 v[8:9], v[6:7], s[18:19], v[8:9] neg_lo:[0,0,1] neg_hi:[0,0,1]
	v_pk_fma_f32 v[6:7], v[6:7], s[34:35], v[10:11]
	s_add_u32 s44, s3, s44
	s_addc_u32 s45, s48, s45
	v_mov_b32_e32 v9, v6
	s_or_b32 s29, s33, 2
	global_store_dwordx2 v30, v[8:9], s[44:45]
	;; [unrolled: 14-line block ×3, first 2 shown]
	s_mul_hi_u32 s45, s29, s14
	s_mul_i32 s44, s29, s14
	s_waitcnt lgkmcnt(0)
	v_pk_mul_f32 v[2:3], v[4:5], s[18:19] op_sel:[1,0]
	s_lshl_b64 s[44:45], s[44:45], 3
	s_add_u32 s44, s3, s44
	v_pk_fma_f32 v[6:7], v[4:5], s[18:19], v[2:3] op_sel:[0,0,1] op_sel_hi:[1,1,0] neg_lo:[0,0,1] neg_hi:[0,0,1]
	v_pk_fma_f32 v[2:3], v[4:5], s[18:19], v[2:3] op_sel:[0,0,1] op_sel_hi:[0,1,0]
	s_addc_u32 s45, s48, s45
	v_mov_b32_e32 v7, v3
	global_store_dwordx2 v30, v[6:7], s[44:45]
	s_branch .LBB329_19
.LBB329_64:
	s_mov_b32 s33, 0
.LBB329_65:
	s_cmp_ge_i32 s33, s17
	s_cbranch_scc1 .LBB329_87
; %bb.66:
	v_mbcnt_hi_u32_b32 v2, -1, v50
	v_and_b32_e32 v3, 63, v2
	v_cmp_gt_u32_e64 s[4:5], 32, v3
	s_mov_b32 s12, 0
	s_cmp_gt_i32 s15, 0
	s_waitcnt lgkmcnt(0)
	v_cndmask_b32_e64 v4, 0, 1, s[4:5]
	v_lshlrev_b32_e32 v4, 5, v4
	v_cmp_gt_u32_e64 s[4:5], 48, v3
	v_add_lshl_u32 v17, v4, v2, 2
	s_mov_b32 s3, s12
	v_cndmask_b32_e64 v4, 0, 1, s[4:5]
	v_lshlrev_b32_e32 v4, 4, v4
	v_cmp_gt_u32_e64 s[4:5], 56, v3
	v_add_lshl_u32 v22, v4, v2, 2
	s_cselect_b64 s[30:31], -1, 0
	v_cndmask_b32_e64 v4, 0, 1, s[4:5]
	v_lshlrev_b32_e32 v4, 3, v4
	v_cmp_gt_u32_e64 s[4:5], 60, v3
	v_add_lshl_u32 v23, v4, v2, 2
	s_lshl_b64 s[2:3], s[2:3], 3
	v_cndmask_b32_e64 v4, 0, 1, s[4:5]
	v_lshlrev_b32_e32 v4, 2, v4
	v_cmp_gt_u32_e64 s[4:5], 62, v3
	v_add_lshl_u32 v24, v4, v2, 2
	v_cmp_ge_i32_e32 vcc, s16, v51
	v_cndmask_b32_e64 v4, 0, 1, s[4:5]
	v_lshlrev_b32_e32 v4, 1, v4
	v_cmp_ne_u32_e64 s[4:5], 63, v3
	v_cmp_ge_i32_e64 s[10:11], s16, v52
	v_add_lshl_u32 v25, v4, v2, 2
	v_addc_co_u32_e64 v2, s[4:5], 0, v2, s[4:5]
	s_add_u32 s16, s35, s2
	v_cmp_gt_u32_e64 s[0:1], 64, v0
	v_lshlrev_b32_e32 v16, 3, v1
	v_lshlrev_b32_e32 v26, 2, v2
	v_cmp_eq_u32_e64 s[4:5], 0, v1
	v_cmp_gt_u32_e64 s[6:7], 4, v0
	v_cmp_eq_u32_e64 s[8:9], 0, v0
	s_addc_u32 s28, s46, s3
	v_mad_i64_i32 v[0:1], s[2:3], s26, v20, 0
	v_mad_i64_i32 v[2:3], s[2:3], s26, v48, 0
	;; [unrolled: 1-line block ×4, first 2 shown]
	v_lshl_add_u64 v[0:1], v[0:1], 3, s[24:25]
	v_lshl_add_u64 v[2:3], v[2:3], 3, s[24:25]
	;; [unrolled: 1-line block ×4, first 2 shown]
	s_mul_i32 s13, s21, s33
	s_mul_hi_u32 s24, s20, s33
	s_add_i32 s25, s24, s13
	s_mul_i32 s24, s20, s33
	s_and_b64 s[2:3], s[30:31], s[10:11]
	s_lshl_b64 s[10:11], s[26:27], 3
	s_lshl_b64 s[24:25], s[24:25], 3
	s_add_u32 s22, s22, s24
	s_addc_u32 s23, s23, s25
	v_and_b32_e32 v27, 24, v49
	v_lshl_add_u64 v[8:9], v[20:21], 3, s[22:23]
	s_lshl_b64 s[22:23], s[20:21], 3
	v_mov_b32_e32 v10, 0
	s_branch .LBB329_68
.LBB329_67:                             ;   in Loop: Header=BB329_68 Depth=1
	s_or_b64 exec, exec, s[24:25]
	s_add_i32 s33, s33, 1
	s_cmp_lt_i32 s33, s17
	v_lshl_add_u64 v[8:9], v[8:9], 0, s[22:23]
	s_cbranch_scc0 .LBB329_87
.LBB329_68:                             ; =>This Loop Header: Depth=1
                                        ;     Child Loop BB329_80 Depth 2
                                        ;     Child Loop BB329_82 Depth 2
                                        ; implicit-def: $vgpr13
	s_and_saveexec_b64 s[24:25], vcc
	s_xor_b64 s[24:25], exec, s[24:25]
	s_cbranch_execnz .LBB329_77
; %bb.69:                               ;   in Loop: Header=BB329_68 Depth=1
	s_andn2_saveexec_b64 s[24:25], s[24:25]
	s_cbranch_execnz .LBB329_78
.LBB329_70:                             ;   in Loop: Header=BB329_68 Depth=1
	s_or_b64 exec, exec, s[24:25]
	s_and_saveexec_b64 s[24:25], s[0:1]
	s_cbranch_execz .LBB329_72
.LBB329_71:                             ;   in Loop: Header=BB329_68 Depth=1
	v_mov_b32_e32 v11, v10
	ds_write_b64 v16, v[10:11]
.LBB329_72:                             ;   in Loop: Header=BB329_68 Depth=1
	s_or_b64 exec, exec, s[24:25]
	s_waitcnt lgkmcnt(0)
	ds_bpermute_b32 v14, v17, v12
	ds_bpermute_b32 v15, v17, v13
	s_waitcnt lgkmcnt(0)
	s_barrier
	v_pk_add_f32 v[12:13], v[12:13], v[14:15]
	ds_bpermute_b32 v14, v22, v12
	ds_bpermute_b32 v15, v22, v13
	s_waitcnt lgkmcnt(0)
	v_pk_add_f32 v[12:13], v[12:13], v[14:15]
	ds_bpermute_b32 v14, v23, v12
	ds_bpermute_b32 v15, v23, v13
	s_waitcnt lgkmcnt(0)
	;; [unrolled: 4-line block ×4, first 2 shown]
	v_pk_add_f32 v[12:13], v[12:13], v[14:15]
	ds_bpermute_b32 v14, v26, v12
	ds_bpermute_b32 v15, v26, v13
	s_and_saveexec_b64 s[24:25], s[4:5]
	s_cbranch_execz .LBB329_74
; %bb.73:                               ;   in Loop: Header=BB329_68 Depth=1
	s_waitcnt lgkmcnt(0)
	v_pk_add_f32 v[12:13], v[12:13], v[14:15]
	ds_write_b64 v27, v[12:13]
.LBB329_74:                             ;   in Loop: Header=BB329_68 Depth=1
	s_or_b64 exec, exec, s[24:25]
	s_mov_b32 s13, s12
	v_mov_b64_e32 v[12:13], s[12:13]
	s_waitcnt lgkmcnt(0)
	s_barrier
	s_and_saveexec_b64 s[24:25], s[6:7]
	s_cbranch_execnz .LBB329_84
; %bb.75:                               ;   in Loop: Header=BB329_68 Depth=1
	s_or_b64 exec, exec, s[24:25]
	s_and_saveexec_b64 s[24:25], s[0:1]
	s_cbranch_execnz .LBB329_85
.LBB329_76:                             ;   in Loop: Header=BB329_68 Depth=1
	s_or_b64 exec, exec, s[24:25]
	s_and_saveexec_b64 s[24:25], s[8:9]
	s_cbranch_execz .LBB329_67
	s_branch .LBB329_86
.LBB329_77:                             ;   in Loop: Header=BB329_68 Depth=1
	flat_load_dwordx2 v[14:15], v[2:3]
	flat_load_dwordx2 v[28:29], v[4:5]
	s_waitcnt lgkmcnt(0)
	flat_load_dwordx2 v[12:13], v[0:1]
	flat_load_dwordx2 v[30:31], v[6:7]
	s_mul_i32 s13, s33, s21
	s_mul_hi_u32 s27, s33, s20
	s_mul_i32 s26, s33, s20
	s_add_i32 s27, s27, s13
	v_lshl_add_u64 v[20:21], s[26:27], 3, v[18:19]
	s_waitcnt vmcnt(0) lgkmcnt(0)
	scratch_store_dwordx4 off, v[12:15], off
	scratch_store_dwordx4 off, v[28:31], off offset:16
	flat_load_dwordx4 v[32:35], v[20:21]
	flat_load_dwordx4 v[36:39], v[20:21] offset:16
	v_mov_b32_e32 v20, v29
	s_waitcnt vmcnt(0) lgkmcnt(0)
	v_mul_f32_e32 v40, v33, v13
	v_mul_f32_e32 v11, v33, v12
	;; [unrolled: 1-line block ×4, first 2 shown]
	v_pk_mul_f32 v[44:45], v[36:37], v[28:29] op_sel_hi:[1,0]
	v_pk_mul_f32 v[46:47], v[38:39], v[30:31] op_sel:[0,1]
	v_fmac_f32_e32 v40, v32, v12
	v_fma_f32 v41, v32, v13, -v11
	v_fmac_f32_e32 v42, v34, v14
	v_fma_f32 v43, v34, v15, -v21
	v_pk_fma_f32 v[12:13], v[36:37], v[20:21], v[44:45] op_sel:[1,0,0] op_sel_hi:[0,1,1]
	v_pk_fma_f32 v[14:15], v[36:37], v[28:29], v[44:45] op_sel:[1,1,0] op_sel_hi:[0,1,1] neg_lo:[0,0,1] neg_hi:[0,0,1]
	v_pk_fma_f32 v[20:21], v[38:39], v[30:31], v[46:47] op_sel:[0,0,1] op_sel_hi:[1,1,0]
	v_pk_fma_f32 v[28:29], v[38:39], v[30:31], v[46:47] op_sel:[0,0,1] op_sel_hi:[1,0,0] neg_lo:[1,0,0] neg_hi:[1,0,0]
	v_pk_add_f32 v[30:31], v[40:41], 0 op_sel_hi:[1,0]
	v_mov_b32_e32 v13, v15
	v_pk_add_f32 v[14:15], v[30:31], v[42:43]
	v_mov_b32_e32 v21, v29
	v_pk_add_f32 v[12:13], v[14:15], v[12:13]
	s_nop 0
	v_pk_add_f32 v[12:13], v[12:13], v[20:21]
	s_andn2_saveexec_b64 s[24:25], s[24:25]
	s_cbranch_execz .LBB329_70
.LBB329_78:                             ;   in Loop: Header=BB329_68 Depth=1
	s_waitcnt lgkmcnt(0)
	v_mov_b32_e32 v13, 0
	v_mov_b32_e32 v12, v13
	s_and_saveexec_b64 s[26:27], s[2:3]
	s_cbranch_execz .LBB329_83
; %bb.79:                               ;   in Loop: Header=BB329_68 Depth=1
	v_mov_b32_e32 v11, 0
	v_mov_b64_e32 v[12:13], v[0:1]
	s_mov_b32 s13, s15
.LBB329_80:                             ;   Parent Loop BB329_68 Depth=1
                                        ; =>  This Inner Loop Header: Depth=2
	flat_load_dwordx2 v[14:15], v[12:13]
	s_add_i32 s13, s13, -1
	v_lshl_add_u64 v[12:13], v[12:13], 0, s[10:11]
	s_cmp_eq_u32 s13, 0
	s_waitcnt vmcnt(0) lgkmcnt(0)
	scratch_store_dwordx2 v11, v[14:15], off
	v_add_u32_e32 v11, 8, v11
	s_cbranch_scc0 .LBB329_80
; %bb.81:                               ;   in Loop: Header=BB329_68 Depth=1
	v_mov_b32_e32 v12, 0
	v_mov_b32_e32 v11, 0
	v_mov_b64_e32 v[14:15], v[8:9]
	s_mov_b32 s13, s15
	v_mov_b32_e32 v13, v12
.LBB329_82:                             ;   Parent Loop BB329_68 Depth=1
                                        ; =>  This Inner Loop Header: Depth=2
	flat_load_dwordx2 v[20:21], v[14:15]
	scratch_load_dwordx2 v[28:29], v11, off
	s_add_i32 s13, s13, -1
	v_add_u32_e32 v11, 8, v11
	v_lshl_add_u64 v[14:15], v[14:15], 0, 8
	s_cmp_lg_u32 s13, 0
	s_waitcnt vmcnt(0) lgkmcnt(0)
	v_pk_mul_f32 v[30:31], v[20:21], v[28:29] op_sel:[1,0]
	s_nop 0
	v_pk_fma_f32 v[32:33], v[20:21], v[28:29], v[30:31] op_sel:[0,0,1] op_sel_hi:[1,1,0]
	v_pk_fma_f32 v[20:21], v[20:21], v[28:29], v[30:31] op_sel:[0,0,1] op_sel_hi:[0,1,0] neg_lo:[0,0,1] neg_hi:[0,0,1]
	v_mov_b32_e32 v33, v21
	v_pk_add_f32 v[12:13], v[12:13], v[32:33]
	s_cbranch_scc1 .LBB329_82
.LBB329_83:                             ;   in Loop: Header=BB329_68 Depth=1
	s_or_b64 exec, exec, s[26:27]
	s_or_b64 exec, exec, s[24:25]
	s_and_saveexec_b64 s[24:25], s[0:1]
	s_cbranch_execnz .LBB329_71
	s_branch .LBB329_72
.LBB329_84:                             ;   in Loop: Header=BB329_68 Depth=1
	ds_read_b64 v[12:13], v16
	s_or_b64 exec, exec, s[24:25]
	s_and_saveexec_b64 s[24:25], s[0:1]
	s_cbranch_execz .LBB329_76
.LBB329_85:                             ;   in Loop: Header=BB329_68 Depth=1
	s_waitcnt lgkmcnt(0)
	ds_bpermute_b32 v14, v25, v12
	ds_bpermute_b32 v15, v25, v13
	s_waitcnt lgkmcnt(0)
	v_pk_add_f32 v[12:13], v[12:13], v[14:15]
	ds_bpermute_b32 v14, v26, v12
	ds_bpermute_b32 v15, v26, v13
	s_waitcnt lgkmcnt(0)
	v_pk_add_f32 v[12:13], v[12:13], v[14:15]
	s_or_b64 exec, exec, s[24:25]
	s_and_saveexec_b64 s[24:25], s[8:9]
	s_cbranch_execz .LBB329_67
.LBB329_86:                             ;   in Loop: Header=BB329_68 Depth=1
	s_mul_hi_u32 s27, s33, s14
	s_mul_i32 s26, s33, s14
	s_waitcnt lgkmcnt(0)
	v_pk_mul_f32 v[14:15], v[12:13], s[18:19] op_sel:[1,0]
	s_lshl_b64 s[26:27], s[26:27], 3
	s_add_u32 s26, s16, s26
	v_pk_fma_f32 v[20:21], v[12:13], s[18:19], v[14:15] op_sel:[0,0,1] op_sel_hi:[1,1,0] neg_lo:[0,0,1] neg_hi:[0,0,1]
	v_pk_fma_f32 v[12:13], v[12:13], s[18:19], v[14:15] op_sel:[0,0,1] op_sel_hi:[0,1,0]
	s_addc_u32 s27, s28, s27
	v_mov_b32_e32 v21, v13
	global_store_dwordx2 v10, v[20:21], s[26:27]
	s_branch .LBB329_67
.LBB329_87:
	s_endpgm
	.section	.rodata,"a",@progbits
	.p2align	6, 0x0
	.amdhsa_kernel _ZL23rocblas_gemvt_sn_kernelILb1ELi256ELi4ElPK19rocblas_complex_numIfES1_S1_EviiT4_lPKT3_lilS7_lilPT5_i
		.amdhsa_group_segment_fixed_size 512
		.amdhsa_private_segment_fixed_size 48
		.amdhsa_kernarg_size 360
		.amdhsa_user_sgpr_count 2
		.amdhsa_user_sgpr_dispatch_ptr 0
		.amdhsa_user_sgpr_queue_ptr 0
		.amdhsa_user_sgpr_kernarg_segment_ptr 1
		.amdhsa_user_sgpr_dispatch_id 0
		.amdhsa_user_sgpr_kernarg_preload_length 0
		.amdhsa_user_sgpr_kernarg_preload_offset 0
		.amdhsa_user_sgpr_private_segment_size 0
		.amdhsa_uses_dynamic_stack 0
		.amdhsa_enable_private_segment 1
		.amdhsa_system_sgpr_workgroup_id_x 1
		.amdhsa_system_sgpr_workgroup_id_y 0
		.amdhsa_system_sgpr_workgroup_id_z 1
		.amdhsa_system_sgpr_workgroup_info 0
		.amdhsa_system_vgpr_workitem_id 0
		.amdhsa_next_free_vgpr 78
		.amdhsa_next_free_sgpr 49
		.amdhsa_accum_offset 80
		.amdhsa_reserve_vcc 1
		.amdhsa_float_round_mode_32 0
		.amdhsa_float_round_mode_16_64 0
		.amdhsa_float_denorm_mode_32 3
		.amdhsa_float_denorm_mode_16_64 3
		.amdhsa_dx10_clamp 1
		.amdhsa_ieee_mode 1
		.amdhsa_fp16_overflow 0
		.amdhsa_tg_split 0
		.amdhsa_exception_fp_ieee_invalid_op 0
		.amdhsa_exception_fp_denorm_src 0
		.amdhsa_exception_fp_ieee_div_zero 0
		.amdhsa_exception_fp_ieee_overflow 0
		.amdhsa_exception_fp_ieee_underflow 0
		.amdhsa_exception_fp_ieee_inexact 0
		.amdhsa_exception_int_div_zero 0
	.end_amdhsa_kernel
	.section	.text._ZL23rocblas_gemvt_sn_kernelILb1ELi256ELi4ElPK19rocblas_complex_numIfES1_S1_EviiT4_lPKT3_lilS7_lilPT5_i,"axG",@progbits,_ZL23rocblas_gemvt_sn_kernelILb1ELi256ELi4ElPK19rocblas_complex_numIfES1_S1_EviiT4_lPKT3_lilS7_lilPT5_i,comdat
.Lfunc_end329:
	.size	_ZL23rocblas_gemvt_sn_kernelILb1ELi256ELi4ElPK19rocblas_complex_numIfES1_S1_EviiT4_lPKT3_lilS7_lilPT5_i, .Lfunc_end329-_ZL23rocblas_gemvt_sn_kernelILb1ELi256ELi4ElPK19rocblas_complex_numIfES1_S1_EviiT4_lPKT3_lilS7_lilPT5_i
                                        ; -- End function
	.section	.AMDGPU.csdata,"",@progbits
; Kernel info:
; codeLenInByte = 5392
; NumSgprs: 55
; NumVgprs: 78
; NumAgprs: 0
; TotalNumVgprs: 78
; ScratchSize: 48
; MemoryBound: 0
; FloatMode: 240
; IeeeMode: 1
; LDSByteSize: 512 bytes/workgroup (compile time only)
; SGPRBlocks: 6
; VGPRBlocks: 9
; NumSGPRsForWavesPerEU: 55
; NumVGPRsForWavesPerEU: 78
; AccumOffset: 80
; Occupancy: 6
; WaveLimiterHint : 0
; COMPUTE_PGM_RSRC2:SCRATCH_EN: 1
; COMPUTE_PGM_RSRC2:USER_SGPR: 2
; COMPUTE_PGM_RSRC2:TRAP_HANDLER: 0
; COMPUTE_PGM_RSRC2:TGID_X_EN: 1
; COMPUTE_PGM_RSRC2:TGID_Y_EN: 0
; COMPUTE_PGM_RSRC2:TGID_Z_EN: 1
; COMPUTE_PGM_RSRC2:TIDIG_COMP_CNT: 0
; COMPUTE_PGM_RSRC3_GFX90A:ACCUM_OFFSET: 19
; COMPUTE_PGM_RSRC3_GFX90A:TG_SPLIT: 0
	.section	.text._ZL20rocblas_gemvt_kernelILb1ELi256EPK19rocblas_complex_numIfES3_KPS1_EviiT2_lPKT1_lilS9_lilS6_lPT3_lili,"axG",@progbits,_ZL20rocblas_gemvt_kernelILb1ELi256EPK19rocblas_complex_numIfES3_KPS1_EviiT2_lPKT1_lilS9_lilS6_lPT3_lili,comdat
	.globl	_ZL20rocblas_gemvt_kernelILb1ELi256EPK19rocblas_complex_numIfES3_KPS1_EviiT2_lPKT1_lilS9_lilS6_lPT3_lili ; -- Begin function _ZL20rocblas_gemvt_kernelILb1ELi256EPK19rocblas_complex_numIfES3_KPS1_EviiT2_lPKT1_lilS9_lilS6_lPT3_lili
	.p2align	8
	.type	_ZL20rocblas_gemvt_kernelILb1ELi256EPK19rocblas_complex_numIfES3_KPS1_EviiT2_lPKT1_lilS9_lilS6_lPT3_lili,@function
_ZL20rocblas_gemvt_kernelILb1ELi256EPK19rocblas_complex_numIfES3_KPS1_EviiT2_lPKT1_lilS9_lilS6_lPT3_lili: ; @_ZL20rocblas_gemvt_kernelILb1ELi256EPK19rocblas_complex_numIfES3_KPS1_EviiT2_lPKT1_lilS9_lilS6_lPT3_lili
; %bb.0:
	s_load_dwordx8 s[12:19], s[0:1], 0x8
	s_load_dwordx8 s[4:11], s[0:1], 0x58
	s_mov_b32 s22, s3
	s_waitcnt lgkmcnt(0)
	s_mul_i32 s3, s3, s15
	s_mul_hi_u32 s15, s22, s14
	s_add_i32 s15, s15, s3
	s_mul_i32 s14, s22, s14
	s_lshl_b64 s[14:15], s[14:15], 3
	s_add_u32 s12, s12, s14
	s_mul_i32 s3, s22, s7
	s_mul_hi_u32 s7, s22, s6
	s_addc_u32 s13, s13, s15
	s_add_i32 s7, s7, s3
	s_mul_i32 s6, s22, s6
	s_lshl_b64 s[6:7], s[6:7], 3
	s_add_u32 s4, s4, s6
	s_load_dwordx2 s[12:13], s[12:13], 0x0
	s_addc_u32 s5, s5, s7
	s_load_dwordx2 s[6:7], s[4:5], 0x0
	s_waitcnt lgkmcnt(0)
	v_cmp_eq_f32_e64 s[4:5], s12, 0
	v_cmp_eq_f32_e64 s[14:15], s13, 0
	s_and_b64 s[4:5], s[4:5], s[14:15]
	v_cmp_eq_f32_e64 s[14:15], s6, 1.0
	v_cmp_eq_f32_e64 s[20:21], s7, 0
	s_and_b64 s[14:15], s[14:15], s[20:21]
	s_and_b64 s[4:5], s[4:5], s[14:15]
	s_and_b64 vcc, exec, s[4:5]
	s_cbranch_vccnz .LBB330_39
; %bb.1:
	s_or_b32 s3, s12, s13
	s_bitset0_b32 s3, 31
	s_cmp_lg_u32 s3, 0
	s_cselect_b64 s[24:25], -1, 0
	s_cmp_eq_u32 s3, 0
	s_cselect_b64 s[4:5], -1, 0
	s_mov_b32 s23, 0
	s_mov_b64 s[14:15], 0
	s_and_b64 vcc, exec, s[4:5]
	s_mov_b64 s[20:21], 0
	s_cbranch_vccnz .LBB330_3
; %bb.2:
	s_lshl_b64 s[20:21], s[22:23], 3
	s_add_u32 s16, s16, s20
	s_addc_u32 s17, s17, s21
	s_load_dwordx2 s[16:17], s[16:17], 0x0
	s_lshl_b64 s[18:19], s[18:19], 3
	s_waitcnt lgkmcnt(0)
	s_add_u32 s20, s16, s18
	s_addc_u32 s21, s17, s19
.LBB330_3:
	s_andn2_b64 vcc, exec, s[24:25]
	s_cbranch_vccnz .LBB330_5
; %bb.4:
	s_load_dwordx4 s[16:19], s[0:1], 0x38
	s_lshl_b64 s[14:15], s[22:23], 3
	s_waitcnt lgkmcnt(0)
	s_add_u32 s14, s16, s14
	s_addc_u32 s15, s17, s15
	s_load_dwordx2 s[14:15], s[14:15], 0x0
	s_lshl_b64 s[16:17], s[18:19], 3
	s_waitcnt lgkmcnt(0)
	s_add_u32 s14, s14, s16
	s_addc_u32 s15, s15, s17
.LBB330_5:
	s_lshl_b64 s[16:17], s[22:23], 3
	s_add_u32 s8, s8, s16
	s_addc_u32 s9, s9, s17
	s_load_dwordx2 s[16:17], s[8:9], 0x0
	s_load_dword s19, s[0:1], 0x78
	s_lshl_b64 s[10:11], s[10:11], 3
	s_mov_b64 s[8:9], -1
	s_waitcnt lgkmcnt(0)
	s_add_u32 s3, s16, s10
	s_addc_u32 s18, s17, s11
	s_andn2_b64 vcc, exec, s[4:5]
	v_cmp_eq_u32_e64 s[4:5], 0, v0
	s_cbranch_vccnz .LBB330_11
; %bb.6:
	s_and_saveexec_b64 s[8:9], s[4:5]
	s_cbranch_execz .LBB330_10
; %bb.7:
	v_cmp_neq_f32_e64 s[10:11], s6, 0
	v_cmp_neq_f32_e64 s[16:17], s7, 0
	s_or_b64 s[10:11], s[10:11], s[16:17]
	s_mul_hi_i32 s5, s19, s2
	s_mul_i32 s4, s19, s2
	v_mov_b32_e32 v1, 0
	s_andn2_b64 vcc, exec, s[10:11]
	v_mov_b32_e32 v2, 0
	v_mov_b32_e32 v3, 0
	s_cbranch_vccnz .LBB330_9
; %bb.8:
	s_lshl_b64 s[10:11], s[4:5], 3
	s_add_u32 s10, s3, s10
	s_addc_u32 s11, s18, s11
	s_load_dwordx2 s[10:11], s[10:11], 0x0
	s_waitcnt lgkmcnt(0)
	v_mov_b64_e32 v[4:5], s[10:11]
	v_pk_mul_f32 v[6:7], s[6:7], v[4:5] op_sel:[0,1]
	s_nop 0
	v_pk_fma_f32 v[2:3], s[6:7], v[4:5], v[6:7] op_sel:[0,0,1] op_sel_hi:[1,1,0] neg_lo:[0,0,1] neg_hi:[0,0,1]
	v_pk_fma_f32 v[4:5], s[6:7], v[4:5], v[6:7] op_sel:[0,0,1] op_sel_hi:[1,0,0]
	s_nop 0
	v_mov_b32_e32 v3, v5
.LBB330_9:
	s_lshl_b64 s[4:5], s[4:5], 3
	s_add_u32 s4, s3, s4
	s_addc_u32 s5, s18, s5
	global_store_dwordx2 v1, v[2:3], s[4:5]
.LBB330_10:
	s_or_b64 exec, exec, s[8:9]
	s_mov_b64 s[8:9], 0
.LBB330_11:
	s_andn2_b64 vcc, exec, s[8:9]
	s_cbranch_vccnz .LBB330_39
; %bb.12:
	s_load_dword s9, s[0:1], 0x0
	s_load_dword s5, s[0:1], 0x28
	;; [unrolled: 1-line block ×3, first 2 shown]
	s_mov_b32 s0, 0
	v_mov_b32_e32 v4, 0
	s_waitcnt lgkmcnt(0)
	v_cmp_gt_i32_e32 vcc, s9, v0
	s_mul_hi_i32 s11, s5, s2
	s_mul_i32 s10, s5, s2
	s_lshl_b64 s[10:11], s[10:11], 3
	s_add_u32 s10, s10, s20
	s_addc_u32 s11, s11, s21
	s_ashr_i32 s1, s9, 31
	s_lshr_b32 s1, s1, 24
	v_cndmask_b32_e32 v1, 0, v0, vcc
	s_add_i32 s1, s9, s1
	v_lshlrev_b32_e32 v2, 3, v1
	v_mov_b32_e32 v3, v4
	s_and_b32 s8, s1, 0xffffff00
	s_mov_b32 s1, s0
	v_lshl_add_u64 v[2:3], s[10:11], 0, v[2:3]
	s_cmpk_lt_i32 s9, 0x100
	v_mov_b64_e32 v[6:7], s[0:1]
	s_cbranch_scc1 .LBB330_16
; %bb.13:
	s_ashr_i32 s5, s4, 31
	v_mad_i64_i32 v[6:7], s[10:11], s4, v0, 0
	v_lshl_add_u64 v[6:7], v[6:7], 3, s[14:15]
	s_lshl_b64 s[10:11], s[4:5], 11
	s_mov_b64 s[16:17], 0x800
	v_mov_b64_e32 v[8:9], v[2:3]
	v_mov_b32_e32 v5, v4
.LBB330_14:                             ; =>This Inner Loop Header: Depth=1
	flat_load_dwordx2 v[10:11], v[8:9]
	flat_load_dwordx2 v[12:13], v[6:7]
	s_addk_i32 s0, 0x100
	v_lshl_add_u64 v[6:7], v[6:7], 0, s[10:11]
	v_lshl_add_u64 v[8:9], v[8:9], 0, s[16:17]
	s_cmp_ge_i32 s0, s8
	s_waitcnt vmcnt(0) lgkmcnt(0)
	v_pk_mul_f32 v[14:15], v[10:11], v[12:13] op_sel:[1,0]
	s_nop 0
	v_pk_fma_f32 v[16:17], v[10:11], v[12:13], v[14:15] op_sel:[0,0,1] op_sel_hi:[1,1,0]
	v_pk_fma_f32 v[10:11], v[10:11], v[12:13], v[14:15] op_sel:[0,0,1] op_sel_hi:[0,1,0] neg_lo:[0,0,1] neg_hi:[0,0,1]
	v_mov_b32_e32 v17, v11
	v_pk_add_f32 v[4:5], v[4:5], v[16:17]
	s_cbranch_scc0 .LBB330_14
; %bb.15:
	v_mov_b64_e32 v[6:7], v[4:5]
.LBB330_16:
	v_add_u32_e32 v1, s8, v0
	v_cmp_gt_i32_e32 vcc, s9, v1
	s_and_saveexec_b64 s[0:1], vcc
	s_cbranch_execz .LBB330_18
; %bb.17:
	s_ashr_i32 s9, s8, 31
	v_mad_i64_i32 v[4:5], s[4:5], s4, v1, 0
	v_lshl_add_u64 v[2:3], s[8:9], 3, v[2:3]
	v_lshl_add_u64 v[4:5], v[4:5], 3, s[14:15]
	flat_load_dwordx2 v[2:3], v[2:3]
	s_nop 0
	flat_load_dwordx2 v[4:5], v[4:5]
	s_waitcnt vmcnt(0) lgkmcnt(0)
	v_pk_mul_f32 v[8:9], v[2:3], v[4:5] op_sel:[1,0]
	s_nop 0
	v_pk_fma_f32 v[10:11], v[2:3], v[4:5], v[8:9] op_sel:[0,0,1] op_sel_hi:[1,1,0]
	v_pk_fma_f32 v[2:3], v[2:3], v[4:5], v[8:9] op_sel:[0,0,1] op_sel_hi:[0,1,0] neg_lo:[0,0,1] neg_hi:[0,0,1]
	v_mov_b32_e32 v11, v3
	v_pk_add_f32 v[6:7], v[6:7], v[10:11]
.LBB330_18:
	s_or_b64 exec, exec, s[0:1]
	s_movk_i32 s0, 0x80
	v_lshlrev_b32_e32 v1, 3, v0
	v_cmp_gt_u32_e32 vcc, s0, v0
	ds_write_b64 v1, v[6:7]
	s_waitcnt lgkmcnt(0)
	s_barrier
	s_and_saveexec_b64 s[0:1], vcc
	s_cbranch_execz .LBB330_20
; %bb.19:
	ds_read2st64_b64 v[2:5], v1 offset1:2
	s_waitcnt lgkmcnt(0)
	v_pk_add_f32 v[2:3], v[4:5], v[2:3]
	ds_write_b64 v1, v[2:3]
.LBB330_20:
	s_or_b64 exec, exec, s[0:1]
	v_cmp_gt_u32_e32 vcc, 64, v0
	s_waitcnt lgkmcnt(0)
	s_barrier
	s_and_saveexec_b64 s[0:1], vcc
	s_cbranch_execz .LBB330_22
; %bb.21:
	ds_read2st64_b64 v[2:5], v1 offset1:1
	s_waitcnt lgkmcnt(0)
	v_pk_add_f32 v[2:3], v[4:5], v[2:3]
	ds_write_b64 v1, v[2:3]
.LBB330_22:
	s_or_b64 exec, exec, s[0:1]
	v_cmp_gt_u32_e32 vcc, 32, v0
	s_waitcnt lgkmcnt(0)
	s_barrier
	s_and_saveexec_b64 s[0:1], vcc
	s_cbranch_execz .LBB330_24
; %bb.23:
	ds_read2_b64 v[2:5], v1 offset1:32
	s_waitcnt lgkmcnt(0)
	v_pk_add_f32 v[2:3], v[4:5], v[2:3]
	ds_write_b64 v1, v[2:3]
.LBB330_24:
	s_or_b64 exec, exec, s[0:1]
	v_cmp_gt_u32_e32 vcc, 16, v0
	s_waitcnt lgkmcnt(0)
	s_barrier
	s_and_saveexec_b64 s[0:1], vcc
	s_cbranch_execz .LBB330_26
; %bb.25:
	ds_read2_b64 v[2:5], v1 offset1:16
	s_waitcnt lgkmcnt(0)
	v_pk_add_f32 v[2:3], v[4:5], v[2:3]
	ds_write_b64 v1, v[2:3]
.LBB330_26:
	;; [unrolled: 12-line block ×5, first 2 shown]
	s_or_b64 exec, exec, s[0:1]
	v_cmp_eq_u32_e32 vcc, 0, v0
	s_waitcnt lgkmcnt(0)
	s_barrier
	s_and_saveexec_b64 s[0:1], vcc
	s_cbranch_execz .LBB330_34
; %bb.33:
	v_mov_b32_e32 v4, 0
	ds_read_b128 v[0:3], v4
	s_waitcnt lgkmcnt(0)
	v_pk_add_f32 v[0:1], v[2:3], v[0:1]
	ds_write_b64 v4, v[0:1]
.LBB330_34:
	s_or_b64 exec, exec, s[0:1]
	s_waitcnt lgkmcnt(0)
	s_barrier
	s_and_saveexec_b64 s[0:1], vcc
	s_cbranch_execz .LBB330_39
; %bb.35:
	v_mov_b32_e32 v4, 0
	ds_read_b64 v[2:3], v4
	v_cmp_neq_f32_e64 s[4:5], s6, 0
	v_cmp_neq_f32_e64 s[8:9], s7, 0
	s_mov_b32 s0, s13
	s_or_b64 s[4:5], s[4:5], s[8:9]
	s_waitcnt lgkmcnt(0)
	v_pk_mul_f32 v[0:1], v[2:3], s[12:13]
	v_mov_b32_e32 v6, v3
	v_mov_b32_e32 v0, v1
	v_pk_mul_f32 v[6:7], v[6:7], s[12:13]
	v_pk_fma_f32 v[0:1], v[2:3], s[12:13], v[0:1] neg_lo:[0,0,1] neg_hi:[0,0,1]
	v_pk_fma_f32 v[2:3], v[2:3], s[0:1], v[6:7]
	s_mul_hi_i32 s1, s19, s2
	s_andn2_b64 vcc, exec, s[4:5]
	s_mul_i32 s0, s19, s2
	s_cbranch_vccnz .LBB330_37
; %bb.36:
	s_lshl_b64 s[4:5], s[0:1], 3
	s_add_u32 s4, s3, s4
	s_addc_u32 s5, s18, s5
	global_load_dwordx2 v[6:7], v4, s[4:5]
	s_waitcnt vmcnt(0)
	v_pk_mul_f32 v[8:9], s[6:7], v[6:7]
	v_mul_f32_e32 v1, s7, v6
	v_sub_f32_e32 v3, v8, v9
	v_fmac_f32_e32 v1, s6, v7
	v_add_f32_e32 v0, v0, v3
	v_add_f32_e32 v1, v2, v1
	s_branch .LBB330_38
.LBB330_37:
	v_mov_b32_e32 v1, v2
.LBB330_38:
	s_lshl_b64 s[0:1], s[0:1], 3
	s_add_u32 s0, s3, s0
	s_addc_u32 s1, s18, s1
	global_store_dwordx2 v4, v[0:1], s[0:1]
.LBB330_39:
	s_endpgm
	.section	.rodata,"a",@progbits
	.p2align	6, 0x0
	.amdhsa_kernel _ZL20rocblas_gemvt_kernelILb1ELi256EPK19rocblas_complex_numIfES3_KPS1_EviiT2_lPKT1_lilS9_lilS6_lPT3_lili
		.amdhsa_group_segment_fixed_size 2048
		.amdhsa_private_segment_fixed_size 0
		.amdhsa_kernarg_size 140
		.amdhsa_user_sgpr_count 2
		.amdhsa_user_sgpr_dispatch_ptr 0
		.amdhsa_user_sgpr_queue_ptr 0
		.amdhsa_user_sgpr_kernarg_segment_ptr 1
		.amdhsa_user_sgpr_dispatch_id 0
		.amdhsa_user_sgpr_kernarg_preload_length 0
		.amdhsa_user_sgpr_kernarg_preload_offset 0
		.amdhsa_user_sgpr_private_segment_size 0
		.amdhsa_uses_dynamic_stack 0
		.amdhsa_enable_private_segment 0
		.amdhsa_system_sgpr_workgroup_id_x 1
		.amdhsa_system_sgpr_workgroup_id_y 0
		.amdhsa_system_sgpr_workgroup_id_z 1
		.amdhsa_system_sgpr_workgroup_info 0
		.amdhsa_system_vgpr_workitem_id 0
		.amdhsa_next_free_vgpr 18
		.amdhsa_next_free_sgpr 26
		.amdhsa_accum_offset 20
		.amdhsa_reserve_vcc 1
		.amdhsa_float_round_mode_32 0
		.amdhsa_float_round_mode_16_64 0
		.amdhsa_float_denorm_mode_32 3
		.amdhsa_float_denorm_mode_16_64 3
		.amdhsa_dx10_clamp 1
		.amdhsa_ieee_mode 1
		.amdhsa_fp16_overflow 0
		.amdhsa_tg_split 0
		.amdhsa_exception_fp_ieee_invalid_op 0
		.amdhsa_exception_fp_denorm_src 0
		.amdhsa_exception_fp_ieee_div_zero 0
		.amdhsa_exception_fp_ieee_overflow 0
		.amdhsa_exception_fp_ieee_underflow 0
		.amdhsa_exception_fp_ieee_inexact 0
		.amdhsa_exception_int_div_zero 0
	.end_amdhsa_kernel
	.section	.text._ZL20rocblas_gemvt_kernelILb1ELi256EPK19rocblas_complex_numIfES3_KPS1_EviiT2_lPKT1_lilS9_lilS6_lPT3_lili,"axG",@progbits,_ZL20rocblas_gemvt_kernelILb1ELi256EPK19rocblas_complex_numIfES3_KPS1_EviiT2_lPKT1_lilS9_lilS6_lPT3_lili,comdat
.Lfunc_end330:
	.size	_ZL20rocblas_gemvt_kernelILb1ELi256EPK19rocblas_complex_numIfES3_KPS1_EviiT2_lPKT1_lilS9_lilS6_lPT3_lili, .Lfunc_end330-_ZL20rocblas_gemvt_kernelILb1ELi256EPK19rocblas_complex_numIfES3_KPS1_EviiT2_lPKT1_lilS9_lilS6_lPT3_lili
                                        ; -- End function
	.section	.AMDGPU.csdata,"",@progbits
; Kernel info:
; codeLenInByte = 1500
; NumSgprs: 32
; NumVgprs: 18
; NumAgprs: 0
; TotalNumVgprs: 18
; ScratchSize: 0
; MemoryBound: 0
; FloatMode: 240
; IeeeMode: 1
; LDSByteSize: 2048 bytes/workgroup (compile time only)
; SGPRBlocks: 3
; VGPRBlocks: 2
; NumSGPRsForWavesPerEU: 32
; NumVGPRsForWavesPerEU: 18
; AccumOffset: 20
; Occupancy: 8
; WaveLimiterHint : 1
; COMPUTE_PGM_RSRC2:SCRATCH_EN: 0
; COMPUTE_PGM_RSRC2:USER_SGPR: 2
; COMPUTE_PGM_RSRC2:TRAP_HANDLER: 0
; COMPUTE_PGM_RSRC2:TGID_X_EN: 1
; COMPUTE_PGM_RSRC2:TGID_Y_EN: 0
; COMPUTE_PGM_RSRC2:TGID_Z_EN: 1
; COMPUTE_PGM_RSRC2:TIDIG_COMP_CNT: 0
; COMPUTE_PGM_RSRC3_GFX90A:ACCUM_OFFSET: 4
; COMPUTE_PGM_RSRC3_GFX90A:TG_SPLIT: 0
	.section	.text._ZL20rocblas_gemvt_kernelILb1ELi256EPK19rocblas_complex_numIfES1_KPS1_EviiT2_lPKT1_lilS9_lilS6_lPT3_lili,"axG",@progbits,_ZL20rocblas_gemvt_kernelILb1ELi256EPK19rocblas_complex_numIfES1_KPS1_EviiT2_lPKT1_lilS9_lilS6_lPT3_lili,comdat
	.globl	_ZL20rocblas_gemvt_kernelILb1ELi256EPK19rocblas_complex_numIfES1_KPS1_EviiT2_lPKT1_lilS9_lilS6_lPT3_lili ; -- Begin function _ZL20rocblas_gemvt_kernelILb1ELi256EPK19rocblas_complex_numIfES1_KPS1_EviiT2_lPKT1_lilS9_lilS6_lPT3_lili
	.p2align	8
	.type	_ZL20rocblas_gemvt_kernelILb1ELi256EPK19rocblas_complex_numIfES1_KPS1_EviiT2_lPKT1_lilS9_lilS6_lPT3_lili,@function
_ZL20rocblas_gemvt_kernelILb1ELi256EPK19rocblas_complex_numIfES1_KPS1_EviiT2_lPKT1_lilS9_lilS6_lPT3_lili: ; @_ZL20rocblas_gemvt_kernelILb1ELi256EPK19rocblas_complex_numIfES1_KPS1_EviiT2_lPKT1_lilS9_lilS6_lPT3_lili
; %bb.0:
	s_load_dwordx2 s[8:9], s[0:1], 0x8
	s_load_dwordx2 s[6:7], s[0:1], 0x58
	s_waitcnt lgkmcnt(0)
	v_cmp_eq_f32_e64 s[10:11], s8, 0
	v_cmp_eq_f32_e64 s[12:13], s9, 0
	s_and_b64 s[10:11], s[10:11], s[12:13]
	v_cmp_eq_f32_e64 s[12:13], s6, 1.0
	v_cmp_eq_f32_e64 s[14:15], s7, 0
	s_and_b64 s[12:13], s[12:13], s[14:15]
	s_and_b64 s[10:11], s[10:11], s[12:13]
	s_and_b64 vcc, exec, s[10:11]
	s_cbranch_vccnz .LBB331_41
; %bb.1:
	s_mov_b32 s4, s3
	s_or_b32 s3, s8, s9
	s_bitset0_b32 s3, 31
	s_cmp_lg_u32 s3, 0
	s_cselect_b64 s[10:11], -1, 0
	s_cmp_eq_u32 s3, 0
	s_cselect_b64 s[14:15], -1, 0
	s_and_b64 vcc, exec, s[10:11]
	s_cbranch_vccnz .LBB331_3
; %bb.2:
	s_mov_b32 s5, 0
	s_mov_b64 s[12:13], 0
	s_cbranch_execz .LBB331_4
	s_branch .LBB331_5
.LBB331_3:
                                        ; implicit-def: $sgpr12_sgpr13
.LBB331_4:
	s_load_dwordx4 s[16:19], s[0:1], 0x18
	s_mov_b32 s5, 0
	s_lshl_b64 s[12:13], s[4:5], 3
	s_waitcnt lgkmcnt(0)
	s_add_u32 s12, s16, s12
	s_addc_u32 s13, s17, s13
	s_load_dwordx2 s[12:13], s[12:13], 0x0
	s_lshl_b64 s[16:17], s[18:19], 3
	s_waitcnt lgkmcnt(0)
	s_add_u32 s12, s12, s16
	s_addc_u32 s13, s13, s17
.LBB331_5:
	s_andn2_b64 vcc, exec, s[10:11]
	s_mov_b64 s[10:11], 0
	s_cbranch_vccnz .LBB331_7
; %bb.6:
	s_load_dwordx4 s[16:19], s[0:1], 0x38
	s_lshl_b64 s[10:11], s[4:5], 3
	s_waitcnt lgkmcnt(0)
	s_add_u32 s10, s16, s10
	s_addc_u32 s11, s17, s11
	s_load_dwordx2 s[10:11], s[10:11], 0x0
	s_lshl_b64 s[16:17], s[18:19], 3
	s_waitcnt lgkmcnt(0)
	s_add_u32 s10, s10, s16
	s_addc_u32 s11, s11, s17
.LBB331_7:
	s_load_dwordx4 s[20:23], s[0:1], 0x68
	s_load_dword s19, s[0:1], 0x78
	s_lshl_b64 s[4:5], s[4:5], 3
	s_mov_b64 s[16:17], -1
	s_waitcnt lgkmcnt(0)
	s_add_u32 s4, s20, s4
	s_addc_u32 s5, s21, s5
	s_load_dwordx2 s[4:5], s[4:5], 0x0
	s_lshl_b64 s[20:21], s[22:23], 3
	s_waitcnt lgkmcnt(0)
	s_add_u32 s3, s4, s20
	s_addc_u32 s18, s5, s21
	s_andn2_b64 vcc, exec, s[14:15]
	v_cmp_eq_u32_e64 s[4:5], 0, v0
	s_cbranch_vccnz .LBB331_13
; %bb.8:
	s_and_saveexec_b64 s[14:15], s[4:5]
	s_cbranch_execz .LBB331_12
; %bb.9:
	v_cmp_neq_f32_e64 s[16:17], s6, 0
	v_cmp_neq_f32_e64 s[20:21], s7, 0
	s_or_b64 s[16:17], s[16:17], s[20:21]
	s_mul_hi_i32 s5, s19, s2
	s_mul_i32 s4, s19, s2
	v_mov_b32_e32 v1, 0
	s_andn2_b64 vcc, exec, s[16:17]
	v_mov_b32_e32 v2, 0
	v_mov_b32_e32 v3, 0
	s_cbranch_vccnz .LBB331_11
; %bb.10:
	s_lshl_b64 s[16:17], s[4:5], 3
	s_add_u32 s16, s3, s16
	s_addc_u32 s17, s18, s17
	s_load_dwordx2 s[16:17], s[16:17], 0x0
	s_waitcnt lgkmcnt(0)
	v_mov_b64_e32 v[4:5], s[16:17]
	v_pk_mul_f32 v[6:7], s[6:7], v[4:5] op_sel:[0,1]
	s_nop 0
	v_pk_fma_f32 v[2:3], s[6:7], v[4:5], v[6:7] op_sel:[0,0,1] op_sel_hi:[1,1,0] neg_lo:[0,0,1] neg_hi:[0,0,1]
	v_pk_fma_f32 v[4:5], s[6:7], v[4:5], v[6:7] op_sel:[0,0,1] op_sel_hi:[1,0,0]
	s_nop 0
	v_mov_b32_e32 v3, v5
.LBB331_11:
	s_lshl_b64 s[4:5], s[4:5], 3
	s_add_u32 s4, s3, s4
	s_addc_u32 s5, s18, s5
	global_store_dwordx2 v1, v[2:3], s[4:5]
.LBB331_12:
	s_or_b64 exec, exec, s[14:15]
	s_mov_b64 s[16:17], 0
.LBB331_13:
	s_andn2_b64 vcc, exec, s[16:17]
	s_cbranch_vccnz .LBB331_41
; %bb.14:
	s_load_dword s20, s[0:1], 0x0
	s_load_dword s5, s[0:1], 0x28
	;; [unrolled: 1-line block ×3, first 2 shown]
	v_mov_b32_e32 v4, 0
	s_mov_b32 s0, 0
	s_waitcnt lgkmcnt(0)
	v_cmp_gt_i32_e32 vcc, s20, v0
	s_mul_hi_i32 s15, s5, s2
	s_mul_i32 s14, s5, s2
	s_lshl_b64 s[14:15], s[14:15], 3
	s_add_u32 s12, s14, s12
	s_addc_u32 s13, s15, s13
	s_ashr_i32 s1, s20, 31
	v_cndmask_b32_e32 v1, 0, v0, vcc
	s_lshr_b32 s1, s1, 24
	v_lshlrev_b32_e32 v2, 3, v1
	v_mov_b32_e32 v3, v4
	s_add_i32 s1, s20, s1
	v_lshl_add_u64 v[2:3], s[12:13], 0, v[2:3]
	s_and_b32 s12, s1, 0xffffff00
	s_mov_b32 s1, s0
	s_cmpk_lt_i32 s20, 0x100
	v_mov_b64_e32 v[6:7], s[0:1]
	s_cbranch_scc1 .LBB331_18
; %bb.15:
	s_ashr_i32 s5, s4, 31
	v_mad_i64_i32 v[6:7], s[14:15], s4, v0, 0
	v_lshl_add_u64 v[6:7], v[6:7], 3, s[10:11]
	s_lshl_b64 s[14:15], s[4:5], 11
	s_mov_b64 s[16:17], 0x800
	v_mov_b64_e32 v[8:9], v[2:3]
	v_mov_b32_e32 v5, v4
.LBB331_16:                             ; =>This Inner Loop Header: Depth=1
	flat_load_dwordx2 v[10:11], v[8:9]
	flat_load_dwordx2 v[12:13], v[6:7]
	s_addk_i32 s0, 0x100
	v_lshl_add_u64 v[6:7], v[6:7], 0, s[14:15]
	v_lshl_add_u64 v[8:9], v[8:9], 0, s[16:17]
	s_cmp_ge_i32 s0, s12
	s_waitcnt vmcnt(0) lgkmcnt(0)
	v_pk_mul_f32 v[14:15], v[10:11], v[12:13] op_sel:[1,0]
	s_nop 0
	v_pk_fma_f32 v[16:17], v[10:11], v[12:13], v[14:15] op_sel:[0,0,1] op_sel_hi:[1,1,0]
	v_pk_fma_f32 v[10:11], v[10:11], v[12:13], v[14:15] op_sel:[0,0,1] op_sel_hi:[0,1,0] neg_lo:[0,0,1] neg_hi:[0,0,1]
	v_mov_b32_e32 v17, v11
	v_pk_add_f32 v[4:5], v[4:5], v[16:17]
	s_cbranch_scc0 .LBB331_16
; %bb.17:
	v_mov_b64_e32 v[6:7], v[4:5]
.LBB331_18:
	v_add_u32_e32 v1, s12, v0
	v_cmp_gt_i32_e32 vcc, s20, v1
	s_and_saveexec_b64 s[0:1], vcc
	s_cbranch_execz .LBB331_20
; %bb.19:
	s_ashr_i32 s13, s12, 31
	v_mad_i64_i32 v[4:5], s[4:5], s4, v1, 0
	v_lshl_add_u64 v[2:3], s[12:13], 3, v[2:3]
	v_lshl_add_u64 v[4:5], v[4:5], 3, s[10:11]
	flat_load_dwordx2 v[2:3], v[2:3]
	s_nop 0
	flat_load_dwordx2 v[4:5], v[4:5]
	s_waitcnt vmcnt(0) lgkmcnt(0)
	v_pk_mul_f32 v[8:9], v[2:3], v[4:5] op_sel:[1,0]
	s_nop 0
	v_pk_fma_f32 v[10:11], v[2:3], v[4:5], v[8:9] op_sel:[0,0,1] op_sel_hi:[1,1,0]
	v_pk_fma_f32 v[2:3], v[2:3], v[4:5], v[8:9] op_sel:[0,0,1] op_sel_hi:[0,1,0] neg_lo:[0,0,1] neg_hi:[0,0,1]
	v_mov_b32_e32 v11, v3
	v_pk_add_f32 v[6:7], v[6:7], v[10:11]
.LBB331_20:
	s_or_b64 exec, exec, s[0:1]
	s_movk_i32 s0, 0x80
	v_lshlrev_b32_e32 v1, 3, v0
	v_cmp_gt_u32_e32 vcc, s0, v0
	ds_write_b64 v1, v[6:7]
	s_waitcnt lgkmcnt(0)
	s_barrier
	s_and_saveexec_b64 s[0:1], vcc
	s_cbranch_execz .LBB331_22
; %bb.21:
	ds_read2st64_b64 v[2:5], v1 offset1:2
	s_waitcnt lgkmcnt(0)
	v_pk_add_f32 v[2:3], v[4:5], v[2:3]
	ds_write_b64 v1, v[2:3]
.LBB331_22:
	s_or_b64 exec, exec, s[0:1]
	v_cmp_gt_u32_e32 vcc, 64, v0
	s_waitcnt lgkmcnt(0)
	s_barrier
	s_and_saveexec_b64 s[0:1], vcc
	s_cbranch_execz .LBB331_24
; %bb.23:
	ds_read2st64_b64 v[2:5], v1 offset1:1
	s_waitcnt lgkmcnt(0)
	v_pk_add_f32 v[2:3], v[4:5], v[2:3]
	ds_write_b64 v1, v[2:3]
.LBB331_24:
	s_or_b64 exec, exec, s[0:1]
	v_cmp_gt_u32_e32 vcc, 32, v0
	s_waitcnt lgkmcnt(0)
	s_barrier
	s_and_saveexec_b64 s[0:1], vcc
	s_cbranch_execz .LBB331_26
; %bb.25:
	ds_read2_b64 v[2:5], v1 offset1:32
	s_waitcnt lgkmcnt(0)
	v_pk_add_f32 v[2:3], v[4:5], v[2:3]
	ds_write_b64 v1, v[2:3]
.LBB331_26:
	s_or_b64 exec, exec, s[0:1]
	v_cmp_gt_u32_e32 vcc, 16, v0
	s_waitcnt lgkmcnt(0)
	s_barrier
	s_and_saveexec_b64 s[0:1], vcc
	s_cbranch_execz .LBB331_28
; %bb.27:
	ds_read2_b64 v[2:5], v1 offset1:16
	s_waitcnt lgkmcnt(0)
	v_pk_add_f32 v[2:3], v[4:5], v[2:3]
	ds_write_b64 v1, v[2:3]
.LBB331_28:
	;; [unrolled: 12-line block ×5, first 2 shown]
	s_or_b64 exec, exec, s[0:1]
	v_cmp_eq_u32_e32 vcc, 0, v0
	s_waitcnt lgkmcnt(0)
	s_barrier
	s_and_saveexec_b64 s[0:1], vcc
	s_cbranch_execz .LBB331_36
; %bb.35:
	v_mov_b32_e32 v4, 0
	ds_read_b128 v[0:3], v4
	s_waitcnt lgkmcnt(0)
	v_pk_add_f32 v[0:1], v[2:3], v[0:1]
	ds_write_b64 v4, v[0:1]
.LBB331_36:
	s_or_b64 exec, exec, s[0:1]
	s_waitcnt lgkmcnt(0)
	s_barrier
	s_and_saveexec_b64 s[0:1], vcc
	s_cbranch_execz .LBB331_41
; %bb.37:
	v_mov_b32_e32 v4, 0
	ds_read_b64 v[2:3], v4
	v_cmp_neq_f32_e64 s[4:5], s6, 0
	v_cmp_neq_f32_e64 s[10:11], s7, 0
	s_mov_b32 s0, s9
	s_or_b64 s[4:5], s[4:5], s[10:11]
	s_waitcnt lgkmcnt(0)
	v_pk_mul_f32 v[0:1], v[2:3], s[8:9]
	v_mov_b32_e32 v6, v3
	v_mov_b32_e32 v0, v1
	v_pk_mul_f32 v[6:7], v[6:7], s[8:9]
	v_pk_fma_f32 v[0:1], v[2:3], s[8:9], v[0:1] neg_lo:[0,0,1] neg_hi:[0,0,1]
	v_pk_fma_f32 v[2:3], v[2:3], s[0:1], v[6:7]
	s_mul_hi_i32 s1, s19, s2
	s_andn2_b64 vcc, exec, s[4:5]
	s_mul_i32 s0, s19, s2
	s_cbranch_vccnz .LBB331_39
; %bb.38:
	s_lshl_b64 s[4:5], s[0:1], 3
	s_add_u32 s4, s3, s4
	s_addc_u32 s5, s18, s5
	global_load_dwordx2 v[6:7], v4, s[4:5]
	s_waitcnt vmcnt(0)
	v_pk_mul_f32 v[8:9], s[6:7], v[6:7]
	v_mul_f32_e32 v1, s7, v6
	v_sub_f32_e32 v3, v8, v9
	v_fmac_f32_e32 v1, s6, v7
	v_add_f32_e32 v0, v0, v3
	v_add_f32_e32 v1, v2, v1
	s_branch .LBB331_40
.LBB331_39:
	v_mov_b32_e32 v1, v2
.LBB331_40:
	s_lshl_b64 s[0:1], s[0:1], 3
	s_add_u32 s0, s3, s0
	s_addc_u32 s1, s18, s1
	global_store_dwordx2 v4, v[0:1], s[0:1]
.LBB331_41:
	s_endpgm
	.section	.rodata,"a",@progbits
	.p2align	6, 0x0
	.amdhsa_kernel _ZL20rocblas_gemvt_kernelILb1ELi256EPK19rocblas_complex_numIfES1_KPS1_EviiT2_lPKT1_lilS9_lilS6_lPT3_lili
		.amdhsa_group_segment_fixed_size 2048
		.amdhsa_private_segment_fixed_size 0
		.amdhsa_kernarg_size 140
		.amdhsa_user_sgpr_count 2
		.amdhsa_user_sgpr_dispatch_ptr 0
		.amdhsa_user_sgpr_queue_ptr 0
		.amdhsa_user_sgpr_kernarg_segment_ptr 1
		.amdhsa_user_sgpr_dispatch_id 0
		.amdhsa_user_sgpr_kernarg_preload_length 0
		.amdhsa_user_sgpr_kernarg_preload_offset 0
		.amdhsa_user_sgpr_private_segment_size 0
		.amdhsa_uses_dynamic_stack 0
		.amdhsa_enable_private_segment 0
		.amdhsa_system_sgpr_workgroup_id_x 1
		.amdhsa_system_sgpr_workgroup_id_y 0
		.amdhsa_system_sgpr_workgroup_id_z 1
		.amdhsa_system_sgpr_workgroup_info 0
		.amdhsa_system_vgpr_workitem_id 0
		.amdhsa_next_free_vgpr 18
		.amdhsa_next_free_sgpr 24
		.amdhsa_accum_offset 20
		.amdhsa_reserve_vcc 1
		.amdhsa_float_round_mode_32 0
		.amdhsa_float_round_mode_16_64 0
		.amdhsa_float_denorm_mode_32 3
		.amdhsa_float_denorm_mode_16_64 3
		.amdhsa_dx10_clamp 1
		.amdhsa_ieee_mode 1
		.amdhsa_fp16_overflow 0
		.amdhsa_tg_split 0
		.amdhsa_exception_fp_ieee_invalid_op 0
		.amdhsa_exception_fp_denorm_src 0
		.amdhsa_exception_fp_ieee_div_zero 0
		.amdhsa_exception_fp_ieee_overflow 0
		.amdhsa_exception_fp_ieee_underflow 0
		.amdhsa_exception_fp_ieee_inexact 0
		.amdhsa_exception_int_div_zero 0
	.end_amdhsa_kernel
	.section	.text._ZL20rocblas_gemvt_kernelILb1ELi256EPK19rocblas_complex_numIfES1_KPS1_EviiT2_lPKT1_lilS9_lilS6_lPT3_lili,"axG",@progbits,_ZL20rocblas_gemvt_kernelILb1ELi256EPK19rocblas_complex_numIfES1_KPS1_EviiT2_lPKT1_lilS9_lilS6_lPT3_lili,comdat
.Lfunc_end331:
	.size	_ZL20rocblas_gemvt_kernelILb1ELi256EPK19rocblas_complex_numIfES1_KPS1_EviiT2_lPKT1_lilS9_lilS6_lPT3_lili, .Lfunc_end331-_ZL20rocblas_gemvt_kernelILb1ELi256EPK19rocblas_complex_numIfES1_KPS1_EviiT2_lPKT1_lilS9_lilS6_lPT3_lili
                                        ; -- End function
	.section	.AMDGPU.csdata,"",@progbits
; Kernel info:
; codeLenInByte = 1460
; NumSgprs: 30
; NumVgprs: 18
; NumAgprs: 0
; TotalNumVgprs: 18
; ScratchSize: 0
; MemoryBound: 0
; FloatMode: 240
; IeeeMode: 1
; LDSByteSize: 2048 bytes/workgroup (compile time only)
; SGPRBlocks: 3
; VGPRBlocks: 2
; NumSGPRsForWavesPerEU: 30
; NumVGPRsForWavesPerEU: 18
; AccumOffset: 20
; Occupancy: 8
; WaveLimiterHint : 1
; COMPUTE_PGM_RSRC2:SCRATCH_EN: 0
; COMPUTE_PGM_RSRC2:USER_SGPR: 2
; COMPUTE_PGM_RSRC2:TRAP_HANDLER: 0
; COMPUTE_PGM_RSRC2:TGID_X_EN: 1
; COMPUTE_PGM_RSRC2:TGID_Y_EN: 0
; COMPUTE_PGM_RSRC2:TGID_Z_EN: 1
; COMPUTE_PGM_RSRC2:TIDIG_COMP_CNT: 0
; COMPUTE_PGM_RSRC3_GFX90A:ACCUM_OFFSET: 4
; COMPUTE_PGM_RSRC3_GFX90A:TG_SPLIT: 0
	.section	.text._ZL32rocblas_gemvt_warp_reduce_kernelILb1ELi1024EiPK19rocblas_complex_numIfES3_KPS1_EviiT3_lPKT2_lT1_lS9_lSA_lS6_lPT4_lSA_li,"axG",@progbits,_ZL32rocblas_gemvt_warp_reduce_kernelILb1ELi1024EiPK19rocblas_complex_numIfES3_KPS1_EviiT3_lPKT2_lT1_lS9_lSA_lS6_lPT4_lSA_li,comdat
	.globl	_ZL32rocblas_gemvt_warp_reduce_kernelILb1ELi1024EiPK19rocblas_complex_numIfES3_KPS1_EviiT3_lPKT2_lT1_lS9_lSA_lS6_lPT4_lSA_li ; -- Begin function _ZL32rocblas_gemvt_warp_reduce_kernelILb1ELi1024EiPK19rocblas_complex_numIfES3_KPS1_EviiT3_lPKT2_lT1_lS9_lSA_lS6_lPT4_lSA_li
	.p2align	8
	.type	_ZL32rocblas_gemvt_warp_reduce_kernelILb1ELi1024EiPK19rocblas_complex_numIfES3_KPS1_EviiT3_lPKT2_lT1_lS9_lSA_lS6_lPT4_lSA_li,@function
_ZL32rocblas_gemvt_warp_reduce_kernelILb1ELi1024EiPK19rocblas_complex_numIfES3_KPS1_EviiT3_lPKT2_lT1_lS9_lSA_lS6_lPT4_lSA_li: ; @_ZL32rocblas_gemvt_warp_reduce_kernelILb1ELi1024EiPK19rocblas_complex_numIfES3_KPS1_EviiT3_lPKT2_lT1_lS9_lSA_lS6_lPT4_lSA_li
; %bb.0:
	s_load_dwordx8 s[12:19], s[0:1], 0x8
	s_load_dwordx8 s[4:11], s[0:1], 0x58
	s_mov_b32 s22, s3
	s_waitcnt lgkmcnt(0)
	s_mul_i32 s3, s3, s15
	s_mul_hi_u32 s15, s22, s14
	s_add_i32 s15, s15, s3
	s_mul_i32 s14, s22, s14
	s_lshl_b64 s[14:15], s[14:15], 3
	s_add_u32 s12, s12, s14
	s_mul_i32 s3, s22, s7
	s_mul_hi_u32 s7, s22, s6
	s_addc_u32 s13, s13, s15
	s_add_i32 s7, s7, s3
	s_mul_i32 s6, s22, s6
	s_lshl_b64 s[6:7], s[6:7], 3
	s_add_u32 s4, s4, s6
	s_load_dwordx2 s[12:13], s[12:13], 0x0
	s_addc_u32 s5, s5, s7
	s_load_dwordx2 s[6:7], s[4:5], 0x0
	s_waitcnt lgkmcnt(0)
	v_cmp_eq_f32_e64 s[4:5], s12, 0
	v_cmp_eq_f32_e64 s[14:15], s13, 0
	s_and_b64 s[4:5], s[4:5], s[14:15]
	v_cmp_eq_f32_e64 s[14:15], s6, 1.0
	v_cmp_eq_f32_e64 s[20:21], s7, 0
	s_and_b64 s[14:15], s[14:15], s[20:21]
	s_and_b64 s[4:5], s[4:5], s[14:15]
	s_and_b64 vcc, exec, s[4:5]
	s_cbranch_vccnz .LBB332_25
; %bb.1:
	s_or_b32 s3, s12, s13
	s_bitset0_b32 s3, 31
	s_cmp_lg_u32 s3, 0
	s_cselect_b64 s[24:25], -1, 0
	s_cmp_eq_u32 s3, 0
	s_cselect_b64 s[4:5], -1, 0
	s_mov_b32 s23, 0
	s_mov_b64 s[14:15], 0
	s_and_b64 vcc, exec, s[4:5]
	s_mov_b64 s[20:21], 0
	s_cbranch_vccnz .LBB332_3
; %bb.2:
	s_lshl_b64 s[20:21], s[22:23], 3
	s_add_u32 s16, s16, s20
	s_addc_u32 s17, s17, s21
	s_load_dwordx2 s[16:17], s[16:17], 0x0
	s_lshl_b64 s[18:19], s[18:19], 3
	s_waitcnt lgkmcnt(0)
	s_add_u32 s20, s16, s18
	s_addc_u32 s21, s17, s19
.LBB332_3:
	s_andn2_b64 vcc, exec, s[24:25]
	s_cbranch_vccnz .LBB332_5
; %bb.4:
	s_load_dwordx4 s[16:19], s[0:1], 0x38
	s_lshl_b64 s[14:15], s[22:23], 3
	s_waitcnt lgkmcnt(0)
	s_add_u32 s14, s16, s14
	s_addc_u32 s15, s17, s15
	s_load_dwordx2 s[14:15], s[14:15], 0x0
	s_lshl_b64 s[16:17], s[18:19], 3
	s_waitcnt lgkmcnt(0)
	s_add_u32 s14, s14, s16
	s_addc_u32 s15, s15, s17
.LBB332_5:
	s_lshl_b64 s[16:17], s[22:23], 3
	s_add_u32 s8, s8, s16
	s_addc_u32 s9, s9, s17
	s_load_dwordx2 s[18:19], s[8:9], 0x0
	s_load_dword s17, s[0:1], 0x78
	s_lshl_b64 s[10:11], s[10:11], 3
	s_mov_b64 s[8:9], -1
	s_waitcnt lgkmcnt(0)
	s_add_u32 s3, s18, s10
	s_addc_u32 s16, s19, s11
	s_andn2_b64 vcc, exec, s[4:5]
	v_cmp_eq_u32_e64 s[4:5], 0, v0
	s_cbranch_vccnz .LBB332_11
; %bb.6:
	s_and_saveexec_b64 s[8:9], s[4:5]
	s_cbranch_execz .LBB332_10
; %bb.7:
	v_cmp_neq_f32_e64 s[10:11], s6, 0
	v_cmp_neq_f32_e64 s[18:19], s7, 0
	s_mul_i32 s4, s2, s17
	s_or_b64 s[10:11], s[10:11], s[18:19]
	s_ashr_i32 s5, s4, 31
	v_mov_b32_e32 v1, 0
	s_andn2_b64 vcc, exec, s[10:11]
	v_mov_b32_e32 v2, 0
	v_mov_b32_e32 v3, 0
	s_cbranch_vccnz .LBB332_9
; %bb.8:
	s_lshl_b64 s[10:11], s[4:5], 3
	s_add_u32 s10, s3, s10
	s_addc_u32 s11, s16, s11
	s_load_dwordx2 s[10:11], s[10:11], 0x0
	s_waitcnt lgkmcnt(0)
	v_mov_b64_e32 v[4:5], s[10:11]
	v_pk_mul_f32 v[6:7], s[6:7], v[4:5] op_sel:[0,1]
	s_nop 0
	v_pk_fma_f32 v[2:3], s[6:7], v[4:5], v[6:7] op_sel:[0,0,1] op_sel_hi:[1,1,0] neg_lo:[0,0,1] neg_hi:[0,0,1]
	v_pk_fma_f32 v[4:5], s[6:7], v[4:5], v[6:7] op_sel:[0,0,1] op_sel_hi:[1,0,0]
	s_nop 0
	v_mov_b32_e32 v3, v5
.LBB332_9:
	s_lshl_b64 s[4:5], s[4:5], 3
	s_add_u32 s4, s3, s4
	s_addc_u32 s5, s16, s5
	global_store_dwordx2 v1, v[2:3], s[4:5]
.LBB332_10:
	s_or_b64 exec, exec, s[8:9]
	s_mov_b64 s[8:9], 0
.LBB332_11:
	s_andn2_b64 vcc, exec, s[8:9]
	s_cbranch_vccnz .LBB332_25
; %bb.12:
	s_load_dword s19, s[0:1], 0x0
	s_load_dword s5, s[0:1], 0x28
	s_load_dword s18, s[0:1], 0x48
	v_mov_b32_e32 v4, 0
	v_mov_b32_e32 v3, v4
	s_waitcnt lgkmcnt(0)
	v_cmp_gt_i32_e32 vcc, s19, v0
	s_mul_i32 s0, s2, s5
	s_ashr_i32 s1, s0, 31
	s_lshl_b64 s[0:1], s[0:1], 3
	v_cndmask_b32_e32 v1, 0, v0, vcc
	s_add_u32 s0, s0, s20
	v_lshlrev_b32_e32 v2, 3, v1
	s_addc_u32 s1, s1, s21
	v_lshl_add_u64 v[2:3], s[0:1], 0, v[2:3]
	s_ashr_i32 s0, s19, 31
	s_lshr_b32 s0, s0, 22
	s_mov_b32 s4, 0
	s_add_i32 s0, s19, s0
	s_and_b32 s0, s0, 0xfffffc00
	s_mov_b32 s5, s4
	v_cmp_gt_i32_e32 vcc, s0, v0
	v_mov_b64_e32 v[6:7], s[4:5]
	s_and_saveexec_b64 s[4:5], vcc
	s_cbranch_execz .LBB332_16
; %bb.13:
	v_mul_lo_u32 v6, v0, s18
	s_lshl_b32 s1, s18, 10
	s_mov_b64 s[8:9], 0
	s_mov_b64 s[10:11], 0x2000
	v_mov_b64_e32 v[8:9], v[2:3]
	v_mov_b32_e32 v1, v0
	v_mov_b32_e32 v5, v4
.LBB332_14:                             ; =>This Inner Loop Header: Depth=1
	v_ashrrev_i32_e32 v7, 31, v6
	v_lshl_add_u64 v[12:13], v[6:7], 3, s[14:15]
	flat_load_dwordx2 v[10:11], v[8:9]
	v_add_u32_e32 v6, s1, v6
	flat_load_dwordx2 v[12:13], v[12:13]
	v_add_u32_e32 v1, 0x400, v1
	v_cmp_le_i32_e32 vcc, s0, v1
	v_lshl_add_u64 v[8:9], v[8:9], 0, s[10:11]
	s_or_b64 s[8:9], vcc, s[8:9]
	s_waitcnt vmcnt(0) lgkmcnt(0)
	v_mov_b32_e32 v14, v11
	v_pk_mul_f32 v[16:17], v[10:11], v[12:13] op_sel:[0,1] op_sel_hi:[1,0]
	v_pk_mul_f32 v[14:15], v[14:15], v[12:13] op_sel:[0,1] op_sel_hi:[1,0]
	v_mov_b32_e32 v7, v16
	v_pk_fma_f32 v[14:15], v[10:11], v[12:13], v[14:15]
	v_pk_fma_f32 v[10:11], v[10:11], v[12:13], v[6:7] op_sel:[0,1,0] op_sel_hi:[1,0,1] neg_lo:[1,0,0] neg_hi:[1,0,0]
	s_nop 0
	v_mov_b32_e32 v15, v11
	v_pk_add_f32 v[4:5], v[4:5], v[14:15]
	s_andn2_b64 exec, exec, s[8:9]
	s_cbranch_execnz .LBB332_14
; %bb.15:
	s_or_b64 exec, exec, s[8:9]
	v_mov_b64_e32 v[6:7], v[4:5]
.LBB332_16:
	s_or_b64 exec, exec, s[4:5]
	v_or_b32_e32 v1, s0, v0
	v_cmp_gt_i32_e32 vcc, s19, v1
	s_and_saveexec_b64 s[4:5], vcc
	s_cbranch_execz .LBB332_18
; %bb.17:
	v_mul_lo_u32 v4, v1, s18
	s_ashr_i32 s1, s0, 31
	v_ashrrev_i32_e32 v5, 31, v4
	v_lshl_add_u64 v[2:3], s[0:1], 3, v[2:3]
	v_lshl_add_u64 v[4:5], v[4:5], 3, s[14:15]
	flat_load_dwordx2 v[2:3], v[2:3]
	s_nop 0
	flat_load_dwordx2 v[4:5], v[4:5]
	s_waitcnt vmcnt(0) lgkmcnt(0)
	v_pk_mul_f32 v[8:9], v[2:3], v[4:5] op_sel:[1,0]
	s_nop 0
	v_pk_fma_f32 v[10:11], v[2:3], v[4:5], v[8:9] op_sel:[0,0,1] op_sel_hi:[1,1,0]
	v_pk_fma_f32 v[2:3], v[2:3], v[4:5], v[8:9] op_sel:[0,0,1] op_sel_hi:[0,1,0] neg_lo:[0,0,1] neg_hi:[0,0,1]
	v_mov_b32_e32 v11, v3
	v_pk_add_f32 v[6:7], v[6:7], v[10:11]
.LBB332_18:
	s_or_b64 exec, exec, s[4:5]
	v_and_b32_e32 v8, 63, v0
	v_cmp_gt_u32_e32 vcc, 64, v0
	v_lshlrev_b32_e32 v1, 3, v8
	s_and_saveexec_b64 s[0:1], vcc
	s_cbranch_execz .LBB332_20
; %bb.19:
	v_mov_b32_e32 v2, 0
	v_mov_b32_e32 v3, v2
	ds_write_b64 v1, v[2:3]
.LBB332_20:
	s_or_b64 exec, exec, s[0:1]
	v_mbcnt_lo_u32_b32 v2, -1, 0
	v_mbcnt_hi_u32_b32 v10, -1, v2
	v_and_b32_e32 v11, 63, v10
	v_cmp_gt_u32_e64 s[0:1], 32, v11
	s_mov_b32 s4, 0
	s_waitcnt lgkmcnt(0)
	v_cndmask_b32_e64 v2, 0, 1, s[0:1]
	v_lshlrev_b32_e32 v2, 5, v2
	v_add_lshl_u32 v3, v2, v10, 2
	ds_bpermute_b32 v2, v3, v6
	ds_bpermute_b32 v3, v3, v7
	v_cmp_gt_u32_e64 s[0:1], 48, v11
	s_barrier
	s_waitcnt lgkmcnt(0)
	v_cndmask_b32_e64 v4, 0, 1, s[0:1]
	v_lshlrev_b32_e32 v4, 4, v4
	v_add_lshl_u32 v5, v4, v10, 2
	v_pk_add_f32 v[2:3], v[6:7], v[2:3]
	ds_bpermute_b32 v4, v5, v2
	ds_bpermute_b32 v5, v5, v3
	v_cmp_gt_u32_e64 s[0:1], 56, v11
	s_waitcnt lgkmcnt(0)
	v_pk_add_f32 v[2:3], v[2:3], v[4:5]
	v_cndmask_b32_e64 v6, 0, 1, s[0:1]
	v_lshlrev_b32_e32 v6, 3, v6
	v_add_lshl_u32 v6, v6, v10, 2
	ds_bpermute_b32 v4, v6, v2
	ds_bpermute_b32 v5, v6, v3
	v_cmp_gt_u32_e64 s[0:1], 60, v11
	s_waitcnt lgkmcnt(0)
	v_pk_add_f32 v[2:3], v[2:3], v[4:5]
	v_cndmask_b32_e64 v7, 0, 1, s[0:1]
	v_lshlrev_b32_e32 v7, 2, v7
	v_add_lshl_u32 v7, v7, v10, 2
	;; [unrolled: 8-line block ×3, first 2 shown]
	ds_bpermute_b32 v4, v9, v2
	ds_bpermute_b32 v5, v9, v3
	v_cmp_ne_u32_e64 s[0:1], 63, v11
	s_waitcnt lgkmcnt(0)
	v_pk_add_f32 v[2:3], v[2:3], v[4:5]
	v_addc_co_u32_e64 v4, s[0:1], 0, v10, s[0:1]
	v_lshlrev_b32_e32 v10, 2, v4
	ds_bpermute_b32 v4, v10, v2
	ds_bpermute_b32 v5, v10, v3
	v_cmp_eq_u32_e64 s[0:1], 0, v8
	s_and_saveexec_b64 s[8:9], s[0:1]
	s_cbranch_execz .LBB332_22
; %bb.21:
	v_lshrrev_b32_e32 v8, 3, v0
	v_and_b32_e32 v8, 0x78, v8
	s_waitcnt lgkmcnt(0)
	v_pk_add_f32 v[2:3], v[2:3], v[4:5]
	ds_write_b64 v8, v[2:3]
.LBB332_22:
	s_or_b64 exec, exec, s[8:9]
	s_mov_b32 s5, s4
	v_cmp_gt_u32_e64 s[0:1], 16, v0
	v_mov_b64_e32 v[2:3], s[4:5]
	s_waitcnt lgkmcnt(0)
	s_barrier
	s_and_saveexec_b64 s[4:5], s[0:1]
	s_cbranch_execnz .LBB332_26
; %bb.23:
	s_or_b64 exec, exec, s[4:5]
	s_and_saveexec_b64 s[0:1], vcc
	s_cbranch_execnz .LBB332_27
.LBB332_24:
	s_or_b64 exec, exec, s[0:1]
	v_cmp_eq_u32_e32 vcc, 0, v0
	s_and_saveexec_b64 s[0:1], vcc
	s_cbranch_execnz .LBB332_28
.LBB332_25:
	s_endpgm
.LBB332_26:
	ds_read_b64 v[2:3], v1
	s_or_b64 exec, exec, s[4:5]
	s_and_saveexec_b64 s[0:1], vcc
	s_cbranch_execz .LBB332_24
.LBB332_27:
	s_waitcnt lgkmcnt(0)
	ds_bpermute_b32 v4, v6, v2
	ds_bpermute_b32 v5, v6, v3
	s_waitcnt lgkmcnt(0)
	v_pk_add_f32 v[2:3], v[2:3], v[4:5]
	ds_bpermute_b32 v4, v7, v2
	ds_bpermute_b32 v5, v7, v3
	s_waitcnt lgkmcnt(0)
	v_pk_add_f32 v[2:3], v[2:3], v[4:5]
	ds_bpermute_b32 v4, v9, v2
	ds_bpermute_b32 v5, v9, v3
	s_waitcnt lgkmcnt(0)
	v_pk_add_f32 v[2:3], v[2:3], v[4:5]
	ds_bpermute_b32 v4, v10, v2
	ds_bpermute_b32 v5, v10, v3
	s_waitcnt lgkmcnt(0)
	v_pk_add_f32 v[2:3], v[2:3], v[4:5]
	s_or_b64 exec, exec, s[0:1]
	v_cmp_eq_u32_e32 vcc, 0, v0
	s_and_saveexec_b64 s[0:1], vcc
	s_cbranch_execz .LBB332_25
.LBB332_28:
	v_cmp_neq_f32_e64 s[4:5], s6, 0
	v_cmp_neq_f32_e64 s[8:9], s7, 0
	s_waitcnt lgkmcnt(0)
	v_pk_mul_f32 v[4:5], v[2:3], s[12:13] op_sel:[1,0]
	s_mul_i32 s0, s2, s17
	s_or_b64 s[4:5], s[4:5], s[8:9]
	v_pk_fma_f32 v[0:1], v[2:3], s[12:13], v[4:5] op_sel:[0,0,1] op_sel_hi:[0,1,0] neg_lo:[0,0,1] neg_hi:[0,0,1]
	v_pk_fma_f32 v[2:3], v[2:3], s[12:13], v[4:5] op_sel:[0,0,1] op_sel_hi:[0,1,0]
	s_andn2_b64 vcc, exec, s[4:5]
	s_ashr_i32 s1, s0, 31
	s_cbranch_vccnz .LBB332_30
; %bb.29:
	s_lshl_b64 s[4:5], s[0:1], 3
	s_add_u32 s4, s3, s4
	s_addc_u32 s5, s16, s5
	v_mov_b32_e32 v1, 0
	global_load_dwordx2 v[4:5], v1, s[4:5]
	v_mov_b32_e32 v1, v3
	s_waitcnt vmcnt(0)
	v_pk_mul_f32 v[2:3], s[6:7], v[4:5] op_sel:[0,1]
	s_nop 0
	v_pk_fma_f32 v[6:7], s[6:7], v[4:5], v[2:3] op_sel:[0,0,1] op_sel_hi:[1,1,0] neg_lo:[0,0,1] neg_hi:[0,0,1]
	v_pk_fma_f32 v[2:3], s[6:7], v[4:5], v[2:3] op_sel:[0,0,1] op_sel_hi:[1,0,0]
	s_nop 0
	v_mov_b32_e32 v7, v3
	v_pk_add_f32 v[0:1], v[0:1], v[6:7]
	s_nop 0
	v_mov_b32_e32 v3, v1
.LBB332_30:
	s_lshl_b64 s[0:1], s[0:1], 3
	s_add_u32 s0, s3, s0
	s_addc_u32 s1, s16, s1
	v_mov_b32_e32 v2, 0
	v_mov_b32_e32 v1, v3
	global_store_dwordx2 v2, v[0:1], s[0:1]
	s_endpgm
	.section	.rodata,"a",@progbits
	.p2align	6, 0x0
	.amdhsa_kernel _ZL32rocblas_gemvt_warp_reduce_kernelILb1ELi1024EiPK19rocblas_complex_numIfES3_KPS1_EviiT3_lPKT2_lT1_lS9_lSA_lS6_lPT4_lSA_li
		.amdhsa_group_segment_fixed_size 512
		.amdhsa_private_segment_fixed_size 0
		.amdhsa_kernarg_size 140
		.amdhsa_user_sgpr_count 2
		.amdhsa_user_sgpr_dispatch_ptr 0
		.amdhsa_user_sgpr_queue_ptr 0
		.amdhsa_user_sgpr_kernarg_segment_ptr 1
		.amdhsa_user_sgpr_dispatch_id 0
		.amdhsa_user_sgpr_kernarg_preload_length 0
		.amdhsa_user_sgpr_kernarg_preload_offset 0
		.amdhsa_user_sgpr_private_segment_size 0
		.amdhsa_uses_dynamic_stack 0
		.amdhsa_enable_private_segment 0
		.amdhsa_system_sgpr_workgroup_id_x 1
		.amdhsa_system_sgpr_workgroup_id_y 0
		.amdhsa_system_sgpr_workgroup_id_z 1
		.amdhsa_system_sgpr_workgroup_info 0
		.amdhsa_system_vgpr_workitem_id 0
		.amdhsa_next_free_vgpr 18
		.amdhsa_next_free_sgpr 26
		.amdhsa_accum_offset 20
		.amdhsa_reserve_vcc 1
		.amdhsa_float_round_mode_32 0
		.amdhsa_float_round_mode_16_64 0
		.amdhsa_float_denorm_mode_32 3
		.amdhsa_float_denorm_mode_16_64 3
		.amdhsa_dx10_clamp 1
		.amdhsa_ieee_mode 1
		.amdhsa_fp16_overflow 0
		.amdhsa_tg_split 0
		.amdhsa_exception_fp_ieee_invalid_op 0
		.amdhsa_exception_fp_denorm_src 0
		.amdhsa_exception_fp_ieee_div_zero 0
		.amdhsa_exception_fp_ieee_overflow 0
		.amdhsa_exception_fp_ieee_underflow 0
		.amdhsa_exception_fp_ieee_inexact 0
		.amdhsa_exception_int_div_zero 0
	.end_amdhsa_kernel
	.section	.text._ZL32rocblas_gemvt_warp_reduce_kernelILb1ELi1024EiPK19rocblas_complex_numIfES3_KPS1_EviiT3_lPKT2_lT1_lS9_lSA_lS6_lPT4_lSA_li,"axG",@progbits,_ZL32rocblas_gemvt_warp_reduce_kernelILb1ELi1024EiPK19rocblas_complex_numIfES3_KPS1_EviiT3_lPKT2_lT1_lS9_lSA_lS6_lPT4_lSA_li,comdat
.Lfunc_end332:
	.size	_ZL32rocblas_gemvt_warp_reduce_kernelILb1ELi1024EiPK19rocblas_complex_numIfES3_KPS1_EviiT3_lPKT2_lT1_lS9_lSA_lS6_lPT4_lSA_li, .Lfunc_end332-_ZL32rocblas_gemvt_warp_reduce_kernelILb1ELi1024EiPK19rocblas_complex_numIfES3_KPS1_EviiT3_lPKT2_lT1_lS9_lSA_lS6_lPT4_lSA_li
                                        ; -- End function
	.section	.AMDGPU.csdata,"",@progbits
; Kernel info:
; codeLenInByte = 1752
; NumSgprs: 32
; NumVgprs: 18
; NumAgprs: 0
; TotalNumVgprs: 18
; ScratchSize: 0
; MemoryBound: 0
; FloatMode: 240
; IeeeMode: 1
; LDSByteSize: 512 bytes/workgroup (compile time only)
; SGPRBlocks: 3
; VGPRBlocks: 2
; NumSGPRsForWavesPerEU: 32
; NumVGPRsForWavesPerEU: 18
; AccumOffset: 20
; Occupancy: 8
; WaveLimiterHint : 1
; COMPUTE_PGM_RSRC2:SCRATCH_EN: 0
; COMPUTE_PGM_RSRC2:USER_SGPR: 2
; COMPUTE_PGM_RSRC2:TRAP_HANDLER: 0
; COMPUTE_PGM_RSRC2:TGID_X_EN: 1
; COMPUTE_PGM_RSRC2:TGID_Y_EN: 0
; COMPUTE_PGM_RSRC2:TGID_Z_EN: 1
; COMPUTE_PGM_RSRC2:TIDIG_COMP_CNT: 0
; COMPUTE_PGM_RSRC3_GFX90A:ACCUM_OFFSET: 4
; COMPUTE_PGM_RSRC3_GFX90A:TG_SPLIT: 0
	.section	.text._ZL32rocblas_gemvt_warp_reduce_kernelILb1ELi1024ElPK19rocblas_complex_numIfES3_KPS1_EviiT3_lPKT2_lT1_lS9_lSA_lS6_lPT4_lSA_li,"axG",@progbits,_ZL32rocblas_gemvt_warp_reduce_kernelILb1ELi1024ElPK19rocblas_complex_numIfES3_KPS1_EviiT3_lPKT2_lT1_lS9_lSA_lS6_lPT4_lSA_li,comdat
	.globl	_ZL32rocblas_gemvt_warp_reduce_kernelILb1ELi1024ElPK19rocblas_complex_numIfES3_KPS1_EviiT3_lPKT2_lT1_lS9_lSA_lS6_lPT4_lSA_li ; -- Begin function _ZL32rocblas_gemvt_warp_reduce_kernelILb1ELi1024ElPK19rocblas_complex_numIfES3_KPS1_EviiT3_lPKT2_lT1_lS9_lSA_lS6_lPT4_lSA_li
	.p2align	8
	.type	_ZL32rocblas_gemvt_warp_reduce_kernelILb1ELi1024ElPK19rocblas_complex_numIfES3_KPS1_EviiT3_lPKT2_lT1_lS9_lSA_lS6_lPT4_lSA_li,@function
_ZL32rocblas_gemvt_warp_reduce_kernelILb1ELi1024ElPK19rocblas_complex_numIfES3_KPS1_EviiT3_lPKT2_lT1_lS9_lSA_lS6_lPT4_lSA_li: ; @_ZL32rocblas_gemvt_warp_reduce_kernelILb1ELi1024ElPK19rocblas_complex_numIfES3_KPS1_EviiT3_lPKT2_lT1_lS9_lSA_lS6_lPT4_lSA_li
; %bb.0:
	s_load_dwordx8 s[12:19], s[0:1], 0x8
	s_load_dwordx8 s[4:11], s[0:1], 0x58
	s_mov_b32 s28, s3
	s_waitcnt lgkmcnt(0)
	s_mul_i32 s3, s3, s15
	s_mul_hi_u32 s15, s28, s14
	s_add_i32 s15, s15, s3
	s_mul_i32 s14, s28, s14
	s_lshl_b64 s[14:15], s[14:15], 3
	s_add_u32 s12, s12, s14
	s_mul_i32 s3, s28, s7
	s_mul_hi_u32 s7, s28, s6
	s_addc_u32 s13, s13, s15
	s_add_i32 s7, s7, s3
	s_mul_i32 s6, s28, s6
	s_lshl_b64 s[6:7], s[6:7], 3
	s_add_u32 s4, s4, s6
	s_load_dwordx2 s[14:15], s[12:13], 0x0
	s_addc_u32 s5, s5, s7
	s_load_dwordx2 s[12:13], s[4:5], 0x0
	s_waitcnt lgkmcnt(0)
	v_cmp_eq_f32_e64 s[4:5], s14, 0
	v_cmp_eq_f32_e64 s[6:7], s15, 0
	s_and_b64 s[4:5], s[4:5], s[6:7]
	v_cmp_eq_f32_e64 s[6:7], s12, 1.0
	v_cmp_eq_f32_e64 s[20:21], s13, 0
	s_and_b64 s[6:7], s[6:7], s[20:21]
	s_and_b64 s[4:5], s[4:5], s[6:7]
	s_and_b64 vcc, exec, s[4:5]
	s_cbranch_vccnz .LBB333_25
; %bb.1:
	s_or_b32 s3, s14, s15
	s_load_dwordx2 s[24:25], s[0:1], 0x28
	s_load_dwordx2 s[20:21], s[0:1], 0x78
	s_bitset0_b32 s3, 31
	s_cmp_lg_u32 s3, 0
	s_cselect_b64 s[34:35], -1, 0
	s_cmp_eq_u32 s3, 0
	s_cselect_b64 s[30:31], -1, 0
	s_mov_b32 s29, 0
	s_mov_b64 s[22:23], 0
	s_and_b64 vcc, exec, s[30:31]
	s_mov_b64 s[26:27], 0
	s_cbranch_vccnz .LBB333_3
; %bb.2:
	s_lshl_b64 s[4:5], s[28:29], 3
	s_add_u32 s4, s16, s4
	s_addc_u32 s5, s17, s5
	s_load_dwordx2 s[4:5], s[4:5], 0x0
	s_lshl_b64 s[6:7], s[18:19], 3
	s_waitcnt lgkmcnt(0)
	s_add_u32 s26, s4, s6
	s_addc_u32 s27, s5, s7
.LBB333_3:
	s_load_dwordx4 s[4:7], s[0:1], 0x38
	s_load_dwordx2 s[16:17], s[0:1], 0x48
	s_andn2_b64 vcc, exec, s[34:35]
	s_cbranch_vccnz .LBB333_5
; %bb.4:
	s_lshl_b64 s[18:19], s[28:29], 3
	s_waitcnt lgkmcnt(0)
	s_add_u32 s4, s4, s18
	s_addc_u32 s5, s5, s19
	s_load_dwordx2 s[4:5], s[4:5], 0x0
	s_lshl_b64 s[6:7], s[6:7], 3
	s_waitcnt lgkmcnt(0)
	s_add_u32 s22, s4, s6
	s_addc_u32 s23, s5, s7
.LBB333_5:
	s_waitcnt lgkmcnt(0)
	s_lshl_b64 s[4:5], s[28:29], 3
	s_add_u32 s4, s8, s4
	s_addc_u32 s5, s9, s5
	s_load_dwordx2 s[4:5], s[4:5], 0x0
	s_lshl_b64 s[8:9], s[10:11], 3
	s_mov_b64 s[6:7], -1
	s_waitcnt lgkmcnt(0)
	s_add_u32 s3, s4, s8
	s_addc_u32 s18, s5, s9
	s_andn2_b64 vcc, exec, s[30:31]
	v_cmp_eq_u32_e64 s[4:5], 0, v0
	s_cbranch_vccnz .LBB333_11
; %bb.6:
	s_and_saveexec_b64 s[6:7], s[4:5]
	s_cbranch_execz .LBB333_10
; %bb.7:
	v_cmp_neq_f32_e64 s[8:9], s12, 0
	v_cmp_neq_f32_e64 s[10:11], s13, 0
	s_ashr_i32 s4, s2, 31
	s_mul_i32 s5, s2, s21
	s_mul_hi_u32 s19, s2, s20
	s_add_i32 s5, s19, s5
	s_mul_i32 s4, s4, s20
	s_or_b64 s[8:9], s[8:9], s[10:11]
	s_add_i32 s5, s5, s4
	s_mul_i32 s4, s2, s20
	v_mov_b32_e32 v1, 0
	s_andn2_b64 vcc, exec, s[8:9]
	v_mov_b32_e32 v2, 0
	v_mov_b32_e32 v3, 0
	s_cbranch_vccnz .LBB333_9
; %bb.8:
	s_lshl_b64 s[8:9], s[4:5], 3
	s_add_u32 s8, s3, s8
	s_addc_u32 s9, s18, s9
	s_load_dwordx2 s[8:9], s[8:9], 0x0
	s_waitcnt lgkmcnt(0)
	v_mov_b64_e32 v[4:5], s[8:9]
	v_pk_mul_f32 v[6:7], s[12:13], v[4:5] op_sel:[0,1]
	s_nop 0
	v_pk_fma_f32 v[2:3], s[12:13], v[4:5], v[6:7] op_sel:[0,0,1] op_sel_hi:[1,1,0] neg_lo:[0,0,1] neg_hi:[0,0,1]
	v_pk_fma_f32 v[4:5], s[12:13], v[4:5], v[6:7] op_sel:[0,0,1] op_sel_hi:[1,0,0]
	s_nop 0
	v_mov_b32_e32 v3, v5
.LBB333_9:
	s_lshl_b64 s[4:5], s[4:5], 3
	s_add_u32 s4, s3, s4
	s_addc_u32 s5, s18, s5
	global_store_dwordx2 v1, v[2:3], s[4:5]
.LBB333_10:
	s_or_b64 exec, exec, s[6:7]
	s_mov_b64 s[6:7], 0
.LBB333_11:
	s_andn2_b64 vcc, exec, s[6:7]
	s_cbranch_vccnz .LBB333_25
; %bb.12:
	s_load_dword s1, s[0:1], 0x0
	s_ashr_i32 s19, s2, 31
	s_mul_i32 s0, s2, s25
	s_mul_hi_u32 s5, s2, s24
	s_add_i32 s0, s5, s0
	s_mul_i32 s5, s19, s24
	s_add_i32 s7, s0, s5
	s_mul_i32 s6, s2, s24
	s_lshl_b64 s[6:7], s[6:7], 3
	s_add_u32 s6, s6, s26
	s_addc_u32 s7, s7, s27
	s_waitcnt lgkmcnt(0)
	s_ashr_i32 s0, s1, 31
	v_cmp_gt_i32_e32 vcc, s1, v0
	s_lshr_b32 s0, s0, 22
	s_mov_b32 s4, 0
	v_mov_b32_e32 v2, 0
	v_cndmask_b32_e32 v1, 0, v0, vcc
	s_add_i32 s0, s1, s0
	v_mov_b32_e32 v5, v2
	v_lshlrev_b32_e32 v4, 3, v1
	s_and_b32 s0, s0, 0xfffffc00
	s_mov_b32 s5, s4
	v_lshl_add_u64 v[4:5], s[6:7], 0, v[4:5]
	v_cmp_gt_i32_e32 vcc, s0, v0
	v_mov_b64_e32 v[6:7], s[4:5]
	s_and_saveexec_b64 s[4:5], vcc
	s_cbranch_execz .LBB333_16
; %bb.13:
	v_mad_u64_u32 v[6:7], s[6:7], s16, v0, 0
	v_mov_b32_e32 v8, v7
	v_mad_u64_u32 v[8:9], s[6:7], s17, v0, v[8:9]
	v_mov_b32_e32 v7, v8
	v_lshl_add_u64 v[6:7], v[6:7], 3, s[22:23]
	s_lshl_b64 s[8:9], s[16:17], 13
	s_mov_b64 s[6:7], 0
	s_mov_b64 s[10:11], 0x2000
	v_mov_b64_e32 v[8:9], v[4:5]
	v_mov_b32_e32 v1, v0
	v_mov_b32_e32 v3, v2
.LBB333_14:                             ; =>This Inner Loop Header: Depth=1
	flat_load_dwordx2 v[10:11], v[8:9]
	flat_load_dwordx2 v[12:13], v[6:7]
	v_add_u32_e32 v1, 0x400, v1
	v_cmp_le_i32_e32 vcc, s0, v1
	v_lshl_add_u64 v[8:9], v[8:9], 0, s[10:11]
	v_lshl_add_u64 v[6:7], v[6:7], 0, s[8:9]
	s_or_b64 s[6:7], vcc, s[6:7]
	s_waitcnt vmcnt(0) lgkmcnt(0)
	v_mov_b32_e32 v14, v11
	v_pk_mul_f32 v[16:17], v[10:11], v[12:13] op_sel:[0,1] op_sel_hi:[1,0]
	v_pk_mul_f32 v[14:15], v[14:15], v[12:13] op_sel:[0,1] op_sel_hi:[1,0]
	v_mov_b32_e32 v17, v16
	v_pk_fma_f32 v[14:15], v[10:11], v[12:13], v[14:15]
	v_pk_fma_f32 v[10:11], v[10:11], v[12:13], v[16:17] op_sel:[0,1,0] op_sel_hi:[1,0,1] neg_lo:[1,0,0] neg_hi:[1,0,0]
	s_nop 0
	v_mov_b32_e32 v15, v11
	v_pk_add_f32 v[2:3], v[2:3], v[14:15]
	s_andn2_b64 exec, exec, s[6:7]
	s_cbranch_execnz .LBB333_14
; %bb.15:
	s_or_b64 exec, exec, s[6:7]
	v_mov_b64_e32 v[6:7], v[2:3]
.LBB333_16:
	s_or_b64 exec, exec, s[4:5]
	v_or_b32_e32 v1, s0, v0
	v_cmp_gt_i32_e32 vcc, s1, v1
	s_and_saveexec_b64 s[4:5], vcc
	s_cbranch_execz .LBB333_18
; %bb.17:
	s_ashr_i32 s1, s0, 31
	v_lshl_add_u64 v[2:3], s[0:1], 3, v[4:5]
	v_ashrrev_i32_e32 v4, 31, v1
	v_mul_lo_u32 v8, v1, s17
	v_mul_lo_u32 v9, v4, s16
	v_mad_u64_u32 v[4:5], s[0:1], v1, s16, 0
	v_add3_u32 v5, v5, v8, v9
	v_lshl_add_u64 v[4:5], v[4:5], 3, s[22:23]
	flat_load_dwordx2 v[2:3], v[2:3]
	s_nop 0
	flat_load_dwordx2 v[4:5], v[4:5]
	s_waitcnt vmcnt(0) lgkmcnt(0)
	v_pk_mul_f32 v[8:9], v[2:3], v[4:5] op_sel:[1,0]
	s_nop 0
	v_pk_fma_f32 v[10:11], v[2:3], v[4:5], v[8:9] op_sel:[0,0,1] op_sel_hi:[1,1,0]
	v_pk_fma_f32 v[2:3], v[2:3], v[4:5], v[8:9] op_sel:[0,0,1] op_sel_hi:[0,1,0] neg_lo:[0,0,1] neg_hi:[0,0,1]
	v_mov_b32_e32 v11, v3
	v_pk_add_f32 v[6:7], v[6:7], v[10:11]
.LBB333_18:
	s_or_b64 exec, exec, s[4:5]
	v_and_b32_e32 v8, 63, v0
	v_cmp_gt_u32_e32 vcc, 64, v0
	v_lshlrev_b32_e32 v1, 3, v8
	s_and_saveexec_b64 s[0:1], vcc
	s_cbranch_execz .LBB333_20
; %bb.19:
	v_mov_b32_e32 v2, 0
	v_mov_b32_e32 v3, v2
	ds_write_b64 v1, v[2:3]
.LBB333_20:
	s_or_b64 exec, exec, s[0:1]
	v_mbcnt_lo_u32_b32 v2, -1, 0
	v_mbcnt_hi_u32_b32 v10, -1, v2
	v_and_b32_e32 v11, 63, v10
	v_cmp_gt_u32_e64 s[0:1], 32, v11
	s_mov_b32 s4, 0
	s_waitcnt lgkmcnt(0)
	v_cndmask_b32_e64 v2, 0, 1, s[0:1]
	v_lshlrev_b32_e32 v2, 5, v2
	v_add_lshl_u32 v3, v2, v10, 2
	ds_bpermute_b32 v2, v3, v6
	ds_bpermute_b32 v3, v3, v7
	v_cmp_gt_u32_e64 s[0:1], 48, v11
	s_barrier
	s_waitcnt lgkmcnt(0)
	v_cndmask_b32_e64 v4, 0, 1, s[0:1]
	v_lshlrev_b32_e32 v4, 4, v4
	v_add_lshl_u32 v5, v4, v10, 2
	v_pk_add_f32 v[2:3], v[6:7], v[2:3]
	ds_bpermute_b32 v4, v5, v2
	ds_bpermute_b32 v5, v5, v3
	v_cmp_gt_u32_e64 s[0:1], 56, v11
	s_waitcnt lgkmcnt(0)
	v_pk_add_f32 v[2:3], v[2:3], v[4:5]
	v_cndmask_b32_e64 v6, 0, 1, s[0:1]
	v_lshlrev_b32_e32 v6, 3, v6
	v_add_lshl_u32 v6, v6, v10, 2
	ds_bpermute_b32 v4, v6, v2
	ds_bpermute_b32 v5, v6, v3
	v_cmp_gt_u32_e64 s[0:1], 60, v11
	s_waitcnt lgkmcnt(0)
	v_pk_add_f32 v[2:3], v[2:3], v[4:5]
	v_cndmask_b32_e64 v7, 0, 1, s[0:1]
	v_lshlrev_b32_e32 v7, 2, v7
	v_add_lshl_u32 v7, v7, v10, 2
	;; [unrolled: 8-line block ×3, first 2 shown]
	ds_bpermute_b32 v4, v9, v2
	ds_bpermute_b32 v5, v9, v3
	v_cmp_ne_u32_e64 s[0:1], 63, v11
	s_waitcnt lgkmcnt(0)
	v_pk_add_f32 v[2:3], v[2:3], v[4:5]
	v_addc_co_u32_e64 v4, s[0:1], 0, v10, s[0:1]
	v_lshlrev_b32_e32 v10, 2, v4
	ds_bpermute_b32 v4, v10, v2
	ds_bpermute_b32 v5, v10, v3
	v_cmp_eq_u32_e64 s[0:1], 0, v8
	s_and_saveexec_b64 s[6:7], s[0:1]
	s_cbranch_execz .LBB333_22
; %bb.21:
	v_lshrrev_b32_e32 v8, 3, v0
	v_and_b32_e32 v8, 0x78, v8
	s_waitcnt lgkmcnt(0)
	v_pk_add_f32 v[2:3], v[2:3], v[4:5]
	ds_write_b64 v8, v[2:3]
.LBB333_22:
	s_or_b64 exec, exec, s[6:7]
	s_mov_b32 s5, s4
	v_cmp_gt_u32_e64 s[0:1], 16, v0
	v_mov_b64_e32 v[2:3], s[4:5]
	s_waitcnt lgkmcnt(0)
	s_barrier
	s_and_saveexec_b64 s[4:5], s[0:1]
	s_cbranch_execnz .LBB333_26
; %bb.23:
	s_or_b64 exec, exec, s[4:5]
	s_and_saveexec_b64 s[0:1], vcc
	s_cbranch_execnz .LBB333_27
.LBB333_24:
	s_or_b64 exec, exec, s[0:1]
	v_cmp_eq_u32_e32 vcc, 0, v0
	s_and_saveexec_b64 s[0:1], vcc
	s_cbranch_execnz .LBB333_28
.LBB333_25:
	s_endpgm
.LBB333_26:
	ds_read_b64 v[2:3], v1
	s_or_b64 exec, exec, s[4:5]
	s_and_saveexec_b64 s[0:1], vcc
	s_cbranch_execz .LBB333_24
.LBB333_27:
	s_waitcnt lgkmcnt(0)
	ds_bpermute_b32 v4, v6, v2
	ds_bpermute_b32 v5, v6, v3
	s_waitcnt lgkmcnt(0)
	v_pk_add_f32 v[2:3], v[2:3], v[4:5]
	ds_bpermute_b32 v4, v7, v2
	ds_bpermute_b32 v5, v7, v3
	s_waitcnt lgkmcnt(0)
	v_pk_add_f32 v[2:3], v[2:3], v[4:5]
	;; [unrolled: 4-line block ×4, first 2 shown]
	s_or_b64 exec, exec, s[0:1]
	v_cmp_eq_u32_e32 vcc, 0, v0
	s_and_saveexec_b64 s[0:1], vcc
	s_cbranch_execz .LBB333_25
.LBB333_28:
	v_cmp_neq_f32_e64 s[4:5], s12, 0
	v_cmp_neq_f32_e64 s[6:7], s13, 0
	s_mul_i32 s0, s2, s21
	s_mul_hi_u32 s1, s2, s20
	s_waitcnt lgkmcnt(0)
	v_pk_mul_f32 v[4:5], v[2:3], s[14:15] op_sel:[1,0]
	s_add_i32 s0, s1, s0
	s_mul_i32 s1, s19, s20
	s_or_b64 s[4:5], s[4:5], s[6:7]
	v_pk_fma_f32 v[0:1], v[2:3], s[14:15], v[4:5] op_sel:[0,0,1] op_sel_hi:[0,1,0] neg_lo:[0,0,1] neg_hi:[0,0,1]
	v_pk_fma_f32 v[2:3], v[2:3], s[14:15], v[4:5] op_sel:[0,0,1] op_sel_hi:[0,1,0]
	s_add_i32 s1, s0, s1
	s_andn2_b64 vcc, exec, s[4:5]
	s_mul_i32 s0, s2, s20
	s_cbranch_vccnz .LBB333_30
; %bb.29:
	s_lshl_b64 s[4:5], s[0:1], 3
	s_add_u32 s4, s3, s4
	s_addc_u32 s5, s18, s5
	v_mov_b32_e32 v1, 0
	global_load_dwordx2 v[4:5], v1, s[4:5]
	v_mov_b32_e32 v1, v3
	s_waitcnt vmcnt(0)
	v_pk_mul_f32 v[2:3], s[12:13], v[4:5] op_sel:[0,1]
	s_nop 0
	v_pk_fma_f32 v[6:7], s[12:13], v[4:5], v[2:3] op_sel:[0,0,1] op_sel_hi:[1,1,0] neg_lo:[0,0,1] neg_hi:[0,0,1]
	v_pk_fma_f32 v[2:3], s[12:13], v[4:5], v[2:3] op_sel:[0,0,1] op_sel_hi:[1,0,0]
	s_nop 0
	v_mov_b32_e32 v7, v3
	v_pk_add_f32 v[0:1], v[0:1], v[6:7]
	s_nop 0
	v_mov_b32_e32 v3, v1
.LBB333_30:
	s_lshl_b64 s[0:1], s[0:1], 3
	s_add_u32 s0, s3, s0
	s_addc_u32 s1, s18, s1
	v_mov_b32_e32 v2, 0
	v_mov_b32_e32 v1, v3
	global_store_dwordx2 v2, v[0:1], s[0:1]
	s_endpgm
	.section	.rodata,"a",@progbits
	.p2align	6, 0x0
	.amdhsa_kernel _ZL32rocblas_gemvt_warp_reduce_kernelILb1ELi1024ElPK19rocblas_complex_numIfES3_KPS1_EviiT3_lPKT2_lT1_lS9_lSA_lS6_lPT4_lSA_li
		.amdhsa_group_segment_fixed_size 512
		.amdhsa_private_segment_fixed_size 0
		.amdhsa_kernarg_size 140
		.amdhsa_user_sgpr_count 2
		.amdhsa_user_sgpr_dispatch_ptr 0
		.amdhsa_user_sgpr_queue_ptr 0
		.amdhsa_user_sgpr_kernarg_segment_ptr 1
		.amdhsa_user_sgpr_dispatch_id 0
		.amdhsa_user_sgpr_kernarg_preload_length 0
		.amdhsa_user_sgpr_kernarg_preload_offset 0
		.amdhsa_user_sgpr_private_segment_size 0
		.amdhsa_uses_dynamic_stack 0
		.amdhsa_enable_private_segment 0
		.amdhsa_system_sgpr_workgroup_id_x 1
		.amdhsa_system_sgpr_workgroup_id_y 0
		.amdhsa_system_sgpr_workgroup_id_z 1
		.amdhsa_system_sgpr_workgroup_info 0
		.amdhsa_system_vgpr_workitem_id 0
		.amdhsa_next_free_vgpr 18
		.amdhsa_next_free_sgpr 36
		.amdhsa_accum_offset 20
		.amdhsa_reserve_vcc 1
		.amdhsa_float_round_mode_32 0
		.amdhsa_float_round_mode_16_64 0
		.amdhsa_float_denorm_mode_32 3
		.amdhsa_float_denorm_mode_16_64 3
		.amdhsa_dx10_clamp 1
		.amdhsa_ieee_mode 1
		.amdhsa_fp16_overflow 0
		.amdhsa_tg_split 0
		.amdhsa_exception_fp_ieee_invalid_op 0
		.amdhsa_exception_fp_denorm_src 0
		.amdhsa_exception_fp_ieee_div_zero 0
		.amdhsa_exception_fp_ieee_overflow 0
		.amdhsa_exception_fp_ieee_underflow 0
		.amdhsa_exception_fp_ieee_inexact 0
		.amdhsa_exception_int_div_zero 0
	.end_amdhsa_kernel
	.section	.text._ZL32rocblas_gemvt_warp_reduce_kernelILb1ELi1024ElPK19rocblas_complex_numIfES3_KPS1_EviiT3_lPKT2_lT1_lS9_lSA_lS6_lPT4_lSA_li,"axG",@progbits,_ZL32rocblas_gemvt_warp_reduce_kernelILb1ELi1024ElPK19rocblas_complex_numIfES3_KPS1_EviiT3_lPKT2_lT1_lS9_lSA_lS6_lPT4_lSA_li,comdat
.Lfunc_end333:
	.size	_ZL32rocblas_gemvt_warp_reduce_kernelILb1ELi1024ElPK19rocblas_complex_numIfES3_KPS1_EviiT3_lPKT2_lT1_lS9_lSA_lS6_lPT4_lSA_li, .Lfunc_end333-_ZL32rocblas_gemvt_warp_reduce_kernelILb1ELi1024ElPK19rocblas_complex_numIfES3_KPS1_EviiT3_lPKT2_lT1_lS9_lSA_lS6_lPT4_lSA_li
                                        ; -- End function
	.section	.AMDGPU.csdata,"",@progbits
; Kernel info:
; codeLenInByte = 1852
; NumSgprs: 42
; NumVgprs: 18
; NumAgprs: 0
; TotalNumVgprs: 18
; ScratchSize: 0
; MemoryBound: 0
; FloatMode: 240
; IeeeMode: 1
; LDSByteSize: 512 bytes/workgroup (compile time only)
; SGPRBlocks: 5
; VGPRBlocks: 2
; NumSGPRsForWavesPerEU: 42
; NumVGPRsForWavesPerEU: 18
; AccumOffset: 20
; Occupancy: 8
; WaveLimiterHint : 1
; COMPUTE_PGM_RSRC2:SCRATCH_EN: 0
; COMPUTE_PGM_RSRC2:USER_SGPR: 2
; COMPUTE_PGM_RSRC2:TRAP_HANDLER: 0
; COMPUTE_PGM_RSRC2:TGID_X_EN: 1
; COMPUTE_PGM_RSRC2:TGID_Y_EN: 0
; COMPUTE_PGM_RSRC2:TGID_Z_EN: 1
; COMPUTE_PGM_RSRC2:TIDIG_COMP_CNT: 0
; COMPUTE_PGM_RSRC3_GFX90A:ACCUM_OFFSET: 4
; COMPUTE_PGM_RSRC3_GFX90A:TG_SPLIT: 0
	.section	.text._ZL32rocblas_gemvt_warp_reduce_kernelILb1ELi1024EiPK19rocblas_complex_numIfES1_KPS1_EviiT3_lPKT2_lT1_lS9_lSA_lS6_lPT4_lSA_li,"axG",@progbits,_ZL32rocblas_gemvt_warp_reduce_kernelILb1ELi1024EiPK19rocblas_complex_numIfES1_KPS1_EviiT3_lPKT2_lT1_lS9_lSA_lS6_lPT4_lSA_li,comdat
	.globl	_ZL32rocblas_gemvt_warp_reduce_kernelILb1ELi1024EiPK19rocblas_complex_numIfES1_KPS1_EviiT3_lPKT2_lT1_lS9_lSA_lS6_lPT4_lSA_li ; -- Begin function _ZL32rocblas_gemvt_warp_reduce_kernelILb1ELi1024EiPK19rocblas_complex_numIfES1_KPS1_EviiT3_lPKT2_lT1_lS9_lSA_lS6_lPT4_lSA_li
	.p2align	8
	.type	_ZL32rocblas_gemvt_warp_reduce_kernelILb1ELi1024EiPK19rocblas_complex_numIfES1_KPS1_EviiT3_lPKT2_lT1_lS9_lSA_lS6_lPT4_lSA_li,@function
_ZL32rocblas_gemvt_warp_reduce_kernelILb1ELi1024EiPK19rocblas_complex_numIfES1_KPS1_EviiT3_lPKT2_lT1_lS9_lSA_lS6_lPT4_lSA_li: ; @_ZL32rocblas_gemvt_warp_reduce_kernelILb1ELi1024EiPK19rocblas_complex_numIfES1_KPS1_EviiT3_lPKT2_lT1_lS9_lSA_lS6_lPT4_lSA_li
; %bb.0:
	s_load_dwordx2 s[8:9], s[0:1], 0x8
	s_load_dwordx2 s[6:7], s[0:1], 0x58
	s_waitcnt lgkmcnt(0)
	v_cmp_eq_f32_e64 s[10:11], s8, 0
	v_cmp_eq_f32_e64 s[12:13], s9, 0
	s_and_b64 s[10:11], s[10:11], s[12:13]
	v_cmp_eq_f32_e64 s[12:13], s6, 1.0
	v_cmp_eq_f32_e64 s[14:15], s7, 0
	s_and_b64 s[12:13], s[12:13], s[14:15]
	s_and_b64 s[10:11], s[10:11], s[12:13]
	s_and_b64 vcc, exec, s[10:11]
	s_cbranch_vccnz .LBB334_27
; %bb.1:
	s_mov_b32 s4, s3
	s_or_b32 s3, s8, s9
	s_bitset0_b32 s3, 31
	s_cmp_lg_u32 s3, 0
	s_cselect_b64 s[10:11], -1, 0
	s_cmp_eq_u32 s3, 0
	s_cselect_b64 s[14:15], -1, 0
	s_and_b64 vcc, exec, s[10:11]
	s_cbranch_vccnz .LBB334_3
; %bb.2:
	s_mov_b32 s5, 0
	s_mov_b64 s[12:13], 0
	s_cbranch_execz .LBB334_4
	s_branch .LBB334_5
.LBB334_3:
                                        ; implicit-def: $sgpr12_sgpr13
.LBB334_4:
	s_load_dwordx4 s[16:19], s[0:1], 0x18
	s_mov_b32 s5, 0
	s_lshl_b64 s[12:13], s[4:5], 3
	s_waitcnt lgkmcnt(0)
	s_add_u32 s12, s16, s12
	s_addc_u32 s13, s17, s13
	s_load_dwordx2 s[12:13], s[12:13], 0x0
	s_lshl_b64 s[16:17], s[18:19], 3
	s_waitcnt lgkmcnt(0)
	s_add_u32 s12, s12, s16
	s_addc_u32 s13, s13, s17
.LBB334_5:
	s_andn2_b64 vcc, exec, s[10:11]
	s_mov_b64 s[10:11], 0
	s_cbranch_vccnz .LBB334_7
; %bb.6:
	s_load_dwordx4 s[16:19], s[0:1], 0x38
	s_lshl_b64 s[10:11], s[4:5], 3
	s_waitcnt lgkmcnt(0)
	s_add_u32 s10, s16, s10
	s_addc_u32 s11, s17, s11
	s_load_dwordx2 s[10:11], s[10:11], 0x0
	s_lshl_b64 s[16:17], s[18:19], 3
	s_waitcnt lgkmcnt(0)
	s_add_u32 s10, s10, s16
	s_addc_u32 s11, s11, s17
.LBB334_7:
	s_load_dwordx4 s[20:23], s[0:1], 0x68
	s_load_dword s19, s[0:1], 0x78
	s_lshl_b64 s[4:5], s[4:5], 3
	s_mov_b64 s[16:17], -1
	s_waitcnt lgkmcnt(0)
	s_add_u32 s4, s20, s4
	s_addc_u32 s5, s21, s5
	s_load_dwordx2 s[4:5], s[4:5], 0x0
	s_lshl_b64 s[20:21], s[22:23], 3
	s_waitcnt lgkmcnt(0)
	s_add_u32 s3, s4, s20
	s_addc_u32 s18, s5, s21
	s_andn2_b64 vcc, exec, s[14:15]
	v_cmp_eq_u32_e64 s[4:5], 0, v0
	s_cbranch_vccnz .LBB334_13
; %bb.8:
	s_and_saveexec_b64 s[14:15], s[4:5]
	s_cbranch_execz .LBB334_12
; %bb.9:
	v_cmp_neq_f32_e64 s[16:17], s6, 0
	v_cmp_neq_f32_e64 s[20:21], s7, 0
	s_mul_i32 s4, s2, s19
	s_or_b64 s[16:17], s[16:17], s[20:21]
	s_ashr_i32 s5, s4, 31
	v_mov_b32_e32 v1, 0
	s_andn2_b64 vcc, exec, s[16:17]
	v_mov_b32_e32 v2, 0
	v_mov_b32_e32 v3, 0
	s_cbranch_vccnz .LBB334_11
; %bb.10:
	s_lshl_b64 s[16:17], s[4:5], 3
	s_add_u32 s16, s3, s16
	s_addc_u32 s17, s18, s17
	s_load_dwordx2 s[16:17], s[16:17], 0x0
	s_waitcnt lgkmcnt(0)
	v_mov_b64_e32 v[4:5], s[16:17]
	v_pk_mul_f32 v[6:7], s[6:7], v[4:5] op_sel:[0,1]
	s_nop 0
	v_pk_fma_f32 v[2:3], s[6:7], v[4:5], v[6:7] op_sel:[0,0,1] op_sel_hi:[1,1,0] neg_lo:[0,0,1] neg_hi:[0,0,1]
	v_pk_fma_f32 v[4:5], s[6:7], v[4:5], v[6:7] op_sel:[0,0,1] op_sel_hi:[1,0,0]
	s_nop 0
	v_mov_b32_e32 v3, v5
.LBB334_11:
	s_lshl_b64 s[4:5], s[4:5], 3
	s_add_u32 s4, s3, s4
	s_addc_u32 s5, s18, s5
	global_store_dwordx2 v1, v[2:3], s[4:5]
.LBB334_12:
	s_or_b64 exec, exec, s[14:15]
	s_mov_b64 s[16:17], 0
.LBB334_13:
	s_andn2_b64 vcc, exec, s[16:17]
	s_cbranch_vccnz .LBB334_27
; %bb.14:
	s_load_dword s17, s[0:1], 0x0
	s_load_dword s5, s[0:1], 0x28
	;; [unrolled: 1-line block ×3, first 2 shown]
	v_mov_b32_e32 v4, 0
	v_mov_b32_e32 v3, v4
	s_waitcnt lgkmcnt(0)
	v_cmp_gt_i32_e32 vcc, s17, v0
	s_mul_i32 s0, s2, s5
	s_ashr_i32 s1, s0, 31
	s_lshl_b64 s[0:1], s[0:1], 3
	v_cndmask_b32_e32 v1, 0, v0, vcc
	s_add_u32 s0, s0, s12
	v_lshlrev_b32_e32 v2, 3, v1
	s_addc_u32 s1, s1, s13
	v_lshl_add_u64 v[2:3], s[0:1], 0, v[2:3]
	s_ashr_i32 s0, s17, 31
	s_lshr_b32 s0, s0, 22
	s_mov_b32 s4, 0
	s_add_i32 s0, s17, s0
	s_and_b32 s0, s0, 0xfffffc00
	s_mov_b32 s5, s4
	v_cmp_gt_i32_e32 vcc, s0, v0
	v_mov_b64_e32 v[6:7], s[4:5]
	s_and_saveexec_b64 s[4:5], vcc
	s_cbranch_execz .LBB334_18
; %bb.15:
	v_mul_lo_u32 v6, v0, s16
	s_lshl_b32 s1, s16, 10
	s_mov_b64 s[12:13], 0
	s_mov_b64 s[14:15], 0x2000
	v_mov_b64_e32 v[8:9], v[2:3]
	v_mov_b32_e32 v1, v0
	v_mov_b32_e32 v5, v4
.LBB334_16:                             ; =>This Inner Loop Header: Depth=1
	v_ashrrev_i32_e32 v7, 31, v6
	v_lshl_add_u64 v[12:13], v[6:7], 3, s[10:11]
	flat_load_dwordx2 v[10:11], v[8:9]
	v_add_u32_e32 v6, s1, v6
	flat_load_dwordx2 v[12:13], v[12:13]
	v_add_u32_e32 v1, 0x400, v1
	v_cmp_le_i32_e32 vcc, s0, v1
	v_lshl_add_u64 v[8:9], v[8:9], 0, s[14:15]
	s_or_b64 s[12:13], vcc, s[12:13]
	s_waitcnt vmcnt(0) lgkmcnt(0)
	v_mov_b32_e32 v14, v11
	v_pk_mul_f32 v[16:17], v[10:11], v[12:13] op_sel:[0,1] op_sel_hi:[1,0]
	v_pk_mul_f32 v[14:15], v[14:15], v[12:13] op_sel:[0,1] op_sel_hi:[1,0]
	v_mov_b32_e32 v7, v16
	v_pk_fma_f32 v[14:15], v[10:11], v[12:13], v[14:15]
	v_pk_fma_f32 v[10:11], v[10:11], v[12:13], v[6:7] op_sel:[0,1,0] op_sel_hi:[1,0,1] neg_lo:[1,0,0] neg_hi:[1,0,0]
	s_nop 0
	v_mov_b32_e32 v15, v11
	v_pk_add_f32 v[4:5], v[4:5], v[14:15]
	s_andn2_b64 exec, exec, s[12:13]
	s_cbranch_execnz .LBB334_16
; %bb.17:
	s_or_b64 exec, exec, s[12:13]
	v_mov_b64_e32 v[6:7], v[4:5]
.LBB334_18:
	s_or_b64 exec, exec, s[4:5]
	v_or_b32_e32 v1, s0, v0
	v_cmp_gt_i32_e32 vcc, s17, v1
	s_and_saveexec_b64 s[4:5], vcc
	s_cbranch_execz .LBB334_20
; %bb.19:
	v_mul_lo_u32 v4, v1, s16
	s_ashr_i32 s1, s0, 31
	v_ashrrev_i32_e32 v5, 31, v4
	v_lshl_add_u64 v[2:3], s[0:1], 3, v[2:3]
	v_lshl_add_u64 v[4:5], v[4:5], 3, s[10:11]
	flat_load_dwordx2 v[2:3], v[2:3]
	s_nop 0
	flat_load_dwordx2 v[4:5], v[4:5]
	s_waitcnt vmcnt(0) lgkmcnt(0)
	v_pk_mul_f32 v[8:9], v[2:3], v[4:5] op_sel:[1,0]
	s_nop 0
	v_pk_fma_f32 v[10:11], v[2:3], v[4:5], v[8:9] op_sel:[0,0,1] op_sel_hi:[1,1,0]
	v_pk_fma_f32 v[2:3], v[2:3], v[4:5], v[8:9] op_sel:[0,0,1] op_sel_hi:[0,1,0] neg_lo:[0,0,1] neg_hi:[0,0,1]
	v_mov_b32_e32 v11, v3
	v_pk_add_f32 v[6:7], v[6:7], v[10:11]
.LBB334_20:
	s_or_b64 exec, exec, s[4:5]
	v_and_b32_e32 v8, 63, v0
	v_cmp_gt_u32_e32 vcc, 64, v0
	v_lshlrev_b32_e32 v1, 3, v8
	s_and_saveexec_b64 s[0:1], vcc
	s_cbranch_execz .LBB334_22
; %bb.21:
	v_mov_b32_e32 v2, 0
	v_mov_b32_e32 v3, v2
	ds_write_b64 v1, v[2:3]
.LBB334_22:
	s_or_b64 exec, exec, s[0:1]
	v_mbcnt_lo_u32_b32 v2, -1, 0
	v_mbcnt_hi_u32_b32 v10, -1, v2
	v_and_b32_e32 v11, 63, v10
	v_cmp_gt_u32_e64 s[0:1], 32, v11
	s_mov_b32 s4, 0
	s_waitcnt lgkmcnt(0)
	v_cndmask_b32_e64 v2, 0, 1, s[0:1]
	v_lshlrev_b32_e32 v2, 5, v2
	v_add_lshl_u32 v3, v2, v10, 2
	ds_bpermute_b32 v2, v3, v6
	ds_bpermute_b32 v3, v3, v7
	v_cmp_gt_u32_e64 s[0:1], 48, v11
	s_barrier
	s_waitcnt lgkmcnt(0)
	v_cndmask_b32_e64 v4, 0, 1, s[0:1]
	v_lshlrev_b32_e32 v4, 4, v4
	v_add_lshl_u32 v5, v4, v10, 2
	v_pk_add_f32 v[2:3], v[6:7], v[2:3]
	ds_bpermute_b32 v4, v5, v2
	ds_bpermute_b32 v5, v5, v3
	v_cmp_gt_u32_e64 s[0:1], 56, v11
	s_waitcnt lgkmcnt(0)
	v_pk_add_f32 v[2:3], v[2:3], v[4:5]
	v_cndmask_b32_e64 v6, 0, 1, s[0:1]
	v_lshlrev_b32_e32 v6, 3, v6
	v_add_lshl_u32 v6, v6, v10, 2
	ds_bpermute_b32 v4, v6, v2
	ds_bpermute_b32 v5, v6, v3
	v_cmp_gt_u32_e64 s[0:1], 60, v11
	s_waitcnt lgkmcnt(0)
	v_pk_add_f32 v[2:3], v[2:3], v[4:5]
	v_cndmask_b32_e64 v7, 0, 1, s[0:1]
	v_lshlrev_b32_e32 v7, 2, v7
	v_add_lshl_u32 v7, v7, v10, 2
	;; [unrolled: 8-line block ×3, first 2 shown]
	ds_bpermute_b32 v4, v9, v2
	ds_bpermute_b32 v5, v9, v3
	v_cmp_ne_u32_e64 s[0:1], 63, v11
	s_waitcnt lgkmcnt(0)
	v_pk_add_f32 v[2:3], v[2:3], v[4:5]
	v_addc_co_u32_e64 v4, s[0:1], 0, v10, s[0:1]
	v_lshlrev_b32_e32 v10, 2, v4
	ds_bpermute_b32 v4, v10, v2
	ds_bpermute_b32 v5, v10, v3
	v_cmp_eq_u32_e64 s[0:1], 0, v8
	s_and_saveexec_b64 s[10:11], s[0:1]
	s_cbranch_execz .LBB334_24
; %bb.23:
	v_lshrrev_b32_e32 v8, 3, v0
	v_and_b32_e32 v8, 0x78, v8
	s_waitcnt lgkmcnt(0)
	v_pk_add_f32 v[2:3], v[2:3], v[4:5]
	ds_write_b64 v8, v[2:3]
.LBB334_24:
	s_or_b64 exec, exec, s[10:11]
	s_mov_b32 s5, s4
	v_cmp_gt_u32_e64 s[0:1], 16, v0
	v_mov_b64_e32 v[2:3], s[4:5]
	s_waitcnt lgkmcnt(0)
	s_barrier
	s_and_saveexec_b64 s[4:5], s[0:1]
	s_cbranch_execnz .LBB334_28
; %bb.25:
	s_or_b64 exec, exec, s[4:5]
	s_and_saveexec_b64 s[0:1], vcc
	s_cbranch_execnz .LBB334_29
.LBB334_26:
	s_or_b64 exec, exec, s[0:1]
	v_cmp_eq_u32_e32 vcc, 0, v0
	s_and_saveexec_b64 s[0:1], vcc
	s_cbranch_execnz .LBB334_30
.LBB334_27:
	s_endpgm
.LBB334_28:
	ds_read_b64 v[2:3], v1
	s_or_b64 exec, exec, s[4:5]
	s_and_saveexec_b64 s[0:1], vcc
	s_cbranch_execz .LBB334_26
.LBB334_29:
	s_waitcnt lgkmcnt(0)
	ds_bpermute_b32 v4, v6, v2
	ds_bpermute_b32 v5, v6, v3
	s_waitcnt lgkmcnt(0)
	v_pk_add_f32 v[2:3], v[2:3], v[4:5]
	ds_bpermute_b32 v4, v7, v2
	ds_bpermute_b32 v5, v7, v3
	s_waitcnt lgkmcnt(0)
	v_pk_add_f32 v[2:3], v[2:3], v[4:5]
	;; [unrolled: 4-line block ×4, first 2 shown]
	s_or_b64 exec, exec, s[0:1]
	v_cmp_eq_u32_e32 vcc, 0, v0
	s_and_saveexec_b64 s[0:1], vcc
	s_cbranch_execz .LBB334_27
.LBB334_30:
	v_cmp_neq_f32_e64 s[4:5], s6, 0
	v_cmp_neq_f32_e64 s[10:11], s7, 0
	s_waitcnt lgkmcnt(0)
	v_pk_mul_f32 v[4:5], v[2:3], s[8:9] op_sel:[1,0]
	s_mul_i32 s0, s2, s19
	s_or_b64 s[4:5], s[4:5], s[10:11]
	v_pk_fma_f32 v[0:1], v[2:3], s[8:9], v[4:5] op_sel:[0,0,1] op_sel_hi:[0,1,0] neg_lo:[0,0,1] neg_hi:[0,0,1]
	v_pk_fma_f32 v[2:3], v[2:3], s[8:9], v[4:5] op_sel:[0,0,1] op_sel_hi:[0,1,0]
	s_andn2_b64 vcc, exec, s[4:5]
	s_ashr_i32 s1, s0, 31
	s_cbranch_vccnz .LBB334_32
; %bb.31:
	s_lshl_b64 s[4:5], s[0:1], 3
	s_add_u32 s4, s3, s4
	s_addc_u32 s5, s18, s5
	v_mov_b32_e32 v1, 0
	global_load_dwordx2 v[4:5], v1, s[4:5]
	v_mov_b32_e32 v1, v3
	s_waitcnt vmcnt(0)
	v_pk_mul_f32 v[2:3], s[6:7], v[4:5] op_sel:[0,1]
	s_nop 0
	v_pk_fma_f32 v[6:7], s[6:7], v[4:5], v[2:3] op_sel:[0,0,1] op_sel_hi:[1,1,0] neg_lo:[0,0,1] neg_hi:[0,0,1]
	v_pk_fma_f32 v[2:3], s[6:7], v[4:5], v[2:3] op_sel:[0,0,1] op_sel_hi:[1,0,0]
	s_nop 0
	v_mov_b32_e32 v7, v3
	v_pk_add_f32 v[0:1], v[0:1], v[6:7]
	s_nop 0
	v_mov_b32_e32 v3, v1
.LBB334_32:
	s_lshl_b64 s[0:1], s[0:1], 3
	s_add_u32 s0, s3, s0
	s_addc_u32 s1, s18, s1
	v_mov_b32_e32 v2, 0
	v_mov_b32_e32 v1, v3
	global_store_dwordx2 v2, v[0:1], s[0:1]
	s_endpgm
	.section	.rodata,"a",@progbits
	.p2align	6, 0x0
	.amdhsa_kernel _ZL32rocblas_gemvt_warp_reduce_kernelILb1ELi1024EiPK19rocblas_complex_numIfES1_KPS1_EviiT3_lPKT2_lT1_lS9_lSA_lS6_lPT4_lSA_li
		.amdhsa_group_segment_fixed_size 512
		.amdhsa_private_segment_fixed_size 0
		.amdhsa_kernarg_size 140
		.amdhsa_user_sgpr_count 2
		.amdhsa_user_sgpr_dispatch_ptr 0
		.amdhsa_user_sgpr_queue_ptr 0
		.amdhsa_user_sgpr_kernarg_segment_ptr 1
		.amdhsa_user_sgpr_dispatch_id 0
		.amdhsa_user_sgpr_kernarg_preload_length 0
		.amdhsa_user_sgpr_kernarg_preload_offset 0
		.amdhsa_user_sgpr_private_segment_size 0
		.amdhsa_uses_dynamic_stack 0
		.amdhsa_enable_private_segment 0
		.amdhsa_system_sgpr_workgroup_id_x 1
		.amdhsa_system_sgpr_workgroup_id_y 0
		.amdhsa_system_sgpr_workgroup_id_z 1
		.amdhsa_system_sgpr_workgroup_info 0
		.amdhsa_system_vgpr_workitem_id 0
		.amdhsa_next_free_vgpr 18
		.amdhsa_next_free_sgpr 24
		.amdhsa_accum_offset 20
		.amdhsa_reserve_vcc 1
		.amdhsa_float_round_mode_32 0
		.amdhsa_float_round_mode_16_64 0
		.amdhsa_float_denorm_mode_32 3
		.amdhsa_float_denorm_mode_16_64 3
		.amdhsa_dx10_clamp 1
		.amdhsa_ieee_mode 1
		.amdhsa_fp16_overflow 0
		.amdhsa_tg_split 0
		.amdhsa_exception_fp_ieee_invalid_op 0
		.amdhsa_exception_fp_denorm_src 0
		.amdhsa_exception_fp_ieee_div_zero 0
		.amdhsa_exception_fp_ieee_overflow 0
		.amdhsa_exception_fp_ieee_underflow 0
		.amdhsa_exception_fp_ieee_inexact 0
		.amdhsa_exception_int_div_zero 0
	.end_amdhsa_kernel
	.section	.text._ZL32rocblas_gemvt_warp_reduce_kernelILb1ELi1024EiPK19rocblas_complex_numIfES1_KPS1_EviiT3_lPKT2_lT1_lS9_lSA_lS6_lPT4_lSA_li,"axG",@progbits,_ZL32rocblas_gemvt_warp_reduce_kernelILb1ELi1024EiPK19rocblas_complex_numIfES1_KPS1_EviiT3_lPKT2_lT1_lS9_lSA_lS6_lPT4_lSA_li,comdat
.Lfunc_end334:
	.size	_ZL32rocblas_gemvt_warp_reduce_kernelILb1ELi1024EiPK19rocblas_complex_numIfES1_KPS1_EviiT3_lPKT2_lT1_lS9_lSA_lS6_lPT4_lSA_li, .Lfunc_end334-_ZL32rocblas_gemvt_warp_reduce_kernelILb1ELi1024EiPK19rocblas_complex_numIfES1_KPS1_EviiT3_lPKT2_lT1_lS9_lSA_lS6_lPT4_lSA_li
                                        ; -- End function
	.section	.AMDGPU.csdata,"",@progbits
; Kernel info:
; codeLenInByte = 1712
; NumSgprs: 30
; NumVgprs: 18
; NumAgprs: 0
; TotalNumVgprs: 18
; ScratchSize: 0
; MemoryBound: 0
; FloatMode: 240
; IeeeMode: 1
; LDSByteSize: 512 bytes/workgroup (compile time only)
; SGPRBlocks: 3
; VGPRBlocks: 2
; NumSGPRsForWavesPerEU: 30
; NumVGPRsForWavesPerEU: 18
; AccumOffset: 20
; Occupancy: 8
; WaveLimiterHint : 1
; COMPUTE_PGM_RSRC2:SCRATCH_EN: 0
; COMPUTE_PGM_RSRC2:USER_SGPR: 2
; COMPUTE_PGM_RSRC2:TRAP_HANDLER: 0
; COMPUTE_PGM_RSRC2:TGID_X_EN: 1
; COMPUTE_PGM_RSRC2:TGID_Y_EN: 0
; COMPUTE_PGM_RSRC2:TGID_Z_EN: 1
; COMPUTE_PGM_RSRC2:TIDIG_COMP_CNT: 0
; COMPUTE_PGM_RSRC3_GFX90A:ACCUM_OFFSET: 4
; COMPUTE_PGM_RSRC3_GFX90A:TG_SPLIT: 0
	.section	.text._ZL32rocblas_gemvt_warp_reduce_kernelILb1ELi1024ElPK19rocblas_complex_numIfES1_KPS1_EviiT3_lPKT2_lT1_lS9_lSA_lS6_lPT4_lSA_li,"axG",@progbits,_ZL32rocblas_gemvt_warp_reduce_kernelILb1ELi1024ElPK19rocblas_complex_numIfES1_KPS1_EviiT3_lPKT2_lT1_lS9_lSA_lS6_lPT4_lSA_li,comdat
	.globl	_ZL32rocblas_gemvt_warp_reduce_kernelILb1ELi1024ElPK19rocblas_complex_numIfES1_KPS1_EviiT3_lPKT2_lT1_lS9_lSA_lS6_lPT4_lSA_li ; -- Begin function _ZL32rocblas_gemvt_warp_reduce_kernelILb1ELi1024ElPK19rocblas_complex_numIfES1_KPS1_EviiT3_lPKT2_lT1_lS9_lSA_lS6_lPT4_lSA_li
	.p2align	8
	.type	_ZL32rocblas_gemvt_warp_reduce_kernelILb1ELi1024ElPK19rocblas_complex_numIfES1_KPS1_EviiT3_lPKT2_lT1_lS9_lSA_lS6_lPT4_lSA_li,@function
_ZL32rocblas_gemvt_warp_reduce_kernelILb1ELi1024ElPK19rocblas_complex_numIfES1_KPS1_EviiT3_lPKT2_lT1_lS9_lSA_lS6_lPT4_lSA_li: ; @_ZL32rocblas_gemvt_warp_reduce_kernelILb1ELi1024ElPK19rocblas_complex_numIfES1_KPS1_EviiT3_lPKT2_lT1_lS9_lSA_lS6_lPT4_lSA_li
; %bb.0:
	s_load_dwordx2 s[10:11], s[0:1], 0x8
	s_load_dwordx2 s[8:9], s[0:1], 0x58
	s_waitcnt lgkmcnt(0)
	v_cmp_eq_f32_e64 s[4:5], s10, 0
	v_cmp_eq_f32_e64 s[6:7], s11, 0
	s_and_b64 s[4:5], s[4:5], s[6:7]
	v_cmp_eq_f32_e64 s[6:7], s8, 1.0
	v_cmp_eq_f32_e64 s[12:13], s9, 0
	s_and_b64 s[6:7], s[6:7], s[12:13]
	s_and_b64 s[4:5], s[4:5], s[6:7]
	s_and_b64 vcc, exec, s[4:5]
	s_cbranch_vccnz .LBB335_27
; %bb.1:
	s_mov_b32 s20, s3
	s_load_dwordx4 s[4:7], s[0:1], 0x18
	s_load_dwordx2 s[16:17], s[0:1], 0x28
	s_or_b32 s3, s10, s11
	s_bitset0_b32 s3, 31
	s_cmp_lg_u32 s3, 0
	s_cselect_b64 s[14:15], -1, 0
	s_cmp_eq_u32 s3, 0
	s_cselect_b64 s[22:23], -1, 0
	s_and_b64 vcc, exec, s[14:15]
	s_cbranch_vccnz .LBB335_3
; %bb.2:
	s_mov_b32 s21, 0
	s_mov_b64 s[18:19], 0
	s_cbranch_execz .LBB335_4
	s_branch .LBB335_5
.LBB335_3:
                                        ; implicit-def: $sgpr18_sgpr19
.LBB335_4:
	s_mov_b32 s21, 0
	s_lshl_b64 s[12:13], s[20:21], 3
	s_waitcnt lgkmcnt(0)
	s_add_u32 s4, s4, s12
	s_addc_u32 s5, s5, s13
	s_load_dwordx2 s[4:5], s[4:5], 0x0
	s_lshl_b64 s[6:7], s[6:7], 3
	s_waitcnt lgkmcnt(0)
	s_add_u32 s18, s4, s6
	s_addc_u32 s19, s5, s7
.LBB335_5:
	s_waitcnt lgkmcnt(0)
	s_load_dwordx4 s[4:7], s[0:1], 0x38
	s_load_dwordx2 s[12:13], s[0:1], 0x48
	s_andn2_b64 vcc, exec, s[14:15]
	s_mov_b64 s[14:15], 0
	s_cbranch_vccnz .LBB335_7
; %bb.6:
	s_lshl_b64 s[14:15], s[20:21], 3
	s_waitcnt lgkmcnt(0)
	s_add_u32 s4, s4, s14
	s_addc_u32 s5, s5, s15
	s_load_dwordx2 s[4:5], s[4:5], 0x0
	s_lshl_b64 s[6:7], s[6:7], 3
	s_waitcnt lgkmcnt(0)
	s_add_u32 s14, s4, s6
	s_addc_u32 s15, s5, s7
.LBB335_7:
	s_load_dwordx4 s[24:27], s[0:1], 0x68
	s_waitcnt lgkmcnt(0)
	s_load_dwordx2 s[6:7], s[0:1], 0x78
	s_lshl_b64 s[4:5], s[20:21], 3
	s_mov_b64 s[20:21], -1
	s_add_u32 s4, s24, s4
	s_addc_u32 s5, s25, s5
	s_load_dwordx2 s[4:5], s[4:5], 0x0
	s_lshl_b64 s[24:25], s[26:27], 3
	s_waitcnt lgkmcnt(0)
	s_add_u32 s3, s4, s24
	s_addc_u32 s24, s5, s25
	s_andn2_b64 vcc, exec, s[22:23]
	v_cmp_eq_u32_e64 s[4:5], 0, v0
	s_cbranch_vccnz .LBB335_13
; %bb.8:
	s_and_saveexec_b64 s[20:21], s[4:5]
	s_cbranch_execz .LBB335_12
; %bb.9:
	v_cmp_neq_f32_e64 s[22:23], s8, 0
	v_cmp_neq_f32_e64 s[26:27], s9, 0
	s_ashr_i32 s4, s2, 31
	s_mul_i32 s5, s2, s7
	s_mul_hi_u32 s25, s2, s6
	s_add_i32 s5, s25, s5
	s_mul_i32 s4, s4, s6
	s_or_b64 s[22:23], s[22:23], s[26:27]
	s_add_i32 s5, s5, s4
	s_mul_i32 s4, s2, s6
	v_mov_b32_e32 v1, 0
	s_andn2_b64 vcc, exec, s[22:23]
	v_mov_b32_e32 v2, 0
	v_mov_b32_e32 v3, 0
	s_cbranch_vccnz .LBB335_11
; %bb.10:
	s_lshl_b64 s[22:23], s[4:5], 3
	s_add_u32 s22, s3, s22
	s_addc_u32 s23, s24, s23
	s_load_dwordx2 s[22:23], s[22:23], 0x0
	s_waitcnt lgkmcnt(0)
	v_mov_b64_e32 v[4:5], s[22:23]
	v_pk_mul_f32 v[6:7], s[8:9], v[4:5] op_sel:[0,1]
	s_nop 0
	v_pk_fma_f32 v[2:3], s[8:9], v[4:5], v[6:7] op_sel:[0,0,1] op_sel_hi:[1,1,0] neg_lo:[0,0,1] neg_hi:[0,0,1]
	v_pk_fma_f32 v[4:5], s[8:9], v[4:5], v[6:7] op_sel:[0,0,1] op_sel_hi:[1,0,0]
	s_nop 0
	v_mov_b32_e32 v3, v5
.LBB335_11:
	s_lshl_b64 s[4:5], s[4:5], 3
	s_add_u32 s4, s3, s4
	s_addc_u32 s5, s24, s5
	global_store_dwordx2 v1, v[2:3], s[4:5]
.LBB335_12:
	s_or_b64 exec, exec, s[20:21]
	s_mov_b64 s[20:21], 0
.LBB335_13:
	s_andn2_b64 vcc, exec, s[20:21]
	s_cbranch_vccnz .LBB335_27
; %bb.14:
	s_load_dword s1, s[0:1], 0x0
	s_ashr_i32 s22, s2, 31
	s_mul_i32 s0, s2, s17
	s_mul_hi_u32 s5, s2, s16
	s_add_i32 s0, s5, s0
	s_mul_i32 s5, s22, s16
	s_add_i32 s17, s0, s5
	s_mul_i32 s16, s2, s16
	s_lshl_b64 s[16:17], s[16:17], 3
	s_add_u32 s16, s16, s18
	s_addc_u32 s17, s17, s19
	s_waitcnt lgkmcnt(0)
	s_ashr_i32 s0, s1, 31
	v_cmp_gt_i32_e32 vcc, s1, v0
	s_lshr_b32 s0, s0, 22
	s_mov_b32 s4, 0
	v_mov_b32_e32 v2, 0
	v_cndmask_b32_e32 v1, 0, v0, vcc
	s_add_i32 s0, s1, s0
	v_mov_b32_e32 v5, v2
	v_lshlrev_b32_e32 v4, 3, v1
	s_and_b32 s0, s0, 0xfffffc00
	s_mov_b32 s5, s4
	v_lshl_add_u64 v[4:5], s[16:17], 0, v[4:5]
	v_cmp_gt_i32_e32 vcc, s0, v0
	v_mov_b64_e32 v[6:7], s[4:5]
	s_and_saveexec_b64 s[4:5], vcc
	s_cbranch_execz .LBB335_18
; %bb.15:
	v_mad_u64_u32 v[6:7], s[16:17], s12, v0, 0
	v_mov_b32_e32 v8, v7
	v_mad_u64_u32 v[8:9], s[16:17], s13, v0, v[8:9]
	v_mov_b32_e32 v7, v8
	v_lshl_add_u64 v[6:7], v[6:7], 3, s[14:15]
	s_lshl_b64 s[18:19], s[12:13], 13
	s_mov_b64 s[16:17], 0
	s_mov_b64 s[20:21], 0x2000
	v_mov_b64_e32 v[8:9], v[4:5]
	v_mov_b32_e32 v1, v0
	v_mov_b32_e32 v3, v2
.LBB335_16:                             ; =>This Inner Loop Header: Depth=1
	flat_load_dwordx2 v[10:11], v[8:9]
	flat_load_dwordx2 v[12:13], v[6:7]
	v_add_u32_e32 v1, 0x400, v1
	v_cmp_le_i32_e32 vcc, s0, v1
	v_lshl_add_u64 v[8:9], v[8:9], 0, s[20:21]
	v_lshl_add_u64 v[6:7], v[6:7], 0, s[18:19]
	s_or_b64 s[16:17], vcc, s[16:17]
	s_waitcnt vmcnt(0) lgkmcnt(0)
	v_mov_b32_e32 v14, v11
	v_pk_mul_f32 v[16:17], v[10:11], v[12:13] op_sel:[0,1] op_sel_hi:[1,0]
	v_pk_mul_f32 v[14:15], v[14:15], v[12:13] op_sel:[0,1] op_sel_hi:[1,0]
	v_mov_b32_e32 v17, v16
	v_pk_fma_f32 v[14:15], v[10:11], v[12:13], v[14:15]
	v_pk_fma_f32 v[10:11], v[10:11], v[12:13], v[16:17] op_sel:[0,1,0] op_sel_hi:[1,0,1] neg_lo:[1,0,0] neg_hi:[1,0,0]
	s_nop 0
	v_mov_b32_e32 v15, v11
	v_pk_add_f32 v[2:3], v[2:3], v[14:15]
	s_andn2_b64 exec, exec, s[16:17]
	s_cbranch_execnz .LBB335_16
; %bb.17:
	s_or_b64 exec, exec, s[16:17]
	v_mov_b64_e32 v[6:7], v[2:3]
.LBB335_18:
	s_or_b64 exec, exec, s[4:5]
	v_or_b32_e32 v1, s0, v0
	v_cmp_gt_i32_e32 vcc, s1, v1
	s_and_saveexec_b64 s[4:5], vcc
	s_cbranch_execz .LBB335_20
; %bb.19:
	s_ashr_i32 s1, s0, 31
	v_lshl_add_u64 v[2:3], s[0:1], 3, v[4:5]
	v_ashrrev_i32_e32 v4, 31, v1
	v_mul_lo_u32 v8, v1, s13
	v_mul_lo_u32 v9, v4, s12
	v_mad_u64_u32 v[4:5], s[0:1], v1, s12, 0
	v_add3_u32 v5, v5, v8, v9
	v_lshl_add_u64 v[4:5], v[4:5], 3, s[14:15]
	flat_load_dwordx2 v[2:3], v[2:3]
	s_nop 0
	flat_load_dwordx2 v[4:5], v[4:5]
	s_waitcnt vmcnt(0) lgkmcnt(0)
	v_pk_mul_f32 v[8:9], v[2:3], v[4:5] op_sel:[1,0]
	s_nop 0
	v_pk_fma_f32 v[10:11], v[2:3], v[4:5], v[8:9] op_sel:[0,0,1] op_sel_hi:[1,1,0]
	v_pk_fma_f32 v[2:3], v[2:3], v[4:5], v[8:9] op_sel:[0,0,1] op_sel_hi:[0,1,0] neg_lo:[0,0,1] neg_hi:[0,0,1]
	v_mov_b32_e32 v11, v3
	v_pk_add_f32 v[6:7], v[6:7], v[10:11]
.LBB335_20:
	s_or_b64 exec, exec, s[4:5]
	v_and_b32_e32 v8, 63, v0
	v_cmp_gt_u32_e32 vcc, 64, v0
	v_lshlrev_b32_e32 v1, 3, v8
	s_and_saveexec_b64 s[0:1], vcc
	s_cbranch_execz .LBB335_22
; %bb.21:
	v_mov_b32_e32 v2, 0
	v_mov_b32_e32 v3, v2
	ds_write_b64 v1, v[2:3]
.LBB335_22:
	s_or_b64 exec, exec, s[0:1]
	v_mbcnt_lo_u32_b32 v2, -1, 0
	v_mbcnt_hi_u32_b32 v10, -1, v2
	v_and_b32_e32 v11, 63, v10
	v_cmp_gt_u32_e64 s[0:1], 32, v11
	s_mov_b32 s4, 0
	s_waitcnt lgkmcnt(0)
	v_cndmask_b32_e64 v2, 0, 1, s[0:1]
	v_lshlrev_b32_e32 v2, 5, v2
	v_add_lshl_u32 v3, v2, v10, 2
	ds_bpermute_b32 v2, v3, v6
	ds_bpermute_b32 v3, v3, v7
	v_cmp_gt_u32_e64 s[0:1], 48, v11
	s_barrier
	s_waitcnt lgkmcnt(0)
	v_cndmask_b32_e64 v4, 0, 1, s[0:1]
	v_lshlrev_b32_e32 v4, 4, v4
	v_add_lshl_u32 v5, v4, v10, 2
	v_pk_add_f32 v[2:3], v[6:7], v[2:3]
	ds_bpermute_b32 v4, v5, v2
	ds_bpermute_b32 v5, v5, v3
	v_cmp_gt_u32_e64 s[0:1], 56, v11
	s_waitcnt lgkmcnt(0)
	v_pk_add_f32 v[2:3], v[2:3], v[4:5]
	v_cndmask_b32_e64 v6, 0, 1, s[0:1]
	v_lshlrev_b32_e32 v6, 3, v6
	v_add_lshl_u32 v6, v6, v10, 2
	ds_bpermute_b32 v4, v6, v2
	ds_bpermute_b32 v5, v6, v3
	v_cmp_gt_u32_e64 s[0:1], 60, v11
	s_waitcnt lgkmcnt(0)
	v_pk_add_f32 v[2:3], v[2:3], v[4:5]
	v_cndmask_b32_e64 v7, 0, 1, s[0:1]
	v_lshlrev_b32_e32 v7, 2, v7
	v_add_lshl_u32 v7, v7, v10, 2
	;; [unrolled: 8-line block ×3, first 2 shown]
	ds_bpermute_b32 v4, v9, v2
	ds_bpermute_b32 v5, v9, v3
	v_cmp_ne_u32_e64 s[0:1], 63, v11
	s_waitcnt lgkmcnt(0)
	v_pk_add_f32 v[2:3], v[2:3], v[4:5]
	v_addc_co_u32_e64 v4, s[0:1], 0, v10, s[0:1]
	v_lshlrev_b32_e32 v10, 2, v4
	ds_bpermute_b32 v4, v10, v2
	ds_bpermute_b32 v5, v10, v3
	v_cmp_eq_u32_e64 s[0:1], 0, v8
	s_and_saveexec_b64 s[12:13], s[0:1]
	s_cbranch_execz .LBB335_24
; %bb.23:
	v_lshrrev_b32_e32 v8, 3, v0
	v_and_b32_e32 v8, 0x78, v8
	s_waitcnt lgkmcnt(0)
	v_pk_add_f32 v[2:3], v[2:3], v[4:5]
	ds_write_b64 v8, v[2:3]
.LBB335_24:
	s_or_b64 exec, exec, s[12:13]
	s_mov_b32 s5, s4
	v_cmp_gt_u32_e64 s[0:1], 16, v0
	v_mov_b64_e32 v[2:3], s[4:5]
	s_waitcnt lgkmcnt(0)
	s_barrier
	s_and_saveexec_b64 s[4:5], s[0:1]
	s_cbranch_execnz .LBB335_28
; %bb.25:
	s_or_b64 exec, exec, s[4:5]
	s_and_saveexec_b64 s[0:1], vcc
	s_cbranch_execnz .LBB335_29
.LBB335_26:
	s_or_b64 exec, exec, s[0:1]
	v_cmp_eq_u32_e32 vcc, 0, v0
	s_and_saveexec_b64 s[0:1], vcc
	s_cbranch_execnz .LBB335_30
.LBB335_27:
	s_endpgm
.LBB335_28:
	ds_read_b64 v[2:3], v1
	s_or_b64 exec, exec, s[4:5]
	s_and_saveexec_b64 s[0:1], vcc
	s_cbranch_execz .LBB335_26
.LBB335_29:
	s_waitcnt lgkmcnt(0)
	ds_bpermute_b32 v4, v6, v2
	ds_bpermute_b32 v5, v6, v3
	s_waitcnt lgkmcnt(0)
	v_pk_add_f32 v[2:3], v[2:3], v[4:5]
	ds_bpermute_b32 v4, v7, v2
	ds_bpermute_b32 v5, v7, v3
	s_waitcnt lgkmcnt(0)
	v_pk_add_f32 v[2:3], v[2:3], v[4:5]
	ds_bpermute_b32 v4, v9, v2
	ds_bpermute_b32 v5, v9, v3
	s_waitcnt lgkmcnt(0)
	v_pk_add_f32 v[2:3], v[2:3], v[4:5]
	ds_bpermute_b32 v4, v10, v2
	ds_bpermute_b32 v5, v10, v3
	s_waitcnt lgkmcnt(0)
	v_pk_add_f32 v[2:3], v[2:3], v[4:5]
	s_or_b64 exec, exec, s[0:1]
	v_cmp_eq_u32_e32 vcc, 0, v0
	s_and_saveexec_b64 s[0:1], vcc
	s_cbranch_execz .LBB335_27
.LBB335_30:
	v_cmp_neq_f32_e64 s[4:5], s8, 0
	v_cmp_neq_f32_e64 s[12:13], s9, 0
	s_mul_i32 s0, s2, s7
	s_mul_hi_u32 s1, s2, s6
	s_waitcnt lgkmcnt(0)
	v_pk_mul_f32 v[4:5], v[2:3], s[10:11] op_sel:[1,0]
	s_add_i32 s0, s1, s0
	s_mul_i32 s1, s22, s6
	s_or_b64 s[4:5], s[4:5], s[12:13]
	v_pk_fma_f32 v[0:1], v[2:3], s[10:11], v[4:5] op_sel:[0,0,1] op_sel_hi:[0,1,0] neg_lo:[0,0,1] neg_hi:[0,0,1]
	v_pk_fma_f32 v[2:3], v[2:3], s[10:11], v[4:5] op_sel:[0,0,1] op_sel_hi:[0,1,0]
	s_add_i32 s1, s0, s1
	s_andn2_b64 vcc, exec, s[4:5]
	s_mul_i32 s0, s2, s6
	s_cbranch_vccnz .LBB335_32
; %bb.31:
	s_lshl_b64 s[4:5], s[0:1], 3
	s_add_u32 s4, s3, s4
	s_addc_u32 s5, s24, s5
	v_mov_b32_e32 v1, 0
	global_load_dwordx2 v[4:5], v1, s[4:5]
	v_mov_b32_e32 v1, v3
	s_waitcnt vmcnt(0)
	v_pk_mul_f32 v[2:3], s[8:9], v[4:5] op_sel:[0,1]
	s_nop 0
	v_pk_fma_f32 v[6:7], s[8:9], v[4:5], v[2:3] op_sel:[0,0,1] op_sel_hi:[1,1,0] neg_lo:[0,0,1] neg_hi:[0,0,1]
	v_pk_fma_f32 v[2:3], s[8:9], v[4:5], v[2:3] op_sel:[0,0,1] op_sel_hi:[1,0,0]
	s_nop 0
	v_mov_b32_e32 v7, v3
	v_pk_add_f32 v[0:1], v[0:1], v[6:7]
	s_nop 0
	v_mov_b32_e32 v3, v1
.LBB335_32:
	s_lshl_b64 s[0:1], s[0:1], 3
	s_add_u32 s0, s3, s0
	s_addc_u32 s1, s24, s1
	v_mov_b32_e32 v2, 0
	v_mov_b32_e32 v1, v3
	global_store_dwordx2 v2, v[0:1], s[0:1]
	s_endpgm
	.section	.rodata,"a",@progbits
	.p2align	6, 0x0
	.amdhsa_kernel _ZL32rocblas_gemvt_warp_reduce_kernelILb1ELi1024ElPK19rocblas_complex_numIfES1_KPS1_EviiT3_lPKT2_lT1_lS9_lSA_lS6_lPT4_lSA_li
		.amdhsa_group_segment_fixed_size 512
		.amdhsa_private_segment_fixed_size 0
		.amdhsa_kernarg_size 140
		.amdhsa_user_sgpr_count 2
		.amdhsa_user_sgpr_dispatch_ptr 0
		.amdhsa_user_sgpr_queue_ptr 0
		.amdhsa_user_sgpr_kernarg_segment_ptr 1
		.amdhsa_user_sgpr_dispatch_id 0
		.amdhsa_user_sgpr_kernarg_preload_length 0
		.amdhsa_user_sgpr_kernarg_preload_offset 0
		.amdhsa_user_sgpr_private_segment_size 0
		.amdhsa_uses_dynamic_stack 0
		.amdhsa_enable_private_segment 0
		.amdhsa_system_sgpr_workgroup_id_x 1
		.amdhsa_system_sgpr_workgroup_id_y 0
		.amdhsa_system_sgpr_workgroup_id_z 1
		.amdhsa_system_sgpr_workgroup_info 0
		.amdhsa_system_vgpr_workitem_id 0
		.amdhsa_next_free_vgpr 18
		.amdhsa_next_free_sgpr 28
		.amdhsa_accum_offset 20
		.amdhsa_reserve_vcc 1
		.amdhsa_float_round_mode_32 0
		.amdhsa_float_round_mode_16_64 0
		.amdhsa_float_denorm_mode_32 3
		.amdhsa_float_denorm_mode_16_64 3
		.amdhsa_dx10_clamp 1
		.amdhsa_ieee_mode 1
		.amdhsa_fp16_overflow 0
		.amdhsa_tg_split 0
		.amdhsa_exception_fp_ieee_invalid_op 0
		.amdhsa_exception_fp_denorm_src 0
		.amdhsa_exception_fp_ieee_div_zero 0
		.amdhsa_exception_fp_ieee_overflow 0
		.amdhsa_exception_fp_ieee_underflow 0
		.amdhsa_exception_fp_ieee_inexact 0
		.amdhsa_exception_int_div_zero 0
	.end_amdhsa_kernel
	.section	.text._ZL32rocblas_gemvt_warp_reduce_kernelILb1ELi1024ElPK19rocblas_complex_numIfES1_KPS1_EviiT3_lPKT2_lT1_lS9_lSA_lS6_lPT4_lSA_li,"axG",@progbits,_ZL32rocblas_gemvt_warp_reduce_kernelILb1ELi1024ElPK19rocblas_complex_numIfES1_KPS1_EviiT3_lPKT2_lT1_lS9_lSA_lS6_lPT4_lSA_li,comdat
.Lfunc_end335:
	.size	_ZL32rocblas_gemvt_warp_reduce_kernelILb1ELi1024ElPK19rocblas_complex_numIfES1_KPS1_EviiT3_lPKT2_lT1_lS9_lSA_lS6_lPT4_lSA_li, .Lfunc_end335-_ZL32rocblas_gemvt_warp_reduce_kernelILb1ELi1024ElPK19rocblas_complex_numIfES1_KPS1_EviiT3_lPKT2_lT1_lS9_lSA_lS6_lPT4_lSA_li
                                        ; -- End function
	.section	.AMDGPU.csdata,"",@progbits
; Kernel info:
; codeLenInByte = 1812
; NumSgprs: 34
; NumVgprs: 18
; NumAgprs: 0
; TotalNumVgprs: 18
; ScratchSize: 0
; MemoryBound: 0
; FloatMode: 240
; IeeeMode: 1
; LDSByteSize: 512 bytes/workgroup (compile time only)
; SGPRBlocks: 4
; VGPRBlocks: 2
; NumSGPRsForWavesPerEU: 34
; NumVGPRsForWavesPerEU: 18
; AccumOffset: 20
; Occupancy: 8
; WaveLimiterHint : 1
; COMPUTE_PGM_RSRC2:SCRATCH_EN: 0
; COMPUTE_PGM_RSRC2:USER_SGPR: 2
; COMPUTE_PGM_RSRC2:TRAP_HANDLER: 0
; COMPUTE_PGM_RSRC2:TGID_X_EN: 1
; COMPUTE_PGM_RSRC2:TGID_Y_EN: 0
; COMPUTE_PGM_RSRC2:TGID_Z_EN: 1
; COMPUTE_PGM_RSRC2:TIDIG_COMP_CNT: 0
; COMPUTE_PGM_RSRC3_GFX90A:ACCUM_OFFSET: 4
; COMPUTE_PGM_RSRC3_GFX90A:TG_SPLIT: 0
	.section	.text._ZL34rocblas_gemvn_sm_mn_batched_kernelILi32ELi24EPK19rocblas_complex_numIdES3_KPS1_EviiT2_lPKT1_lilS9_lilS6_lPT3_lili,"axG",@progbits,_ZL34rocblas_gemvn_sm_mn_batched_kernelILi32ELi24EPK19rocblas_complex_numIdES3_KPS1_EviiT2_lPKT1_lilS9_lilS6_lPT3_lili,comdat
	.globl	_ZL34rocblas_gemvn_sm_mn_batched_kernelILi32ELi24EPK19rocblas_complex_numIdES3_KPS1_EviiT2_lPKT1_lilS9_lilS6_lPT3_lili ; -- Begin function _ZL34rocblas_gemvn_sm_mn_batched_kernelILi32ELi24EPK19rocblas_complex_numIdES3_KPS1_EviiT2_lPKT1_lilS9_lilS6_lPT3_lili
	.p2align	8
	.type	_ZL34rocblas_gemvn_sm_mn_batched_kernelILi32ELi24EPK19rocblas_complex_numIdES3_KPS1_EviiT2_lPKT1_lilS9_lilS6_lPT3_lili,@function
_ZL34rocblas_gemvn_sm_mn_batched_kernelILi32ELi24EPK19rocblas_complex_numIdES3_KPS1_EviiT2_lPKT1_lilS9_lilS6_lPT3_lili: ; @_ZL34rocblas_gemvn_sm_mn_batched_kernelILi32ELi24EPK19rocblas_complex_numIdES3_KPS1_EviiT2_lPKT1_lilS9_lilS6_lPT3_lili
; %bb.0:
	s_load_dword s3, s[0:1], 0x9c
	s_load_dword s4, s[0:1], 0x88
	v_bfe_u32 v1, v0, 10, 10
	s_waitcnt lgkmcnt(0)
	s_lshr_b32 s3, s3, 16
	s_mul_i32 s2, s2, s3
	v_add_u32_e32 v12, s2, v1
	v_cmp_gt_i32_e32 vcc, s4, v12
	s_and_saveexec_b64 s[2:3], vcc
	s_cbranch_execz .LBB336_4
; %bb.1:
	s_load_dwordx8 s[12:19], s[0:1], 0x8
	s_load_dwordx8 s[4:11], s[0:1], 0x58
	v_mov_b32_e32 v13, 0
	s_waitcnt lgkmcnt(0)
	v_mad_u64_u32 v[6:7], s[2:3], v12, s14, 0
	v_mov_b32_e32 v8, v7
	v_mad_u64_u32 v[8:9], s[2:3], v12, s15, v[8:9]
	v_mov_b32_e32 v2, s12
	v_mov_b32_e32 v3, s13
	v_mov_b32_e32 v7, v8
	v_lshl_add_u64 v[2:3], v[6:7], 4, v[2:3]
	global_load_dwordx4 v[6:9], v[2:3], off
	v_mad_u64_u32 v[2:3], s[2:3], v12, s6, 0
	v_mov_b32_e32 v10, v3
	v_mad_u64_u32 v[10:11], s[2:3], v12, s7, v[10:11]
	v_mov_b32_e32 v4, s4
	v_mov_b32_e32 v5, s5
	;; [unrolled: 1-line block ×3, first 2 shown]
	v_lshl_add_u64 v[2:3], v[2:3], 4, v[4:5]
	global_load_dwordx4 v[2:5], v[2:3], off
	s_mov_b64 s[12:13], 0
                                        ; implicit-def: $sgpr14_sgpr15
	s_waitcnt vmcnt(1)
	v_cmp_neq_f64_e32 vcc, 0, v[6:7]
	v_cmp_neq_f64_e64 s[2:3], 0, v[8:9]
	s_or_b64 s[4:5], vcc, s[2:3]
	s_xor_b64 s[6:7], s[4:5], -1
	s_and_saveexec_b64 s[2:3], s[6:7]
	s_xor_b64 s[20:21], exec, s[2:3]
	s_cbranch_execnz .LBB336_5
; %bb.2:
	s_or_saveexec_b64 s[2:3], s[20:21]
	v_mov_b64_e32 v[10:11], s[14:15]
	s_xor_b64 exec, exec, s[2:3]
	s_cbranch_execnz .LBB336_6
.LBB336_3:
	s_or_b64 exec, exec, s[2:3]
	s_and_b64 exec, exec, s[12:13]
	s_cbranch_execnz .LBB336_7
.LBB336_4:
	s_endpgm
.LBB336_5:
	s_waitcnt vmcnt(0)
	v_cmp_neq_f64_e32 vcc, 1.0, v[2:3]
	v_cmp_neq_f64_e64 s[2:3], 0, v[4:5]
	s_or_b64 s[2:3], vcc, s[2:3]
	s_mov_b64 s[14:15], 0
	s_and_b64 s[12:13], s[2:3], exec
	s_or_saveexec_b64 s[2:3], s[20:21]
	v_mov_b64_e32 v[10:11], s[14:15]
	s_xor_b64 exec, exec, s[2:3]
	s_cbranch_execz .LBB336_3
.LBB336_6:
	v_mov_b32_e32 v10, s16
	v_mov_b32_e32 v11, s17
	v_lshl_add_u64 v[10:11], v[12:13], 3, v[10:11]
	global_load_dwordx2 v[10:11], v[10:11], off
	s_or_b64 s[12:13], s[12:13], exec
	s_waitcnt vmcnt(0)
	v_lshl_add_u64 v[10:11], s[18:19], 4, v[10:11]
	s_or_b64 exec, exec, s[2:3]
	s_and_b64 exec, exec, s[12:13]
	s_cbranch_execz .LBB336_4
.LBB336_7:
	v_mov_b64_e32 v[14:15], 0
	s_and_saveexec_b64 s[2:3], s[4:5]
	s_cbranch_execz .LBB336_9
; %bb.8:
	s_load_dwordx4 s[12:15], s[0:1], 0x38
	s_waitcnt lgkmcnt(0)
	v_mov_b32_e32 v14, s12
	v_mov_b32_e32 v15, s13
	v_lshl_add_u64 v[14:15], v[12:13], 3, v[14:15]
	global_load_dwordx2 v[14:15], v[14:15], off
	s_waitcnt vmcnt(0)
	v_lshl_add_u64 v[14:15], s[14:15], 4, v[14:15]
.LBB336_9:
	s_or_b64 exec, exec, s[2:3]
	v_mov_b32_e32 v16, s8
	v_mov_b32_e32 v17, s9
	v_lshl_add_u64 v[12:13], v[12:13], 3, v[16:17]
	global_load_dwordx2 v[12:13], v[12:13], off
	s_load_dwordx2 s[4:5], s[0:1], 0x0
	s_load_dword s33, s[0:1], 0x78
	v_and_b32_e32 v140, 0x3ff, v0
	s_waitcnt vmcnt(0)
	v_lshl_add_u64 v[128:129], s[10:11], 4, v[12:13]
	s_and_saveexec_b64 s[2:3], s[6:7]
	s_xor_b64 s[6:7], exec, s[2:3]
	s_cbranch_execz .LBB336_19
; %bb.10:
	v_cmp_eq_f64_e32 vcc, 0, v[2:3]
	v_cmp_eq_f64_e64 s[2:3], 0, v[4:5]
	s_and_b64 s[2:3], vcc, s[2:3]
	s_waitcnt lgkmcnt(0)
	v_cmp_gt_i32_e32 vcc, s4, v140
	s_and_saveexec_b64 s[8:9], s[2:3]
	s_xor_b64 s[2:3], exec, s[8:9]
	s_cbranch_execz .LBB336_14
; %bb.11:
	s_and_saveexec_b64 s[8:9], vcc
	s_cbranch_execz .LBB336_13
; %bb.12:
	v_mad_i64_i32 v[0:1], s[10:11], s33, v140, 0
	v_lshl_add_u64 v[4:5], v[0:1], 4, v[128:129]
	v_mov_b32_e32 v0, 0
	v_mov_b32_e32 v1, v0
	;; [unrolled: 1-line block ×4, first 2 shown]
	global_store_dwordx4 v[4:5], v[0:3], off
.LBB336_13:
	s_or_b64 exec, exec, s[8:9]
                                        ; implicit-def: $vgpr140
                                        ; implicit-def: $vgpr128_vgpr129
                                        ; implicit-def: $vgpr4_vgpr5
.LBB336_14:
	s_andn2_saveexec_b64 s[2:3], s[2:3]
	s_cbranch_execz .LBB336_18
; %bb.15:
	s_and_saveexec_b64 s[8:9], vcc
	s_cbranch_execz .LBB336_17
; %bb.16:
	v_mad_i64_i32 v[0:1], s[10:11], s33, v140, 0
	v_lshl_add_u64 v[0:1], v[0:1], 4, v[128:129]
	global_load_dwordx4 v[6:9], v[0:1], off
	s_waitcnt vmcnt(0)
	v_mul_f64 v[12:13], v[4:5], v[8:9]
	v_mul_f64 v[10:11], v[2:3], v[8:9]
	v_fma_f64 v[8:9], v[2:3], v[6:7], -v[12:13]
	v_fmac_f64_e32 v[10:11], v[4:5], v[6:7]
	global_store_dwordx4 v[0:1], v[8:11], off
.LBB336_17:
	s_or_b64 exec, exec, s[8:9]
.LBB336_18:
	s_or_b64 exec, exec, s[2:3]
                                        ; implicit-def: $vgpr1
                                        ; implicit-def: $vgpr10_vgpr11
                                        ; implicit-def: $vgpr14_vgpr15
                                        ; implicit-def: $vgpr128_vgpr129
                                        ; implicit-def: $vgpr140
                                        ; implicit-def: $vgpr4_vgpr5
                                        ; implicit-def: $vgpr8_vgpr9
.LBB336_19:
	s_andn2_saveexec_b64 s[2:3], s[6:7]
	s_cbranch_execz .LBB336_4
; %bb.20:
	v_lshlrev_b32_e32 v141, 9, v1
	s_waitcnt lgkmcnt(0)
	v_cmp_gt_i32_e32 vcc, s5, v140
	s_and_saveexec_b64 s[2:3], vcc
	s_cbranch_execz .LBB336_22
; %bb.21:
	s_load_dword s6, s[0:1], 0x48
	s_waitcnt lgkmcnt(0)
	v_mad_i64_i32 v[0:1], s[6:7], s6, v140, 0
	v_lshl_add_u64 v[0:1], v[0:1], 4, v[14:15]
	flat_load_dwordx4 v[12:15], v[0:1]
	s_waitcnt vmcnt(0) lgkmcnt(0)
	v_mul_f64 v[0:1], v[8:9], v[14:15]
	v_mul_f64 v[16:17], v[6:7], v[14:15]
	v_fma_f64 v[14:15], v[6:7], v[12:13], -v[0:1]
	v_fmac_f64_e32 v[16:17], v[8:9], v[12:13]
	v_lshl_add_u32 v0, v140, 4, v141
	ds_write_b128 v0, v[14:17]
.LBB336_22:
	s_or_b64 exec, exec, s[2:3]
	v_cmp_gt_i32_e32 vcc, s4, v140
	s_waitcnt lgkmcnt(0)
	s_barrier
	s_and_saveexec_b64 s[2:3], vcc
	s_cbranch_execz .LBB336_4
; %bb.23:
	v_cmp_neq_f64_e32 vcc, 0, v[2:3]
	v_cmp_neq_f64_e64 s[2:3], 0, v[4:5]
	v_mov_b64_e32 v[58:59], 0
	s_or_b64 s[6:7], vcc, s[2:3]
	v_mov_b32_e32 v1, 0
	v_mov_b64_e32 v[130:131], v[58:59]
	v_mov_b64_e32 v[132:133], v[58:59]
	s_and_saveexec_b64 s[2:3], s[6:7]
	s_cbranch_execz .LBB336_25
; %bb.24:
	v_mad_i64_i32 v[6:7], s[6:7], s33, v140, 0
	v_lshl_add_u64 v[6:7], v[6:7], 4, v[128:129]
	global_load_dwordx4 v[6:9], v[6:7], off
	s_waitcnt vmcnt(0)
	v_mul_f64 v[12:13], v[4:5], v[8:9]
	v_mul_f64 v[130:131], v[2:3], v[8:9]
	v_fma_f64 v[132:133], v[2:3], v[6:7], -v[12:13]
	v_fmac_f64_e32 v[130:131], v[4:5], v[6:7]
.LBB336_25:
	s_or_b64 exec, exec, s[2:3]
	v_lshlrev_b32_e32 v0, 4, v140
	s_cmp_gt_i32 s5, 0
	v_lshl_add_u64 v[136:137], v[10:11], 0, v[0:1]
	s_cselect_b64 s[62:63], -1, 0
	s_cmp_lt_i32 s5, 1
	v_mov_b64_e32 v[56:57], v[58:59]
	s_cbranch_scc1 .LBB336_27
; %bb.26:
	flat_load_dwordx4 v[56:59], v[136:137]
.LBB336_27:
	s_load_dword s68, s[0:1], 0x28
	v_mov_b64_e32 v[94:95], 0
	v_mov_b64_e32 v[126:127], v[94:95]
	v_mov_b64_e32 v[124:125], v[94:95]
	s_waitcnt lgkmcnt(0)
	s_ashr_i32 s69, s68, 31
	s_cmp_gt_i32 s5, 1
	s_cselect_b64 s[66:67], -1, 0
	s_cmp_lt_i32 s5, 2
	s_cbranch_scc1 .LBB336_29
; %bb.28:
	v_lshl_add_u64 v[0:1], s[68:69], 4, v[136:137]
	flat_load_dwordx4 v[124:127], v[0:1]
.LBB336_29:
	s_cmp_gt_i32 s5, 2
	s_cselect_b64 s[64:65], -1, 0
	s_cmp_lt_i32 s5, 3
	v_mov_b64_e32 v[92:93], v[94:95]
	s_cbranch_scc1 .LBB336_31
; %bb.30:
	s_lshl_b64 s[0:1], s[68:69], 5
	v_lshl_add_u64 v[0:1], v[136:137], 0, s[0:1]
	flat_load_dwordx4 v[92:95], v[0:1]
.LBB336_31:
	s_cmp_gt_i32 s5, 3
	v_mov_b64_e32 v[86:87], 0
	s_cselect_b64 s[60:61], -1, 0
	s_cmp_lt_i32 s5, 4
	v_mov_b64_e32 v[122:123], v[86:87]
	v_mov_b64_e32 v[120:121], v[86:87]
	s_cbranch_scc1 .LBB336_33
; %bb.32:
	v_mad_i64_i32 v[0:1], s[0:1], s68, 48, v[136:137]
	flat_load_dwordx4 v[120:123], v[0:1]
.LBB336_33:
	s_cmp_gt_i32 s5, 4
	s_cselect_b64 s[58:59], -1, 0
	s_cmp_lt_i32 s5, 5
	v_mov_b64_e32 v[84:85], v[86:87]
	s_cbranch_scc1 .LBB336_35
; %bb.34:
	s_lshl_b64 s[0:1], s[68:69], 6
	v_lshl_add_u64 v[0:1], v[136:137], 0, s[0:1]
	flat_load_dwordx4 v[84:87], v[0:1]
.LBB336_35:
	s_cmp_gt_i32 s5, 5
	v_mov_b64_e32 v[78:79], 0
	s_cselect_b64 s[56:57], -1, 0
	s_cmp_lt_i32 s5, 6
	v_mov_b64_e32 v[118:119], v[78:79]
	v_mov_b64_e32 v[116:117], v[78:79]
	s_cbranch_scc1 .LBB336_37
; %bb.36:
	v_mov_b32_e32 v0, 0x50
	v_mad_i64_i32 v[0:1], s[0:1], s68, v0, v[136:137]
	flat_load_dwordx4 v[116:119], v[0:1]
.LBB336_37:
	s_cmp_gt_i32 s5, 6
	s_cselect_b64 s[54:55], -1, 0
	s_cmp_lt_i32 s5, 7
	v_mov_b64_e32 v[76:77], v[78:79]
	s_cbranch_scc1 .LBB336_39
; %bb.38:
	v_mov_b32_e32 v0, 0x60
	v_mad_i64_i32 v[0:1], s[0:1], s68, v0, v[136:137]
	flat_load_dwordx4 v[76:79], v[0:1]
.LBB336_39:
	s_cmp_gt_i32 s5, 7
	v_mov_b64_e32 v[70:71], 0
	s_cselect_b64 s[52:53], -1, 0
	s_cmp_lt_i32 s5, 8
	v_mov_b64_e32 v[114:115], v[70:71]
	v_mov_b64_e32 v[112:113], v[70:71]
	s_cbranch_scc1 .LBB336_41
; %bb.40:
	v_mov_b32_e32 v0, 0x70
	v_mad_i64_i32 v[0:1], s[0:1], s68, v0, v[136:137]
	flat_load_dwordx4 v[112:115], v[0:1]
.LBB336_41:
	s_cmp_gt_i32 s5, 8
	s_cselect_b64 s[50:51], -1, 0
	s_cmp_lt_i32 s5, 9
	v_mov_b64_e32 v[68:69], v[70:71]
	s_cbranch_scc1 .LBB336_43
; %bb.42:
	s_lshl_b64 s[0:1], s[68:69], 7
	v_lshl_add_u64 v[0:1], v[136:137], 0, s[0:1]
	flat_load_dwordx4 v[68:71], v[0:1]
.LBB336_43:
	s_cmp_gt_i32 s5, 9
	v_mov_b64_e32 v[62:63], 0
	s_cselect_b64 s[48:49], -1, 0
	s_cmp_lt_i32 s5, 10
	v_mov_b64_e32 v[110:111], v[62:63]
	v_mov_b64_e32 v[108:109], v[62:63]
	s_cbranch_scc1 .LBB336_45
; %bb.44:
	v_mov_b32_e32 v0, 0x90
	v_mad_i64_i32 v[0:1], s[0:1], s68, v0, v[136:137]
	flat_load_dwordx4 v[108:111], v[0:1]
.LBB336_45:
	s_cmp_gt_i32 s5, 10
	s_cselect_b64 s[46:47], -1, 0
	s_cmp_lt_i32 s5, 11
	v_mov_b64_e32 v[60:61], v[62:63]
	s_cbranch_scc1 .LBB336_47
; %bb.46:
	v_mov_b32_e32 v0, 0xa0
	v_mad_i64_i32 v[0:1], s[0:1], s68, v0, v[136:137]
	flat_load_dwordx4 v[60:63], v[0:1]
.LBB336_47:
	s_cmp_gt_i32 s5, 11
	v_mov_b64_e32 v[50:51], 0
	s_cselect_b64 s[44:45], -1, 0
	s_cmp_lt_i32 s5, 12
	v_mov_b64_e32 v[106:107], v[50:51]
	v_mov_b64_e32 v[104:105], v[50:51]
	s_cbranch_scc1 .LBB336_49
; %bb.48:
	v_mov_b32_e32 v0, 0xb0
	v_mad_i64_i32 v[0:1], s[0:1], s68, v0, v[136:137]
	flat_load_dwordx4 v[104:107], v[0:1]
.LBB336_49:
	s_cmp_gt_i32 s5, 12
	s_cselect_b64 s[42:43], -1, 0
	s_cmp_lt_i32 s5, 13
	v_mov_b64_e32 v[48:49], v[50:51]
	s_cbranch_scc1 .LBB336_51
; %bb.50:
	v_mov_b32_e32 v0, 0xc0
	v_mad_i64_i32 v[0:1], s[0:1], s68, v0, v[136:137]
	flat_load_dwordx4 v[48:51], v[0:1]
.LBB336_51:
	;; [unrolled: 22-line block ×3, first 2 shown]
	s_cmp_gt_i32 s5, 15
	v_mov_b64_e32 v[34:35], 0
	s_cselect_b64 s[36:37], -1, 0
	s_cmp_lt_i32 s5, 16
	v_mov_b64_e32 v[98:99], v[34:35]
	v_mov_b64_e32 v[96:97], v[34:35]
	s_cbranch_scc1 .LBB336_57
; %bb.56:
	v_mov_b32_e32 v0, 0xf0
	v_mad_i64_i32 v[0:1], s[0:1], s68, v0, v[136:137]
	flat_load_dwordx4 v[96:99], v[0:1]
.LBB336_57:
	s_cmp_gt_i32 s5, 16
	s_cselect_b64 s[34:35], -1, 0
	s_cmp_lt_i32 s5, 17
	v_mov_b64_e32 v[32:33], v[34:35]
	s_cbranch_scc1 .LBB336_59
; %bb.58:
	s_lshl_b64 s[0:1], s[68:69], 8
	v_lshl_add_u64 v[0:1], v[136:137], 0, s[0:1]
	flat_load_dwordx4 v[32:35], v[0:1]
.LBB336_59:
	s_cmp_gt_i32 s5, 17
	v_mov_b64_e32 v[26:27], 0
	s_cselect_b64 s[30:31], -1, 0
	s_cmp_lt_i32 s5, 18
	v_mov_b64_e32 v[90:91], v[26:27]
	v_mov_b64_e32 v[88:89], v[26:27]
	s_cbranch_scc1 .LBB336_61
; %bb.60:
	v_mov_b32_e32 v0, 0x110
	v_mad_i64_i32 v[0:1], s[0:1], s68, v0, v[136:137]
	flat_load_dwordx4 v[88:91], v[0:1]
.LBB336_61:
	s_cmp_gt_i32 s5, 18
	s_cselect_b64 s[28:29], -1, 0
	s_cmp_lt_i32 s5, 19
	v_mov_b64_e32 v[24:25], v[26:27]
	s_cbranch_scc1 .LBB336_63
; %bb.62:
	v_mov_b32_e32 v0, 0x120
	v_mad_i64_i32 v[0:1], s[0:1], s68, v0, v[136:137]
	flat_load_dwordx4 v[24:27], v[0:1]
.LBB336_63:
	s_cmp_gt_i32 s5, 19
	v_mov_b64_e32 v[22:23], 0
	s_cselect_b64 s[26:27], -1, 0
	s_cmp_lt_i32 s5, 20
	v_mov_b64_e32 v[82:83], v[22:23]
	v_mov_b64_e32 v[80:81], v[22:23]
	s_cbranch_scc1 .LBB336_65
; %bb.64:
	v_mov_b32_e32 v0, 0x130
	v_mad_i64_i32 v[0:1], s[0:1], s68, v0, v[136:137]
	flat_load_dwordx4 v[80:83], v[0:1]
.LBB336_65:
	s_cmp_gt_i32 s5, 20
	s_cselect_b64 s[24:25], -1, 0
	s_cmp_lt_i32 s5, 21
	v_mov_b64_e32 v[20:21], v[22:23]
	s_cbranch_scc1 .LBB336_67
; %bb.66:
	v_mov_b32_e32 v0, 0x140
	v_mad_i64_i32 v[0:1], s[0:1], s68, v0, v[136:137]
	flat_load_dwordx4 v[20:23], v[0:1]
.LBB336_67:
	;; [unrolled: 22-line block ×7, first 2 shown]
	s_cmp_gt_i32 s5, 31
	v_mov_b64_e32 v[134:135], 0
	s_cselect_b64 s[0:1], -1, 0
	s_cmp_lt_i32 s5, 32
	v_mov_b64_e32 v[30:31], v[134:135]
	v_mov_b64_e32 v[28:29], v[134:135]
	s_cbranch_scc1 .LBB336_89
; %bb.88:
	v_mov_b32_e32 v28, 0x1f0
	v_mad_i64_i32 v[28:29], s[4:5], s68, v28, v[136:137]
	flat_load_dwordx4 v[28:31], v[28:29]
.LBB336_89:
	s_andn2_b64 vcc, exec, s[62:63]
	v_mov_b64_e32 v[136:137], v[134:135]
	s_cbranch_vccnz .LBB336_91
; %bb.90:
	ds_read_b128 v[142:145], v141
	s_waitcnt vmcnt(0) lgkmcnt(0)
	v_mul_f64 v[136:137], v[58:59], v[144:145]
	v_mul_f64 v[134:135], v[56:57], v[144:145]
	v_fma_f64 v[136:137], v[56:57], v[142:143], -v[136:137]
	v_fmac_f64_e32 v[134:135], v[58:59], v[142:143]
.LBB336_91:
	s_waitcnt vmcnt(0)
	v_mov_b64_e32 v[56:57], 0
	s_andn2_b64 vcc, exec, s[66:67]
	v_mov_b64_e32 v[58:59], v[56:57]
	v_mov_b64_e32 v[138:139], v[56:57]
	s_cbranch_vccnz .LBB336_93
; %bb.92:
	ds_read_b128 v[142:145], v141 offset:16
	s_waitcnt lgkmcnt(0)
	v_mul_f64 v[138:139], v[126:127], v[144:145]
	v_mul_f64 v[58:59], v[124:125], v[144:145]
	v_fma_f64 v[138:139], v[124:125], v[142:143], -v[138:139]
	v_fmac_f64_e32 v[58:59], v[126:127], v[142:143]
.LBB336_93:
	s_andn2_b64 vcc, exec, s[64:65]
	s_waitcnt lgkmcnt(0)
	v_mov_b64_e32 v[124:125], v[56:57]
	s_cbranch_vccnz .LBB336_95
; %bb.94:
	ds_read_b128 v[142:145], v141 offset:32
	s_waitcnt lgkmcnt(0)
	v_mul_f64 v[124:125], v[94:95], v[144:145]
	v_mul_f64 v[56:57], v[92:93], v[144:145]
	v_fma_f64 v[124:125], v[92:93], v[142:143], -v[124:125]
	v_fmac_f64_e32 v[56:57], v[94:95], v[142:143]
.LBB336_95:
	v_mov_b64_e32 v[92:93], 0
	s_andn2_b64 vcc, exec, s[60:61]
	v_mov_b64_e32 v[94:95], v[92:93]
	v_mov_b64_e32 v[126:127], v[92:93]
	s_cbranch_vccnz .LBB336_97
; %bb.96:
	ds_read_b128 v[142:145], v141 offset:48
	s_waitcnt lgkmcnt(0)
	v_mul_f64 v[126:127], v[122:123], v[144:145]
	v_mul_f64 v[94:95], v[120:121], v[144:145]
	v_fma_f64 v[126:127], v[120:121], v[142:143], -v[126:127]
	v_fmac_f64_e32 v[94:95], v[122:123], v[142:143]
.LBB336_97:
	s_andn2_b64 vcc, exec, s[58:59]
	v_mov_b64_e32 v[120:121], v[92:93]
	s_cbranch_vccnz .LBB336_99
; %bb.98:
	ds_read_b128 v[142:145], v141 offset:64
	s_waitcnt lgkmcnt(0)
	v_mul_f64 v[120:121], v[86:87], v[144:145]
	v_mul_f64 v[92:93], v[84:85], v[144:145]
	v_fma_f64 v[120:121], v[84:85], v[142:143], -v[120:121]
	v_fmac_f64_e32 v[92:93], v[86:87], v[142:143]
.LBB336_99:
	v_mov_b64_e32 v[84:85], 0
	s_andn2_b64 vcc, exec, s[56:57]
	v_mov_b64_e32 v[86:87], v[84:85]
	v_mov_b64_e32 v[122:123], v[84:85]
	s_cbranch_vccnz .LBB336_101
; %bb.100:
	ds_read_b128 v[142:145], v141 offset:80
	s_waitcnt lgkmcnt(0)
	v_mul_f64 v[122:123], v[118:119], v[144:145]
	v_mul_f64 v[86:87], v[116:117], v[144:145]
	v_fma_f64 v[122:123], v[116:117], v[142:143], -v[122:123]
	v_fmac_f64_e32 v[86:87], v[118:119], v[142:143]
.LBB336_101:
	s_andn2_b64 vcc, exec, s[54:55]
	;; [unrolled: 24-line block ×13, first 2 shown]
	v_mov_b64_e32 v[44:45], v[8:9]
	s_cbranch_vccnz .LBB336_147
; %bb.146:
	ds_read_b128 v[142:145], v141 offset:448
	s_waitcnt lgkmcnt(0)
	v_mul_f64 v[44:45], v[6:7], v[144:145]
	v_mul_f64 v[8:9], v[4:5], v[144:145]
	v_fma_f64 v[44:45], v[4:5], v[142:143], -v[44:45]
	v_fmac_f64_e32 v[8:9], v[6:7], v[142:143]
.LBB336_147:
	v_mov_b64_e32 v[4:5], 0
	s_andn2_b64 vcc, exec, s[6:7]
	v_mov_b64_e32 v[6:7], v[4:5]
	v_mov_b64_e32 v[46:47], v[4:5]
	s_cbranch_vccz .LBB336_152
; %bb.148:
	s_andn2_b64 vcc, exec, s[2:3]
	v_mov_b64_e32 v[36:37], v[4:5]
	s_cbranch_vccz .LBB336_153
.LBB336_149:
	v_mov_b64_e32 v[0:1], 0
	s_andn2_b64 vcc, exec, s[0:1]
	v_mov_b64_e32 v[2:3], v[0:1]
	s_cbranch_vccnz .LBB336_151
.LBB336_150:
	ds_read_b128 v[142:145], v141 offset:496
	s_waitcnt lgkmcnt(0)
	v_mul_f64 v[2:3], v[30:31], v[144:145]
	v_mul_f64 v[0:1], v[28:29], v[144:145]
	v_fma_f64 v[2:3], v[28:29], v[142:143], -v[2:3]
	v_fmac_f64_e32 v[0:1], v[30:31], v[142:143]
.LBB336_151:
	v_add_f64 v[30:31], v[130:131], v[134:135]
	v_add_f64 v[28:29], v[132:133], v[136:137]
	;; [unrolled: 1-line block ×63, first 2 shown]
	v_mad_i64_i32 v[0:1], s[0:1], s33, v140, 0
	v_add_f64 v[2:3], v[8:9], v[2:3]
	v_lshl_add_u64 v[0:1], v[0:1], 4, v[128:129]
	global_store_dwordx4 v[0:1], v[2:5], off
	s_endpgm
.LBB336_152:
	ds_read_b128 v[142:145], v141 offset:464
	s_waitcnt lgkmcnt(0)
	v_mul_f64 v[46:47], v[38:39], v[144:145]
	v_mul_f64 v[6:7], v[36:37], v[144:145]
	v_fma_f64 v[46:47], v[36:37], v[142:143], -v[46:47]
	v_fmac_f64_e32 v[6:7], v[38:39], v[142:143]
	s_andn2_b64 vcc, exec, s[2:3]
	v_mov_b64_e32 v[36:37], v[4:5]
	s_cbranch_vccnz .LBB336_149
.LBB336_153:
	ds_read_b128 v[142:145], v141 offset:480
	s_waitcnt lgkmcnt(0)
	v_mul_f64 v[36:37], v[2:3], v[144:145]
	v_mul_f64 v[4:5], v[0:1], v[144:145]
	v_fma_f64 v[36:37], v[0:1], v[142:143], -v[36:37]
	v_fmac_f64_e32 v[4:5], v[2:3], v[142:143]
	v_mov_b64_e32 v[0:1], 0
	s_andn2_b64 vcc, exec, s[0:1]
	v_mov_b64_e32 v[2:3], v[0:1]
	s_cbranch_vccz .LBB336_150
	s_branch .LBB336_151
	.section	.rodata,"a",@progbits
	.p2align	6, 0x0
	.amdhsa_kernel _ZL34rocblas_gemvn_sm_mn_batched_kernelILi32ELi24EPK19rocblas_complex_numIdES3_KPS1_EviiT2_lPKT1_lilS9_lilS6_lPT3_lili
		.amdhsa_group_segment_fixed_size 12288
		.amdhsa_private_segment_fixed_size 0
		.amdhsa_kernarg_size 400
		.amdhsa_user_sgpr_count 2
		.amdhsa_user_sgpr_dispatch_ptr 0
		.amdhsa_user_sgpr_queue_ptr 0
		.amdhsa_user_sgpr_kernarg_segment_ptr 1
		.amdhsa_user_sgpr_dispatch_id 0
		.amdhsa_user_sgpr_kernarg_preload_length 0
		.amdhsa_user_sgpr_kernarg_preload_offset 0
		.amdhsa_user_sgpr_private_segment_size 0
		.amdhsa_uses_dynamic_stack 0
		.amdhsa_enable_private_segment 0
		.amdhsa_system_sgpr_workgroup_id_x 1
		.amdhsa_system_sgpr_workgroup_id_y 0
		.amdhsa_system_sgpr_workgroup_id_z 0
		.amdhsa_system_sgpr_workgroup_info 0
		.amdhsa_system_vgpr_workitem_id 1
		.amdhsa_next_free_vgpr 146
		.amdhsa_next_free_sgpr 70
		.amdhsa_accum_offset 148
		.amdhsa_reserve_vcc 1
		.amdhsa_float_round_mode_32 0
		.amdhsa_float_round_mode_16_64 0
		.amdhsa_float_denorm_mode_32 3
		.amdhsa_float_denorm_mode_16_64 3
		.amdhsa_dx10_clamp 1
		.amdhsa_ieee_mode 1
		.amdhsa_fp16_overflow 0
		.amdhsa_tg_split 0
		.amdhsa_exception_fp_ieee_invalid_op 0
		.amdhsa_exception_fp_denorm_src 0
		.amdhsa_exception_fp_ieee_div_zero 0
		.amdhsa_exception_fp_ieee_overflow 0
		.amdhsa_exception_fp_ieee_underflow 0
		.amdhsa_exception_fp_ieee_inexact 0
		.amdhsa_exception_int_div_zero 0
	.end_amdhsa_kernel
	.section	.text._ZL34rocblas_gemvn_sm_mn_batched_kernelILi32ELi24EPK19rocblas_complex_numIdES3_KPS1_EviiT2_lPKT1_lilS9_lilS6_lPT3_lili,"axG",@progbits,_ZL34rocblas_gemvn_sm_mn_batched_kernelILi32ELi24EPK19rocblas_complex_numIdES3_KPS1_EviiT2_lPKT1_lilS9_lilS6_lPT3_lili,comdat
.Lfunc_end336:
	.size	_ZL34rocblas_gemvn_sm_mn_batched_kernelILi32ELi24EPK19rocblas_complex_numIdES3_KPS1_EviiT2_lPKT1_lilS9_lilS6_lPT3_lili, .Lfunc_end336-_ZL34rocblas_gemvn_sm_mn_batched_kernelILi32ELi24EPK19rocblas_complex_numIdES3_KPS1_EviiT2_lPKT1_lilS9_lilS6_lPT3_lili
                                        ; -- End function
	.section	.AMDGPU.csdata,"",@progbits
; Kernel info:
; codeLenInByte = 4772
; NumSgprs: 76
; NumVgprs: 146
; NumAgprs: 0
; TotalNumVgprs: 146
; ScratchSize: 0
; MemoryBound: 1
; FloatMode: 240
; IeeeMode: 1
; LDSByteSize: 12288 bytes/workgroup (compile time only)
; SGPRBlocks: 9
; VGPRBlocks: 18
; NumSGPRsForWavesPerEU: 76
; NumVGPRsForWavesPerEU: 146
; AccumOffset: 148
; Occupancy: 3
; WaveLimiterHint : 1
; COMPUTE_PGM_RSRC2:SCRATCH_EN: 0
; COMPUTE_PGM_RSRC2:USER_SGPR: 2
; COMPUTE_PGM_RSRC2:TRAP_HANDLER: 0
; COMPUTE_PGM_RSRC2:TGID_X_EN: 1
; COMPUTE_PGM_RSRC2:TGID_Y_EN: 0
; COMPUTE_PGM_RSRC2:TGID_Z_EN: 0
; COMPUTE_PGM_RSRC2:TIDIG_COMP_CNT: 1
; COMPUTE_PGM_RSRC3_GFX90A:ACCUM_OFFSET: 36
; COMPUTE_PGM_RSRC3_GFX90A:TG_SPLIT: 0
	.section	.text._ZL34rocblas_gemvn_sm_mn_batched_kernelILi32ELi24EPK19rocblas_complex_numIdES1_KPS1_EviiT2_lPKT1_lilS9_lilS6_lPT3_lili,"axG",@progbits,_ZL34rocblas_gemvn_sm_mn_batched_kernelILi32ELi24EPK19rocblas_complex_numIdES1_KPS1_EviiT2_lPKT1_lilS9_lilS6_lPT3_lili,comdat
	.globl	_ZL34rocblas_gemvn_sm_mn_batched_kernelILi32ELi24EPK19rocblas_complex_numIdES1_KPS1_EviiT2_lPKT1_lilS9_lilS6_lPT3_lili ; -- Begin function _ZL34rocblas_gemvn_sm_mn_batched_kernelILi32ELi24EPK19rocblas_complex_numIdES1_KPS1_EviiT2_lPKT1_lilS9_lilS6_lPT3_lili
	.p2align	8
	.type	_ZL34rocblas_gemvn_sm_mn_batched_kernelILi32ELi24EPK19rocblas_complex_numIdES1_KPS1_EviiT2_lPKT1_lilS9_lilS6_lPT3_lili,@function
_ZL34rocblas_gemvn_sm_mn_batched_kernelILi32ELi24EPK19rocblas_complex_numIdES1_KPS1_EviiT2_lPKT1_lilS9_lilS6_lPT3_lili: ; @_ZL34rocblas_gemvn_sm_mn_batched_kernelILi32ELi24EPK19rocblas_complex_numIdES1_KPS1_EviiT2_lPKT1_lilS9_lilS6_lPT3_lili
; %bb.0:
	s_load_dword s3, s[0:1], 0xac
	s_load_dword s4, s[0:1], 0x98
	v_bfe_u32 v1, v0, 10, 10
	s_waitcnt lgkmcnt(0)
	s_lshr_b32 s3, s3, 16
	s_mul_i32 s2, s2, s3
	v_add_u32_e32 v4, s2, v1
	v_cmp_gt_i32_e32 vcc, s4, v4
	s_and_saveexec_b64 s[2:3], vcc
	s_cbranch_execz .LBB337_152
; %bb.1:
	s_load_dwordx4 s[8:11], s[0:1], 0x8
	s_load_dwordx4 s[4:7], s[0:1], 0x60
	s_mov_b64 s[12:13], 0
	s_waitcnt lgkmcnt(0)
	v_cmp_neq_f64_e64 s[2:3], s[8:9], 0
	v_cmp_neq_f64_e64 s[14:15], s[10:11], 0
	s_or_b64 s[2:3], s[2:3], s[14:15]
	s_mov_b64 s[14:15], -1
	s_and_b64 vcc, exec, s[2:3]
	s_cbranch_vccnz .LBB337_4
; %bb.2:
	v_cmp_eq_f64_e64 s[12:13], s[4:5], 1.0
	v_cmp_eq_f64_e64 s[14:15], s[6:7], 0
	s_and_b64 s[12:13], s[12:13], s[14:15]
	s_andn2_b64 vcc, exec, s[12:13]
	s_mov_b64 s[14:15], 0
	s_cbranch_vccz .LBB337_153
; %bb.3:
	v_mov_b32_e32 v5, 0
	s_mov_b64 s[12:13], -1
	s_mov_b64 s[16:17], 0
	s_and_b64 vcc, exec, s[14:15]
	v_mov_b64_e32 v[2:3], s[16:17]
	s_cbranch_vccnz .LBB337_5
	s_branch .LBB337_6
.LBB337_4:
                                        ; implicit-def: $sgpr16_sgpr17
	s_and_b64 vcc, exec, s[14:15]
	v_mov_b64_e32 v[2:3], s[16:17]
	s_cbranch_vccz .LBB337_6
.LBB337_5:
	s_load_dwordx4 s[12:15], s[0:1], 0x20
	v_mov_b32_e32 v5, 0
	s_waitcnt lgkmcnt(0)
	v_mov_b32_e32 v2, s12
	v_mov_b32_e32 v3, s13
	v_lshl_add_u64 v[2:3], v[4:5], 3, v[2:3]
	global_load_dwordx2 v[2:3], v[2:3], off
	s_mov_b64 s[12:13], -1
	s_waitcnt vmcnt(0)
	v_lshl_add_u64 v[2:3], s[14:15], 4, v[2:3]
.LBB337_6:
	s_andn2_b64 vcc, exec, s[12:13]
	s_cbranch_vccnz .LBB337_152
; %bb.7:
	s_xor_b64 s[14:15], s[2:3], -1
	s_andn2_b64 vcc, exec, s[2:3]
	v_mov_b64_e32 v[6:7], 0
	s_cbranch_vccnz .LBB337_9
; %bb.8:
	s_load_dwordx4 s[16:19], s[0:1], 0x40
	s_waitcnt lgkmcnt(0)
	v_mov_b32_e32 v6, s16
	v_mov_b32_e32 v7, s17
	v_lshl_add_u64 v[6:7], v[4:5], 3, v[6:7]
	global_load_dwordx2 v[6:7], v[6:7], off
	s_waitcnt vmcnt(0)
	v_lshl_add_u64 v[6:7], s[18:19], 4, v[6:7]
.LBB337_9:
	s_load_dwordx4 s[16:19], s[0:1], 0x78
	v_and_b32_e32 v140, 0x3ff, v0
	s_andn2_b64 vcc, exec, s[14:15]
	s_waitcnt lgkmcnt(0)
	v_mov_b32_e32 v8, s16
	v_mov_b32_e32 v9, s17
	v_lshl_add_u64 v[4:5], v[4:5], 3, v[8:9]
	global_load_dwordx2 v[4:5], v[4:5], off
	s_load_dwordx2 s[12:13], s[0:1], 0x0
	s_load_dword s33, s[0:1], 0x88
	s_mov_b64 s[16:17], -1
	s_waitcnt lgkmcnt(0)
	v_cmp_gt_i32_e64 s[2:3], s12, v140
	s_waitcnt vmcnt(0)
	v_lshl_add_u64 v[128:129], s[18:19], 4, v[4:5]
	s_cbranch_vccnz .LBB337_19
; %bb.10:
	v_cmp_neq_f64_e64 s[14:15], s[4:5], 0
	v_cmp_neq_f64_e64 s[16:17], s[6:7], 0
	s_or_b64 s[14:15], s[14:15], s[16:17]
	s_andn2_b64 vcc, exec, s[14:15]
	s_mov_b64 s[14:15], -1
	s_cbranch_vccz .LBB337_14
; %bb.11:
	s_and_saveexec_b64 s[14:15], s[2:3]
	s_cbranch_execz .LBB337_13
; %bb.12:
	v_mad_i64_i32 v[4:5], s[16:17], s33, v140, 0
	v_mov_b32_e32 v8, 0
	v_lshl_add_u64 v[4:5], v[4:5], 4, v[128:129]
	v_mov_b32_e32 v9, v8
	v_mov_b32_e32 v10, v8
	;; [unrolled: 1-line block ×3, first 2 shown]
	global_store_dwordx4 v[4:5], v[8:11], off
.LBB337_13:
	s_or_b64 exec, exec, s[14:15]
	s_mov_b64 s[14:15], 0
.LBB337_14:
	s_andn2_b64 vcc, exec, s[14:15]
	s_cbranch_vccnz .LBB337_18
; %bb.15:
	s_and_saveexec_b64 s[14:15], s[2:3]
	s_cbranch_execz .LBB337_17
; %bb.16:
	v_mad_i64_i32 v[4:5], s[2:3], s33, v140, 0
	v_lshl_add_u64 v[4:5], v[4:5], 4, v[128:129]
	global_load_dwordx4 v[8:11], v[4:5], off
	s_waitcnt vmcnt(0)
	v_mul_f64 v[14:15], s[6:7], v[10:11]
	v_mul_f64 v[12:13], s[4:5], v[10:11]
	v_fma_f64 v[10:11], s[4:5], v[8:9], -v[14:15]
	v_fmac_f64_e32 v[12:13], s[6:7], v[8:9]
	global_store_dwordx4 v[4:5], v[10:13], off
.LBB337_17:
	s_or_b64 exec, exec, s[14:15]
.LBB337_18:
	s_mov_b64 s[16:17], 0
.LBB337_19:
	s_andn2_b64 vcc, exec, s[16:17]
	s_cbranch_vccnz .LBB337_152
; %bb.20:
	v_lshlrev_b32_e32 v141, 9, v1
	v_cmp_gt_i32_e32 vcc, s13, v140
	s_and_saveexec_b64 s[2:3], vcc
	s_cbranch_execz .LBB337_22
; %bb.21:
	s_load_dword s14, s[0:1], 0x50
	s_waitcnt lgkmcnt(0)
	v_mad_i64_i32 v[0:1], s[14:15], s14, v140, 0
	v_lshl_add_u64 v[0:1], v[0:1], 4, v[6:7]
	flat_load_dwordx4 v[4:7], v[0:1]
	s_waitcnt vmcnt(0) lgkmcnt(0)
	v_mul_f64 v[0:1], s[10:11], v[6:7]
	v_mul_f64 v[8:9], s[8:9], v[6:7]
	v_fma_f64 v[6:7], s[8:9], v[4:5], -v[0:1]
	v_fmac_f64_e32 v[8:9], s[10:11], v[4:5]
	v_lshl_add_u32 v0, v140, 4, v141
	ds_write_b128 v0, v[6:9]
.LBB337_22:
	s_or_b64 exec, exec, s[2:3]
	v_cmp_gt_i32_e32 vcc, s12, v140
	s_waitcnt lgkmcnt(0)
	s_barrier
	s_and_b64 exec, exec, vcc
	s_cbranch_execz .LBB337_152
; %bb.23:
	v_cmp_neq_f64_e64 s[2:3], s[4:5], 0
	v_cmp_neq_f64_e64 s[8:9], s[6:7], 0
	v_mov_b64_e32 v[50:51], 0
	s_or_b64 s[2:3], s[2:3], s[8:9]
	v_mov_b32_e32 v1, 0
	s_andn2_b64 vcc, exec, s[2:3]
	v_mov_b64_e32 v[130:131], v[50:51]
	v_mov_b64_e32 v[132:133], v[50:51]
	s_cbranch_vccnz .LBB337_25
; %bb.24:
	v_mad_i64_i32 v[4:5], s[2:3], s33, v140, 0
	v_lshl_add_u64 v[4:5], v[4:5], 4, v[128:129]
	global_load_dwordx4 v[4:7], v[4:5], off
	s_waitcnt vmcnt(0)
	v_mul_f64 v[8:9], s[6:7], v[6:7]
	v_mul_f64 v[130:131], s[4:5], v[6:7]
	v_fma_f64 v[132:133], s[4:5], v[4:5], -v[8:9]
	v_fmac_f64_e32 v[130:131], s[6:7], v[4:5]
.LBB337_25:
	v_lshlrev_b32_e32 v0, 4, v140
	s_cmp_gt_i32 s13, 0
	v_lshl_add_u64 v[136:137], v[2:3], 0, v[0:1]
	s_cselect_b64 s[62:63], -1, 0
	s_cmp_lt_i32 s13, 1
	v_mov_b64_e32 v[48:49], v[50:51]
	s_cbranch_scc1 .LBB337_27
; %bb.26:
	flat_load_dwordx4 v[48:51], v[136:137]
.LBB337_27:
	s_load_dword s68, s[0:1], 0x30
	v_mov_b64_e32 v[94:95], 0
	v_mov_b64_e32 v[126:127], v[94:95]
	v_mov_b64_e32 v[124:125], v[94:95]
	s_waitcnt lgkmcnt(0)
	s_ashr_i32 s69, s68, 31
	s_cmp_gt_i32 s13, 1
	s_cselect_b64 s[66:67], -1, 0
	s_cmp_lt_i32 s13, 2
	s_cbranch_scc1 .LBB337_29
; %bb.28:
	v_lshl_add_u64 v[0:1], s[68:69], 4, v[136:137]
	flat_load_dwordx4 v[124:127], v[0:1]
.LBB337_29:
	s_cmp_gt_i32 s13, 2
	s_cselect_b64 s[64:65], -1, 0
	s_cmp_lt_i32 s13, 3
	v_mov_b64_e32 v[92:93], v[94:95]
	s_cbranch_scc1 .LBB337_31
; %bb.30:
	s_lshl_b64 s[0:1], s[68:69], 5
	v_lshl_add_u64 v[0:1], v[136:137], 0, s[0:1]
	flat_load_dwordx4 v[92:95], v[0:1]
.LBB337_31:
	s_cmp_gt_i32 s13, 3
	v_mov_b64_e32 v[86:87], 0
	s_cselect_b64 s[60:61], -1, 0
	s_cmp_lt_i32 s13, 4
	v_mov_b64_e32 v[122:123], v[86:87]
	v_mov_b64_e32 v[120:121], v[86:87]
	s_cbranch_scc1 .LBB337_33
; %bb.32:
	v_mad_i64_i32 v[0:1], s[0:1], s68, 48, v[136:137]
	flat_load_dwordx4 v[120:123], v[0:1]
.LBB337_33:
	s_cmp_gt_i32 s13, 4
	s_cselect_b64 s[58:59], -1, 0
	s_cmp_lt_i32 s13, 5
	v_mov_b64_e32 v[84:85], v[86:87]
	s_cbranch_scc1 .LBB337_35
; %bb.34:
	s_lshl_b64 s[0:1], s[68:69], 6
	v_lshl_add_u64 v[0:1], v[136:137], 0, s[0:1]
	flat_load_dwordx4 v[84:87], v[0:1]
.LBB337_35:
	s_cmp_gt_i32 s13, 5
	v_mov_b64_e32 v[78:79], 0
	s_cselect_b64 s[56:57], -1, 0
	s_cmp_lt_i32 s13, 6
	v_mov_b64_e32 v[118:119], v[78:79]
	v_mov_b64_e32 v[116:117], v[78:79]
	s_cbranch_scc1 .LBB337_37
; %bb.36:
	v_mov_b32_e32 v0, 0x50
	v_mad_i64_i32 v[0:1], s[0:1], s68, v0, v[136:137]
	flat_load_dwordx4 v[116:119], v[0:1]
.LBB337_37:
	s_cmp_gt_i32 s13, 6
	s_cselect_b64 s[54:55], -1, 0
	s_cmp_lt_i32 s13, 7
	v_mov_b64_e32 v[76:77], v[78:79]
	s_cbranch_scc1 .LBB337_39
; %bb.38:
	v_mov_b32_e32 v0, 0x60
	v_mad_i64_i32 v[0:1], s[0:1], s68, v0, v[136:137]
	flat_load_dwordx4 v[76:79], v[0:1]
.LBB337_39:
	s_cmp_gt_i32 s13, 7
	v_mov_b64_e32 v[70:71], 0
	s_cselect_b64 s[52:53], -1, 0
	s_cmp_lt_i32 s13, 8
	v_mov_b64_e32 v[114:115], v[70:71]
	v_mov_b64_e32 v[112:113], v[70:71]
	s_cbranch_scc1 .LBB337_41
; %bb.40:
	v_mov_b32_e32 v0, 0x70
	v_mad_i64_i32 v[0:1], s[0:1], s68, v0, v[136:137]
	flat_load_dwordx4 v[112:115], v[0:1]
.LBB337_41:
	s_cmp_gt_i32 s13, 8
	s_cselect_b64 s[50:51], -1, 0
	s_cmp_lt_i32 s13, 9
	v_mov_b64_e32 v[68:69], v[70:71]
	s_cbranch_scc1 .LBB337_43
; %bb.42:
	s_lshl_b64 s[0:1], s[68:69], 7
	v_lshl_add_u64 v[0:1], v[136:137], 0, s[0:1]
	flat_load_dwordx4 v[68:71], v[0:1]
.LBB337_43:
	s_cmp_gt_i32 s13, 9
	v_mov_b64_e32 v[62:63], 0
	s_cselect_b64 s[48:49], -1, 0
	s_cmp_lt_i32 s13, 10
	v_mov_b64_e32 v[110:111], v[62:63]
	v_mov_b64_e32 v[108:109], v[62:63]
	s_cbranch_scc1 .LBB337_45
; %bb.44:
	v_mov_b32_e32 v0, 0x90
	v_mad_i64_i32 v[0:1], s[0:1], s68, v0, v[136:137]
	flat_load_dwordx4 v[108:111], v[0:1]
.LBB337_45:
	s_cmp_gt_i32 s13, 10
	s_cselect_b64 s[46:47], -1, 0
	s_cmp_lt_i32 s13, 11
	v_mov_b64_e32 v[60:61], v[62:63]
	s_cbranch_scc1 .LBB337_47
; %bb.46:
	v_mov_b32_e32 v0, 0xa0
	v_mad_i64_i32 v[0:1], s[0:1], s68, v0, v[136:137]
	flat_load_dwordx4 v[60:63], v[0:1]
.LBB337_47:
	s_cmp_gt_i32 s13, 11
	v_mov_b64_e32 v[54:55], 0
	s_cselect_b64 s[44:45], -1, 0
	s_cmp_lt_i32 s13, 12
	v_mov_b64_e32 v[106:107], v[54:55]
	v_mov_b64_e32 v[104:105], v[54:55]
	s_cbranch_scc1 .LBB337_49
; %bb.48:
	v_mov_b32_e32 v0, 0xb0
	v_mad_i64_i32 v[0:1], s[0:1], s68, v0, v[136:137]
	flat_load_dwordx4 v[104:107], v[0:1]
.LBB337_49:
	s_cmp_gt_i32 s13, 12
	s_cselect_b64 s[42:43], -1, 0
	s_cmp_lt_i32 s13, 13
	v_mov_b64_e32 v[52:53], v[54:55]
	s_cbranch_scc1 .LBB337_51
; %bb.50:
	v_mov_b32_e32 v0, 0xc0
	v_mad_i64_i32 v[0:1], s[0:1], s68, v0, v[136:137]
	flat_load_dwordx4 v[52:55], v[0:1]
.LBB337_51:
	;; [unrolled: 22-line block ×3, first 2 shown]
	s_cmp_gt_i32 s13, 15
	v_mov_b64_e32 v[34:35], 0
	s_cselect_b64 s[36:37], -1, 0
	s_cmp_lt_i32 s13, 16
	v_mov_b64_e32 v[98:99], v[34:35]
	v_mov_b64_e32 v[96:97], v[34:35]
	s_cbranch_scc1 .LBB337_57
; %bb.56:
	v_mov_b32_e32 v0, 0xf0
	v_mad_i64_i32 v[0:1], s[0:1], s68, v0, v[136:137]
	flat_load_dwordx4 v[96:99], v[0:1]
.LBB337_57:
	s_cmp_gt_i32 s13, 16
	s_cselect_b64 s[34:35], -1, 0
	s_cmp_lt_i32 s13, 17
	v_mov_b64_e32 v[32:33], v[34:35]
	s_cbranch_scc1 .LBB337_59
; %bb.58:
	s_lshl_b64 s[0:1], s[68:69], 8
	v_lshl_add_u64 v[0:1], v[136:137], 0, s[0:1]
	flat_load_dwordx4 v[32:35], v[0:1]
.LBB337_59:
	s_cmp_gt_i32 s13, 17
	v_mov_b64_e32 v[26:27], 0
	s_cselect_b64 s[30:31], -1, 0
	s_cmp_lt_i32 s13, 18
	v_mov_b64_e32 v[90:91], v[26:27]
	v_mov_b64_e32 v[88:89], v[26:27]
	s_cbranch_scc1 .LBB337_61
; %bb.60:
	v_mov_b32_e32 v0, 0x110
	v_mad_i64_i32 v[0:1], s[0:1], s68, v0, v[136:137]
	flat_load_dwordx4 v[88:91], v[0:1]
.LBB337_61:
	s_cmp_gt_i32 s13, 18
	s_cselect_b64 s[28:29], -1, 0
	s_cmp_lt_i32 s13, 19
	v_mov_b64_e32 v[24:25], v[26:27]
	s_cbranch_scc1 .LBB337_63
; %bb.62:
	v_mov_b32_e32 v0, 0x120
	v_mad_i64_i32 v[0:1], s[0:1], s68, v0, v[136:137]
	flat_load_dwordx4 v[24:27], v[0:1]
.LBB337_63:
	s_cmp_gt_i32 s13, 19
	v_mov_b64_e32 v[22:23], 0
	s_cselect_b64 s[26:27], -1, 0
	s_cmp_lt_i32 s13, 20
	v_mov_b64_e32 v[82:83], v[22:23]
	v_mov_b64_e32 v[80:81], v[22:23]
	s_cbranch_scc1 .LBB337_65
; %bb.64:
	v_mov_b32_e32 v0, 0x130
	v_mad_i64_i32 v[0:1], s[0:1], s68, v0, v[136:137]
	flat_load_dwordx4 v[80:83], v[0:1]
.LBB337_65:
	s_cmp_gt_i32 s13, 20
	s_cselect_b64 s[24:25], -1, 0
	s_cmp_lt_i32 s13, 21
	v_mov_b64_e32 v[20:21], v[22:23]
	s_cbranch_scc1 .LBB337_67
; %bb.66:
	v_mov_b32_e32 v0, 0x140
	v_mad_i64_i32 v[0:1], s[0:1], s68, v0, v[136:137]
	flat_load_dwordx4 v[20:23], v[0:1]
.LBB337_67:
	;; [unrolled: 22-line block ×7, first 2 shown]
	s_cmp_gt_i32 s13, 31
	v_mov_b64_e32 v[134:135], 0
	s_cselect_b64 s[0:1], -1, 0
	s_cmp_lt_i32 s13, 32
	v_mov_b64_e32 v[30:31], v[134:135]
	v_mov_b64_e32 v[28:29], v[134:135]
	s_cbranch_scc1 .LBB337_89
; %bb.88:
	v_mov_b32_e32 v28, 0x1f0
	v_mad_i64_i32 v[28:29], s[12:13], s68, v28, v[136:137]
	flat_load_dwordx4 v[28:31], v[28:29]
.LBB337_89:
	s_andn2_b64 vcc, exec, s[62:63]
	v_mov_b64_e32 v[136:137], v[134:135]
	s_cbranch_vccnz .LBB337_91
; %bb.90:
	ds_read_b128 v[142:145], v141
	s_waitcnt vmcnt(0) lgkmcnt(0)
	v_mul_f64 v[136:137], v[50:51], v[144:145]
	v_mul_f64 v[134:135], v[48:49], v[144:145]
	v_fma_f64 v[136:137], v[48:49], v[142:143], -v[136:137]
	v_fmac_f64_e32 v[134:135], v[50:51], v[142:143]
.LBB337_91:
	s_waitcnt vmcnt(0)
	v_mov_b64_e32 v[48:49], 0
	s_andn2_b64 vcc, exec, s[66:67]
	v_mov_b64_e32 v[50:51], v[48:49]
	v_mov_b64_e32 v[138:139], v[48:49]
	s_cbranch_vccnz .LBB337_93
; %bb.92:
	ds_read_b128 v[142:145], v141 offset:16
	s_waitcnt lgkmcnt(0)
	v_mul_f64 v[138:139], v[126:127], v[144:145]
	v_mul_f64 v[50:51], v[124:125], v[144:145]
	v_fma_f64 v[138:139], v[124:125], v[142:143], -v[138:139]
	v_fmac_f64_e32 v[50:51], v[126:127], v[142:143]
.LBB337_93:
	s_andn2_b64 vcc, exec, s[64:65]
	s_waitcnt lgkmcnt(0)
	v_mov_b64_e32 v[124:125], v[48:49]
	s_cbranch_vccnz .LBB337_95
; %bb.94:
	ds_read_b128 v[142:145], v141 offset:32
	s_waitcnt lgkmcnt(0)
	v_mul_f64 v[124:125], v[94:95], v[144:145]
	v_mul_f64 v[48:49], v[92:93], v[144:145]
	v_fma_f64 v[124:125], v[92:93], v[142:143], -v[124:125]
	v_fmac_f64_e32 v[48:49], v[94:95], v[142:143]
.LBB337_95:
	v_mov_b64_e32 v[92:93], 0
	s_andn2_b64 vcc, exec, s[60:61]
	v_mov_b64_e32 v[94:95], v[92:93]
	v_mov_b64_e32 v[126:127], v[92:93]
	s_cbranch_vccnz .LBB337_97
; %bb.96:
	ds_read_b128 v[142:145], v141 offset:48
	s_waitcnt lgkmcnt(0)
	v_mul_f64 v[126:127], v[122:123], v[144:145]
	v_mul_f64 v[94:95], v[120:121], v[144:145]
	v_fma_f64 v[126:127], v[120:121], v[142:143], -v[126:127]
	v_fmac_f64_e32 v[94:95], v[122:123], v[142:143]
.LBB337_97:
	s_andn2_b64 vcc, exec, s[58:59]
	v_mov_b64_e32 v[120:121], v[92:93]
	s_cbranch_vccnz .LBB337_99
; %bb.98:
	ds_read_b128 v[142:145], v141 offset:64
	s_waitcnt lgkmcnt(0)
	v_mul_f64 v[120:121], v[86:87], v[144:145]
	v_mul_f64 v[92:93], v[84:85], v[144:145]
	v_fma_f64 v[120:121], v[84:85], v[142:143], -v[120:121]
	v_fmac_f64_e32 v[92:93], v[86:87], v[142:143]
.LBB337_99:
	v_mov_b64_e32 v[84:85], 0
	s_andn2_b64 vcc, exec, s[56:57]
	v_mov_b64_e32 v[86:87], v[84:85]
	v_mov_b64_e32 v[122:123], v[84:85]
	s_cbranch_vccnz .LBB337_101
; %bb.100:
	ds_read_b128 v[142:145], v141 offset:80
	s_waitcnt lgkmcnt(0)
	v_mul_f64 v[122:123], v[118:119], v[144:145]
	v_mul_f64 v[86:87], v[116:117], v[144:145]
	v_fma_f64 v[122:123], v[116:117], v[142:143], -v[122:123]
	v_fmac_f64_e32 v[86:87], v[118:119], v[142:143]
.LBB337_101:
	s_andn2_b64 vcc, exec, s[54:55]
	;; [unrolled: 24-line block ×13, first 2 shown]
	v_mov_b64_e32 v[44:45], v[8:9]
	s_cbranch_vccnz .LBB337_147
; %bb.146:
	ds_read_b128 v[142:145], v141 offset:448
	s_waitcnt lgkmcnt(0)
	v_mul_f64 v[44:45], v[6:7], v[144:145]
	v_mul_f64 v[8:9], v[4:5], v[144:145]
	v_fma_f64 v[44:45], v[4:5], v[142:143], -v[44:45]
	v_fmac_f64_e32 v[8:9], v[6:7], v[142:143]
.LBB337_147:
	v_mov_b64_e32 v[4:5], 0
	s_andn2_b64 vcc, exec, s[4:5]
	v_mov_b64_e32 v[6:7], v[4:5]
	v_mov_b64_e32 v[46:47], v[4:5]
	s_cbranch_vccz .LBB337_154
; %bb.148:
	s_andn2_b64 vcc, exec, s[2:3]
	v_mov_b64_e32 v[36:37], v[4:5]
	s_cbranch_vccz .LBB337_155
.LBB337_149:
	v_mov_b64_e32 v[0:1], 0
	s_andn2_b64 vcc, exec, s[0:1]
	v_mov_b64_e32 v[2:3], v[0:1]
	s_cbranch_vccnz .LBB337_151
.LBB337_150:
	ds_read_b128 v[142:145], v141 offset:496
	s_waitcnt lgkmcnt(0)
	v_mul_f64 v[2:3], v[30:31], v[144:145]
	v_mul_f64 v[0:1], v[28:29], v[144:145]
	v_fma_f64 v[2:3], v[28:29], v[142:143], -v[2:3]
	v_fmac_f64_e32 v[0:1], v[30:31], v[142:143]
.LBB337_151:
	v_add_f64 v[30:31], v[130:131], v[134:135]
	v_add_f64 v[28:29], v[132:133], v[136:137]
	;; [unrolled: 1-line block ×63, first 2 shown]
	v_mad_i64_i32 v[0:1], s[0:1], s33, v140, 0
	v_add_f64 v[2:3], v[8:9], v[2:3]
	v_lshl_add_u64 v[0:1], v[0:1], 4, v[128:129]
	global_store_dwordx4 v[0:1], v[2:5], off
.LBB337_152:
	s_endpgm
.LBB337_153:
                                        ; implicit-def: $sgpr16_sgpr17
	s_mov_b64 s[12:13], 0
	s_and_b64 vcc, exec, s[14:15]
	v_mov_b64_e32 v[2:3], s[16:17]
	s_cbranch_vccnz .LBB337_5
	s_branch .LBB337_6
.LBB337_154:
	ds_read_b128 v[142:145], v141 offset:464
	s_waitcnt lgkmcnt(0)
	v_mul_f64 v[46:47], v[38:39], v[144:145]
	v_mul_f64 v[6:7], v[36:37], v[144:145]
	v_fma_f64 v[46:47], v[36:37], v[142:143], -v[46:47]
	v_fmac_f64_e32 v[6:7], v[38:39], v[142:143]
	s_andn2_b64 vcc, exec, s[2:3]
	v_mov_b64_e32 v[36:37], v[4:5]
	s_cbranch_vccnz .LBB337_149
.LBB337_155:
	ds_read_b128 v[142:145], v141 offset:480
	s_waitcnt lgkmcnt(0)
	v_mul_f64 v[36:37], v[2:3], v[144:145]
	v_mul_f64 v[4:5], v[0:1], v[144:145]
	v_fma_f64 v[36:37], v[0:1], v[142:143], -v[36:37]
	v_fmac_f64_e32 v[4:5], v[2:3], v[142:143]
	v_mov_b64_e32 v[0:1], 0
	s_andn2_b64 vcc, exec, s[0:1]
	v_mov_b64_e32 v[2:3], v[0:1]
	s_cbranch_vccz .LBB337_150
	s_branch .LBB337_151
	.section	.rodata,"a",@progbits
	.p2align	6, 0x0
	.amdhsa_kernel _ZL34rocblas_gemvn_sm_mn_batched_kernelILi32ELi24EPK19rocblas_complex_numIdES1_KPS1_EviiT2_lPKT1_lilS9_lilS6_lPT3_lili
		.amdhsa_group_segment_fixed_size 12288
		.amdhsa_private_segment_fixed_size 0
		.amdhsa_kernarg_size 416
		.amdhsa_user_sgpr_count 2
		.amdhsa_user_sgpr_dispatch_ptr 0
		.amdhsa_user_sgpr_queue_ptr 0
		.amdhsa_user_sgpr_kernarg_segment_ptr 1
		.amdhsa_user_sgpr_dispatch_id 0
		.amdhsa_user_sgpr_kernarg_preload_length 0
		.amdhsa_user_sgpr_kernarg_preload_offset 0
		.amdhsa_user_sgpr_private_segment_size 0
		.amdhsa_uses_dynamic_stack 0
		.amdhsa_enable_private_segment 0
		.amdhsa_system_sgpr_workgroup_id_x 1
		.amdhsa_system_sgpr_workgroup_id_y 0
		.amdhsa_system_sgpr_workgroup_id_z 0
		.amdhsa_system_sgpr_workgroup_info 0
		.amdhsa_system_vgpr_workitem_id 1
		.amdhsa_next_free_vgpr 146
		.amdhsa_next_free_sgpr 70
		.amdhsa_accum_offset 148
		.amdhsa_reserve_vcc 1
		.amdhsa_float_round_mode_32 0
		.amdhsa_float_round_mode_16_64 0
		.amdhsa_float_denorm_mode_32 3
		.amdhsa_float_denorm_mode_16_64 3
		.amdhsa_dx10_clamp 1
		.amdhsa_ieee_mode 1
		.amdhsa_fp16_overflow 0
		.amdhsa_tg_split 0
		.amdhsa_exception_fp_ieee_invalid_op 0
		.amdhsa_exception_fp_denorm_src 0
		.amdhsa_exception_fp_ieee_div_zero 0
		.amdhsa_exception_fp_ieee_overflow 0
		.amdhsa_exception_fp_ieee_underflow 0
		.amdhsa_exception_fp_ieee_inexact 0
		.amdhsa_exception_int_div_zero 0
	.end_amdhsa_kernel
	.section	.text._ZL34rocblas_gemvn_sm_mn_batched_kernelILi32ELi24EPK19rocblas_complex_numIdES1_KPS1_EviiT2_lPKT1_lilS9_lilS6_lPT3_lili,"axG",@progbits,_ZL34rocblas_gemvn_sm_mn_batched_kernelILi32ELi24EPK19rocblas_complex_numIdES1_KPS1_EviiT2_lPKT1_lilS9_lilS6_lPT3_lili,comdat
.Lfunc_end337:
	.size	_ZL34rocblas_gemvn_sm_mn_batched_kernelILi32ELi24EPK19rocblas_complex_numIdES1_KPS1_EviiT2_lPKT1_lilS9_lilS6_lPT3_lili, .Lfunc_end337-_ZL34rocblas_gemvn_sm_mn_batched_kernelILi32ELi24EPK19rocblas_complex_numIdES1_KPS1_EviiT2_lPKT1_lilS9_lilS6_lPT3_lili
                                        ; -- End function
	.section	.AMDGPU.csdata,"",@progbits
; Kernel info:
; codeLenInByte = 4716
; NumSgprs: 76
; NumVgprs: 146
; NumAgprs: 0
; TotalNumVgprs: 146
; ScratchSize: 0
; MemoryBound: 1
; FloatMode: 240
; IeeeMode: 1
; LDSByteSize: 12288 bytes/workgroup (compile time only)
; SGPRBlocks: 9
; VGPRBlocks: 18
; NumSGPRsForWavesPerEU: 76
; NumVGPRsForWavesPerEU: 146
; AccumOffset: 148
; Occupancy: 3
; WaveLimiterHint : 1
; COMPUTE_PGM_RSRC2:SCRATCH_EN: 0
; COMPUTE_PGM_RSRC2:USER_SGPR: 2
; COMPUTE_PGM_RSRC2:TRAP_HANDLER: 0
; COMPUTE_PGM_RSRC2:TGID_X_EN: 1
; COMPUTE_PGM_RSRC2:TGID_Y_EN: 0
; COMPUTE_PGM_RSRC2:TGID_Z_EN: 0
; COMPUTE_PGM_RSRC2:TIDIG_COMP_CNT: 1
; COMPUTE_PGM_RSRC3_GFX90A:ACCUM_OFFSET: 36
; COMPUTE_PGM_RSRC3_GFX90A:TG_SPLIT: 0
	.section	.text._ZL20rocblas_gemvn_kernelILi64ELi4EiPK19rocblas_complex_numIdES3_KPS1_EviiT3_lPKT2_lT1_lS9_lSA_lS6_lPT4_lSA_li,"axG",@progbits,_ZL20rocblas_gemvn_kernelILi64ELi4EiPK19rocblas_complex_numIdES3_KPS1_EviiT3_lPKT2_lT1_lS9_lSA_lS6_lPT4_lSA_li,comdat
	.globl	_ZL20rocblas_gemvn_kernelILi64ELi4EiPK19rocblas_complex_numIdES3_KPS1_EviiT3_lPKT2_lT1_lS9_lSA_lS6_lPT4_lSA_li ; -- Begin function _ZL20rocblas_gemvn_kernelILi64ELi4EiPK19rocblas_complex_numIdES3_KPS1_EviiT3_lPKT2_lT1_lS9_lSA_lS6_lPT4_lSA_li
	.p2align	8
	.type	_ZL20rocblas_gemvn_kernelILi64ELi4EiPK19rocblas_complex_numIdES3_KPS1_EviiT3_lPKT2_lT1_lS9_lSA_lS6_lPT4_lSA_li,@function
_ZL20rocblas_gemvn_kernelILi64ELi4EiPK19rocblas_complex_numIdES3_KPS1_EviiT3_lPKT2_lT1_lS9_lSA_lS6_lPT4_lSA_li: ; @_ZL20rocblas_gemvn_kernelILi64ELi4EiPK19rocblas_complex_numIdES3_KPS1_EviiT3_lPKT2_lT1_lS9_lSA_lS6_lPT4_lSA_li
; %bb.0:
	s_load_dwordx2 s[4:5], s[0:1], 0x9c
	s_mov_b32 s26, s3
	s_waitcnt lgkmcnt(0)
	s_lshr_b32 s6, s4, 16
	s_and_b32 s3, s4, 0xffff
	s_and_b32 s5, s5, 0xffff
	s_mul_i32 s4, s6, s3
	s_mul_i32 s4, s4, s5
	s_cmpk_lg_i32 s4, 0x100
	s_cbranch_scc1 .LBB338_4
; %bb.1:
	s_load_dwordx8 s[12:19], s[0:1], 0x8
	s_load_dwordx8 s[4:11], s[0:1], 0x58
	s_mov_b32 s27, 0
	s_waitcnt lgkmcnt(0)
	s_mul_i32 s15, s26, s15
	s_mul_hi_u32 s20, s26, s14
	s_mul_i32 s14, s26, s14
	s_add_i32 s15, s20, s15
	s_lshl_b64 s[14:15], s[14:15], 4
	s_add_u32 s12, s12, s14
	s_addc_u32 s13, s13, s15
	s_load_dwordx4 s[20:23], s[12:13], 0x0
	s_mul_i32 s7, s26, s7
	s_mul_hi_u32 s12, s26, s6
	s_add_i32 s7, s12, s7
	s_mul_i32 s6, s26, s6
	s_lshl_b64 s[6:7], s[6:7], 4
	s_add_u32 s4, s4, s6
	s_addc_u32 s5, s5, s7
	s_load_dwordx4 s[12:15], s[4:5], 0x0
	s_waitcnt lgkmcnt(0)
	v_cmp_neq_f64_e64 s[4:5], s[20:21], 0
	v_cmp_neq_f64_e64 s[24:25], s[22:23], 0
	s_or_b64 s[4:5], s[4:5], s[24:25]
	s_mov_b64 s[6:7], 0
	s_mov_b64 s[24:25], -1
	s_and_b64 vcc, exec, s[4:5]
	s_cbranch_vccz .LBB338_5
; %bb.2:
	s_andn2_b64 vcc, exec, s[24:25]
	s_cbranch_vccz .LBB338_6
.LBB338_3:
	s_andn2_b64 vcc, exec, s[6:7]
	s_cbranch_vccz .LBB338_7
.LBB338_4:
	s_endpgm
.LBB338_5:
	v_cmp_neq_f64_e64 s[6:7], s[12:13], 1.0
	v_cmp_neq_f64_e64 s[28:29], s[14:15], 0
	s_mov_b64 s[24:25], 0
	s_or_b64 s[6:7], s[6:7], s[28:29]
	s_cbranch_execnz .LBB338_3
.LBB338_6:
	s_lshl_b64 s[6:7], s[26:27], 3
	s_add_u32 s6, s16, s6
	s_addc_u32 s7, s17, s7
	s_load_dwordx2 s[6:7], s[6:7], 0x0
	s_lshl_b64 s[16:17], s[18:19], 4
	s_waitcnt lgkmcnt(0)
	s_add_u32 s24, s6, s16
	s_addc_u32 s25, s7, s17
.LBB338_7:
	s_xor_b64 s[28:29], s[4:5], -1
	s_mov_b64 s[16:17], 0
	s_andn2_b64 vcc, exec, s[4:5]
	s_mov_b64 s[18:19], 0
	s_cbranch_vccnz .LBB338_9
; %bb.8:
	s_load_dwordx4 s[4:7], s[0:1], 0x38
	s_lshl_b64 s[18:19], s[26:27], 3
	s_waitcnt lgkmcnt(0)
	s_add_u32 s4, s4, s18
	s_addc_u32 s5, s5, s19
	s_load_dwordx2 s[4:5], s[4:5], 0x0
	s_lshl_b64 s[6:7], s[6:7], 4
	s_waitcnt lgkmcnt(0)
	s_add_u32 s18, s4, s6
	s_addc_u32 s19, s5, s7
.LBB338_9:
	s_lshl_b64 s[4:5], s[26:27], 3
	s_add_u32 s4, s8, s4
	s_addc_u32 s5, s9, s5
	s_load_dwordx2 s[6:7], s[4:5], 0x0
	s_load_dwordx2 s[8:9], s[0:1], 0x0
	s_load_dword s30, s[0:1], 0x78
	v_and_b32_e32 v1, 0x3ff, v0
	s_lshl_b64 s[4:5], s[10:11], 4
	v_bfe_u32 v0, v0, 10, 10
	s_waitcnt lgkmcnt(0)
	s_add_u32 s6, s6, s4
	v_mad_u32_u24 v10, v0, s3, v1
	s_addc_u32 s7, s7, s5
	s_andn2_b64 vcc, exec, s[28:29]
	v_cmp_gt_u32_e64 s[4:5], 64, v10
	s_cbranch_vccnz .LBB338_16
; %bb.10:
	s_mov_b64 s[10:11], 0
                                        ; implicit-def: $vgpr2_vgpr3
                                        ; implicit-def: $vgpr8_vgpr9
	s_and_saveexec_b64 s[26:27], s[4:5]
	s_cbranch_execz .LBB338_17
; %bb.11:
	v_lshl_or_b32 v0, s2, 6, v10
	v_mov_b32_e32 v1, 0
	s_ashr_i32 s5, s8, 31
	s_mov_b32 s4, s8
	v_cmp_gt_i64_e32 vcc, s[4:5], v[0:1]
                                        ; implicit-def: $vgpr2_vgpr3
                                        ; implicit-def: $vgpr8_vgpr9
	s_and_saveexec_b64 s[4:5], vcc
	s_cbranch_execz .LBB338_15
; %bb.12:
	v_mad_u64_u32 v[8:9], s[34:35], v0, s30, 0
	v_cmp_neq_f64_e64 s[16:17], s[12:13], 0
	v_cmp_neq_f64_e64 s[28:29], s[14:15], 0
	s_ashr_i32 s3, s30, 31
	v_mov_b32_e32 v4, v9
	v_mov_b64_e32 v[2:3], 0
	v_mad_u64_u32 v[0:1], s[34:35], v0, s3, v[4:5]
	s_or_b64 s[16:17], s[16:17], s[28:29]
	v_mov_b32_e32 v9, v0
	s_andn2_b64 vcc, exec, s[16:17]
	v_mov_b64_e32 v[0:1], v[2:3]
	s_cbranch_vccnz .LBB338_14
; %bb.13:
	v_lshl_add_u64 v[0:1], v[8:9], 4, s[6:7]
	global_load_dwordx4 v[4:7], v[0:1], off
	s_waitcnt vmcnt(0)
	v_mul_f64 v[0:1], s[14:15], v[6:7]
	v_mul_f64 v[2:3], s[12:13], v[6:7]
	v_fma_f64 v[0:1], s[12:13], v[4:5], -v[0:1]
	v_fmac_f64_e32 v[2:3], s[14:15], v[4:5]
.LBB338_14:
	s_mov_b64 s[16:17], exec
.LBB338_15:
	s_or_b64 exec, exec, s[4:5]
	s_and_b64 s[16:17], s[16:17], exec
	s_or_b64 exec, exec, s[26:27]
	s_and_b64 vcc, exec, s[10:11]
	s_cbranch_vccnz .LBB338_18
	s_branch .LBB338_37
.LBB338_16:
                                        ; implicit-def: $vgpr2_vgpr3
                                        ; implicit-def: $vgpr8_vgpr9
	s_cbranch_execnz .LBB338_18
	s_branch .LBB338_37
.LBB338_17:
	s_or_b64 exec, exec, s[26:27]
	s_and_b64 vcc, exec, s[10:11]
	s_cbranch_vccz .LBB338_37
.LBB338_18:
	s_load_dword s11, s[0:1], 0x28
	s_load_dword s26, s[0:1], 0x48
	s_ashr_i32 s0, s9, 31
	s_lshr_b32 s0, s0, 30
	s_add_i32 s0, s9, s0
	v_and_b32_e32 v5, 63, v10
	v_lshrrev_b32_e32 v9, 6, v10
	s_lshl_b32 s10, s2, 6
	s_and_b32 s27, s0, -4
	v_mov_b64_e32 v[2:3], 0
	v_or_b32_e32 v8, s10, v5
	v_cmp_gt_i32_e32 vcc, s27, v9
	v_mov_b64_e32 v[0:1], v[2:3]
	s_and_saveexec_b64 s[2:3], vcc
	s_cbranch_execz .LBB338_24
; %bb.19:
	s_waitcnt lgkmcnt(0)
	v_mul_lo_u32 v0, s11, v9
	v_mov_b64_e32 v[2:3], 0
	v_cmp_gt_i32_e32 vcc, s8, v8
	v_mul_lo_u32 v4, s26, v9
	s_lshl_b32 s28, s26, 2
	v_add3_u32 v6, v0, s10, v5
	s_lshl_b32 s29, s11, 2
	s_mov_b64 s[4:5], 0
	v_mov_b64_e32 v[0:1], v[2:3]
	s_branch .LBB338_21
.LBB338_20:                             ;   in Loop: Header=BB338_21 Depth=1
	s_or_b64 exec, exec, s[0:1]
	v_add_u32_e32 v9, 4, v9
	v_cmp_le_i32_e64 s[0:1], s27, v9
	v_add_u32_e32 v4, s28, v4
	s_or_b64 s[4:5], s[0:1], s[4:5]
	v_add_u32_e32 v6, s29, v6
	s_andn2_b64 exec, exec, s[4:5]
	s_cbranch_execz .LBB338_23
.LBB338_21:                             ; =>This Inner Loop Header: Depth=1
	s_and_saveexec_b64 s[0:1], vcc
	s_cbranch_execz .LBB338_20
; %bb.22:                               ;   in Loop: Header=BB338_21 Depth=1
	v_ashrrev_i32_e32 v5, 31, v4
	v_ashrrev_i32_e32 v7, 31, v6
	v_lshl_add_u64 v[22:23], v[4:5], 4, s[18:19]
	v_lshl_add_u64 v[20:21], v[6:7], 4, s[24:25]
	flat_load_dwordx4 v[12:15], v[22:23]
	flat_load_dwordx4 v[16:19], v[20:21]
	s_waitcnt vmcnt(0) lgkmcnt(0)
	v_mul_f64 v[20:21], v[14:15], v[18:19]
	v_mul_f64 v[18:19], v[12:13], v[18:19]
	v_fma_f64 v[12:13], v[12:13], v[16:17], -v[20:21]
	v_fmac_f64_e32 v[18:19], v[14:15], v[16:17]
	v_add_f64 v[0:1], v[0:1], v[12:13]
	v_add_f64 v[2:3], v[2:3], v[18:19]
	s_branch .LBB338_20
.LBB338_23:
	s_or_b64 exec, exec, s[4:5]
.LBB338_24:
	s_or_b64 exec, exec, s[2:3]
	s_sub_i32 s0, s9, s27
	s_cmp_lt_i32 s0, 1
	s_cbranch_scc1 .LBB338_30
; %bb.25:
	v_mov_b64_e32 v[4:5], 0
	v_cmp_gt_i32_e32 vcc, s9, v9
	v_mov_b64_e32 v[6:7], v[4:5]
	s_and_saveexec_b64 s[0:1], vcc
	s_cbranch_execz .LBB338_27
; %bb.26:
	s_waitcnt lgkmcnt(0)
	v_mul_lo_u32 v4, v9, s26
	v_ashrrev_i32_e32 v5, 31, v4
	v_lshl_add_u64 v[4:5], v[4:5], 4, s[18:19]
	flat_load_dwordx4 v[4:7], v[4:5]
.LBB338_27:
	s_or_b64 exec, exec, s[0:1]
	v_cmp_gt_i32_e64 s[0:1], s8, v8
	s_and_saveexec_b64 s[2:3], s[0:1]
	s_cbranch_execz .LBB338_29
; %bb.28:
	s_waitcnt lgkmcnt(0)
	v_mul_lo_u32 v9, v9, s11
	v_cndmask_b32_e32 v9, 0, v9, vcc
	v_add_u32_e32 v8, v9, v8
	v_ashrrev_i32_e32 v9, 31, v8
	v_lshl_add_u64 v[8:9], v[8:9], 4, s[24:25]
	flat_load_dwordx4 v[12:15], v[8:9]
	s_waitcnt vmcnt(0) lgkmcnt(0)
	v_mul_f64 v[8:9], v[6:7], v[14:15]
	v_mul_f64 v[14:15], v[4:5], v[14:15]
	v_fma_f64 v[4:5], v[4:5], v[12:13], -v[8:9]
	v_fmac_f64_e32 v[14:15], v[6:7], v[12:13]
	v_add_f64 v[0:1], v[0:1], v[4:5]
	v_add_f64 v[2:3], v[2:3], v[14:15]
.LBB338_29:
	s_or_b64 exec, exec, s[2:3]
.LBB338_30:
	v_lshlrev_b32_e32 v11, 4, v10
	v_cmp_gt_u32_e32 vcc, 64, v10
	ds_write_b128 v11, v[0:3]
	s_waitcnt lgkmcnt(0)
	s_barrier
	s_waitcnt lgkmcnt(0)
                                        ; implicit-def: $vgpr2_vgpr3
                                        ; implicit-def: $vgpr8_vgpr9
	s_and_saveexec_b64 s[0:1], vcc
	s_cbranch_execz .LBB338_36
; %bb.31:
	ds_read_b128 v[0:3], v11
	s_waitcnt vmcnt(0)
	ds_read_b128 v[4:7], v11 offset:1024
	ds_read_b128 v[12:15], v11 offset:2048
	;; [unrolled: 1-line block ×3, first 2 shown]
	v_or_b32_e32 v10, s10, v10
	v_cmp_gt_i32_e32 vcc, s8, v10
	s_waitcnt lgkmcnt(2)
	v_add_f64 v[0:1], v[0:1], v[4:5]
	v_add_f64 v[2:3], v[2:3], v[6:7]
	s_waitcnt lgkmcnt(1)
	v_add_f64 v[0:1], v[0:1], v[12:13]
	v_add_f64 v[2:3], v[2:3], v[14:15]
	s_waitcnt lgkmcnt(0)
	v_add_f64 v[4:5], v[0:1], v[16:17]
	v_add_f64 v[6:7], v[2:3], v[18:19]
	s_mov_b64 s[4:5], s[16:17]
	ds_write_b128 v11, v[4:7]
                                        ; implicit-def: $vgpr2_vgpr3
                                        ; implicit-def: $vgpr8_vgpr9
	s_and_saveexec_b64 s[2:3], vcc
	s_cbranch_execz .LBB338_35
; %bb.32:
	v_cmp_neq_f64_e64 s[4:5], s[12:13], 0
	v_cmp_neq_f64_e64 s[8:9], s[14:15], 0
	v_mul_f64 v[0:1], s[22:23], v[6:7]
	v_mul_f64 v[2:3], s[20:21], v[6:7]
	v_mul_lo_u32 v8, v10, s30
	s_or_b64 s[4:5], s[4:5], s[8:9]
	v_fma_f64 v[0:1], s[20:21], v[4:5], -v[0:1]
	v_fmac_f64_e32 v[2:3], s[22:23], v[4:5]
	s_andn2_b64 vcc, exec, s[4:5]
	v_ashrrev_i32_e32 v9, 31, v8
	s_cbranch_vccnz .LBB338_34
; %bb.33:
	v_lshl_add_u64 v[4:5], v[8:9], 4, s[6:7]
	global_load_dwordx4 v[4:7], v[4:5], off
	s_waitcnt vmcnt(0)
	v_mul_f64 v[10:11], s[14:15], v[6:7]
	v_mul_f64 v[6:7], s[12:13], v[6:7]
	v_fma_f64 v[10:11], s[12:13], v[4:5], -v[10:11]
	v_fmac_f64_e32 v[6:7], s[14:15], v[4:5]
	v_add_f64 v[0:1], v[0:1], v[10:11]
	v_add_f64 v[2:3], v[2:3], v[6:7]
.LBB338_34:
	s_or_b64 s[4:5], s[16:17], exec
.LBB338_35:
	s_or_b64 exec, exec, s[2:3]
	s_andn2_b64 s[2:3], s[16:17], exec
	s_and_b64 s[4:5], s[4:5], exec
	s_or_b64 s[16:17], s[2:3], s[4:5]
.LBB338_36:
	s_or_b64 exec, exec, s[0:1]
.LBB338_37:
	s_and_saveexec_b64 s[0:1], s[16:17]
	s_cbranch_execz .LBB338_4
; %bb.38:
	s_waitcnt vmcnt(0)
	v_lshl_add_u64 v[4:5], v[8:9], 4, s[6:7]
	global_store_dwordx4 v[4:5], v[0:3], off
	s_endpgm
	.section	.rodata,"a",@progbits
	.p2align	6, 0x0
	.amdhsa_kernel _ZL20rocblas_gemvn_kernelILi64ELi4EiPK19rocblas_complex_numIdES3_KPS1_EviiT3_lPKT2_lT1_lS9_lSA_lS6_lPT4_lSA_li
		.amdhsa_group_segment_fixed_size 4096
		.amdhsa_private_segment_fixed_size 0
		.amdhsa_kernarg_size 400
		.amdhsa_user_sgpr_count 2
		.amdhsa_user_sgpr_dispatch_ptr 0
		.amdhsa_user_sgpr_queue_ptr 0
		.amdhsa_user_sgpr_kernarg_segment_ptr 1
		.amdhsa_user_sgpr_dispatch_id 0
		.amdhsa_user_sgpr_kernarg_preload_length 0
		.amdhsa_user_sgpr_kernarg_preload_offset 0
		.amdhsa_user_sgpr_private_segment_size 0
		.amdhsa_uses_dynamic_stack 0
		.amdhsa_enable_private_segment 0
		.amdhsa_system_sgpr_workgroup_id_x 1
		.amdhsa_system_sgpr_workgroup_id_y 0
		.amdhsa_system_sgpr_workgroup_id_z 1
		.amdhsa_system_sgpr_workgroup_info 0
		.amdhsa_system_vgpr_workitem_id 1
		.amdhsa_next_free_vgpr 24
		.amdhsa_next_free_sgpr 36
		.amdhsa_accum_offset 24
		.amdhsa_reserve_vcc 1
		.amdhsa_float_round_mode_32 0
		.amdhsa_float_round_mode_16_64 0
		.amdhsa_float_denorm_mode_32 3
		.amdhsa_float_denorm_mode_16_64 3
		.amdhsa_dx10_clamp 1
		.amdhsa_ieee_mode 1
		.amdhsa_fp16_overflow 0
		.amdhsa_tg_split 0
		.amdhsa_exception_fp_ieee_invalid_op 0
		.amdhsa_exception_fp_denorm_src 0
		.amdhsa_exception_fp_ieee_div_zero 0
		.amdhsa_exception_fp_ieee_overflow 0
		.amdhsa_exception_fp_ieee_underflow 0
		.amdhsa_exception_fp_ieee_inexact 0
		.amdhsa_exception_int_div_zero 0
	.end_amdhsa_kernel
	.section	.text._ZL20rocblas_gemvn_kernelILi64ELi4EiPK19rocblas_complex_numIdES3_KPS1_EviiT3_lPKT2_lT1_lS9_lSA_lS6_lPT4_lSA_li,"axG",@progbits,_ZL20rocblas_gemvn_kernelILi64ELi4EiPK19rocblas_complex_numIdES3_KPS1_EviiT3_lPKT2_lT1_lS9_lSA_lS6_lPT4_lSA_li,comdat
.Lfunc_end338:
	.size	_ZL20rocblas_gemvn_kernelILi64ELi4EiPK19rocblas_complex_numIdES3_KPS1_EviiT3_lPKT2_lT1_lS9_lSA_lS6_lPT4_lSA_li, .Lfunc_end338-_ZL20rocblas_gemvn_kernelILi64ELi4EiPK19rocblas_complex_numIdES3_KPS1_EviiT3_lPKT2_lT1_lS9_lSA_lS6_lPT4_lSA_li
                                        ; -- End function
	.section	.AMDGPU.csdata,"",@progbits
; Kernel info:
; codeLenInByte = 1428
; NumSgprs: 42
; NumVgprs: 24
; NumAgprs: 0
; TotalNumVgprs: 24
; ScratchSize: 0
; MemoryBound: 1
; FloatMode: 240
; IeeeMode: 1
; LDSByteSize: 4096 bytes/workgroup (compile time only)
; SGPRBlocks: 5
; VGPRBlocks: 2
; NumSGPRsForWavesPerEU: 42
; NumVGPRsForWavesPerEU: 24
; AccumOffset: 24
; Occupancy: 8
; WaveLimiterHint : 1
; COMPUTE_PGM_RSRC2:SCRATCH_EN: 0
; COMPUTE_PGM_RSRC2:USER_SGPR: 2
; COMPUTE_PGM_RSRC2:TRAP_HANDLER: 0
; COMPUTE_PGM_RSRC2:TGID_X_EN: 1
; COMPUTE_PGM_RSRC2:TGID_Y_EN: 0
; COMPUTE_PGM_RSRC2:TGID_Z_EN: 1
; COMPUTE_PGM_RSRC2:TIDIG_COMP_CNT: 1
; COMPUTE_PGM_RSRC3_GFX90A:ACCUM_OFFSET: 5
; COMPUTE_PGM_RSRC3_GFX90A:TG_SPLIT: 0
	.section	.text._ZL20rocblas_gemvn_kernelILi64ELi4ElPK19rocblas_complex_numIdES3_KPS1_EviiT3_lPKT2_lT1_lS9_lSA_lS6_lPT4_lSA_li,"axG",@progbits,_ZL20rocblas_gemvn_kernelILi64ELi4ElPK19rocblas_complex_numIdES3_KPS1_EviiT3_lPKT2_lT1_lS9_lSA_lS6_lPT4_lSA_li,comdat
	.globl	_ZL20rocblas_gemvn_kernelILi64ELi4ElPK19rocblas_complex_numIdES3_KPS1_EviiT3_lPKT2_lT1_lS9_lSA_lS6_lPT4_lSA_li ; -- Begin function _ZL20rocblas_gemvn_kernelILi64ELi4ElPK19rocblas_complex_numIdES3_KPS1_EviiT3_lPKT2_lT1_lS9_lSA_lS6_lPT4_lSA_li
	.p2align	8
	.type	_ZL20rocblas_gemvn_kernelILi64ELi4ElPK19rocblas_complex_numIdES3_KPS1_EviiT3_lPKT2_lT1_lS9_lSA_lS6_lPT4_lSA_li,@function
_ZL20rocblas_gemvn_kernelILi64ELi4ElPK19rocblas_complex_numIdES3_KPS1_EviiT3_lPKT2_lT1_lS9_lSA_lS6_lPT4_lSA_li: ; @_ZL20rocblas_gemvn_kernelILi64ELi4ElPK19rocblas_complex_numIdES3_KPS1_EviiT3_lPKT2_lT1_lS9_lSA_lS6_lPT4_lSA_li
; %bb.0:
	s_load_dwordx2 s[4:5], s[0:1], 0x9c
	s_mov_b32 s34, s3
	s_waitcnt lgkmcnt(0)
	s_lshr_b32 s6, s4, 16
	s_and_b32 s3, s4, 0xffff
	s_and_b32 s5, s5, 0xffff
	s_mul_i32 s4, s6, s3
	s_mul_i32 s4, s4, s5
	s_cmpk_lg_i32 s4, 0x100
	s_cbranch_scc1 .LBB339_4
; %bb.1:
	s_load_dwordx8 s[12:19], s[0:1], 0x8
	s_load_dwordx2 s[24:25], s[0:1], 0x28
	s_load_dwordx8 s[4:11], s[0:1], 0x58
	s_mov_b32 s35, 0
	s_waitcnt lgkmcnt(0)
	s_mul_i32 s15, s34, s15
	s_mul_hi_u32 s20, s34, s14
	s_add_i32 s15, s20, s15
	s_mul_i32 s14, s34, s14
	s_lshl_b64 s[14:15], s[14:15], 4
	s_add_u32 s12, s12, s14
	s_mul_i32 s7, s34, s7
	s_mul_hi_u32 s20, s34, s6
	s_addc_u32 s13, s13, s15
	s_add_i32 s7, s20, s7
	s_mul_i32 s6, s34, s6
	s_load_dwordx4 s[12:15], s[12:13], 0x0
	s_lshl_b64 s[6:7], s[6:7], 4
	s_add_u32 s4, s4, s6
	s_addc_u32 s5, s5, s7
	s_load_dwordx4 s[4:7], s[4:5], 0x0
	s_waitcnt lgkmcnt(0)
	v_cmp_neq_f64_e64 s[22:23], s[12:13], 0
	v_cmp_neq_f64_e64 s[26:27], s[14:15], 0
	s_or_b64 s[30:31], s[22:23], s[26:27]
	s_mov_b64 s[20:21], 0
	s_mov_b64 s[26:27], -1
	s_and_b64 vcc, exec, s[30:31]
	s_cbranch_vccz .LBB339_5
; %bb.2:
	s_andn2_b64 vcc, exec, s[26:27]
	s_cbranch_vccz .LBB339_6
.LBB339_3:
	s_andn2_b64 vcc, exec, s[20:21]
	s_cbranch_vccz .LBB339_7
.LBB339_4:
	s_endpgm
.LBB339_5:
	v_cmp_neq_f64_e64 s[20:21], s[4:5], 1.0
	v_cmp_neq_f64_e64 s[22:23], s[6:7], 0
	s_mov_b64 s[26:27], 0
	s_or_b64 s[20:21], s[20:21], s[22:23]
	s_cbranch_execnz .LBB339_3
.LBB339_6:
	s_lshl_b64 s[20:21], s[34:35], 3
	s_add_u32 s16, s16, s20
	s_addc_u32 s17, s17, s21
	s_load_dwordx2 s[16:17], s[16:17], 0x0
	s_lshl_b64 s[18:19], s[18:19], 4
	s_waitcnt lgkmcnt(0)
	s_add_u32 s26, s16, s18
	s_addc_u32 s27, s17, s19
.LBB339_7:
	s_load_dwordx2 s[22:23], s[0:1], 0x78
	s_load_dwordx4 s[16:19], s[0:1], 0x38
	s_load_dwordx2 s[28:29], s[0:1], 0x48
	s_xor_b64 s[36:37], s[30:31], -1
	s_mov_b64 s[20:21], 0
	s_andn2_b64 vcc, exec, s[30:31]
	s_mov_b64 s[30:31], 0
	s_cbranch_vccnz .LBB339_9
; %bb.8:
	s_lshl_b64 s[30:31], s[34:35], 3
	s_waitcnt lgkmcnt(0)
	s_add_u32 s16, s16, s30
	s_addc_u32 s17, s17, s31
	s_load_dwordx2 s[16:17], s[16:17], 0x0
	s_lshl_b64 s[18:19], s[18:19], 4
	s_waitcnt lgkmcnt(0)
	s_add_u32 s30, s16, s18
	s_addc_u32 s31, s17, s19
.LBB339_9:
	s_waitcnt lgkmcnt(0)
	s_lshl_b64 s[16:17], s[34:35], 3
	s_add_u32 s8, s8, s16
	s_addc_u32 s9, s9, s17
	s_load_dwordx2 s[18:19], s[8:9], 0x0
	s_load_dwordx2 s[16:17], s[0:1], 0x0
	v_and_b32_e32 v1, 0x3ff, v0
	v_bfe_u32 v0, v0, 10, 10
	s_lshl_b64 s[0:1], s[10:11], 4
	s_waitcnt lgkmcnt(0)
	s_add_u32 s8, s18, s0
	v_mad_u32_u24 v10, v0, s3, v1
	s_addc_u32 s9, s19, s1
	s_andn2_b64 vcc, exec, s[36:37]
	v_cmp_gt_u32_e64 s[0:1], 64, v10
	s_cbranch_vccnz .LBB339_16
; %bb.10:
	s_mov_b64 s[10:11], 0
                                        ; implicit-def: $vgpr2_vgpr3
                                        ; implicit-def: $vgpr8_vgpr9
	s_and_saveexec_b64 s[18:19], s[0:1]
	s_cbranch_execz .LBB339_17
; %bb.11:
	v_lshl_or_b32 v0, s2, 6, v10
	v_mov_b32_e32 v1, 0
	s_ashr_i32 s1, s16, 31
	s_mov_b32 s0, s16
	v_cmp_gt_i64_e32 vcc, s[0:1], v[0:1]
                                        ; implicit-def: $vgpr2_vgpr3
                                        ; implicit-def: $vgpr8_vgpr9
	s_and_saveexec_b64 s[0:1], vcc
	s_cbranch_execz .LBB339_15
; %bb.12:
	v_mad_u64_u32 v[8:9], s[36:37], v0, s22, 0
	v_cmp_neq_f64_e64 s[20:21], s[4:5], 0
	v_cmp_neq_f64_e64 s[34:35], s[6:7], 0
	v_mov_b32_e32 v4, v9
	v_mov_b64_e32 v[2:3], 0
	v_mad_u64_u32 v[0:1], s[36:37], v0, s23, v[4:5]
	s_or_b64 s[20:21], s[20:21], s[34:35]
	v_mov_b32_e32 v9, v0
	s_andn2_b64 vcc, exec, s[20:21]
	v_mov_b64_e32 v[0:1], v[2:3]
	s_cbranch_vccnz .LBB339_14
; %bb.13:
	v_lshl_add_u64 v[0:1], v[8:9], 4, s[8:9]
	global_load_dwordx4 v[4:7], v[0:1], off
	s_waitcnt vmcnt(0)
	v_mul_f64 v[0:1], s[6:7], v[6:7]
	v_mul_f64 v[2:3], s[4:5], v[6:7]
	v_fma_f64 v[0:1], s[4:5], v[4:5], -v[0:1]
	v_fmac_f64_e32 v[2:3], s[6:7], v[4:5]
.LBB339_14:
	s_mov_b64 s[20:21], exec
.LBB339_15:
	s_or_b64 exec, exec, s[0:1]
	s_and_b64 s[20:21], s[20:21], exec
	s_or_b64 exec, exec, s[18:19]
	s_and_b64 vcc, exec, s[10:11]
	s_cbranch_vccnz .LBB339_18
	s_branch .LBB339_37
.LBB339_16:
                                        ; implicit-def: $vgpr2_vgpr3
                                        ; implicit-def: $vgpr8_vgpr9
	s_cbranch_execnz .LBB339_18
	s_branch .LBB339_37
.LBB339_17:
	s_or_b64 exec, exec, s[18:19]
	s_and_b64 vcc, exec, s[10:11]
	s_cbranch_vccz .LBB339_37
.LBB339_18:
	s_ashr_i32 s0, s17, 31
	s_lshr_b32 s0, s0, 30
	s_add_i32 s0, s17, s0
	v_and_b32_e32 v6, 63, v10
	v_lshrrev_b32_e32 v11, 6, v10
	s_lshl_b32 s33, s2, 6
	s_and_b32 s36, s0, -4
	v_mov_b64_e32 v[2:3], 0
	v_or_b32_e32 v8, s33, v6
	v_cmp_gt_i32_e32 vcc, s36, v11
	v_mov_b64_e32 v[0:1], v[2:3]
	s_and_saveexec_b64 s[2:3], vcc
	s_cbranch_execz .LBB339_24
; %bb.19:
	v_lshrrev_b32_e32 v7, 6, v10
	v_mad_u64_u32 v[0:1], s[0:1], s28, v7, 0
	v_mov_b32_e32 v2, v1
	v_mad_u64_u32 v[2:3], s[0:1], s29, v7, v[2:3]
	v_mov_b32_e32 v1, v2
	v_lshl_add_u64 v[4:5], v[0:1], 4, s[30:31]
	v_mad_u64_u32 v[0:1], s[0:1], s24, v7, 0
	v_mov_b32_e32 v2, v1
	v_mad_u64_u32 v[2:3], s[0:1], s25, v7, v[2:3]
	v_mov_b32_e32 v1, v2
	v_add_u32_e32 v2, s33, v6
	v_ashrrev_i32_e32 v3, 31, v2
	v_lshlrev_b64 v[2:3], 4, v[2:3]
	v_lshl_add_u64 v[0:1], v[0:1], 4, v[2:3]
	v_mov_b64_e32 v[2:3], 0
	v_cmp_gt_i32_e32 vcc, s16, v8
	s_lshl_b64 s[10:11], s[28:29], 6
	v_lshl_add_u64 v[6:7], s[26:27], 0, v[0:1]
	s_lshl_b64 s[34:35], s[24:25], 6
	s_mov_b64 s[18:19], 0
	v_mov_b64_e32 v[0:1], v[2:3]
	s_branch .LBB339_21
.LBB339_20:                             ;   in Loop: Header=BB339_21 Depth=1
	s_or_b64 exec, exec, s[0:1]
	v_add_u32_e32 v11, 4, v11
	v_cmp_le_i32_e64 s[0:1], s36, v11
	v_lshl_add_u64 v[4:5], v[4:5], 0, s[10:11]
	s_or_b64 s[18:19], s[0:1], s[18:19]
	v_lshl_add_u64 v[6:7], v[6:7], 0, s[34:35]
	s_andn2_b64 exec, exec, s[18:19]
	s_cbranch_execz .LBB339_23
.LBB339_21:                             ; =>This Inner Loop Header: Depth=1
	s_and_saveexec_b64 s[0:1], vcc
	s_cbranch_execz .LBB339_20
; %bb.22:                               ;   in Loop: Header=BB339_21 Depth=1
	flat_load_dwordx4 v[12:15], v[4:5]
	flat_load_dwordx4 v[16:19], v[6:7]
	s_waitcnt vmcnt(0) lgkmcnt(0)
	v_mul_f64 v[20:21], v[14:15], v[18:19]
	v_mul_f64 v[18:19], v[12:13], v[18:19]
	v_fma_f64 v[12:13], v[12:13], v[16:17], -v[20:21]
	v_fmac_f64_e32 v[18:19], v[14:15], v[16:17]
	v_add_f64 v[0:1], v[0:1], v[12:13]
	v_add_f64 v[2:3], v[2:3], v[18:19]
	s_branch .LBB339_20
.LBB339_23:
	s_or_b64 exec, exec, s[18:19]
.LBB339_24:
	s_or_b64 exec, exec, s[2:3]
	s_sub_i32 s0, s17, s36
	s_cmp_lt_i32 s0, 1
	s_cbranch_scc1 .LBB339_30
; %bb.25:
	v_mov_b64_e32 v[4:5], 0
	v_cmp_gt_i32_e32 vcc, s17, v11
	v_mov_b64_e32 v[6:7], v[4:5]
	s_and_saveexec_b64 s[0:1], vcc
	s_cbranch_execz .LBB339_27
; %bb.26:
	v_mad_u64_u32 v[4:5], s[2:3], v11, s28, 0
	v_mov_b32_e32 v6, v5
	v_mad_u64_u32 v[6:7], s[2:3], v11, s29, v[6:7]
	v_mov_b32_e32 v5, v6
	v_lshl_add_u64 v[4:5], v[4:5], 4, s[30:31]
	flat_load_dwordx4 v[4:7], v[4:5]
.LBB339_27:
	s_or_b64 exec, exec, s[0:1]
	v_cmp_gt_i32_e64 s[0:1], s16, v8
	s_and_saveexec_b64 s[2:3], s[0:1]
	s_cbranch_execz .LBB339_29
; %bb.28:
	v_mad_u64_u32 v[12:13], s[0:1], v11, s24, 0
	v_mov_b32_e32 v14, v13
	v_mad_u64_u32 v[14:15], s[0:1], v11, s25, v[14:15]
	v_cndmask_b32_e32 v12, 0, v12, vcc
	v_cndmask_b32_e32 v13, 0, v14, vcc
	v_ashrrev_i32_e32 v9, 31, v8
	v_lshl_add_u64 v[12:13], v[12:13], 4, s[26:27]
	v_lshl_add_u64 v[8:9], v[8:9], 4, v[12:13]
	flat_load_dwordx4 v[12:15], v[8:9]
	s_waitcnt vmcnt(0) lgkmcnt(0)
	v_mul_f64 v[8:9], v[6:7], v[14:15]
	v_mul_f64 v[14:15], v[4:5], v[14:15]
	v_fma_f64 v[4:5], v[4:5], v[12:13], -v[8:9]
	v_fmac_f64_e32 v[14:15], v[6:7], v[12:13]
	v_add_f64 v[0:1], v[0:1], v[4:5]
	v_add_f64 v[2:3], v[2:3], v[14:15]
.LBB339_29:
	s_or_b64 exec, exec, s[2:3]
.LBB339_30:
	v_lshlrev_b32_e32 v11, 4, v10
	v_cmp_gt_u32_e32 vcc, 64, v10
	ds_write_b128 v11, v[0:3]
	s_waitcnt lgkmcnt(0)
	s_barrier
	s_waitcnt lgkmcnt(0)
                                        ; implicit-def: $vgpr2_vgpr3
                                        ; implicit-def: $vgpr8_vgpr9
	s_and_saveexec_b64 s[0:1], vcc
	s_cbranch_execz .LBB339_36
; %bb.31:
	ds_read_b128 v[0:3], v11
	s_waitcnt vmcnt(0)
	ds_read_b128 v[4:7], v11 offset:1024
	ds_read_b128 v[12:15], v11 offset:2048
	;; [unrolled: 1-line block ×3, first 2 shown]
	v_or_b32_e32 v10, s33, v10
	v_cmp_gt_i32_e32 vcc, s16, v10
	s_waitcnt lgkmcnt(2)
	v_add_f64 v[0:1], v[0:1], v[4:5]
	v_add_f64 v[2:3], v[2:3], v[6:7]
	s_waitcnt lgkmcnt(1)
	v_add_f64 v[0:1], v[0:1], v[12:13]
	v_add_f64 v[2:3], v[2:3], v[14:15]
	;; [unrolled: 3-line block ×3, first 2 shown]
	s_mov_b64 s[10:11], s[20:21]
	ds_write_b128 v11, v[4:7]
                                        ; implicit-def: $vgpr2_vgpr3
                                        ; implicit-def: $vgpr8_vgpr9
	s_and_saveexec_b64 s[2:3], vcc
	s_cbranch_execz .LBB339_35
; %bb.32:
	v_mul_f64 v[0:1], s[14:15], v[6:7]
	v_mul_f64 v[2:3], s[12:13], v[6:7]
	v_cmp_neq_f64_e64 s[10:11], s[4:5], 0
	v_cmp_neq_f64_e64 s[16:17], s[6:7], 0
	v_fma_f64 v[0:1], s[12:13], v[4:5], -v[0:1]
	v_fmac_f64_e32 v[2:3], s[14:15], v[4:5]
	v_ashrrev_i32_e32 v4, 31, v10
	v_mul_lo_u32 v5, v10, s23
	v_mul_lo_u32 v4, v4, s22
	v_mad_u64_u32 v[8:9], s[12:13], v10, s22, 0
	s_or_b64 s[10:11], s[10:11], s[16:17]
	s_andn2_b64 vcc, exec, s[10:11]
	v_add3_u32 v9, v9, v5, v4
	s_cbranch_vccnz .LBB339_34
; %bb.33:
	v_lshl_add_u64 v[4:5], v[8:9], 4, s[8:9]
	global_load_dwordx4 v[4:7], v[4:5], off
	s_waitcnt vmcnt(0)
	v_mul_f64 v[10:11], s[6:7], v[6:7]
	v_mul_f64 v[6:7], s[4:5], v[6:7]
	v_fma_f64 v[10:11], s[4:5], v[4:5], -v[10:11]
	v_fmac_f64_e32 v[6:7], s[6:7], v[4:5]
	v_add_f64 v[0:1], v[0:1], v[10:11]
	v_add_f64 v[2:3], v[2:3], v[6:7]
.LBB339_34:
	s_or_b64 s[10:11], s[20:21], exec
.LBB339_35:
	s_or_b64 exec, exec, s[2:3]
	s_andn2_b64 s[2:3], s[20:21], exec
	s_and_b64 s[4:5], s[10:11], exec
	s_or_b64 s[20:21], s[2:3], s[4:5]
.LBB339_36:
	s_or_b64 exec, exec, s[0:1]
.LBB339_37:
	s_and_saveexec_b64 s[0:1], s[20:21]
	s_cbranch_execz .LBB339_4
; %bb.38:
	s_waitcnt vmcnt(0)
	v_lshl_add_u64 v[4:5], v[8:9], 4, s[8:9]
	global_store_dwordx4 v[4:5], v[0:3], off
	s_endpgm
	.section	.rodata,"a",@progbits
	.p2align	6, 0x0
	.amdhsa_kernel _ZL20rocblas_gemvn_kernelILi64ELi4ElPK19rocblas_complex_numIdES3_KPS1_EviiT3_lPKT2_lT1_lS9_lSA_lS6_lPT4_lSA_li
		.amdhsa_group_segment_fixed_size 4096
		.amdhsa_private_segment_fixed_size 0
		.amdhsa_kernarg_size 400
		.amdhsa_user_sgpr_count 2
		.amdhsa_user_sgpr_dispatch_ptr 0
		.amdhsa_user_sgpr_queue_ptr 0
		.amdhsa_user_sgpr_kernarg_segment_ptr 1
		.amdhsa_user_sgpr_dispatch_id 0
		.amdhsa_user_sgpr_kernarg_preload_length 0
		.amdhsa_user_sgpr_kernarg_preload_offset 0
		.amdhsa_user_sgpr_private_segment_size 0
		.amdhsa_uses_dynamic_stack 0
		.amdhsa_enable_private_segment 0
		.amdhsa_system_sgpr_workgroup_id_x 1
		.amdhsa_system_sgpr_workgroup_id_y 0
		.amdhsa_system_sgpr_workgroup_id_z 1
		.amdhsa_system_sgpr_workgroup_info 0
		.amdhsa_system_vgpr_workitem_id 1
		.amdhsa_next_free_vgpr 22
		.amdhsa_next_free_sgpr 38
		.amdhsa_accum_offset 24
		.amdhsa_reserve_vcc 1
		.amdhsa_float_round_mode_32 0
		.amdhsa_float_round_mode_16_64 0
		.amdhsa_float_denorm_mode_32 3
		.amdhsa_float_denorm_mode_16_64 3
		.amdhsa_dx10_clamp 1
		.amdhsa_ieee_mode 1
		.amdhsa_fp16_overflow 0
		.amdhsa_tg_split 0
		.amdhsa_exception_fp_ieee_invalid_op 0
		.amdhsa_exception_fp_denorm_src 0
		.amdhsa_exception_fp_ieee_div_zero 0
		.amdhsa_exception_fp_ieee_overflow 0
		.amdhsa_exception_fp_ieee_underflow 0
		.amdhsa_exception_fp_ieee_inexact 0
		.amdhsa_exception_int_div_zero 0
	.end_amdhsa_kernel
	.section	.text._ZL20rocblas_gemvn_kernelILi64ELi4ElPK19rocblas_complex_numIdES3_KPS1_EviiT3_lPKT2_lT1_lS9_lSA_lS6_lPT4_lSA_li,"axG",@progbits,_ZL20rocblas_gemvn_kernelILi64ELi4ElPK19rocblas_complex_numIdES3_KPS1_EviiT3_lPKT2_lT1_lS9_lSA_lS6_lPT4_lSA_li,comdat
.Lfunc_end339:
	.size	_ZL20rocblas_gemvn_kernelILi64ELi4ElPK19rocblas_complex_numIdES3_KPS1_EviiT3_lPKT2_lT1_lS9_lSA_lS6_lPT4_lSA_li, .Lfunc_end339-_ZL20rocblas_gemvn_kernelILi64ELi4ElPK19rocblas_complex_numIdES3_KPS1_EviiT3_lPKT2_lT1_lS9_lSA_lS6_lPT4_lSA_li
                                        ; -- End function
	.section	.AMDGPU.csdata,"",@progbits
; Kernel info:
; codeLenInByte = 1524
; NumSgprs: 44
; NumVgprs: 22
; NumAgprs: 0
; TotalNumVgprs: 22
; ScratchSize: 0
; MemoryBound: 1
; FloatMode: 240
; IeeeMode: 1
; LDSByteSize: 4096 bytes/workgroup (compile time only)
; SGPRBlocks: 5
; VGPRBlocks: 2
; NumSGPRsForWavesPerEU: 44
; NumVGPRsForWavesPerEU: 22
; AccumOffset: 24
; Occupancy: 8
; WaveLimiterHint : 1
; COMPUTE_PGM_RSRC2:SCRATCH_EN: 0
; COMPUTE_PGM_RSRC2:USER_SGPR: 2
; COMPUTE_PGM_RSRC2:TRAP_HANDLER: 0
; COMPUTE_PGM_RSRC2:TGID_X_EN: 1
; COMPUTE_PGM_RSRC2:TGID_Y_EN: 0
; COMPUTE_PGM_RSRC2:TGID_Z_EN: 1
; COMPUTE_PGM_RSRC2:TIDIG_COMP_CNT: 1
; COMPUTE_PGM_RSRC3_GFX90A:ACCUM_OFFSET: 5
; COMPUTE_PGM_RSRC3_GFX90A:TG_SPLIT: 0
	.section	.text._ZL20rocblas_gemvn_kernelILi64ELi4EiPK19rocblas_complex_numIdES1_KPS1_EviiT3_lPKT2_lT1_lS9_lSA_lS6_lPT4_lSA_li,"axG",@progbits,_ZL20rocblas_gemvn_kernelILi64ELi4EiPK19rocblas_complex_numIdES1_KPS1_EviiT3_lPKT2_lT1_lS9_lSA_lS6_lPT4_lSA_li,comdat
	.globl	_ZL20rocblas_gemvn_kernelILi64ELi4EiPK19rocblas_complex_numIdES1_KPS1_EviiT3_lPKT2_lT1_lS9_lSA_lS6_lPT4_lSA_li ; -- Begin function _ZL20rocblas_gemvn_kernelILi64ELi4EiPK19rocblas_complex_numIdES1_KPS1_EviiT3_lPKT2_lT1_lS9_lSA_lS6_lPT4_lSA_li
	.p2align	8
	.type	_ZL20rocblas_gemvn_kernelILi64ELi4EiPK19rocblas_complex_numIdES1_KPS1_EviiT3_lPKT2_lT1_lS9_lSA_lS6_lPT4_lSA_li,@function
_ZL20rocblas_gemvn_kernelILi64ELi4EiPK19rocblas_complex_numIdES1_KPS1_EviiT3_lPKT2_lT1_lS9_lSA_lS6_lPT4_lSA_li: ; @_ZL20rocblas_gemvn_kernelILi64ELi4EiPK19rocblas_complex_numIdES1_KPS1_EviiT3_lPKT2_lT1_lS9_lSA_lS6_lPT4_lSA_li
; %bb.0:
	s_load_dwordx2 s[6:7], s[0:1], 0xac
	s_mov_b32 s4, s3
	s_waitcnt lgkmcnt(0)
	s_and_b32 s5, s7, 0xffff
	s_lshr_b32 s7, s6, 16
	s_and_b32 s3, s6, 0xffff
	s_mul_i32 s6, s7, s3
	s_mul_i32 s6, s6, s5
	s_cmpk_lg_i32 s6, 0x100
	s_cbranch_scc1 .LBB340_40
; %bb.1:
	s_load_dwordx4 s[12:15], s[0:1], 0x8
	s_load_dwordx4 s[8:11], s[0:1], 0x60
	s_mov_b64 s[16:17], 0
	s_waitcnt lgkmcnt(0)
	v_cmp_neq_f64_e64 s[6:7], s[12:13], 0
	v_cmp_neq_f64_e64 s[18:19], s[14:15], 0
	s_or_b64 s[6:7], s[6:7], s[18:19]
	s_mov_b64 s[18:19], -1
	s_and_b64 vcc, exec, s[6:7]
	s_cbranch_vccnz .LBB340_4
; %bb.2:
	v_cmp_eq_f64_e64 s[16:17], s[8:9], 1.0
	v_cmp_eq_f64_e64 s[18:19], s[10:11], 0
	s_and_b64 s[16:17], s[16:17], s[18:19]
	s_andn2_b64 vcc, exec, s[16:17]
	s_mov_b64 s[18:19], 0
	s_cbranch_vccz .LBB340_16
; %bb.3:
	s_mov_b32 s5, 0
	s_mov_b64 s[16:17], -1
	s_mov_b64 s[20:21], 0
	s_and_b64 vcc, exec, s[18:19]
	s_cbranch_vccnz .LBB340_5
	s_branch .LBB340_6
.LBB340_4:
                                        ; implicit-def: $sgpr20_sgpr21
	s_and_b64 vcc, exec, s[18:19]
	s_cbranch_vccz .LBB340_6
.LBB340_5:
	s_load_dwordx4 s[16:19], s[0:1], 0x20
	s_mov_b32 s5, 0
	s_lshl_b64 s[20:21], s[4:5], 3
	s_waitcnt lgkmcnt(0)
	s_add_u32 s16, s16, s20
	s_addc_u32 s17, s17, s21
	s_load_dwordx2 s[16:17], s[16:17], 0x0
	s_lshl_b64 s[18:19], s[18:19], 4
	s_waitcnt lgkmcnt(0)
	s_add_u32 s20, s16, s18
	s_addc_u32 s21, s17, s19
	s_mov_b64 s[16:17], -1
.LBB340_6:
	s_andn2_b64 vcc, exec, s[16:17]
	s_cbranch_vccnz .LBB340_40
; %bb.7:
	s_xor_b64 s[24:25], s[6:7], -1
	s_mov_b64 s[16:17], 0
	s_andn2_b64 vcc, exec, s[6:7]
	s_mov_b64 s[22:23], 0
	s_cbranch_vccnz .LBB340_9
; %bb.8:
	s_load_dwordx4 s[28:31], s[0:1], 0x40
	s_lshl_b64 s[6:7], s[4:5], 3
	s_waitcnt lgkmcnt(0)
	s_add_u32 s6, s28, s6
	s_addc_u32 s7, s29, s7
	s_load_dwordx2 s[6:7], s[6:7], 0x0
	s_lshl_b64 s[18:19], s[30:31], 4
	s_waitcnt lgkmcnt(0)
	s_add_u32 s22, s6, s18
	s_addc_u32 s23, s7, s19
.LBB340_9:
	s_load_dwordx4 s[36:39], s[0:1], 0x78
	s_load_dwordx2 s[18:19], s[0:1], 0x0
	s_load_dword s28, s[0:1], 0x88
	s_lshl_b64 s[4:5], s[4:5], 3
	v_and_b32_e32 v1, 0x3ff, v0
	s_waitcnt lgkmcnt(0)
	s_add_u32 s4, s36, s4
	s_addc_u32 s5, s37, s5
	s_load_dwordx2 s[4:5], s[4:5], 0x0
	v_bfe_u32 v0, v0, 10, 10
	s_lshl_b64 s[6:7], s[38:39], 4
	v_mad_u32_u24 v10, v0, s3, v1
	s_waitcnt lgkmcnt(0)
	s_add_u32 s6, s4, s6
	s_addc_u32 s7, s5, s7
	s_andn2_b64 vcc, exec, s[24:25]
	v_cmp_gt_u32_e64 s[4:5], 64, v10
	s_cbranch_vccnz .LBB340_17
; %bb.10:
	s_mov_b64 s[24:25], 0
                                        ; implicit-def: $vgpr2_vgpr3
                                        ; implicit-def: $vgpr8_vgpr9
	s_and_saveexec_b64 s[26:27], s[4:5]
	s_cbranch_execz .LBB340_18
; %bb.11:
	v_lshl_or_b32 v0, s2, 6, v10
	v_mov_b32_e32 v1, 0
	s_ashr_i32 s5, s18, 31
	s_mov_b32 s4, s18
	v_cmp_gt_i64_e32 vcc, s[4:5], v[0:1]
                                        ; implicit-def: $vgpr2_vgpr3
                                        ; implicit-def: $vgpr8_vgpr9
	s_and_saveexec_b64 s[4:5], vcc
	s_cbranch_execz .LBB340_15
; %bb.12:
	v_mad_u64_u32 v[8:9], s[34:35], v0, s28, 0
	v_cmp_neq_f64_e64 s[16:17], s[8:9], 0
	v_cmp_neq_f64_e64 s[30:31], s[10:11], 0
	s_ashr_i32 s3, s28, 31
	v_mov_b32_e32 v4, v9
	v_mov_b64_e32 v[2:3], 0
	v_mad_u64_u32 v[0:1], s[34:35], v0, s3, v[4:5]
	s_or_b64 s[16:17], s[16:17], s[30:31]
	v_mov_b32_e32 v9, v0
	s_andn2_b64 vcc, exec, s[16:17]
	v_mov_b64_e32 v[0:1], v[2:3]
	s_cbranch_vccnz .LBB340_14
; %bb.13:
	v_lshl_add_u64 v[0:1], v[8:9], 4, s[6:7]
	global_load_dwordx4 v[4:7], v[0:1], off
	s_waitcnt vmcnt(0)
	v_mul_f64 v[0:1], s[10:11], v[6:7]
	v_mul_f64 v[2:3], s[8:9], v[6:7]
	v_fma_f64 v[0:1], s[8:9], v[4:5], -v[0:1]
	v_fmac_f64_e32 v[2:3], s[10:11], v[4:5]
.LBB340_14:
	s_mov_b64 s[16:17], exec
.LBB340_15:
	s_or_b64 exec, exec, s[4:5]
	s_and_b64 s[16:17], s[16:17], exec
	s_or_b64 exec, exec, s[26:27]
	s_and_b64 vcc, exec, s[24:25]
	s_cbranch_vccnz .LBB340_19
	s_branch .LBB340_38
.LBB340_16:
                                        ; implicit-def: $sgpr20_sgpr21
	s_mov_b64 s[16:17], 0
	s_and_b64 vcc, exec, s[18:19]
	s_cbranch_vccnz .LBB340_5
	s_branch .LBB340_6
.LBB340_17:
                                        ; implicit-def: $vgpr2_vgpr3
                                        ; implicit-def: $vgpr8_vgpr9
	s_cbranch_execnz .LBB340_19
	s_branch .LBB340_38
.LBB340_18:
	s_or_b64 exec, exec, s[26:27]
	s_and_b64 vcc, exec, s[24:25]
	s_cbranch_vccz .LBB340_38
.LBB340_19:
	s_load_dword s25, s[0:1], 0x30
	s_load_dword s26, s[0:1], 0x50
	s_ashr_i32 s0, s19, 31
	s_lshr_b32 s0, s0, 30
	s_add_i32 s0, s19, s0
	v_and_b32_e32 v5, 63, v10
	v_lshrrev_b32_e32 v9, 6, v10
	s_lshl_b32 s24, s2, 6
	s_and_b32 s27, s0, -4
	v_mov_b64_e32 v[2:3], 0
	v_or_b32_e32 v8, s24, v5
	v_cmp_gt_i32_e32 vcc, s27, v9
	v_mov_b64_e32 v[0:1], v[2:3]
	s_and_saveexec_b64 s[2:3], vcc
	s_cbranch_execz .LBB340_25
; %bb.20:
	s_waitcnt lgkmcnt(0)
	v_mul_lo_u32 v0, s25, v9
	v_mov_b64_e32 v[2:3], 0
	v_cmp_gt_i32_e32 vcc, s18, v8
	v_mul_lo_u32 v4, s26, v9
	s_lshl_b32 s29, s26, 2
	v_add3_u32 v6, v0, s24, v5
	s_lshl_b32 s30, s25, 2
	s_mov_b64 s[4:5], 0
	v_mov_b64_e32 v[0:1], v[2:3]
	s_branch .LBB340_22
.LBB340_21:                             ;   in Loop: Header=BB340_22 Depth=1
	s_or_b64 exec, exec, s[0:1]
	v_add_u32_e32 v9, 4, v9
	v_cmp_le_i32_e64 s[0:1], s27, v9
	v_add_u32_e32 v4, s29, v4
	s_or_b64 s[4:5], s[0:1], s[4:5]
	v_add_u32_e32 v6, s30, v6
	s_andn2_b64 exec, exec, s[4:5]
	s_cbranch_execz .LBB340_24
.LBB340_22:                             ; =>This Inner Loop Header: Depth=1
	s_and_saveexec_b64 s[0:1], vcc
	s_cbranch_execz .LBB340_21
; %bb.23:                               ;   in Loop: Header=BB340_22 Depth=1
	v_ashrrev_i32_e32 v5, 31, v4
	v_ashrrev_i32_e32 v7, 31, v6
	v_lshl_add_u64 v[22:23], v[4:5], 4, s[22:23]
	v_lshl_add_u64 v[20:21], v[6:7], 4, s[20:21]
	flat_load_dwordx4 v[12:15], v[22:23]
	flat_load_dwordx4 v[16:19], v[20:21]
	s_waitcnt vmcnt(0) lgkmcnt(0)
	v_mul_f64 v[20:21], v[14:15], v[18:19]
	v_mul_f64 v[18:19], v[12:13], v[18:19]
	v_fma_f64 v[12:13], v[12:13], v[16:17], -v[20:21]
	v_fmac_f64_e32 v[18:19], v[14:15], v[16:17]
	v_add_f64 v[0:1], v[0:1], v[12:13]
	v_add_f64 v[2:3], v[2:3], v[18:19]
	s_branch .LBB340_21
.LBB340_24:
	s_or_b64 exec, exec, s[4:5]
.LBB340_25:
	s_or_b64 exec, exec, s[2:3]
	s_sub_i32 s0, s19, s27
	s_cmp_lt_i32 s0, 1
	s_cbranch_scc1 .LBB340_31
; %bb.26:
	v_mov_b64_e32 v[4:5], 0
	v_cmp_gt_i32_e32 vcc, s19, v9
	v_mov_b64_e32 v[6:7], v[4:5]
	s_and_saveexec_b64 s[0:1], vcc
	s_cbranch_execz .LBB340_28
; %bb.27:
	s_waitcnt lgkmcnt(0)
	v_mul_lo_u32 v4, v9, s26
	v_ashrrev_i32_e32 v5, 31, v4
	v_lshl_add_u64 v[4:5], v[4:5], 4, s[22:23]
	flat_load_dwordx4 v[4:7], v[4:5]
.LBB340_28:
	s_or_b64 exec, exec, s[0:1]
	v_cmp_gt_i32_e64 s[0:1], s18, v8
	s_and_saveexec_b64 s[2:3], s[0:1]
	s_cbranch_execz .LBB340_30
; %bb.29:
	s_waitcnt lgkmcnt(0)
	v_mul_lo_u32 v9, v9, s25
	v_cndmask_b32_e32 v9, 0, v9, vcc
	v_add_u32_e32 v8, v9, v8
	v_ashrrev_i32_e32 v9, 31, v8
	v_lshl_add_u64 v[8:9], v[8:9], 4, s[20:21]
	flat_load_dwordx4 v[12:15], v[8:9]
	s_waitcnt vmcnt(0) lgkmcnt(0)
	v_mul_f64 v[8:9], v[6:7], v[14:15]
	v_mul_f64 v[14:15], v[4:5], v[14:15]
	v_fma_f64 v[4:5], v[4:5], v[12:13], -v[8:9]
	v_fmac_f64_e32 v[14:15], v[6:7], v[12:13]
	v_add_f64 v[0:1], v[0:1], v[4:5]
	v_add_f64 v[2:3], v[2:3], v[14:15]
.LBB340_30:
	s_or_b64 exec, exec, s[2:3]
.LBB340_31:
	v_lshlrev_b32_e32 v11, 4, v10
	v_cmp_gt_u32_e32 vcc, 64, v10
	ds_write_b128 v11, v[0:3]
	s_waitcnt lgkmcnt(0)
	s_barrier
	s_waitcnt lgkmcnt(0)
                                        ; implicit-def: $vgpr2_vgpr3
                                        ; implicit-def: $vgpr8_vgpr9
	s_and_saveexec_b64 s[0:1], vcc
	s_cbranch_execz .LBB340_37
; %bb.32:
	ds_read_b128 v[0:3], v11
	s_waitcnt vmcnt(0)
	ds_read_b128 v[4:7], v11 offset:1024
	ds_read_b128 v[12:15], v11 offset:2048
	;; [unrolled: 1-line block ×3, first 2 shown]
	v_or_b32_e32 v10, s24, v10
	v_cmp_gt_i32_e32 vcc, s18, v10
	s_waitcnt lgkmcnt(2)
	v_add_f64 v[0:1], v[0:1], v[4:5]
	v_add_f64 v[2:3], v[2:3], v[6:7]
	s_waitcnt lgkmcnt(1)
	v_add_f64 v[0:1], v[0:1], v[12:13]
	v_add_f64 v[2:3], v[2:3], v[14:15]
	;; [unrolled: 3-line block ×3, first 2 shown]
	s_mov_b64 s[4:5], s[16:17]
	ds_write_b128 v11, v[4:7]
                                        ; implicit-def: $vgpr2_vgpr3
                                        ; implicit-def: $vgpr8_vgpr9
	s_and_saveexec_b64 s[2:3], vcc
	s_cbranch_execz .LBB340_36
; %bb.33:
	v_cmp_neq_f64_e64 s[4:5], s[8:9], 0
	v_cmp_neq_f64_e64 s[18:19], s[10:11], 0
	v_mul_f64 v[0:1], s[14:15], v[6:7]
	v_mul_f64 v[2:3], s[12:13], v[6:7]
	v_mul_lo_u32 v8, v10, s28
	s_or_b64 s[4:5], s[4:5], s[18:19]
	v_fma_f64 v[0:1], s[12:13], v[4:5], -v[0:1]
	v_fmac_f64_e32 v[2:3], s[14:15], v[4:5]
	s_andn2_b64 vcc, exec, s[4:5]
	v_ashrrev_i32_e32 v9, 31, v8
	s_cbranch_vccnz .LBB340_35
; %bb.34:
	v_lshl_add_u64 v[4:5], v[8:9], 4, s[6:7]
	global_load_dwordx4 v[4:7], v[4:5], off
	s_waitcnt vmcnt(0)
	v_mul_f64 v[10:11], s[10:11], v[6:7]
	v_mul_f64 v[6:7], s[8:9], v[6:7]
	v_fma_f64 v[10:11], s[8:9], v[4:5], -v[10:11]
	v_fmac_f64_e32 v[6:7], s[10:11], v[4:5]
	v_add_f64 v[0:1], v[0:1], v[10:11]
	v_add_f64 v[2:3], v[2:3], v[6:7]
.LBB340_35:
	s_or_b64 s[4:5], s[16:17], exec
.LBB340_36:
	s_or_b64 exec, exec, s[2:3]
	s_andn2_b64 s[2:3], s[16:17], exec
	s_and_b64 s[4:5], s[4:5], exec
	s_or_b64 s[16:17], s[2:3], s[4:5]
.LBB340_37:
	s_or_b64 exec, exec, s[0:1]
.LBB340_38:
	s_and_saveexec_b64 s[0:1], s[16:17]
	s_cbranch_execz .LBB340_40
; %bb.39:
	s_waitcnt vmcnt(0)
	v_lshl_add_u64 v[4:5], v[8:9], 4, s[6:7]
	global_store_dwordx4 v[4:5], v[0:3], off
.LBB340_40:
	s_endpgm
	.section	.rodata,"a",@progbits
	.p2align	6, 0x0
	.amdhsa_kernel _ZL20rocblas_gemvn_kernelILi64ELi4EiPK19rocblas_complex_numIdES1_KPS1_EviiT3_lPKT2_lT1_lS9_lSA_lS6_lPT4_lSA_li
		.amdhsa_group_segment_fixed_size 4096
		.amdhsa_private_segment_fixed_size 0
		.amdhsa_kernarg_size 416
		.amdhsa_user_sgpr_count 2
		.amdhsa_user_sgpr_dispatch_ptr 0
		.amdhsa_user_sgpr_queue_ptr 0
		.amdhsa_user_sgpr_kernarg_segment_ptr 1
		.amdhsa_user_sgpr_dispatch_id 0
		.amdhsa_user_sgpr_kernarg_preload_length 0
		.amdhsa_user_sgpr_kernarg_preload_offset 0
		.amdhsa_user_sgpr_private_segment_size 0
		.amdhsa_uses_dynamic_stack 0
		.amdhsa_enable_private_segment 0
		.amdhsa_system_sgpr_workgroup_id_x 1
		.amdhsa_system_sgpr_workgroup_id_y 0
		.amdhsa_system_sgpr_workgroup_id_z 1
		.amdhsa_system_sgpr_workgroup_info 0
		.amdhsa_system_vgpr_workitem_id 1
		.amdhsa_next_free_vgpr 24
		.amdhsa_next_free_sgpr 40
		.amdhsa_accum_offset 24
		.amdhsa_reserve_vcc 1
		.amdhsa_float_round_mode_32 0
		.amdhsa_float_round_mode_16_64 0
		.amdhsa_float_denorm_mode_32 3
		.amdhsa_float_denorm_mode_16_64 3
		.amdhsa_dx10_clamp 1
		.amdhsa_ieee_mode 1
		.amdhsa_fp16_overflow 0
		.amdhsa_tg_split 0
		.amdhsa_exception_fp_ieee_invalid_op 0
		.amdhsa_exception_fp_denorm_src 0
		.amdhsa_exception_fp_ieee_div_zero 0
		.amdhsa_exception_fp_ieee_overflow 0
		.amdhsa_exception_fp_ieee_underflow 0
		.amdhsa_exception_fp_ieee_inexact 0
		.amdhsa_exception_int_div_zero 0
	.end_amdhsa_kernel
	.section	.text._ZL20rocblas_gemvn_kernelILi64ELi4EiPK19rocblas_complex_numIdES1_KPS1_EviiT3_lPKT2_lT1_lS9_lSA_lS6_lPT4_lSA_li,"axG",@progbits,_ZL20rocblas_gemvn_kernelILi64ELi4EiPK19rocblas_complex_numIdES1_KPS1_EviiT3_lPKT2_lT1_lS9_lSA_lS6_lPT4_lSA_li,comdat
.Lfunc_end340:
	.size	_ZL20rocblas_gemvn_kernelILi64ELi4EiPK19rocblas_complex_numIdES1_KPS1_EviiT3_lPKT2_lT1_lS9_lSA_lS6_lPT4_lSA_li, .Lfunc_end340-_ZL20rocblas_gemvn_kernelILi64ELi4EiPK19rocblas_complex_numIdES1_KPS1_EviiT3_lPKT2_lT1_lS9_lSA_lS6_lPT4_lSA_li
                                        ; -- End function
	.section	.AMDGPU.csdata,"",@progbits
; Kernel info:
; codeLenInByte = 1420
; NumSgprs: 46
; NumVgprs: 24
; NumAgprs: 0
; TotalNumVgprs: 24
; ScratchSize: 0
; MemoryBound: 1
; FloatMode: 240
; IeeeMode: 1
; LDSByteSize: 4096 bytes/workgroup (compile time only)
; SGPRBlocks: 5
; VGPRBlocks: 2
; NumSGPRsForWavesPerEU: 46
; NumVGPRsForWavesPerEU: 24
; AccumOffset: 24
; Occupancy: 8
; WaveLimiterHint : 1
; COMPUTE_PGM_RSRC2:SCRATCH_EN: 0
; COMPUTE_PGM_RSRC2:USER_SGPR: 2
; COMPUTE_PGM_RSRC2:TRAP_HANDLER: 0
; COMPUTE_PGM_RSRC2:TGID_X_EN: 1
; COMPUTE_PGM_RSRC2:TGID_Y_EN: 0
; COMPUTE_PGM_RSRC2:TGID_Z_EN: 1
; COMPUTE_PGM_RSRC2:TIDIG_COMP_CNT: 1
; COMPUTE_PGM_RSRC3_GFX90A:ACCUM_OFFSET: 5
; COMPUTE_PGM_RSRC3_GFX90A:TG_SPLIT: 0
	.section	.text._ZL20rocblas_gemvn_kernelILi64ELi4ElPK19rocblas_complex_numIdES1_KPS1_EviiT3_lPKT2_lT1_lS9_lSA_lS6_lPT4_lSA_li,"axG",@progbits,_ZL20rocblas_gemvn_kernelILi64ELi4ElPK19rocblas_complex_numIdES1_KPS1_EviiT3_lPKT2_lT1_lS9_lSA_lS6_lPT4_lSA_li,comdat
	.globl	_ZL20rocblas_gemvn_kernelILi64ELi4ElPK19rocblas_complex_numIdES1_KPS1_EviiT3_lPKT2_lT1_lS9_lSA_lS6_lPT4_lSA_li ; -- Begin function _ZL20rocblas_gemvn_kernelILi64ELi4ElPK19rocblas_complex_numIdES1_KPS1_EviiT3_lPKT2_lT1_lS9_lSA_lS6_lPT4_lSA_li
	.p2align	8
	.type	_ZL20rocblas_gemvn_kernelILi64ELi4ElPK19rocblas_complex_numIdES1_KPS1_EviiT3_lPKT2_lT1_lS9_lSA_lS6_lPT4_lSA_li,@function
_ZL20rocblas_gemvn_kernelILi64ELi4ElPK19rocblas_complex_numIdES1_KPS1_EviiT3_lPKT2_lT1_lS9_lSA_lS6_lPT4_lSA_li: ; @_ZL20rocblas_gemvn_kernelILi64ELi4ElPK19rocblas_complex_numIdES1_KPS1_EviiT3_lPKT2_lT1_lS9_lSA_lS6_lPT4_lSA_li
; %bb.0:
	s_load_dwordx2 s[4:5], s[0:1], 0xac
	s_mov_b32 s28, s3
	s_waitcnt lgkmcnt(0)
	s_lshr_b32 s6, s4, 16
	s_and_b32 s3, s4, 0xffff
	s_and_b32 s5, s5, 0xffff
	s_mul_i32 s4, s6, s3
	s_mul_i32 s4, s4, s5
	s_cmpk_lg_i32 s4, 0x100
	s_cbranch_scc1 .LBB341_40
; %bb.1:
	s_load_dwordx4 s[8:11], s[0:1], 0x8
	s_load_dwordx4 s[12:15], s[0:1], 0x20
	s_load_dwordx2 s[18:19], s[0:1], 0x30
	s_load_dwordx4 s[4:7], s[0:1], 0x60
	s_mov_b64 s[16:17], 0
	s_waitcnt lgkmcnt(0)
	v_cmp_neq_f64_e64 s[20:21], s[8:9], 0
	v_cmp_neq_f64_e64 s[22:23], s[10:11], 0
	s_or_b64 s[20:21], s[20:21], s[22:23]
	s_mov_b64 s[24:25], -1
	s_and_b64 vcc, exec, s[20:21]
	s_cbranch_vccnz .LBB341_4
; %bb.2:
	v_cmp_eq_f64_e64 s[16:17], s[4:5], 1.0
	v_cmp_eq_f64_e64 s[22:23], s[6:7], 0
	s_and_b64 s[16:17], s[16:17], s[22:23]
	s_andn2_b64 vcc, exec, s[16:17]
	s_mov_b64 s[24:25], 0
	s_cbranch_vccz .LBB341_16
; %bb.3:
	s_mov_b32 s29, 0
	s_mov_b64 s[16:17], -1
	s_mov_b64 s[22:23], 0
	s_and_b64 vcc, exec, s[24:25]
	s_cbranch_vccnz .LBB341_5
	s_branch .LBB341_6
.LBB341_4:
                                        ; implicit-def: $sgpr22_sgpr23
	s_and_b64 vcc, exec, s[24:25]
	s_cbranch_vccz .LBB341_6
.LBB341_5:
	s_mov_b32 s29, 0
	s_lshl_b64 s[16:17], s[28:29], 3
	s_add_u32 s12, s12, s16
	s_addc_u32 s13, s13, s17
	s_load_dwordx2 s[12:13], s[12:13], 0x0
	s_lshl_b64 s[14:15], s[14:15], 4
	s_mov_b64 s[16:17], -1
	s_waitcnt lgkmcnt(0)
	s_add_u32 s22, s12, s14
	s_addc_u32 s23, s13, s15
.LBB341_6:
	s_andn2_b64 vcc, exec, s[16:17]
	s_cbranch_vccnz .LBB341_40
; %bb.7:
	s_load_dwordx4 s[12:15], s[0:1], 0x40
	s_load_dwordx2 s[24:25], s[0:1], 0x50
	s_xor_b64 s[30:31], s[20:21], -1
	s_mov_b64 s[16:17], 0
	s_andn2_b64 vcc, exec, s[20:21]
	s_mov_b64 s[26:27], 0
	s_cbranch_vccnz .LBB341_9
; %bb.8:
	s_lshl_b64 s[20:21], s[28:29], 3
	s_waitcnt lgkmcnt(0)
	s_add_u32 s12, s12, s20
	s_addc_u32 s13, s13, s21
	s_load_dwordx2 s[12:13], s[12:13], 0x0
	s_lshl_b64 s[14:15], s[14:15], 4
	s_waitcnt lgkmcnt(0)
	s_add_u32 s26, s12, s14
	s_addc_u32 s27, s13, s15
.LBB341_9:
	s_load_dwordx4 s[36:39], s[0:1], 0x78
	s_load_dwordx2 s[20:21], s[0:1], 0x0
	s_waitcnt lgkmcnt(0)
	s_load_dwordx2 s[14:15], s[0:1], 0x88
	s_lshl_b64 s[0:1], s[28:29], 3
	v_and_b32_e32 v1, 0x3ff, v0
	s_add_u32 s0, s36, s0
	s_addc_u32 s1, s37, s1
	s_load_dwordx2 s[0:1], s[0:1], 0x0
	v_bfe_u32 v0, v0, 10, 10
	s_lshl_b64 s[12:13], s[38:39], 4
	v_mad_u32_u24 v10, v0, s3, v1
	s_waitcnt lgkmcnt(0)
	s_add_u32 s12, s0, s12
	s_addc_u32 s13, s1, s13
	s_andn2_b64 vcc, exec, s[30:31]
	v_cmp_gt_u32_e64 s[0:1], 64, v10
	s_cbranch_vccnz .LBB341_17
; %bb.10:
	s_mov_b64 s[28:29], 0
                                        ; implicit-def: $vgpr2_vgpr3
                                        ; implicit-def: $vgpr8_vgpr9
	s_and_saveexec_b64 s[30:31], s[0:1]
	s_cbranch_execz .LBB341_18
; %bb.11:
	v_lshl_or_b32 v0, s2, 6, v10
	v_mov_b32_e32 v1, 0
	s_ashr_i32 s1, s20, 31
	s_mov_b32 s0, s20
	v_cmp_gt_i64_e32 vcc, s[0:1], v[0:1]
                                        ; implicit-def: $vgpr2_vgpr3
                                        ; implicit-def: $vgpr8_vgpr9
	s_and_saveexec_b64 s[0:1], vcc
	s_cbranch_execz .LBB341_15
; %bb.12:
	v_mad_u64_u32 v[8:9], s[36:37], v0, s14, 0
	v_cmp_neq_f64_e64 s[16:17], s[4:5], 0
	v_cmp_neq_f64_e64 s[34:35], s[6:7], 0
	v_mov_b32_e32 v4, v9
	v_mov_b64_e32 v[2:3], 0
	v_mad_u64_u32 v[0:1], s[36:37], v0, s15, v[4:5]
	s_or_b64 s[16:17], s[16:17], s[34:35]
	v_mov_b32_e32 v9, v0
	s_andn2_b64 vcc, exec, s[16:17]
	v_mov_b64_e32 v[0:1], v[2:3]
	s_cbranch_vccnz .LBB341_14
; %bb.13:
	v_lshl_add_u64 v[0:1], v[8:9], 4, s[12:13]
	global_load_dwordx4 v[4:7], v[0:1], off
	s_waitcnt vmcnt(0)
	v_mul_f64 v[0:1], s[6:7], v[6:7]
	v_mul_f64 v[2:3], s[4:5], v[6:7]
	v_fma_f64 v[0:1], s[4:5], v[4:5], -v[0:1]
	v_fmac_f64_e32 v[2:3], s[6:7], v[4:5]
.LBB341_14:
	s_mov_b64 s[16:17], exec
.LBB341_15:
	s_or_b64 exec, exec, s[0:1]
	s_and_b64 s[16:17], s[16:17], exec
	s_or_b64 exec, exec, s[30:31]
	s_and_b64 vcc, exec, s[28:29]
	s_cbranch_vccnz .LBB341_19
	s_branch .LBB341_38
.LBB341_16:
                                        ; implicit-def: $sgpr22_sgpr23
	s_mov_b64 s[16:17], 0
	s_and_b64 vcc, exec, s[24:25]
	s_cbranch_vccnz .LBB341_5
	s_branch .LBB341_6
.LBB341_17:
                                        ; implicit-def: $vgpr2_vgpr3
                                        ; implicit-def: $vgpr8_vgpr9
	s_cbranch_execnz .LBB341_19
	s_branch .LBB341_38
.LBB341_18:
	s_or_b64 exec, exec, s[30:31]
	s_and_b64 vcc, exec, s[28:29]
	s_cbranch_vccz .LBB341_38
.LBB341_19:
	s_ashr_i32 s0, s21, 31
	s_lshr_b32 s0, s0, 30
	s_add_i32 s0, s21, s0
	v_and_b32_e32 v6, 63, v10
	v_lshrrev_b32_e32 v11, 6, v10
	s_lshl_b32 s33, s2, 6
	s_and_b32 s36, s0, -4
	v_mov_b64_e32 v[2:3], 0
	v_or_b32_e32 v8, s33, v6
	v_cmp_gt_i32_e32 vcc, s36, v11
	v_mov_b64_e32 v[0:1], v[2:3]
	s_and_saveexec_b64 s[2:3], vcc
	s_cbranch_execz .LBB341_25
; %bb.20:
	v_lshrrev_b32_e32 v7, 6, v10
	v_mad_u64_u32 v[0:1], s[0:1], s24, v7, 0
	v_mov_b32_e32 v2, v1
	v_mad_u64_u32 v[2:3], s[0:1], s25, v7, v[2:3]
	v_mov_b32_e32 v1, v2
	v_lshl_add_u64 v[4:5], v[0:1], 4, s[26:27]
	v_mad_u64_u32 v[0:1], s[0:1], s18, v7, 0
	v_mov_b32_e32 v2, v1
	v_mad_u64_u32 v[2:3], s[0:1], s19, v7, v[2:3]
	v_mov_b32_e32 v1, v2
	v_add_u32_e32 v2, s33, v6
	v_ashrrev_i32_e32 v3, 31, v2
	v_lshlrev_b64 v[2:3], 4, v[2:3]
	v_lshl_add_u64 v[0:1], v[0:1], 4, v[2:3]
	v_mov_b64_e32 v[2:3], 0
	v_cmp_gt_i32_e32 vcc, s20, v8
	s_lshl_b64 s[28:29], s[24:25], 6
	v_lshl_add_u64 v[6:7], s[22:23], 0, v[0:1]
	s_lshl_b64 s[34:35], s[18:19], 6
	s_mov_b64 s[30:31], 0
	v_mov_b64_e32 v[0:1], v[2:3]
	s_branch .LBB341_22
.LBB341_21:                             ;   in Loop: Header=BB341_22 Depth=1
	s_or_b64 exec, exec, s[0:1]
	v_add_u32_e32 v11, 4, v11
	v_cmp_le_i32_e64 s[0:1], s36, v11
	v_lshl_add_u64 v[4:5], v[4:5], 0, s[28:29]
	s_or_b64 s[30:31], s[0:1], s[30:31]
	v_lshl_add_u64 v[6:7], v[6:7], 0, s[34:35]
	s_andn2_b64 exec, exec, s[30:31]
	s_cbranch_execz .LBB341_24
.LBB341_22:                             ; =>This Inner Loop Header: Depth=1
	s_and_saveexec_b64 s[0:1], vcc
	s_cbranch_execz .LBB341_21
; %bb.23:                               ;   in Loop: Header=BB341_22 Depth=1
	flat_load_dwordx4 v[12:15], v[4:5]
	flat_load_dwordx4 v[16:19], v[6:7]
	s_waitcnt vmcnt(0) lgkmcnt(0)
	v_mul_f64 v[20:21], v[14:15], v[18:19]
	v_mul_f64 v[18:19], v[12:13], v[18:19]
	v_fma_f64 v[12:13], v[12:13], v[16:17], -v[20:21]
	v_fmac_f64_e32 v[18:19], v[14:15], v[16:17]
	v_add_f64 v[0:1], v[0:1], v[12:13]
	v_add_f64 v[2:3], v[2:3], v[18:19]
	s_branch .LBB341_21
.LBB341_24:
	s_or_b64 exec, exec, s[30:31]
.LBB341_25:
	s_or_b64 exec, exec, s[2:3]
	s_sub_i32 s0, s21, s36
	s_cmp_lt_i32 s0, 1
	s_cbranch_scc1 .LBB341_31
; %bb.26:
	v_mov_b64_e32 v[4:5], 0
	v_cmp_gt_i32_e32 vcc, s21, v11
	v_mov_b64_e32 v[6:7], v[4:5]
	s_and_saveexec_b64 s[0:1], vcc
	s_cbranch_execz .LBB341_28
; %bb.27:
	v_mad_u64_u32 v[4:5], s[2:3], v11, s24, 0
	v_mov_b32_e32 v6, v5
	v_mad_u64_u32 v[6:7], s[2:3], v11, s25, v[6:7]
	v_mov_b32_e32 v5, v6
	v_lshl_add_u64 v[4:5], v[4:5], 4, s[26:27]
	flat_load_dwordx4 v[4:7], v[4:5]
.LBB341_28:
	s_or_b64 exec, exec, s[0:1]
	v_cmp_gt_i32_e64 s[0:1], s20, v8
	s_and_saveexec_b64 s[2:3], s[0:1]
	s_cbranch_execz .LBB341_30
; %bb.29:
	v_mad_u64_u32 v[12:13], s[0:1], v11, s18, 0
	v_mov_b32_e32 v14, v13
	v_mad_u64_u32 v[14:15], s[0:1], v11, s19, v[14:15]
	v_cndmask_b32_e32 v12, 0, v12, vcc
	v_cndmask_b32_e32 v13, 0, v14, vcc
	v_ashrrev_i32_e32 v9, 31, v8
	v_lshl_add_u64 v[12:13], v[12:13], 4, s[22:23]
	v_lshl_add_u64 v[8:9], v[8:9], 4, v[12:13]
	flat_load_dwordx4 v[12:15], v[8:9]
	s_waitcnt vmcnt(0) lgkmcnt(0)
	v_mul_f64 v[8:9], v[6:7], v[14:15]
	v_mul_f64 v[14:15], v[4:5], v[14:15]
	v_fma_f64 v[4:5], v[4:5], v[12:13], -v[8:9]
	v_fmac_f64_e32 v[14:15], v[6:7], v[12:13]
	v_add_f64 v[0:1], v[0:1], v[4:5]
	v_add_f64 v[2:3], v[2:3], v[14:15]
.LBB341_30:
	s_or_b64 exec, exec, s[2:3]
.LBB341_31:
	v_lshlrev_b32_e32 v11, 4, v10
	v_cmp_gt_u32_e32 vcc, 64, v10
	ds_write_b128 v11, v[0:3]
	s_waitcnt lgkmcnt(0)
	s_barrier
	s_waitcnt lgkmcnt(0)
                                        ; implicit-def: $vgpr2_vgpr3
                                        ; implicit-def: $vgpr8_vgpr9
	s_and_saveexec_b64 s[0:1], vcc
	s_cbranch_execz .LBB341_37
; %bb.32:
	ds_read_b128 v[0:3], v11
	s_waitcnt vmcnt(0)
	ds_read_b128 v[4:7], v11 offset:1024
	ds_read_b128 v[12:15], v11 offset:2048
	;; [unrolled: 1-line block ×3, first 2 shown]
	v_or_b32_e32 v10, s33, v10
	v_cmp_gt_i32_e32 vcc, s20, v10
	s_waitcnt lgkmcnt(2)
	v_add_f64 v[0:1], v[0:1], v[4:5]
	v_add_f64 v[2:3], v[2:3], v[6:7]
	s_waitcnt lgkmcnt(1)
	v_add_f64 v[0:1], v[0:1], v[12:13]
	v_add_f64 v[2:3], v[2:3], v[14:15]
	;; [unrolled: 3-line block ×3, first 2 shown]
	s_mov_b64 s[18:19], s[16:17]
	ds_write_b128 v11, v[4:7]
                                        ; implicit-def: $vgpr2_vgpr3
                                        ; implicit-def: $vgpr8_vgpr9
	s_and_saveexec_b64 s[2:3], vcc
	s_cbranch_execz .LBB341_36
; %bb.33:
	v_mul_f64 v[0:1], s[10:11], v[6:7]
	v_mul_f64 v[2:3], s[8:9], v[6:7]
	v_cmp_neq_f64_e64 s[18:19], s[4:5], 0
	v_cmp_neq_f64_e64 s[20:21], s[6:7], 0
	v_fma_f64 v[0:1], s[8:9], v[4:5], -v[0:1]
	v_fmac_f64_e32 v[2:3], s[10:11], v[4:5]
	v_ashrrev_i32_e32 v4, 31, v10
	v_mad_u64_u32 v[8:9], s[8:9], v10, s14, 0
	v_mul_lo_u32 v5, v10, s15
	v_mul_lo_u32 v4, v4, s14
	s_or_b64 s[8:9], s[18:19], s[20:21]
	s_andn2_b64 vcc, exec, s[8:9]
	v_add3_u32 v9, v9, v5, v4
	s_cbranch_vccnz .LBB341_35
; %bb.34:
	v_lshl_add_u64 v[4:5], v[8:9], 4, s[12:13]
	global_load_dwordx4 v[4:7], v[4:5], off
	s_waitcnt vmcnt(0)
	v_mul_f64 v[10:11], s[6:7], v[6:7]
	v_mul_f64 v[6:7], s[4:5], v[6:7]
	v_fma_f64 v[10:11], s[4:5], v[4:5], -v[10:11]
	v_fmac_f64_e32 v[6:7], s[6:7], v[4:5]
	v_add_f64 v[0:1], v[0:1], v[10:11]
	v_add_f64 v[2:3], v[2:3], v[6:7]
.LBB341_35:
	s_or_b64 s[18:19], s[16:17], exec
.LBB341_36:
	s_or_b64 exec, exec, s[2:3]
	s_andn2_b64 s[2:3], s[16:17], exec
	s_and_b64 s[4:5], s[18:19], exec
	s_or_b64 s[16:17], s[2:3], s[4:5]
.LBB341_37:
	s_or_b64 exec, exec, s[0:1]
.LBB341_38:
	s_and_saveexec_b64 s[0:1], s[16:17]
	s_cbranch_execz .LBB341_40
; %bb.39:
	s_waitcnt vmcnt(0)
	v_lshl_add_u64 v[4:5], v[8:9], 4, s[12:13]
	global_store_dwordx4 v[4:5], v[0:3], off
.LBB341_40:
	s_endpgm
	.section	.rodata,"a",@progbits
	.p2align	6, 0x0
	.amdhsa_kernel _ZL20rocblas_gemvn_kernelILi64ELi4ElPK19rocblas_complex_numIdES1_KPS1_EviiT3_lPKT2_lT1_lS9_lSA_lS6_lPT4_lSA_li
		.amdhsa_group_segment_fixed_size 4096
		.amdhsa_private_segment_fixed_size 0
		.amdhsa_kernarg_size 416
		.amdhsa_user_sgpr_count 2
		.amdhsa_user_sgpr_dispatch_ptr 0
		.amdhsa_user_sgpr_queue_ptr 0
		.amdhsa_user_sgpr_kernarg_segment_ptr 1
		.amdhsa_user_sgpr_dispatch_id 0
		.amdhsa_user_sgpr_kernarg_preload_length 0
		.amdhsa_user_sgpr_kernarg_preload_offset 0
		.amdhsa_user_sgpr_private_segment_size 0
		.amdhsa_uses_dynamic_stack 0
		.amdhsa_enable_private_segment 0
		.amdhsa_system_sgpr_workgroup_id_x 1
		.amdhsa_system_sgpr_workgroup_id_y 0
		.amdhsa_system_sgpr_workgroup_id_z 1
		.amdhsa_system_sgpr_workgroup_info 0
		.amdhsa_system_vgpr_workitem_id 1
		.amdhsa_next_free_vgpr 22
		.amdhsa_next_free_sgpr 40
		.amdhsa_accum_offset 24
		.amdhsa_reserve_vcc 1
		.amdhsa_float_round_mode_32 0
		.amdhsa_float_round_mode_16_64 0
		.amdhsa_float_denorm_mode_32 3
		.amdhsa_float_denorm_mode_16_64 3
		.amdhsa_dx10_clamp 1
		.amdhsa_ieee_mode 1
		.amdhsa_fp16_overflow 0
		.amdhsa_tg_split 0
		.amdhsa_exception_fp_ieee_invalid_op 0
		.amdhsa_exception_fp_denorm_src 0
		.amdhsa_exception_fp_ieee_div_zero 0
		.amdhsa_exception_fp_ieee_overflow 0
		.amdhsa_exception_fp_ieee_underflow 0
		.amdhsa_exception_fp_ieee_inexact 0
		.amdhsa_exception_int_div_zero 0
	.end_amdhsa_kernel
	.section	.text._ZL20rocblas_gemvn_kernelILi64ELi4ElPK19rocblas_complex_numIdES1_KPS1_EviiT3_lPKT2_lT1_lS9_lSA_lS6_lPT4_lSA_li,"axG",@progbits,_ZL20rocblas_gemvn_kernelILi64ELi4ElPK19rocblas_complex_numIdES1_KPS1_EviiT3_lPKT2_lT1_lS9_lSA_lS6_lPT4_lSA_li,comdat
.Lfunc_end341:
	.size	_ZL20rocblas_gemvn_kernelILi64ELi4ElPK19rocblas_complex_numIdES1_KPS1_EviiT3_lPKT2_lT1_lS9_lSA_lS6_lPT4_lSA_li, .Lfunc_end341-_ZL20rocblas_gemvn_kernelILi64ELi4ElPK19rocblas_complex_numIdES1_KPS1_EviiT3_lPKT2_lT1_lS9_lSA_lS6_lPT4_lSA_li
                                        ; -- End function
	.section	.AMDGPU.csdata,"",@progbits
; Kernel info:
; codeLenInByte = 1508
; NumSgprs: 46
; NumVgprs: 22
; NumAgprs: 0
; TotalNumVgprs: 22
; ScratchSize: 0
; MemoryBound: 1
; FloatMode: 240
; IeeeMode: 1
; LDSByteSize: 4096 bytes/workgroup (compile time only)
; SGPRBlocks: 5
; VGPRBlocks: 2
; NumSGPRsForWavesPerEU: 46
; NumVGPRsForWavesPerEU: 22
; AccumOffset: 24
; Occupancy: 8
; WaveLimiterHint : 1
; COMPUTE_PGM_RSRC2:SCRATCH_EN: 0
; COMPUTE_PGM_RSRC2:USER_SGPR: 2
; COMPUTE_PGM_RSRC2:TRAP_HANDLER: 0
; COMPUTE_PGM_RSRC2:TGID_X_EN: 1
; COMPUTE_PGM_RSRC2:TGID_Y_EN: 0
; COMPUTE_PGM_RSRC2:TGID_Z_EN: 1
; COMPUTE_PGM_RSRC2:TIDIG_COMP_CNT: 1
; COMPUTE_PGM_RSRC3_GFX90A:ACCUM_OFFSET: 5
; COMPUTE_PGM_RSRC3_GFX90A:TG_SPLIT: 0
	.section	.text._ZL20rocblas_gemvn_kernelILi32ELi16EiPK19rocblas_complex_numIdES3_KPS1_EviiT3_lPKT2_lT1_lS9_lSA_lS6_lPT4_lSA_li,"axG",@progbits,_ZL20rocblas_gemvn_kernelILi32ELi16EiPK19rocblas_complex_numIdES3_KPS1_EviiT3_lPKT2_lT1_lS9_lSA_lS6_lPT4_lSA_li,comdat
	.globl	_ZL20rocblas_gemvn_kernelILi32ELi16EiPK19rocblas_complex_numIdES3_KPS1_EviiT3_lPKT2_lT1_lS9_lSA_lS6_lPT4_lSA_li ; -- Begin function _ZL20rocblas_gemvn_kernelILi32ELi16EiPK19rocblas_complex_numIdES3_KPS1_EviiT3_lPKT2_lT1_lS9_lSA_lS6_lPT4_lSA_li
	.p2align	8
	.type	_ZL20rocblas_gemvn_kernelILi32ELi16EiPK19rocblas_complex_numIdES3_KPS1_EviiT3_lPKT2_lT1_lS9_lSA_lS6_lPT4_lSA_li,@function
_ZL20rocblas_gemvn_kernelILi32ELi16EiPK19rocblas_complex_numIdES3_KPS1_EviiT3_lPKT2_lT1_lS9_lSA_lS6_lPT4_lSA_li: ; @_ZL20rocblas_gemvn_kernelILi32ELi16EiPK19rocblas_complex_numIdES3_KPS1_EviiT3_lPKT2_lT1_lS9_lSA_lS6_lPT4_lSA_li
; %bb.0:
	s_load_dwordx2 s[4:5], s[0:1], 0x9c
	s_mov_b32 s26, s3
	s_waitcnt lgkmcnt(0)
	s_lshr_b32 s6, s4, 16
	s_and_b32 s3, s4, 0xffff
	s_and_b32 s5, s5, 0xffff
	s_mul_i32 s4, s6, s3
	s_mul_i32 s4, s4, s5
	s_cmpk_lg_i32 s4, 0x200
	s_cbranch_scc1 .LBB342_4
; %bb.1:
	s_load_dwordx8 s[12:19], s[0:1], 0x8
	s_load_dwordx8 s[4:11], s[0:1], 0x58
	s_mov_b32 s27, 0
	s_waitcnt lgkmcnt(0)
	s_mul_i32 s15, s26, s15
	s_mul_hi_u32 s20, s26, s14
	s_mul_i32 s14, s26, s14
	s_add_i32 s15, s20, s15
	s_lshl_b64 s[14:15], s[14:15], 4
	s_add_u32 s12, s12, s14
	s_addc_u32 s13, s13, s15
	s_load_dwordx4 s[20:23], s[12:13], 0x0
	s_mul_i32 s7, s26, s7
	s_mul_hi_u32 s12, s26, s6
	s_add_i32 s7, s12, s7
	s_mul_i32 s6, s26, s6
	s_lshl_b64 s[6:7], s[6:7], 4
	s_add_u32 s4, s4, s6
	s_addc_u32 s5, s5, s7
	s_load_dwordx4 s[12:15], s[4:5], 0x0
	s_waitcnt lgkmcnt(0)
	v_cmp_neq_f64_e64 s[4:5], s[20:21], 0
	v_cmp_neq_f64_e64 s[24:25], s[22:23], 0
	s_or_b64 s[4:5], s[4:5], s[24:25]
	s_mov_b64 s[6:7], 0
	s_mov_b64 s[24:25], -1
	s_and_b64 vcc, exec, s[4:5]
	s_cbranch_vccz .LBB342_5
; %bb.2:
	s_andn2_b64 vcc, exec, s[24:25]
	s_cbranch_vccz .LBB342_6
.LBB342_3:
	s_andn2_b64 vcc, exec, s[6:7]
	s_cbranch_vccz .LBB342_7
.LBB342_4:
	s_endpgm
.LBB342_5:
	v_cmp_neq_f64_e64 s[6:7], s[12:13], 1.0
	v_cmp_neq_f64_e64 s[28:29], s[14:15], 0
	s_mov_b64 s[24:25], 0
	s_or_b64 s[6:7], s[6:7], s[28:29]
	s_cbranch_execnz .LBB342_3
.LBB342_6:
	s_lshl_b64 s[6:7], s[26:27], 3
	s_add_u32 s6, s16, s6
	s_addc_u32 s7, s17, s7
	s_load_dwordx2 s[6:7], s[6:7], 0x0
	s_lshl_b64 s[16:17], s[18:19], 4
	s_waitcnt lgkmcnt(0)
	s_add_u32 s24, s6, s16
	s_addc_u32 s25, s7, s17
.LBB342_7:
	s_xor_b64 s[28:29], s[4:5], -1
	s_mov_b64 s[16:17], 0
	s_andn2_b64 vcc, exec, s[4:5]
	s_mov_b64 s[18:19], 0
	s_cbranch_vccnz .LBB342_9
; %bb.8:
	s_load_dwordx4 s[4:7], s[0:1], 0x38
	s_lshl_b64 s[18:19], s[26:27], 3
	s_waitcnt lgkmcnt(0)
	s_add_u32 s4, s4, s18
	s_addc_u32 s5, s5, s19
	s_load_dwordx2 s[4:5], s[4:5], 0x0
	s_lshl_b64 s[6:7], s[6:7], 4
	s_waitcnt lgkmcnt(0)
	s_add_u32 s18, s4, s6
	s_addc_u32 s19, s5, s7
.LBB342_9:
	s_lshl_b64 s[4:5], s[26:27], 3
	s_add_u32 s4, s8, s4
	s_addc_u32 s5, s9, s5
	s_load_dwordx2 s[6:7], s[4:5], 0x0
	s_load_dwordx2 s[8:9], s[0:1], 0x0
	s_load_dword s30, s[0:1], 0x78
	v_and_b32_e32 v1, 0x3ff, v0
	s_lshl_b64 s[4:5], s[10:11], 4
	v_bfe_u32 v0, v0, 10, 10
	s_waitcnt lgkmcnt(0)
	s_add_u32 s6, s6, s4
	v_mad_u32_u24 v10, v0, s3, v1
	s_addc_u32 s7, s7, s5
	s_andn2_b64 vcc, exec, s[28:29]
	v_cmp_gt_u32_e64 s[4:5], 32, v10
	s_cbranch_vccnz .LBB342_16
; %bb.10:
	s_mov_b64 s[10:11], 0
                                        ; implicit-def: $vgpr2_vgpr3
                                        ; implicit-def: $vgpr8_vgpr9
	s_and_saveexec_b64 s[26:27], s[4:5]
	s_cbranch_execz .LBB342_17
; %bb.11:
	v_lshl_or_b32 v0, s2, 5, v10
	v_mov_b32_e32 v1, 0
	s_ashr_i32 s5, s8, 31
	s_mov_b32 s4, s8
	v_cmp_gt_i64_e32 vcc, s[4:5], v[0:1]
                                        ; implicit-def: $vgpr2_vgpr3
                                        ; implicit-def: $vgpr8_vgpr9
	s_and_saveexec_b64 s[4:5], vcc
	s_cbranch_execz .LBB342_15
; %bb.12:
	v_mad_u64_u32 v[8:9], s[34:35], v0, s30, 0
	v_cmp_neq_f64_e64 s[16:17], s[12:13], 0
	v_cmp_neq_f64_e64 s[28:29], s[14:15], 0
	s_ashr_i32 s3, s30, 31
	v_mov_b32_e32 v4, v9
	v_mov_b64_e32 v[2:3], 0
	v_mad_u64_u32 v[0:1], s[34:35], v0, s3, v[4:5]
	s_or_b64 s[16:17], s[16:17], s[28:29]
	v_mov_b32_e32 v9, v0
	s_andn2_b64 vcc, exec, s[16:17]
	v_mov_b64_e32 v[0:1], v[2:3]
	s_cbranch_vccnz .LBB342_14
; %bb.13:
	v_lshl_add_u64 v[0:1], v[8:9], 4, s[6:7]
	global_load_dwordx4 v[4:7], v[0:1], off
	s_waitcnt vmcnt(0)
	v_mul_f64 v[0:1], s[14:15], v[6:7]
	v_mul_f64 v[2:3], s[12:13], v[6:7]
	v_fma_f64 v[0:1], s[12:13], v[4:5], -v[0:1]
	v_fmac_f64_e32 v[2:3], s[14:15], v[4:5]
.LBB342_14:
	s_mov_b64 s[16:17], exec
.LBB342_15:
	s_or_b64 exec, exec, s[4:5]
	s_and_b64 s[16:17], s[16:17], exec
	s_or_b64 exec, exec, s[26:27]
	s_and_b64 vcc, exec, s[10:11]
	s_cbranch_vccnz .LBB342_18
	s_branch .LBB342_37
.LBB342_16:
                                        ; implicit-def: $vgpr2_vgpr3
                                        ; implicit-def: $vgpr8_vgpr9
	s_cbranch_execnz .LBB342_18
	s_branch .LBB342_37
.LBB342_17:
	s_or_b64 exec, exec, s[26:27]
	s_and_b64 vcc, exec, s[10:11]
	s_cbranch_vccz .LBB342_37
.LBB342_18:
	s_load_dword s11, s[0:1], 0x28
	s_load_dword s26, s[0:1], 0x48
	s_ashr_i32 s0, s9, 31
	s_lshr_b32 s0, s0, 28
	s_add_i32 s0, s9, s0
	v_and_b32_e32 v5, 31, v10
	v_lshrrev_b32_e32 v9, 5, v10
	s_lshl_b32 s10, s2, 5
	s_and_b32 s27, s0, -16
	v_mov_b64_e32 v[2:3], 0
	v_or_b32_e32 v8, s10, v5
	v_cmp_gt_i32_e32 vcc, s27, v9
	v_mov_b64_e32 v[0:1], v[2:3]
	s_and_saveexec_b64 s[2:3], vcc
	s_cbranch_execz .LBB342_24
; %bb.19:
	s_waitcnt lgkmcnt(0)
	v_mul_lo_u32 v0, s11, v9
	v_mov_b64_e32 v[2:3], 0
	v_cmp_gt_i32_e32 vcc, s8, v8
	v_mul_lo_u32 v4, s26, v9
	s_lshl_b32 s28, s26, 4
	v_add3_u32 v6, v0, s10, v5
	s_lshl_b32 s29, s11, 4
	s_mov_b64 s[4:5], 0
	v_mov_b64_e32 v[0:1], v[2:3]
	s_branch .LBB342_21
.LBB342_20:                             ;   in Loop: Header=BB342_21 Depth=1
	s_or_b64 exec, exec, s[0:1]
	v_add_u32_e32 v9, 16, v9
	v_cmp_le_i32_e64 s[0:1], s27, v9
	v_add_u32_e32 v4, s28, v4
	s_or_b64 s[4:5], s[0:1], s[4:5]
	v_add_u32_e32 v6, s29, v6
	s_andn2_b64 exec, exec, s[4:5]
	s_cbranch_execz .LBB342_23
.LBB342_21:                             ; =>This Inner Loop Header: Depth=1
	s_and_saveexec_b64 s[0:1], vcc
	s_cbranch_execz .LBB342_20
; %bb.22:                               ;   in Loop: Header=BB342_21 Depth=1
	v_ashrrev_i32_e32 v5, 31, v4
	v_ashrrev_i32_e32 v7, 31, v6
	v_lshl_add_u64 v[22:23], v[4:5], 4, s[18:19]
	v_lshl_add_u64 v[20:21], v[6:7], 4, s[24:25]
	flat_load_dwordx4 v[12:15], v[22:23]
	flat_load_dwordx4 v[16:19], v[20:21]
	s_waitcnt vmcnt(0) lgkmcnt(0)
	v_mul_f64 v[20:21], v[14:15], v[18:19]
	v_mul_f64 v[18:19], v[12:13], v[18:19]
	v_fma_f64 v[12:13], v[12:13], v[16:17], -v[20:21]
	v_fmac_f64_e32 v[18:19], v[14:15], v[16:17]
	v_add_f64 v[0:1], v[0:1], v[12:13]
	v_add_f64 v[2:3], v[2:3], v[18:19]
	s_branch .LBB342_20
.LBB342_23:
	s_or_b64 exec, exec, s[4:5]
.LBB342_24:
	s_or_b64 exec, exec, s[2:3]
	s_sub_i32 s0, s9, s27
	s_cmp_lt_i32 s0, 1
	s_cbranch_scc1 .LBB342_30
; %bb.25:
	v_mov_b64_e32 v[4:5], 0
	v_cmp_gt_i32_e32 vcc, s9, v9
	v_mov_b64_e32 v[6:7], v[4:5]
	s_and_saveexec_b64 s[0:1], vcc
	s_cbranch_execz .LBB342_27
; %bb.26:
	s_waitcnt lgkmcnt(0)
	v_mul_lo_u32 v4, v9, s26
	v_ashrrev_i32_e32 v5, 31, v4
	v_lshl_add_u64 v[4:5], v[4:5], 4, s[18:19]
	flat_load_dwordx4 v[4:7], v[4:5]
.LBB342_27:
	s_or_b64 exec, exec, s[0:1]
	v_cmp_gt_i32_e64 s[0:1], s8, v8
	s_and_saveexec_b64 s[2:3], s[0:1]
	s_cbranch_execz .LBB342_29
; %bb.28:
	s_waitcnt lgkmcnt(0)
	v_mul_lo_u32 v9, v9, s11
	v_cndmask_b32_e32 v9, 0, v9, vcc
	v_add_u32_e32 v8, v9, v8
	v_ashrrev_i32_e32 v9, 31, v8
	v_lshl_add_u64 v[8:9], v[8:9], 4, s[24:25]
	flat_load_dwordx4 v[12:15], v[8:9]
	s_waitcnt vmcnt(0) lgkmcnt(0)
	v_mul_f64 v[8:9], v[6:7], v[14:15]
	v_mul_f64 v[14:15], v[4:5], v[14:15]
	v_fma_f64 v[4:5], v[4:5], v[12:13], -v[8:9]
	v_fmac_f64_e32 v[14:15], v[6:7], v[12:13]
	v_add_f64 v[0:1], v[0:1], v[4:5]
	v_add_f64 v[2:3], v[2:3], v[14:15]
.LBB342_29:
	s_or_b64 exec, exec, s[2:3]
.LBB342_30:
	v_lshlrev_b32_e32 v11, 4, v10
	v_cmp_gt_u32_e32 vcc, 32, v10
	ds_write_b128 v11, v[0:3]
	s_waitcnt lgkmcnt(0)
	s_barrier
	s_waitcnt lgkmcnt(0)
                                        ; implicit-def: $vgpr2_vgpr3
                                        ; implicit-def: $vgpr8_vgpr9
	s_and_saveexec_b64 s[0:1], vcc
	s_cbranch_execz .LBB342_36
; %bb.31:
	ds_read_b128 v[0:3], v11
	s_waitcnt vmcnt(0)
	ds_read_b128 v[4:7], v11 offset:512
	ds_read_b128 v[12:15], v11 offset:1024
	;; [unrolled: 1-line block ×3, first 2 shown]
	v_or_b32_e32 v10, s10, v10
	v_cmp_gt_i32_e32 vcc, s8, v10
	s_waitcnt lgkmcnt(2)
	v_add_f64 v[0:1], v[0:1], v[4:5]
	v_add_f64 v[4:5], v[2:3], v[6:7]
	s_waitcnt lgkmcnt(1)
	v_add_f64 v[6:7], v[0:1], v[12:13]
	ds_read_b128 v[0:3], v11 offset:2048
	v_add_f64 v[8:9], v[4:5], v[14:15]
	s_waitcnt lgkmcnt(1)
	v_add_f64 v[12:13], v[6:7], v[16:17]
	ds_read_b128 v[4:7], v11 offset:2560
	v_add_f64 v[8:9], v[8:9], v[18:19]
	s_waitcnt lgkmcnt(1)
	v_add_f64 v[0:1], v[12:13], v[0:1]
	ds_read_b128 v[12:15], v11 offset:3072
	v_add_f64 v[8:9], v[8:9], v[2:3]
	s_waitcnt lgkmcnt(1)
	v_add_f64 v[4:5], v[0:1], v[4:5]
	ds_read_b128 v[0:3], v11 offset:3584
	v_add_f64 v[8:9], v[8:9], v[6:7]
	s_waitcnt lgkmcnt(1)
	v_add_f64 v[12:13], v[4:5], v[12:13]
	ds_read_b128 v[4:7], v11 offset:4096
	v_add_f64 v[8:9], v[8:9], v[14:15]
	s_waitcnt lgkmcnt(1)
	v_add_f64 v[0:1], v[12:13], v[0:1]
	ds_read_b128 v[12:15], v11 offset:4608
	v_add_f64 v[8:9], v[8:9], v[2:3]
	s_waitcnt lgkmcnt(1)
	v_add_f64 v[4:5], v[0:1], v[4:5]
	ds_read_b128 v[0:3], v11 offset:5120
	v_add_f64 v[8:9], v[8:9], v[6:7]
	s_waitcnt lgkmcnt(1)
	v_add_f64 v[12:13], v[4:5], v[12:13]
	ds_read_b128 v[4:7], v11 offset:5632
	v_add_f64 v[8:9], v[8:9], v[14:15]
	s_waitcnt lgkmcnt(1)
	v_add_f64 v[0:1], v[12:13], v[0:1]
	ds_read_b128 v[12:15], v11 offset:6144
	v_add_f64 v[2:3], v[8:9], v[2:3]
	s_waitcnt lgkmcnt(1)
	v_add_f64 v[4:5], v[0:1], v[4:5]
	v_add_f64 v[8:9], v[2:3], v[6:7]
	ds_read_b128 v[0:3], v11 offset:6656
	s_waitcnt lgkmcnt(1)
	v_add_f64 v[16:17], v[4:5], v[12:13]
	ds_read_b128 v[4:7], v11 offset:7168
	v_add_f64 v[8:9], v[8:9], v[14:15]
	ds_read_b128 v[12:15], v11 offset:7680
	s_waitcnt lgkmcnt(2)
	v_add_f64 v[0:1], v[16:17], v[0:1]
	v_add_f64 v[2:3], v[8:9], v[2:3]
	s_waitcnt lgkmcnt(1)
	v_add_f64 v[0:1], v[0:1], v[4:5]
	v_add_f64 v[2:3], v[2:3], v[6:7]
	;; [unrolled: 3-line block ×3, first 2 shown]
	s_mov_b64 s[4:5], s[16:17]
	ds_write_b128 v11, v[4:7]
                                        ; implicit-def: $vgpr2_vgpr3
                                        ; implicit-def: $vgpr8_vgpr9
	s_and_saveexec_b64 s[2:3], vcc
	s_cbranch_execz .LBB342_35
; %bb.32:
	v_cmp_neq_f64_e64 s[4:5], s[12:13], 0
	v_cmp_neq_f64_e64 s[8:9], s[14:15], 0
	v_mul_f64 v[0:1], s[22:23], v[6:7]
	v_mul_f64 v[2:3], s[20:21], v[6:7]
	v_mul_lo_u32 v8, v10, s30
	s_or_b64 s[4:5], s[4:5], s[8:9]
	v_fma_f64 v[0:1], s[20:21], v[4:5], -v[0:1]
	v_fmac_f64_e32 v[2:3], s[22:23], v[4:5]
	s_andn2_b64 vcc, exec, s[4:5]
	v_ashrrev_i32_e32 v9, 31, v8
	s_cbranch_vccnz .LBB342_34
; %bb.33:
	v_lshl_add_u64 v[4:5], v[8:9], 4, s[6:7]
	global_load_dwordx4 v[4:7], v[4:5], off
	s_waitcnt vmcnt(0)
	v_mul_f64 v[10:11], s[14:15], v[6:7]
	v_mul_f64 v[6:7], s[12:13], v[6:7]
	v_fma_f64 v[10:11], s[12:13], v[4:5], -v[10:11]
	v_fmac_f64_e32 v[6:7], s[14:15], v[4:5]
	v_add_f64 v[0:1], v[0:1], v[10:11]
	v_add_f64 v[2:3], v[2:3], v[6:7]
.LBB342_34:
	s_or_b64 s[4:5], s[16:17], exec
.LBB342_35:
	s_or_b64 exec, exec, s[2:3]
	s_andn2_b64 s[2:3], s[16:17], exec
	s_and_b64 s[4:5], s[4:5], exec
	s_or_b64 s[16:17], s[2:3], s[4:5]
.LBB342_36:
	s_or_b64 exec, exec, s[0:1]
.LBB342_37:
	s_and_saveexec_b64 s[0:1], s[16:17]
	s_cbranch_execz .LBB342_4
; %bb.38:
	s_waitcnt vmcnt(0)
	v_lshl_add_u64 v[4:5], v[8:9], 4, s[6:7]
	global_store_dwordx4 v[4:5], v[0:3], off
	s_endpgm
	.section	.rodata,"a",@progbits
	.p2align	6, 0x0
	.amdhsa_kernel _ZL20rocblas_gemvn_kernelILi32ELi16EiPK19rocblas_complex_numIdES3_KPS1_EviiT3_lPKT2_lT1_lS9_lSA_lS6_lPT4_lSA_li
		.amdhsa_group_segment_fixed_size 8192
		.amdhsa_private_segment_fixed_size 0
		.amdhsa_kernarg_size 400
		.amdhsa_user_sgpr_count 2
		.amdhsa_user_sgpr_dispatch_ptr 0
		.amdhsa_user_sgpr_queue_ptr 0
		.amdhsa_user_sgpr_kernarg_segment_ptr 1
		.amdhsa_user_sgpr_dispatch_id 0
		.amdhsa_user_sgpr_kernarg_preload_length 0
		.amdhsa_user_sgpr_kernarg_preload_offset 0
		.amdhsa_user_sgpr_private_segment_size 0
		.amdhsa_uses_dynamic_stack 0
		.amdhsa_enable_private_segment 0
		.amdhsa_system_sgpr_workgroup_id_x 1
		.amdhsa_system_sgpr_workgroup_id_y 0
		.amdhsa_system_sgpr_workgroup_id_z 1
		.amdhsa_system_sgpr_workgroup_info 0
		.amdhsa_system_vgpr_workitem_id 1
		.amdhsa_next_free_vgpr 24
		.amdhsa_next_free_sgpr 36
		.amdhsa_accum_offset 24
		.amdhsa_reserve_vcc 1
		.amdhsa_float_round_mode_32 0
		.amdhsa_float_round_mode_16_64 0
		.amdhsa_float_denorm_mode_32 3
		.amdhsa_float_denorm_mode_16_64 3
		.amdhsa_dx10_clamp 1
		.amdhsa_ieee_mode 1
		.amdhsa_fp16_overflow 0
		.amdhsa_tg_split 0
		.amdhsa_exception_fp_ieee_invalid_op 0
		.amdhsa_exception_fp_denorm_src 0
		.amdhsa_exception_fp_ieee_div_zero 0
		.amdhsa_exception_fp_ieee_overflow 0
		.amdhsa_exception_fp_ieee_underflow 0
		.amdhsa_exception_fp_ieee_inexact 0
		.amdhsa_exception_int_div_zero 0
	.end_amdhsa_kernel
	.section	.text._ZL20rocblas_gemvn_kernelILi32ELi16EiPK19rocblas_complex_numIdES3_KPS1_EviiT3_lPKT2_lT1_lS9_lSA_lS6_lPT4_lSA_li,"axG",@progbits,_ZL20rocblas_gemvn_kernelILi32ELi16EiPK19rocblas_complex_numIdES3_KPS1_EviiT3_lPKT2_lT1_lS9_lSA_lS6_lPT4_lSA_li,comdat
.Lfunc_end342:
	.size	_ZL20rocblas_gemvn_kernelILi32ELi16EiPK19rocblas_complex_numIdES3_KPS1_EviiT3_lPKT2_lT1_lS9_lSA_lS6_lPT4_lSA_li, .Lfunc_end342-_ZL20rocblas_gemvn_kernelILi32ELi16EiPK19rocblas_complex_numIdES3_KPS1_EviiT3_lPKT2_lT1_lS9_lSA_lS6_lPT4_lSA_li
                                        ; -- End function
	.section	.AMDGPU.csdata,"",@progbits
; Kernel info:
; codeLenInByte = 1764
; NumSgprs: 42
; NumVgprs: 24
; NumAgprs: 0
; TotalNumVgprs: 24
; ScratchSize: 0
; MemoryBound: 1
; FloatMode: 240
; IeeeMode: 1
; LDSByteSize: 8192 bytes/workgroup (compile time only)
; SGPRBlocks: 5
; VGPRBlocks: 2
; NumSGPRsForWavesPerEU: 42
; NumVGPRsForWavesPerEU: 24
; AccumOffset: 24
; Occupancy: 8
; WaveLimiterHint : 1
; COMPUTE_PGM_RSRC2:SCRATCH_EN: 0
; COMPUTE_PGM_RSRC2:USER_SGPR: 2
; COMPUTE_PGM_RSRC2:TRAP_HANDLER: 0
; COMPUTE_PGM_RSRC2:TGID_X_EN: 1
; COMPUTE_PGM_RSRC2:TGID_Y_EN: 0
; COMPUTE_PGM_RSRC2:TGID_Z_EN: 1
; COMPUTE_PGM_RSRC2:TIDIG_COMP_CNT: 1
; COMPUTE_PGM_RSRC3_GFX90A:ACCUM_OFFSET: 5
; COMPUTE_PGM_RSRC3_GFX90A:TG_SPLIT: 0
	.section	.text._ZL20rocblas_gemvn_kernelILi32ELi16ElPK19rocblas_complex_numIdES3_KPS1_EviiT3_lPKT2_lT1_lS9_lSA_lS6_lPT4_lSA_li,"axG",@progbits,_ZL20rocblas_gemvn_kernelILi32ELi16ElPK19rocblas_complex_numIdES3_KPS1_EviiT3_lPKT2_lT1_lS9_lSA_lS6_lPT4_lSA_li,comdat
	.globl	_ZL20rocblas_gemvn_kernelILi32ELi16ElPK19rocblas_complex_numIdES3_KPS1_EviiT3_lPKT2_lT1_lS9_lSA_lS6_lPT4_lSA_li ; -- Begin function _ZL20rocblas_gemvn_kernelILi32ELi16ElPK19rocblas_complex_numIdES3_KPS1_EviiT3_lPKT2_lT1_lS9_lSA_lS6_lPT4_lSA_li
	.p2align	8
	.type	_ZL20rocblas_gemvn_kernelILi32ELi16ElPK19rocblas_complex_numIdES3_KPS1_EviiT3_lPKT2_lT1_lS9_lSA_lS6_lPT4_lSA_li,@function
_ZL20rocblas_gemvn_kernelILi32ELi16ElPK19rocblas_complex_numIdES3_KPS1_EviiT3_lPKT2_lT1_lS9_lSA_lS6_lPT4_lSA_li: ; @_ZL20rocblas_gemvn_kernelILi32ELi16ElPK19rocblas_complex_numIdES3_KPS1_EviiT3_lPKT2_lT1_lS9_lSA_lS6_lPT4_lSA_li
; %bb.0:
	s_load_dwordx2 s[4:5], s[0:1], 0x9c
	s_mov_b32 s34, s3
	s_waitcnt lgkmcnt(0)
	s_lshr_b32 s6, s4, 16
	s_and_b32 s3, s4, 0xffff
	s_and_b32 s5, s5, 0xffff
	s_mul_i32 s4, s6, s3
	s_mul_i32 s4, s4, s5
	s_cmpk_lg_i32 s4, 0x200
	s_cbranch_scc1 .LBB343_4
; %bb.1:
	s_load_dwordx8 s[12:19], s[0:1], 0x8
	s_load_dwordx2 s[24:25], s[0:1], 0x28
	s_load_dwordx8 s[4:11], s[0:1], 0x58
	s_mov_b32 s35, 0
	s_waitcnt lgkmcnt(0)
	s_mul_i32 s15, s34, s15
	s_mul_hi_u32 s20, s34, s14
	s_add_i32 s15, s20, s15
	s_mul_i32 s14, s34, s14
	s_lshl_b64 s[14:15], s[14:15], 4
	s_add_u32 s12, s12, s14
	s_mul_i32 s7, s34, s7
	s_mul_hi_u32 s20, s34, s6
	s_addc_u32 s13, s13, s15
	s_add_i32 s7, s20, s7
	s_mul_i32 s6, s34, s6
	s_load_dwordx4 s[12:15], s[12:13], 0x0
	s_lshl_b64 s[6:7], s[6:7], 4
	s_add_u32 s4, s4, s6
	s_addc_u32 s5, s5, s7
	s_load_dwordx4 s[4:7], s[4:5], 0x0
	s_waitcnt lgkmcnt(0)
	v_cmp_neq_f64_e64 s[22:23], s[12:13], 0
	v_cmp_neq_f64_e64 s[26:27], s[14:15], 0
	s_or_b64 s[30:31], s[22:23], s[26:27]
	s_mov_b64 s[20:21], 0
	s_mov_b64 s[26:27], -1
	s_and_b64 vcc, exec, s[30:31]
	s_cbranch_vccz .LBB343_5
; %bb.2:
	s_andn2_b64 vcc, exec, s[26:27]
	s_cbranch_vccz .LBB343_6
.LBB343_3:
	s_andn2_b64 vcc, exec, s[20:21]
	s_cbranch_vccz .LBB343_7
.LBB343_4:
	s_endpgm
.LBB343_5:
	v_cmp_neq_f64_e64 s[20:21], s[4:5], 1.0
	v_cmp_neq_f64_e64 s[22:23], s[6:7], 0
	s_mov_b64 s[26:27], 0
	s_or_b64 s[20:21], s[20:21], s[22:23]
	s_cbranch_execnz .LBB343_3
.LBB343_6:
	s_lshl_b64 s[20:21], s[34:35], 3
	s_add_u32 s16, s16, s20
	s_addc_u32 s17, s17, s21
	s_load_dwordx2 s[16:17], s[16:17], 0x0
	s_lshl_b64 s[18:19], s[18:19], 4
	s_waitcnt lgkmcnt(0)
	s_add_u32 s26, s16, s18
	s_addc_u32 s27, s17, s19
.LBB343_7:
	s_load_dwordx2 s[22:23], s[0:1], 0x78
	s_load_dwordx4 s[16:19], s[0:1], 0x38
	s_load_dwordx2 s[28:29], s[0:1], 0x48
	s_xor_b64 s[36:37], s[30:31], -1
	s_mov_b64 s[20:21], 0
	s_andn2_b64 vcc, exec, s[30:31]
	s_mov_b64 s[30:31], 0
	s_cbranch_vccnz .LBB343_9
; %bb.8:
	s_lshl_b64 s[30:31], s[34:35], 3
	s_waitcnt lgkmcnt(0)
	s_add_u32 s16, s16, s30
	s_addc_u32 s17, s17, s31
	s_load_dwordx2 s[16:17], s[16:17], 0x0
	s_lshl_b64 s[18:19], s[18:19], 4
	s_waitcnt lgkmcnt(0)
	s_add_u32 s30, s16, s18
	s_addc_u32 s31, s17, s19
.LBB343_9:
	s_waitcnt lgkmcnt(0)
	s_lshl_b64 s[16:17], s[34:35], 3
	s_add_u32 s8, s8, s16
	s_addc_u32 s9, s9, s17
	s_load_dwordx2 s[18:19], s[8:9], 0x0
	s_load_dwordx2 s[16:17], s[0:1], 0x0
	v_and_b32_e32 v1, 0x3ff, v0
	v_bfe_u32 v0, v0, 10, 10
	s_lshl_b64 s[0:1], s[10:11], 4
	s_waitcnt lgkmcnt(0)
	s_add_u32 s8, s18, s0
	v_mad_u32_u24 v10, v0, s3, v1
	s_addc_u32 s9, s19, s1
	s_andn2_b64 vcc, exec, s[36:37]
	v_cmp_gt_u32_e64 s[0:1], 32, v10
	s_cbranch_vccnz .LBB343_16
; %bb.10:
	s_mov_b64 s[10:11], 0
                                        ; implicit-def: $vgpr2_vgpr3
                                        ; implicit-def: $vgpr8_vgpr9
	s_and_saveexec_b64 s[18:19], s[0:1]
	s_cbranch_execz .LBB343_17
; %bb.11:
	v_lshl_or_b32 v0, s2, 5, v10
	v_mov_b32_e32 v1, 0
	s_ashr_i32 s1, s16, 31
	s_mov_b32 s0, s16
	v_cmp_gt_i64_e32 vcc, s[0:1], v[0:1]
                                        ; implicit-def: $vgpr2_vgpr3
                                        ; implicit-def: $vgpr8_vgpr9
	s_and_saveexec_b64 s[0:1], vcc
	s_cbranch_execz .LBB343_15
; %bb.12:
	v_mad_u64_u32 v[8:9], s[36:37], v0, s22, 0
	v_cmp_neq_f64_e64 s[20:21], s[4:5], 0
	v_cmp_neq_f64_e64 s[34:35], s[6:7], 0
	v_mov_b32_e32 v4, v9
	v_mov_b64_e32 v[2:3], 0
	v_mad_u64_u32 v[0:1], s[36:37], v0, s23, v[4:5]
	s_or_b64 s[20:21], s[20:21], s[34:35]
	v_mov_b32_e32 v9, v0
	s_andn2_b64 vcc, exec, s[20:21]
	v_mov_b64_e32 v[0:1], v[2:3]
	s_cbranch_vccnz .LBB343_14
; %bb.13:
	v_lshl_add_u64 v[0:1], v[8:9], 4, s[8:9]
	global_load_dwordx4 v[4:7], v[0:1], off
	s_waitcnt vmcnt(0)
	v_mul_f64 v[0:1], s[6:7], v[6:7]
	v_mul_f64 v[2:3], s[4:5], v[6:7]
	v_fma_f64 v[0:1], s[4:5], v[4:5], -v[0:1]
	v_fmac_f64_e32 v[2:3], s[6:7], v[4:5]
.LBB343_14:
	s_mov_b64 s[20:21], exec
.LBB343_15:
	s_or_b64 exec, exec, s[0:1]
	s_and_b64 s[20:21], s[20:21], exec
	s_or_b64 exec, exec, s[18:19]
	s_and_b64 vcc, exec, s[10:11]
	s_cbranch_vccnz .LBB343_18
	s_branch .LBB343_37
.LBB343_16:
                                        ; implicit-def: $vgpr2_vgpr3
                                        ; implicit-def: $vgpr8_vgpr9
	s_cbranch_execnz .LBB343_18
	s_branch .LBB343_37
.LBB343_17:
	s_or_b64 exec, exec, s[18:19]
	s_and_b64 vcc, exec, s[10:11]
	s_cbranch_vccz .LBB343_37
.LBB343_18:
	s_ashr_i32 s0, s17, 31
	s_lshr_b32 s0, s0, 28
	s_add_i32 s0, s17, s0
	v_and_b32_e32 v6, 31, v10
	v_lshrrev_b32_e32 v11, 5, v10
	s_lshl_b32 s33, s2, 5
	s_and_b32 s36, s0, -16
	v_mov_b64_e32 v[2:3], 0
	v_or_b32_e32 v8, s33, v6
	v_cmp_gt_i32_e32 vcc, s36, v11
	v_mov_b64_e32 v[0:1], v[2:3]
	s_and_saveexec_b64 s[2:3], vcc
	s_cbranch_execz .LBB343_24
; %bb.19:
	v_lshrrev_b32_e32 v7, 5, v10
	v_mad_u64_u32 v[0:1], s[0:1], s28, v7, 0
	v_mov_b32_e32 v2, v1
	v_mad_u64_u32 v[2:3], s[0:1], s29, v7, v[2:3]
	v_mov_b32_e32 v1, v2
	v_lshl_add_u64 v[4:5], v[0:1], 4, s[30:31]
	v_mad_u64_u32 v[0:1], s[0:1], s24, v7, 0
	v_mov_b32_e32 v2, v1
	v_mad_u64_u32 v[2:3], s[0:1], s25, v7, v[2:3]
	v_mov_b32_e32 v1, v2
	v_add_u32_e32 v2, s33, v6
	v_ashrrev_i32_e32 v3, 31, v2
	v_lshlrev_b64 v[2:3], 4, v[2:3]
	v_lshl_add_u64 v[0:1], v[0:1], 4, v[2:3]
	v_mov_b64_e32 v[2:3], 0
	v_cmp_gt_i32_e32 vcc, s16, v8
	s_lshl_b64 s[10:11], s[28:29], 8
	v_lshl_add_u64 v[6:7], s[26:27], 0, v[0:1]
	s_lshl_b64 s[34:35], s[24:25], 8
	s_mov_b64 s[18:19], 0
	v_mov_b64_e32 v[0:1], v[2:3]
	s_branch .LBB343_21
.LBB343_20:                             ;   in Loop: Header=BB343_21 Depth=1
	s_or_b64 exec, exec, s[0:1]
	v_add_u32_e32 v11, 16, v11
	v_cmp_le_i32_e64 s[0:1], s36, v11
	v_lshl_add_u64 v[4:5], v[4:5], 0, s[10:11]
	s_or_b64 s[18:19], s[0:1], s[18:19]
	v_lshl_add_u64 v[6:7], v[6:7], 0, s[34:35]
	s_andn2_b64 exec, exec, s[18:19]
	s_cbranch_execz .LBB343_23
.LBB343_21:                             ; =>This Inner Loop Header: Depth=1
	s_and_saveexec_b64 s[0:1], vcc
	s_cbranch_execz .LBB343_20
; %bb.22:                               ;   in Loop: Header=BB343_21 Depth=1
	flat_load_dwordx4 v[12:15], v[4:5]
	flat_load_dwordx4 v[16:19], v[6:7]
	s_waitcnt vmcnt(0) lgkmcnt(0)
	v_mul_f64 v[20:21], v[14:15], v[18:19]
	v_mul_f64 v[18:19], v[12:13], v[18:19]
	v_fma_f64 v[12:13], v[12:13], v[16:17], -v[20:21]
	v_fmac_f64_e32 v[18:19], v[14:15], v[16:17]
	v_add_f64 v[0:1], v[0:1], v[12:13]
	v_add_f64 v[2:3], v[2:3], v[18:19]
	s_branch .LBB343_20
.LBB343_23:
	s_or_b64 exec, exec, s[18:19]
.LBB343_24:
	s_or_b64 exec, exec, s[2:3]
	s_sub_i32 s0, s17, s36
	s_cmp_lt_i32 s0, 1
	s_cbranch_scc1 .LBB343_30
; %bb.25:
	v_mov_b64_e32 v[4:5], 0
	v_cmp_gt_i32_e32 vcc, s17, v11
	v_mov_b64_e32 v[6:7], v[4:5]
	s_and_saveexec_b64 s[0:1], vcc
	s_cbranch_execz .LBB343_27
; %bb.26:
	v_mad_u64_u32 v[4:5], s[2:3], v11, s28, 0
	v_mov_b32_e32 v6, v5
	v_mad_u64_u32 v[6:7], s[2:3], v11, s29, v[6:7]
	v_mov_b32_e32 v5, v6
	v_lshl_add_u64 v[4:5], v[4:5], 4, s[30:31]
	flat_load_dwordx4 v[4:7], v[4:5]
.LBB343_27:
	s_or_b64 exec, exec, s[0:1]
	v_cmp_gt_i32_e64 s[0:1], s16, v8
	s_and_saveexec_b64 s[2:3], s[0:1]
	s_cbranch_execz .LBB343_29
; %bb.28:
	v_mad_u64_u32 v[12:13], s[0:1], v11, s24, 0
	v_mov_b32_e32 v14, v13
	v_mad_u64_u32 v[14:15], s[0:1], v11, s25, v[14:15]
	v_cndmask_b32_e32 v12, 0, v12, vcc
	v_cndmask_b32_e32 v13, 0, v14, vcc
	v_ashrrev_i32_e32 v9, 31, v8
	v_lshl_add_u64 v[12:13], v[12:13], 4, s[26:27]
	v_lshl_add_u64 v[8:9], v[8:9], 4, v[12:13]
	flat_load_dwordx4 v[12:15], v[8:9]
	s_waitcnt vmcnt(0) lgkmcnt(0)
	v_mul_f64 v[8:9], v[6:7], v[14:15]
	v_mul_f64 v[14:15], v[4:5], v[14:15]
	v_fma_f64 v[4:5], v[4:5], v[12:13], -v[8:9]
	v_fmac_f64_e32 v[14:15], v[6:7], v[12:13]
	v_add_f64 v[0:1], v[0:1], v[4:5]
	v_add_f64 v[2:3], v[2:3], v[14:15]
.LBB343_29:
	s_or_b64 exec, exec, s[2:3]
.LBB343_30:
	v_lshlrev_b32_e32 v11, 4, v10
	v_cmp_gt_u32_e32 vcc, 32, v10
	ds_write_b128 v11, v[0:3]
	s_waitcnt lgkmcnt(0)
	s_barrier
	s_waitcnt lgkmcnt(0)
                                        ; implicit-def: $vgpr2_vgpr3
                                        ; implicit-def: $vgpr8_vgpr9
	s_and_saveexec_b64 s[0:1], vcc
	s_cbranch_execz .LBB343_36
; %bb.31:
	ds_read_b128 v[0:3], v11
	s_waitcnt vmcnt(0)
	ds_read_b128 v[4:7], v11 offset:512
	ds_read_b128 v[12:15], v11 offset:1024
	;; [unrolled: 1-line block ×3, first 2 shown]
	v_or_b32_e32 v10, s33, v10
	v_cmp_gt_i32_e32 vcc, s16, v10
	s_waitcnt lgkmcnt(2)
	v_add_f64 v[0:1], v[0:1], v[4:5]
	v_add_f64 v[4:5], v[2:3], v[6:7]
	s_waitcnt lgkmcnt(1)
	v_add_f64 v[6:7], v[0:1], v[12:13]
	ds_read_b128 v[0:3], v11 offset:2048
	v_add_f64 v[8:9], v[4:5], v[14:15]
	s_waitcnt lgkmcnt(1)
	v_add_f64 v[12:13], v[6:7], v[16:17]
	ds_read_b128 v[4:7], v11 offset:2560
	v_add_f64 v[8:9], v[8:9], v[18:19]
	s_waitcnt lgkmcnt(1)
	v_add_f64 v[0:1], v[12:13], v[0:1]
	ds_read_b128 v[12:15], v11 offset:3072
	v_add_f64 v[8:9], v[8:9], v[2:3]
	s_waitcnt lgkmcnt(1)
	v_add_f64 v[4:5], v[0:1], v[4:5]
	ds_read_b128 v[0:3], v11 offset:3584
	v_add_f64 v[8:9], v[8:9], v[6:7]
	s_waitcnt lgkmcnt(1)
	v_add_f64 v[12:13], v[4:5], v[12:13]
	ds_read_b128 v[4:7], v11 offset:4096
	v_add_f64 v[8:9], v[8:9], v[14:15]
	s_waitcnt lgkmcnt(1)
	v_add_f64 v[0:1], v[12:13], v[0:1]
	ds_read_b128 v[12:15], v11 offset:4608
	v_add_f64 v[8:9], v[8:9], v[2:3]
	s_waitcnt lgkmcnt(1)
	v_add_f64 v[4:5], v[0:1], v[4:5]
	ds_read_b128 v[0:3], v11 offset:5120
	v_add_f64 v[8:9], v[8:9], v[6:7]
	s_waitcnt lgkmcnt(1)
	v_add_f64 v[12:13], v[4:5], v[12:13]
	ds_read_b128 v[4:7], v11 offset:5632
	v_add_f64 v[8:9], v[8:9], v[14:15]
	s_waitcnt lgkmcnt(1)
	v_add_f64 v[0:1], v[12:13], v[0:1]
	ds_read_b128 v[12:15], v11 offset:6144
	v_add_f64 v[2:3], v[8:9], v[2:3]
	s_waitcnt lgkmcnt(1)
	v_add_f64 v[4:5], v[0:1], v[4:5]
	v_add_f64 v[8:9], v[2:3], v[6:7]
	ds_read_b128 v[0:3], v11 offset:6656
	s_waitcnt lgkmcnt(1)
	v_add_f64 v[16:17], v[4:5], v[12:13]
	ds_read_b128 v[4:7], v11 offset:7168
	v_add_f64 v[8:9], v[8:9], v[14:15]
	ds_read_b128 v[12:15], v11 offset:7680
	s_waitcnt lgkmcnt(2)
	v_add_f64 v[0:1], v[16:17], v[0:1]
	v_add_f64 v[2:3], v[8:9], v[2:3]
	s_waitcnt lgkmcnt(1)
	v_add_f64 v[0:1], v[0:1], v[4:5]
	v_add_f64 v[2:3], v[2:3], v[6:7]
	;; [unrolled: 3-line block ×3, first 2 shown]
	s_mov_b64 s[10:11], s[20:21]
	ds_write_b128 v11, v[4:7]
                                        ; implicit-def: $vgpr2_vgpr3
                                        ; implicit-def: $vgpr8_vgpr9
	s_and_saveexec_b64 s[2:3], vcc
	s_cbranch_execz .LBB343_35
; %bb.32:
	v_mul_f64 v[0:1], s[14:15], v[6:7]
	v_mul_f64 v[2:3], s[12:13], v[6:7]
	v_cmp_neq_f64_e64 s[10:11], s[4:5], 0
	v_cmp_neq_f64_e64 s[16:17], s[6:7], 0
	v_fma_f64 v[0:1], s[12:13], v[4:5], -v[0:1]
	v_fmac_f64_e32 v[2:3], s[14:15], v[4:5]
	v_ashrrev_i32_e32 v4, 31, v10
	v_mul_lo_u32 v5, v10, s23
	v_mul_lo_u32 v4, v4, s22
	v_mad_u64_u32 v[8:9], s[12:13], v10, s22, 0
	s_or_b64 s[10:11], s[10:11], s[16:17]
	s_andn2_b64 vcc, exec, s[10:11]
	v_add3_u32 v9, v9, v5, v4
	s_cbranch_vccnz .LBB343_34
; %bb.33:
	v_lshl_add_u64 v[4:5], v[8:9], 4, s[8:9]
	global_load_dwordx4 v[4:7], v[4:5], off
	s_waitcnt vmcnt(0)
	v_mul_f64 v[10:11], s[6:7], v[6:7]
	v_mul_f64 v[6:7], s[4:5], v[6:7]
	v_fma_f64 v[10:11], s[4:5], v[4:5], -v[10:11]
	v_fmac_f64_e32 v[6:7], s[6:7], v[4:5]
	v_add_f64 v[0:1], v[0:1], v[10:11]
	v_add_f64 v[2:3], v[2:3], v[6:7]
.LBB343_34:
	s_or_b64 s[10:11], s[20:21], exec
.LBB343_35:
	s_or_b64 exec, exec, s[2:3]
	s_andn2_b64 s[2:3], s[20:21], exec
	s_and_b64 s[4:5], s[10:11], exec
	s_or_b64 s[20:21], s[2:3], s[4:5]
.LBB343_36:
	s_or_b64 exec, exec, s[0:1]
.LBB343_37:
	s_and_saveexec_b64 s[0:1], s[20:21]
	s_cbranch_execz .LBB343_4
; %bb.38:
	s_waitcnt vmcnt(0)
	v_lshl_add_u64 v[4:5], v[8:9], 4, s[8:9]
	global_store_dwordx4 v[4:5], v[0:3], off
	s_endpgm
	.section	.rodata,"a",@progbits
	.p2align	6, 0x0
	.amdhsa_kernel _ZL20rocblas_gemvn_kernelILi32ELi16ElPK19rocblas_complex_numIdES3_KPS1_EviiT3_lPKT2_lT1_lS9_lSA_lS6_lPT4_lSA_li
		.amdhsa_group_segment_fixed_size 8192
		.amdhsa_private_segment_fixed_size 0
		.amdhsa_kernarg_size 400
		.amdhsa_user_sgpr_count 2
		.amdhsa_user_sgpr_dispatch_ptr 0
		.amdhsa_user_sgpr_queue_ptr 0
		.amdhsa_user_sgpr_kernarg_segment_ptr 1
		.amdhsa_user_sgpr_dispatch_id 0
		.amdhsa_user_sgpr_kernarg_preload_length 0
		.amdhsa_user_sgpr_kernarg_preload_offset 0
		.amdhsa_user_sgpr_private_segment_size 0
		.amdhsa_uses_dynamic_stack 0
		.amdhsa_enable_private_segment 0
		.amdhsa_system_sgpr_workgroup_id_x 1
		.amdhsa_system_sgpr_workgroup_id_y 0
		.amdhsa_system_sgpr_workgroup_id_z 1
		.amdhsa_system_sgpr_workgroup_info 0
		.amdhsa_system_vgpr_workitem_id 1
		.amdhsa_next_free_vgpr 22
		.amdhsa_next_free_sgpr 38
		.amdhsa_accum_offset 24
		.amdhsa_reserve_vcc 1
		.amdhsa_float_round_mode_32 0
		.amdhsa_float_round_mode_16_64 0
		.amdhsa_float_denorm_mode_32 3
		.amdhsa_float_denorm_mode_16_64 3
		.amdhsa_dx10_clamp 1
		.amdhsa_ieee_mode 1
		.amdhsa_fp16_overflow 0
		.amdhsa_tg_split 0
		.amdhsa_exception_fp_ieee_invalid_op 0
		.amdhsa_exception_fp_denorm_src 0
		.amdhsa_exception_fp_ieee_div_zero 0
		.amdhsa_exception_fp_ieee_overflow 0
		.amdhsa_exception_fp_ieee_underflow 0
		.amdhsa_exception_fp_ieee_inexact 0
		.amdhsa_exception_int_div_zero 0
	.end_amdhsa_kernel
	.section	.text._ZL20rocblas_gemvn_kernelILi32ELi16ElPK19rocblas_complex_numIdES3_KPS1_EviiT3_lPKT2_lT1_lS9_lSA_lS6_lPT4_lSA_li,"axG",@progbits,_ZL20rocblas_gemvn_kernelILi32ELi16ElPK19rocblas_complex_numIdES3_KPS1_EviiT3_lPKT2_lT1_lS9_lSA_lS6_lPT4_lSA_li,comdat
.Lfunc_end343:
	.size	_ZL20rocblas_gemvn_kernelILi32ELi16ElPK19rocblas_complex_numIdES3_KPS1_EviiT3_lPKT2_lT1_lS9_lSA_lS6_lPT4_lSA_li, .Lfunc_end343-_ZL20rocblas_gemvn_kernelILi32ELi16ElPK19rocblas_complex_numIdES3_KPS1_EviiT3_lPKT2_lT1_lS9_lSA_lS6_lPT4_lSA_li
                                        ; -- End function
	.section	.AMDGPU.csdata,"",@progbits
; Kernel info:
; codeLenInByte = 1860
; NumSgprs: 44
; NumVgprs: 22
; NumAgprs: 0
; TotalNumVgprs: 22
; ScratchSize: 0
; MemoryBound: 1
; FloatMode: 240
; IeeeMode: 1
; LDSByteSize: 8192 bytes/workgroup (compile time only)
; SGPRBlocks: 5
; VGPRBlocks: 2
; NumSGPRsForWavesPerEU: 44
; NumVGPRsForWavesPerEU: 22
; AccumOffset: 24
; Occupancy: 8
; WaveLimiterHint : 1
; COMPUTE_PGM_RSRC2:SCRATCH_EN: 0
; COMPUTE_PGM_RSRC2:USER_SGPR: 2
; COMPUTE_PGM_RSRC2:TRAP_HANDLER: 0
; COMPUTE_PGM_RSRC2:TGID_X_EN: 1
; COMPUTE_PGM_RSRC2:TGID_Y_EN: 0
; COMPUTE_PGM_RSRC2:TGID_Z_EN: 1
; COMPUTE_PGM_RSRC2:TIDIG_COMP_CNT: 1
; COMPUTE_PGM_RSRC3_GFX90A:ACCUM_OFFSET: 5
; COMPUTE_PGM_RSRC3_GFX90A:TG_SPLIT: 0
	.section	.text._ZL20rocblas_gemvn_kernelILi32ELi16EiPK19rocblas_complex_numIdES1_KPS1_EviiT3_lPKT2_lT1_lS9_lSA_lS6_lPT4_lSA_li,"axG",@progbits,_ZL20rocblas_gemvn_kernelILi32ELi16EiPK19rocblas_complex_numIdES1_KPS1_EviiT3_lPKT2_lT1_lS9_lSA_lS6_lPT4_lSA_li,comdat
	.globl	_ZL20rocblas_gemvn_kernelILi32ELi16EiPK19rocblas_complex_numIdES1_KPS1_EviiT3_lPKT2_lT1_lS9_lSA_lS6_lPT4_lSA_li ; -- Begin function _ZL20rocblas_gemvn_kernelILi32ELi16EiPK19rocblas_complex_numIdES1_KPS1_EviiT3_lPKT2_lT1_lS9_lSA_lS6_lPT4_lSA_li
	.p2align	8
	.type	_ZL20rocblas_gemvn_kernelILi32ELi16EiPK19rocblas_complex_numIdES1_KPS1_EviiT3_lPKT2_lT1_lS9_lSA_lS6_lPT4_lSA_li,@function
_ZL20rocblas_gemvn_kernelILi32ELi16EiPK19rocblas_complex_numIdES1_KPS1_EviiT3_lPKT2_lT1_lS9_lSA_lS6_lPT4_lSA_li: ; @_ZL20rocblas_gemvn_kernelILi32ELi16EiPK19rocblas_complex_numIdES1_KPS1_EviiT3_lPKT2_lT1_lS9_lSA_lS6_lPT4_lSA_li
; %bb.0:
	s_load_dwordx2 s[6:7], s[0:1], 0xac
	s_mov_b32 s4, s3
	s_waitcnt lgkmcnt(0)
	s_and_b32 s5, s7, 0xffff
	s_lshr_b32 s7, s6, 16
	s_and_b32 s3, s6, 0xffff
	s_mul_i32 s6, s7, s3
	s_mul_i32 s6, s6, s5
	s_cmpk_lg_i32 s6, 0x200
	s_cbranch_scc1 .LBB344_40
; %bb.1:
	s_load_dwordx4 s[12:15], s[0:1], 0x8
	s_load_dwordx4 s[8:11], s[0:1], 0x60
	s_mov_b64 s[16:17], 0
	s_waitcnt lgkmcnt(0)
	v_cmp_neq_f64_e64 s[6:7], s[12:13], 0
	v_cmp_neq_f64_e64 s[18:19], s[14:15], 0
	s_or_b64 s[6:7], s[6:7], s[18:19]
	s_mov_b64 s[18:19], -1
	s_and_b64 vcc, exec, s[6:7]
	s_cbranch_vccnz .LBB344_4
; %bb.2:
	v_cmp_eq_f64_e64 s[16:17], s[8:9], 1.0
	v_cmp_eq_f64_e64 s[18:19], s[10:11], 0
	s_and_b64 s[16:17], s[16:17], s[18:19]
	s_andn2_b64 vcc, exec, s[16:17]
	s_mov_b64 s[18:19], 0
	s_cbranch_vccz .LBB344_16
; %bb.3:
	s_mov_b32 s5, 0
	s_mov_b64 s[16:17], -1
	s_mov_b64 s[20:21], 0
	s_and_b64 vcc, exec, s[18:19]
	s_cbranch_vccnz .LBB344_5
	s_branch .LBB344_6
.LBB344_4:
                                        ; implicit-def: $sgpr20_sgpr21
	s_and_b64 vcc, exec, s[18:19]
	s_cbranch_vccz .LBB344_6
.LBB344_5:
	s_load_dwordx4 s[16:19], s[0:1], 0x20
	s_mov_b32 s5, 0
	s_lshl_b64 s[20:21], s[4:5], 3
	s_waitcnt lgkmcnt(0)
	s_add_u32 s16, s16, s20
	s_addc_u32 s17, s17, s21
	s_load_dwordx2 s[16:17], s[16:17], 0x0
	s_lshl_b64 s[18:19], s[18:19], 4
	s_waitcnt lgkmcnt(0)
	s_add_u32 s20, s16, s18
	s_addc_u32 s21, s17, s19
	s_mov_b64 s[16:17], -1
.LBB344_6:
	s_andn2_b64 vcc, exec, s[16:17]
	s_cbranch_vccnz .LBB344_40
; %bb.7:
	s_xor_b64 s[24:25], s[6:7], -1
	s_mov_b64 s[16:17], 0
	s_andn2_b64 vcc, exec, s[6:7]
	s_mov_b64 s[22:23], 0
	s_cbranch_vccnz .LBB344_9
; %bb.8:
	s_load_dwordx4 s[28:31], s[0:1], 0x40
	s_lshl_b64 s[6:7], s[4:5], 3
	s_waitcnt lgkmcnt(0)
	s_add_u32 s6, s28, s6
	s_addc_u32 s7, s29, s7
	s_load_dwordx2 s[6:7], s[6:7], 0x0
	s_lshl_b64 s[18:19], s[30:31], 4
	s_waitcnt lgkmcnt(0)
	s_add_u32 s22, s6, s18
	s_addc_u32 s23, s7, s19
.LBB344_9:
	s_load_dwordx4 s[36:39], s[0:1], 0x78
	s_load_dwordx2 s[18:19], s[0:1], 0x0
	s_load_dword s28, s[0:1], 0x88
	s_lshl_b64 s[4:5], s[4:5], 3
	v_and_b32_e32 v1, 0x3ff, v0
	s_waitcnt lgkmcnt(0)
	s_add_u32 s4, s36, s4
	s_addc_u32 s5, s37, s5
	s_load_dwordx2 s[4:5], s[4:5], 0x0
	v_bfe_u32 v0, v0, 10, 10
	s_lshl_b64 s[6:7], s[38:39], 4
	v_mad_u32_u24 v10, v0, s3, v1
	s_waitcnt lgkmcnt(0)
	s_add_u32 s6, s4, s6
	s_addc_u32 s7, s5, s7
	s_andn2_b64 vcc, exec, s[24:25]
	v_cmp_gt_u32_e64 s[4:5], 32, v10
	s_cbranch_vccnz .LBB344_17
; %bb.10:
	s_mov_b64 s[24:25], 0
                                        ; implicit-def: $vgpr2_vgpr3
                                        ; implicit-def: $vgpr8_vgpr9
	s_and_saveexec_b64 s[26:27], s[4:5]
	s_cbranch_execz .LBB344_18
; %bb.11:
	v_lshl_or_b32 v0, s2, 5, v10
	v_mov_b32_e32 v1, 0
	s_ashr_i32 s5, s18, 31
	s_mov_b32 s4, s18
	v_cmp_gt_i64_e32 vcc, s[4:5], v[0:1]
                                        ; implicit-def: $vgpr2_vgpr3
                                        ; implicit-def: $vgpr8_vgpr9
	s_and_saveexec_b64 s[4:5], vcc
	s_cbranch_execz .LBB344_15
; %bb.12:
	v_mad_u64_u32 v[8:9], s[34:35], v0, s28, 0
	v_cmp_neq_f64_e64 s[16:17], s[8:9], 0
	v_cmp_neq_f64_e64 s[30:31], s[10:11], 0
	s_ashr_i32 s3, s28, 31
	v_mov_b32_e32 v4, v9
	v_mov_b64_e32 v[2:3], 0
	v_mad_u64_u32 v[0:1], s[34:35], v0, s3, v[4:5]
	s_or_b64 s[16:17], s[16:17], s[30:31]
	v_mov_b32_e32 v9, v0
	s_andn2_b64 vcc, exec, s[16:17]
	v_mov_b64_e32 v[0:1], v[2:3]
	s_cbranch_vccnz .LBB344_14
; %bb.13:
	v_lshl_add_u64 v[0:1], v[8:9], 4, s[6:7]
	global_load_dwordx4 v[4:7], v[0:1], off
	s_waitcnt vmcnt(0)
	v_mul_f64 v[0:1], s[10:11], v[6:7]
	v_mul_f64 v[2:3], s[8:9], v[6:7]
	v_fma_f64 v[0:1], s[8:9], v[4:5], -v[0:1]
	v_fmac_f64_e32 v[2:3], s[10:11], v[4:5]
.LBB344_14:
	s_mov_b64 s[16:17], exec
.LBB344_15:
	s_or_b64 exec, exec, s[4:5]
	s_and_b64 s[16:17], s[16:17], exec
	s_or_b64 exec, exec, s[26:27]
	s_and_b64 vcc, exec, s[24:25]
	s_cbranch_vccnz .LBB344_19
	s_branch .LBB344_38
.LBB344_16:
                                        ; implicit-def: $sgpr20_sgpr21
	s_mov_b64 s[16:17], 0
	s_and_b64 vcc, exec, s[18:19]
	s_cbranch_vccnz .LBB344_5
	s_branch .LBB344_6
.LBB344_17:
                                        ; implicit-def: $vgpr2_vgpr3
                                        ; implicit-def: $vgpr8_vgpr9
	s_cbranch_execnz .LBB344_19
	s_branch .LBB344_38
.LBB344_18:
	s_or_b64 exec, exec, s[26:27]
	s_and_b64 vcc, exec, s[24:25]
	s_cbranch_vccz .LBB344_38
.LBB344_19:
	s_load_dword s25, s[0:1], 0x30
	s_load_dword s26, s[0:1], 0x50
	s_ashr_i32 s0, s19, 31
	s_lshr_b32 s0, s0, 28
	s_add_i32 s0, s19, s0
	v_and_b32_e32 v5, 31, v10
	v_lshrrev_b32_e32 v9, 5, v10
	s_lshl_b32 s24, s2, 5
	s_and_b32 s27, s0, -16
	v_mov_b64_e32 v[2:3], 0
	v_or_b32_e32 v8, s24, v5
	v_cmp_gt_i32_e32 vcc, s27, v9
	v_mov_b64_e32 v[0:1], v[2:3]
	s_and_saveexec_b64 s[2:3], vcc
	s_cbranch_execz .LBB344_25
; %bb.20:
	s_waitcnt lgkmcnt(0)
	v_mul_lo_u32 v0, s25, v9
	v_mov_b64_e32 v[2:3], 0
	v_cmp_gt_i32_e32 vcc, s18, v8
	v_mul_lo_u32 v4, s26, v9
	s_lshl_b32 s29, s26, 4
	v_add3_u32 v6, v0, s24, v5
	s_lshl_b32 s30, s25, 4
	s_mov_b64 s[4:5], 0
	v_mov_b64_e32 v[0:1], v[2:3]
	s_branch .LBB344_22
.LBB344_21:                             ;   in Loop: Header=BB344_22 Depth=1
	s_or_b64 exec, exec, s[0:1]
	v_add_u32_e32 v9, 16, v9
	v_cmp_le_i32_e64 s[0:1], s27, v9
	v_add_u32_e32 v4, s29, v4
	s_or_b64 s[4:5], s[0:1], s[4:5]
	v_add_u32_e32 v6, s30, v6
	s_andn2_b64 exec, exec, s[4:5]
	s_cbranch_execz .LBB344_24
.LBB344_22:                             ; =>This Inner Loop Header: Depth=1
	s_and_saveexec_b64 s[0:1], vcc
	s_cbranch_execz .LBB344_21
; %bb.23:                               ;   in Loop: Header=BB344_22 Depth=1
	v_ashrrev_i32_e32 v5, 31, v4
	v_ashrrev_i32_e32 v7, 31, v6
	v_lshl_add_u64 v[22:23], v[4:5], 4, s[22:23]
	v_lshl_add_u64 v[20:21], v[6:7], 4, s[20:21]
	flat_load_dwordx4 v[12:15], v[22:23]
	flat_load_dwordx4 v[16:19], v[20:21]
	s_waitcnt vmcnt(0) lgkmcnt(0)
	v_mul_f64 v[20:21], v[14:15], v[18:19]
	v_mul_f64 v[18:19], v[12:13], v[18:19]
	v_fma_f64 v[12:13], v[12:13], v[16:17], -v[20:21]
	v_fmac_f64_e32 v[18:19], v[14:15], v[16:17]
	v_add_f64 v[0:1], v[0:1], v[12:13]
	v_add_f64 v[2:3], v[2:3], v[18:19]
	s_branch .LBB344_21
.LBB344_24:
	s_or_b64 exec, exec, s[4:5]
.LBB344_25:
	s_or_b64 exec, exec, s[2:3]
	s_sub_i32 s0, s19, s27
	s_cmp_lt_i32 s0, 1
	s_cbranch_scc1 .LBB344_31
; %bb.26:
	v_mov_b64_e32 v[4:5], 0
	v_cmp_gt_i32_e32 vcc, s19, v9
	v_mov_b64_e32 v[6:7], v[4:5]
	s_and_saveexec_b64 s[0:1], vcc
	s_cbranch_execz .LBB344_28
; %bb.27:
	s_waitcnt lgkmcnt(0)
	v_mul_lo_u32 v4, v9, s26
	v_ashrrev_i32_e32 v5, 31, v4
	v_lshl_add_u64 v[4:5], v[4:5], 4, s[22:23]
	flat_load_dwordx4 v[4:7], v[4:5]
.LBB344_28:
	s_or_b64 exec, exec, s[0:1]
	v_cmp_gt_i32_e64 s[0:1], s18, v8
	s_and_saveexec_b64 s[2:3], s[0:1]
	s_cbranch_execz .LBB344_30
; %bb.29:
	s_waitcnt lgkmcnt(0)
	v_mul_lo_u32 v9, v9, s25
	v_cndmask_b32_e32 v9, 0, v9, vcc
	v_add_u32_e32 v8, v9, v8
	v_ashrrev_i32_e32 v9, 31, v8
	v_lshl_add_u64 v[8:9], v[8:9], 4, s[20:21]
	flat_load_dwordx4 v[12:15], v[8:9]
	s_waitcnt vmcnt(0) lgkmcnt(0)
	v_mul_f64 v[8:9], v[6:7], v[14:15]
	v_mul_f64 v[14:15], v[4:5], v[14:15]
	v_fma_f64 v[4:5], v[4:5], v[12:13], -v[8:9]
	v_fmac_f64_e32 v[14:15], v[6:7], v[12:13]
	v_add_f64 v[0:1], v[0:1], v[4:5]
	v_add_f64 v[2:3], v[2:3], v[14:15]
.LBB344_30:
	s_or_b64 exec, exec, s[2:3]
.LBB344_31:
	v_lshlrev_b32_e32 v11, 4, v10
	v_cmp_gt_u32_e32 vcc, 32, v10
	ds_write_b128 v11, v[0:3]
	s_waitcnt lgkmcnt(0)
	s_barrier
	s_waitcnt lgkmcnt(0)
                                        ; implicit-def: $vgpr2_vgpr3
                                        ; implicit-def: $vgpr8_vgpr9
	s_and_saveexec_b64 s[0:1], vcc
	s_cbranch_execz .LBB344_37
; %bb.32:
	ds_read_b128 v[0:3], v11
	s_waitcnt vmcnt(0)
	ds_read_b128 v[4:7], v11 offset:512
	ds_read_b128 v[12:15], v11 offset:1024
	;; [unrolled: 1-line block ×3, first 2 shown]
	v_or_b32_e32 v10, s24, v10
	v_cmp_gt_i32_e32 vcc, s18, v10
	s_waitcnt lgkmcnt(2)
	v_add_f64 v[0:1], v[0:1], v[4:5]
	v_add_f64 v[4:5], v[2:3], v[6:7]
	s_waitcnt lgkmcnt(1)
	v_add_f64 v[6:7], v[0:1], v[12:13]
	ds_read_b128 v[0:3], v11 offset:2048
	v_add_f64 v[8:9], v[4:5], v[14:15]
	s_waitcnt lgkmcnt(1)
	v_add_f64 v[12:13], v[6:7], v[16:17]
	ds_read_b128 v[4:7], v11 offset:2560
	;; [unrolled: 4-line block ×9, first 2 shown]
	v_add_f64 v[2:3], v[8:9], v[2:3]
	s_waitcnt lgkmcnt(1)
	v_add_f64 v[4:5], v[0:1], v[4:5]
	v_add_f64 v[8:9], v[2:3], v[6:7]
	ds_read_b128 v[0:3], v11 offset:6656
	s_waitcnt lgkmcnt(1)
	v_add_f64 v[16:17], v[4:5], v[12:13]
	ds_read_b128 v[4:7], v11 offset:7168
	v_add_f64 v[8:9], v[8:9], v[14:15]
	ds_read_b128 v[12:15], v11 offset:7680
	s_waitcnt lgkmcnt(2)
	v_add_f64 v[0:1], v[16:17], v[0:1]
	v_add_f64 v[2:3], v[8:9], v[2:3]
	s_waitcnt lgkmcnt(1)
	v_add_f64 v[0:1], v[0:1], v[4:5]
	v_add_f64 v[2:3], v[2:3], v[6:7]
	;; [unrolled: 3-line block ×3, first 2 shown]
	s_mov_b64 s[4:5], s[16:17]
	ds_write_b128 v11, v[4:7]
                                        ; implicit-def: $vgpr2_vgpr3
                                        ; implicit-def: $vgpr8_vgpr9
	s_and_saveexec_b64 s[2:3], vcc
	s_cbranch_execz .LBB344_36
; %bb.33:
	v_cmp_neq_f64_e64 s[4:5], s[8:9], 0
	v_cmp_neq_f64_e64 s[18:19], s[10:11], 0
	v_mul_f64 v[0:1], s[14:15], v[6:7]
	v_mul_f64 v[2:3], s[12:13], v[6:7]
	v_mul_lo_u32 v8, v10, s28
	s_or_b64 s[4:5], s[4:5], s[18:19]
	v_fma_f64 v[0:1], s[12:13], v[4:5], -v[0:1]
	v_fmac_f64_e32 v[2:3], s[14:15], v[4:5]
	s_andn2_b64 vcc, exec, s[4:5]
	v_ashrrev_i32_e32 v9, 31, v8
	s_cbranch_vccnz .LBB344_35
; %bb.34:
	v_lshl_add_u64 v[4:5], v[8:9], 4, s[6:7]
	global_load_dwordx4 v[4:7], v[4:5], off
	s_waitcnt vmcnt(0)
	v_mul_f64 v[10:11], s[10:11], v[6:7]
	v_mul_f64 v[6:7], s[8:9], v[6:7]
	v_fma_f64 v[10:11], s[8:9], v[4:5], -v[10:11]
	v_fmac_f64_e32 v[6:7], s[10:11], v[4:5]
	v_add_f64 v[0:1], v[0:1], v[10:11]
	v_add_f64 v[2:3], v[2:3], v[6:7]
.LBB344_35:
	s_or_b64 s[4:5], s[16:17], exec
.LBB344_36:
	s_or_b64 exec, exec, s[2:3]
	s_andn2_b64 s[2:3], s[16:17], exec
	s_and_b64 s[4:5], s[4:5], exec
	s_or_b64 s[16:17], s[2:3], s[4:5]
.LBB344_37:
	s_or_b64 exec, exec, s[0:1]
.LBB344_38:
	s_and_saveexec_b64 s[0:1], s[16:17]
	s_cbranch_execz .LBB344_40
; %bb.39:
	s_waitcnt vmcnt(0)
	v_lshl_add_u64 v[4:5], v[8:9], 4, s[6:7]
	global_store_dwordx4 v[4:5], v[0:3], off
.LBB344_40:
	s_endpgm
	.section	.rodata,"a",@progbits
	.p2align	6, 0x0
	.amdhsa_kernel _ZL20rocblas_gemvn_kernelILi32ELi16EiPK19rocblas_complex_numIdES1_KPS1_EviiT3_lPKT2_lT1_lS9_lSA_lS6_lPT4_lSA_li
		.amdhsa_group_segment_fixed_size 8192
		.amdhsa_private_segment_fixed_size 0
		.amdhsa_kernarg_size 416
		.amdhsa_user_sgpr_count 2
		.amdhsa_user_sgpr_dispatch_ptr 0
		.amdhsa_user_sgpr_queue_ptr 0
		.amdhsa_user_sgpr_kernarg_segment_ptr 1
		.amdhsa_user_sgpr_dispatch_id 0
		.amdhsa_user_sgpr_kernarg_preload_length 0
		.amdhsa_user_sgpr_kernarg_preload_offset 0
		.amdhsa_user_sgpr_private_segment_size 0
		.amdhsa_uses_dynamic_stack 0
		.amdhsa_enable_private_segment 0
		.amdhsa_system_sgpr_workgroup_id_x 1
		.amdhsa_system_sgpr_workgroup_id_y 0
		.amdhsa_system_sgpr_workgroup_id_z 1
		.amdhsa_system_sgpr_workgroup_info 0
		.amdhsa_system_vgpr_workitem_id 1
		.amdhsa_next_free_vgpr 24
		.amdhsa_next_free_sgpr 40
		.amdhsa_accum_offset 24
		.amdhsa_reserve_vcc 1
		.amdhsa_float_round_mode_32 0
		.amdhsa_float_round_mode_16_64 0
		.amdhsa_float_denorm_mode_32 3
		.amdhsa_float_denorm_mode_16_64 3
		.amdhsa_dx10_clamp 1
		.amdhsa_ieee_mode 1
		.amdhsa_fp16_overflow 0
		.amdhsa_tg_split 0
		.amdhsa_exception_fp_ieee_invalid_op 0
		.amdhsa_exception_fp_denorm_src 0
		.amdhsa_exception_fp_ieee_div_zero 0
		.amdhsa_exception_fp_ieee_overflow 0
		.amdhsa_exception_fp_ieee_underflow 0
		.amdhsa_exception_fp_ieee_inexact 0
		.amdhsa_exception_int_div_zero 0
	.end_amdhsa_kernel
	.section	.text._ZL20rocblas_gemvn_kernelILi32ELi16EiPK19rocblas_complex_numIdES1_KPS1_EviiT3_lPKT2_lT1_lS9_lSA_lS6_lPT4_lSA_li,"axG",@progbits,_ZL20rocblas_gemvn_kernelILi32ELi16EiPK19rocblas_complex_numIdES1_KPS1_EviiT3_lPKT2_lT1_lS9_lSA_lS6_lPT4_lSA_li,comdat
.Lfunc_end344:
	.size	_ZL20rocblas_gemvn_kernelILi32ELi16EiPK19rocblas_complex_numIdES1_KPS1_EviiT3_lPKT2_lT1_lS9_lSA_lS6_lPT4_lSA_li, .Lfunc_end344-_ZL20rocblas_gemvn_kernelILi32ELi16EiPK19rocblas_complex_numIdES1_KPS1_EviiT3_lPKT2_lT1_lS9_lSA_lS6_lPT4_lSA_li
                                        ; -- End function
	.section	.AMDGPU.csdata,"",@progbits
; Kernel info:
; codeLenInByte = 1756
; NumSgprs: 46
; NumVgprs: 24
; NumAgprs: 0
; TotalNumVgprs: 24
; ScratchSize: 0
; MemoryBound: 1
; FloatMode: 240
; IeeeMode: 1
; LDSByteSize: 8192 bytes/workgroup (compile time only)
; SGPRBlocks: 5
; VGPRBlocks: 2
; NumSGPRsForWavesPerEU: 46
; NumVGPRsForWavesPerEU: 24
; AccumOffset: 24
; Occupancy: 8
; WaveLimiterHint : 1
; COMPUTE_PGM_RSRC2:SCRATCH_EN: 0
; COMPUTE_PGM_RSRC2:USER_SGPR: 2
; COMPUTE_PGM_RSRC2:TRAP_HANDLER: 0
; COMPUTE_PGM_RSRC2:TGID_X_EN: 1
; COMPUTE_PGM_RSRC2:TGID_Y_EN: 0
; COMPUTE_PGM_RSRC2:TGID_Z_EN: 1
; COMPUTE_PGM_RSRC2:TIDIG_COMP_CNT: 1
; COMPUTE_PGM_RSRC3_GFX90A:ACCUM_OFFSET: 5
; COMPUTE_PGM_RSRC3_GFX90A:TG_SPLIT: 0
	.section	.text._ZL20rocblas_gemvn_kernelILi32ELi16ElPK19rocblas_complex_numIdES1_KPS1_EviiT3_lPKT2_lT1_lS9_lSA_lS6_lPT4_lSA_li,"axG",@progbits,_ZL20rocblas_gemvn_kernelILi32ELi16ElPK19rocblas_complex_numIdES1_KPS1_EviiT3_lPKT2_lT1_lS9_lSA_lS6_lPT4_lSA_li,comdat
	.globl	_ZL20rocblas_gemvn_kernelILi32ELi16ElPK19rocblas_complex_numIdES1_KPS1_EviiT3_lPKT2_lT1_lS9_lSA_lS6_lPT4_lSA_li ; -- Begin function _ZL20rocblas_gemvn_kernelILi32ELi16ElPK19rocblas_complex_numIdES1_KPS1_EviiT3_lPKT2_lT1_lS9_lSA_lS6_lPT4_lSA_li
	.p2align	8
	.type	_ZL20rocblas_gemvn_kernelILi32ELi16ElPK19rocblas_complex_numIdES1_KPS1_EviiT3_lPKT2_lT1_lS9_lSA_lS6_lPT4_lSA_li,@function
_ZL20rocblas_gemvn_kernelILi32ELi16ElPK19rocblas_complex_numIdES1_KPS1_EviiT3_lPKT2_lT1_lS9_lSA_lS6_lPT4_lSA_li: ; @_ZL20rocblas_gemvn_kernelILi32ELi16ElPK19rocblas_complex_numIdES1_KPS1_EviiT3_lPKT2_lT1_lS9_lSA_lS6_lPT4_lSA_li
; %bb.0:
	s_load_dwordx2 s[4:5], s[0:1], 0xac
	s_mov_b32 s28, s3
	s_waitcnt lgkmcnt(0)
	s_lshr_b32 s6, s4, 16
	s_and_b32 s3, s4, 0xffff
	s_and_b32 s5, s5, 0xffff
	s_mul_i32 s4, s6, s3
	s_mul_i32 s4, s4, s5
	s_cmpk_lg_i32 s4, 0x200
	s_cbranch_scc1 .LBB345_40
; %bb.1:
	s_load_dwordx4 s[8:11], s[0:1], 0x8
	s_load_dwordx4 s[12:15], s[0:1], 0x20
	s_load_dwordx2 s[20:21], s[0:1], 0x30
	s_load_dwordx4 s[4:7], s[0:1], 0x60
	s_mov_b64 s[16:17], 0
	s_waitcnt lgkmcnt(0)
	v_cmp_neq_f64_e64 s[18:19], s[8:9], 0
	v_cmp_neq_f64_e64 s[22:23], s[10:11], 0
	s_or_b64 s[18:19], s[18:19], s[22:23]
	s_mov_b64 s[24:25], -1
	s_and_b64 vcc, exec, s[18:19]
	s_cbranch_vccnz .LBB345_4
; %bb.2:
	v_cmp_eq_f64_e64 s[16:17], s[4:5], 1.0
	v_cmp_eq_f64_e64 s[22:23], s[6:7], 0
	s_and_b64 s[16:17], s[16:17], s[22:23]
	s_andn2_b64 vcc, exec, s[16:17]
	s_mov_b64 s[24:25], 0
	s_cbranch_vccz .LBB345_16
; %bb.3:
	s_mov_b32 s29, 0
	s_mov_b64 s[16:17], -1
	s_mov_b64 s[22:23], 0
	s_and_b64 vcc, exec, s[24:25]
	s_cbranch_vccnz .LBB345_5
	s_branch .LBB345_6
.LBB345_4:
                                        ; implicit-def: $sgpr22_sgpr23
	s_and_b64 vcc, exec, s[24:25]
	s_cbranch_vccz .LBB345_6
.LBB345_5:
	s_mov_b32 s29, 0
	s_lshl_b64 s[16:17], s[28:29], 3
	s_add_u32 s12, s12, s16
	s_addc_u32 s13, s13, s17
	s_load_dwordx2 s[12:13], s[12:13], 0x0
	s_lshl_b64 s[14:15], s[14:15], 4
	s_mov_b64 s[16:17], -1
	s_waitcnt lgkmcnt(0)
	s_add_u32 s22, s12, s14
	s_addc_u32 s23, s13, s15
.LBB345_6:
	s_andn2_b64 vcc, exec, s[16:17]
	s_cbranch_vccnz .LBB345_40
; %bb.7:
	s_load_dwordx4 s[12:15], s[0:1], 0x40
	s_load_dwordx2 s[24:25], s[0:1], 0x50
	s_xor_b64 s[30:31], s[18:19], -1
	s_mov_b64 s[16:17], 0
	s_andn2_b64 vcc, exec, s[18:19]
	s_mov_b64 s[26:27], 0
	s_cbranch_vccnz .LBB345_9
; %bb.8:
	s_lshl_b64 s[18:19], s[28:29], 3
	s_waitcnt lgkmcnt(0)
	s_add_u32 s12, s12, s18
	s_addc_u32 s13, s13, s19
	s_load_dwordx2 s[12:13], s[12:13], 0x0
	s_lshl_b64 s[14:15], s[14:15], 4
	s_waitcnt lgkmcnt(0)
	s_add_u32 s26, s12, s14
	s_addc_u32 s27, s13, s15
.LBB345_9:
	s_load_dwordx4 s[36:39], s[0:1], 0x78
	s_load_dwordx2 s[18:19], s[0:1], 0x0
	s_waitcnt lgkmcnt(0)
	s_load_dwordx2 s[14:15], s[0:1], 0x88
	s_lshl_b64 s[0:1], s[28:29], 3
	v_and_b32_e32 v1, 0x3ff, v0
	s_add_u32 s0, s36, s0
	s_addc_u32 s1, s37, s1
	s_load_dwordx2 s[0:1], s[0:1], 0x0
	v_bfe_u32 v0, v0, 10, 10
	s_lshl_b64 s[12:13], s[38:39], 4
	v_mad_u32_u24 v10, v0, s3, v1
	s_waitcnt lgkmcnt(0)
	s_add_u32 s12, s0, s12
	s_addc_u32 s13, s1, s13
	s_andn2_b64 vcc, exec, s[30:31]
	v_cmp_gt_u32_e64 s[0:1], 32, v10
	s_cbranch_vccnz .LBB345_17
; %bb.10:
	s_mov_b64 s[28:29], 0
                                        ; implicit-def: $vgpr2_vgpr3
                                        ; implicit-def: $vgpr8_vgpr9
	s_and_saveexec_b64 s[30:31], s[0:1]
	s_cbranch_execz .LBB345_18
; %bb.11:
	v_lshl_or_b32 v0, s2, 5, v10
	v_mov_b32_e32 v1, 0
	s_ashr_i32 s1, s18, 31
	s_mov_b32 s0, s18
	v_cmp_gt_i64_e32 vcc, s[0:1], v[0:1]
                                        ; implicit-def: $vgpr2_vgpr3
                                        ; implicit-def: $vgpr8_vgpr9
	s_and_saveexec_b64 s[0:1], vcc
	s_cbranch_execz .LBB345_15
; %bb.12:
	v_mad_u64_u32 v[8:9], s[36:37], v0, s14, 0
	v_cmp_neq_f64_e64 s[16:17], s[4:5], 0
	v_cmp_neq_f64_e64 s[34:35], s[6:7], 0
	v_mov_b32_e32 v4, v9
	v_mov_b64_e32 v[2:3], 0
	v_mad_u64_u32 v[0:1], s[36:37], v0, s15, v[4:5]
	s_or_b64 s[16:17], s[16:17], s[34:35]
	v_mov_b32_e32 v9, v0
	s_andn2_b64 vcc, exec, s[16:17]
	v_mov_b64_e32 v[0:1], v[2:3]
	s_cbranch_vccnz .LBB345_14
; %bb.13:
	v_lshl_add_u64 v[0:1], v[8:9], 4, s[12:13]
	global_load_dwordx4 v[4:7], v[0:1], off
	s_waitcnt vmcnt(0)
	v_mul_f64 v[0:1], s[6:7], v[6:7]
	v_mul_f64 v[2:3], s[4:5], v[6:7]
	v_fma_f64 v[0:1], s[4:5], v[4:5], -v[0:1]
	v_fmac_f64_e32 v[2:3], s[6:7], v[4:5]
.LBB345_14:
	s_mov_b64 s[16:17], exec
.LBB345_15:
	s_or_b64 exec, exec, s[0:1]
	s_and_b64 s[16:17], s[16:17], exec
	s_or_b64 exec, exec, s[30:31]
	s_and_b64 vcc, exec, s[28:29]
	s_cbranch_vccnz .LBB345_19
	s_branch .LBB345_38
.LBB345_16:
                                        ; implicit-def: $sgpr22_sgpr23
	s_mov_b64 s[16:17], 0
	s_and_b64 vcc, exec, s[24:25]
	s_cbranch_vccnz .LBB345_5
	s_branch .LBB345_6
.LBB345_17:
                                        ; implicit-def: $vgpr2_vgpr3
                                        ; implicit-def: $vgpr8_vgpr9
	s_cbranch_execnz .LBB345_19
	s_branch .LBB345_38
.LBB345_18:
	s_or_b64 exec, exec, s[30:31]
	s_and_b64 vcc, exec, s[28:29]
	s_cbranch_vccz .LBB345_38
.LBB345_19:
	s_ashr_i32 s0, s19, 31
	s_lshr_b32 s0, s0, 28
	s_add_i32 s0, s19, s0
	v_and_b32_e32 v6, 31, v10
	v_lshrrev_b32_e32 v11, 5, v10
	s_lshl_b32 s33, s2, 5
	s_and_b32 s36, s0, -16
	v_mov_b64_e32 v[2:3], 0
	v_or_b32_e32 v8, s33, v6
	v_cmp_gt_i32_e32 vcc, s36, v11
	v_mov_b64_e32 v[0:1], v[2:3]
	s_and_saveexec_b64 s[2:3], vcc
	s_cbranch_execz .LBB345_25
; %bb.20:
	v_lshrrev_b32_e32 v7, 5, v10
	v_mad_u64_u32 v[0:1], s[0:1], s24, v7, 0
	v_mov_b32_e32 v2, v1
	v_mad_u64_u32 v[2:3], s[0:1], s25, v7, v[2:3]
	v_mov_b32_e32 v1, v2
	v_lshl_add_u64 v[4:5], v[0:1], 4, s[26:27]
	v_mad_u64_u32 v[0:1], s[0:1], s20, v7, 0
	v_mov_b32_e32 v2, v1
	v_mad_u64_u32 v[2:3], s[0:1], s21, v7, v[2:3]
	v_mov_b32_e32 v1, v2
	v_add_u32_e32 v2, s33, v6
	v_ashrrev_i32_e32 v3, 31, v2
	v_lshlrev_b64 v[2:3], 4, v[2:3]
	v_lshl_add_u64 v[0:1], v[0:1], 4, v[2:3]
	v_mov_b64_e32 v[2:3], 0
	v_cmp_gt_i32_e32 vcc, s18, v8
	s_lshl_b64 s[28:29], s[24:25], 8
	v_lshl_add_u64 v[6:7], s[22:23], 0, v[0:1]
	s_lshl_b64 s[34:35], s[20:21], 8
	s_mov_b64 s[30:31], 0
	v_mov_b64_e32 v[0:1], v[2:3]
	s_branch .LBB345_22
.LBB345_21:                             ;   in Loop: Header=BB345_22 Depth=1
	s_or_b64 exec, exec, s[0:1]
	v_add_u32_e32 v11, 16, v11
	v_cmp_le_i32_e64 s[0:1], s36, v11
	v_lshl_add_u64 v[4:5], v[4:5], 0, s[28:29]
	s_or_b64 s[30:31], s[0:1], s[30:31]
	v_lshl_add_u64 v[6:7], v[6:7], 0, s[34:35]
	s_andn2_b64 exec, exec, s[30:31]
	s_cbranch_execz .LBB345_24
.LBB345_22:                             ; =>This Inner Loop Header: Depth=1
	s_and_saveexec_b64 s[0:1], vcc
	s_cbranch_execz .LBB345_21
; %bb.23:                               ;   in Loop: Header=BB345_22 Depth=1
	flat_load_dwordx4 v[12:15], v[4:5]
	flat_load_dwordx4 v[16:19], v[6:7]
	s_waitcnt vmcnt(0) lgkmcnt(0)
	v_mul_f64 v[20:21], v[14:15], v[18:19]
	v_mul_f64 v[18:19], v[12:13], v[18:19]
	v_fma_f64 v[12:13], v[12:13], v[16:17], -v[20:21]
	v_fmac_f64_e32 v[18:19], v[14:15], v[16:17]
	v_add_f64 v[0:1], v[0:1], v[12:13]
	v_add_f64 v[2:3], v[2:3], v[18:19]
	s_branch .LBB345_21
.LBB345_24:
	s_or_b64 exec, exec, s[30:31]
.LBB345_25:
	s_or_b64 exec, exec, s[2:3]
	s_sub_i32 s0, s19, s36
	s_cmp_lt_i32 s0, 1
	s_cbranch_scc1 .LBB345_31
; %bb.26:
	v_mov_b64_e32 v[4:5], 0
	v_cmp_gt_i32_e32 vcc, s19, v11
	v_mov_b64_e32 v[6:7], v[4:5]
	s_and_saveexec_b64 s[0:1], vcc
	s_cbranch_execz .LBB345_28
; %bb.27:
	v_mad_u64_u32 v[4:5], s[2:3], v11, s24, 0
	v_mov_b32_e32 v6, v5
	v_mad_u64_u32 v[6:7], s[2:3], v11, s25, v[6:7]
	v_mov_b32_e32 v5, v6
	v_lshl_add_u64 v[4:5], v[4:5], 4, s[26:27]
	flat_load_dwordx4 v[4:7], v[4:5]
.LBB345_28:
	s_or_b64 exec, exec, s[0:1]
	v_cmp_gt_i32_e64 s[0:1], s18, v8
	s_and_saveexec_b64 s[2:3], s[0:1]
	s_cbranch_execz .LBB345_30
; %bb.29:
	v_mad_u64_u32 v[12:13], s[0:1], v11, s20, 0
	v_mov_b32_e32 v14, v13
	v_mad_u64_u32 v[14:15], s[0:1], v11, s21, v[14:15]
	v_cndmask_b32_e32 v12, 0, v12, vcc
	v_cndmask_b32_e32 v13, 0, v14, vcc
	v_ashrrev_i32_e32 v9, 31, v8
	v_lshl_add_u64 v[12:13], v[12:13], 4, s[22:23]
	v_lshl_add_u64 v[8:9], v[8:9], 4, v[12:13]
	flat_load_dwordx4 v[12:15], v[8:9]
	s_waitcnt vmcnt(0) lgkmcnt(0)
	v_mul_f64 v[8:9], v[6:7], v[14:15]
	v_mul_f64 v[14:15], v[4:5], v[14:15]
	v_fma_f64 v[4:5], v[4:5], v[12:13], -v[8:9]
	v_fmac_f64_e32 v[14:15], v[6:7], v[12:13]
	v_add_f64 v[0:1], v[0:1], v[4:5]
	v_add_f64 v[2:3], v[2:3], v[14:15]
.LBB345_30:
	s_or_b64 exec, exec, s[2:3]
.LBB345_31:
	v_lshlrev_b32_e32 v11, 4, v10
	v_cmp_gt_u32_e32 vcc, 32, v10
	ds_write_b128 v11, v[0:3]
	s_waitcnt lgkmcnt(0)
	s_barrier
	s_waitcnt lgkmcnt(0)
                                        ; implicit-def: $vgpr2_vgpr3
                                        ; implicit-def: $vgpr8_vgpr9
	s_and_saveexec_b64 s[0:1], vcc
	s_cbranch_execz .LBB345_37
; %bb.32:
	ds_read_b128 v[0:3], v11
	s_waitcnt vmcnt(0)
	ds_read_b128 v[4:7], v11 offset:512
	ds_read_b128 v[12:15], v11 offset:1024
	;; [unrolled: 1-line block ×3, first 2 shown]
	v_or_b32_e32 v10, s33, v10
	v_cmp_gt_i32_e32 vcc, s18, v10
	s_waitcnt lgkmcnt(2)
	v_add_f64 v[0:1], v[0:1], v[4:5]
	v_add_f64 v[4:5], v[2:3], v[6:7]
	s_waitcnt lgkmcnt(1)
	v_add_f64 v[6:7], v[0:1], v[12:13]
	ds_read_b128 v[0:3], v11 offset:2048
	v_add_f64 v[8:9], v[4:5], v[14:15]
	s_waitcnt lgkmcnt(1)
	v_add_f64 v[12:13], v[6:7], v[16:17]
	ds_read_b128 v[4:7], v11 offset:2560
	v_add_f64 v[8:9], v[8:9], v[18:19]
	s_waitcnt lgkmcnt(1)
	v_add_f64 v[0:1], v[12:13], v[0:1]
	ds_read_b128 v[12:15], v11 offset:3072
	v_add_f64 v[8:9], v[8:9], v[2:3]
	s_waitcnt lgkmcnt(1)
	v_add_f64 v[4:5], v[0:1], v[4:5]
	ds_read_b128 v[0:3], v11 offset:3584
	v_add_f64 v[8:9], v[8:9], v[6:7]
	s_waitcnt lgkmcnt(1)
	v_add_f64 v[12:13], v[4:5], v[12:13]
	ds_read_b128 v[4:7], v11 offset:4096
	v_add_f64 v[8:9], v[8:9], v[14:15]
	s_waitcnt lgkmcnt(1)
	v_add_f64 v[0:1], v[12:13], v[0:1]
	ds_read_b128 v[12:15], v11 offset:4608
	v_add_f64 v[8:9], v[8:9], v[2:3]
	s_waitcnt lgkmcnt(1)
	v_add_f64 v[4:5], v[0:1], v[4:5]
	ds_read_b128 v[0:3], v11 offset:5120
	v_add_f64 v[8:9], v[8:9], v[6:7]
	s_waitcnt lgkmcnt(1)
	v_add_f64 v[12:13], v[4:5], v[12:13]
	ds_read_b128 v[4:7], v11 offset:5632
	v_add_f64 v[8:9], v[8:9], v[14:15]
	s_waitcnt lgkmcnt(1)
	v_add_f64 v[0:1], v[12:13], v[0:1]
	ds_read_b128 v[12:15], v11 offset:6144
	v_add_f64 v[2:3], v[8:9], v[2:3]
	s_waitcnt lgkmcnt(1)
	v_add_f64 v[4:5], v[0:1], v[4:5]
	v_add_f64 v[8:9], v[2:3], v[6:7]
	ds_read_b128 v[0:3], v11 offset:6656
	s_waitcnt lgkmcnt(1)
	v_add_f64 v[16:17], v[4:5], v[12:13]
	ds_read_b128 v[4:7], v11 offset:7168
	v_add_f64 v[8:9], v[8:9], v[14:15]
	ds_read_b128 v[12:15], v11 offset:7680
	s_waitcnt lgkmcnt(2)
	v_add_f64 v[0:1], v[16:17], v[0:1]
	v_add_f64 v[2:3], v[8:9], v[2:3]
	s_waitcnt lgkmcnt(1)
	v_add_f64 v[0:1], v[0:1], v[4:5]
	v_add_f64 v[2:3], v[2:3], v[6:7]
	;; [unrolled: 3-line block ×3, first 2 shown]
	s_mov_b64 s[18:19], s[16:17]
	ds_write_b128 v11, v[4:7]
                                        ; implicit-def: $vgpr2_vgpr3
                                        ; implicit-def: $vgpr8_vgpr9
	s_and_saveexec_b64 s[2:3], vcc
	s_cbranch_execz .LBB345_36
; %bb.33:
	v_mul_f64 v[0:1], s[10:11], v[6:7]
	v_mul_f64 v[2:3], s[8:9], v[6:7]
	v_cmp_neq_f64_e64 s[18:19], s[4:5], 0
	v_cmp_neq_f64_e64 s[20:21], s[6:7], 0
	v_fma_f64 v[0:1], s[8:9], v[4:5], -v[0:1]
	v_fmac_f64_e32 v[2:3], s[10:11], v[4:5]
	v_ashrrev_i32_e32 v4, 31, v10
	v_mad_u64_u32 v[8:9], s[8:9], v10, s14, 0
	v_mul_lo_u32 v5, v10, s15
	v_mul_lo_u32 v4, v4, s14
	s_or_b64 s[8:9], s[18:19], s[20:21]
	s_andn2_b64 vcc, exec, s[8:9]
	v_add3_u32 v9, v9, v5, v4
	s_cbranch_vccnz .LBB345_35
; %bb.34:
	v_lshl_add_u64 v[4:5], v[8:9], 4, s[12:13]
	global_load_dwordx4 v[4:7], v[4:5], off
	s_waitcnt vmcnt(0)
	v_mul_f64 v[10:11], s[6:7], v[6:7]
	v_mul_f64 v[6:7], s[4:5], v[6:7]
	v_fma_f64 v[10:11], s[4:5], v[4:5], -v[10:11]
	v_fmac_f64_e32 v[6:7], s[6:7], v[4:5]
	v_add_f64 v[0:1], v[0:1], v[10:11]
	v_add_f64 v[2:3], v[2:3], v[6:7]
.LBB345_35:
	s_or_b64 s[18:19], s[16:17], exec
.LBB345_36:
	s_or_b64 exec, exec, s[2:3]
	s_andn2_b64 s[2:3], s[16:17], exec
	s_and_b64 s[4:5], s[18:19], exec
	s_or_b64 s[16:17], s[2:3], s[4:5]
.LBB345_37:
	s_or_b64 exec, exec, s[0:1]
.LBB345_38:
	s_and_saveexec_b64 s[0:1], s[16:17]
	s_cbranch_execz .LBB345_40
; %bb.39:
	s_waitcnt vmcnt(0)
	v_lshl_add_u64 v[4:5], v[8:9], 4, s[12:13]
	global_store_dwordx4 v[4:5], v[0:3], off
.LBB345_40:
	s_endpgm
	.section	.rodata,"a",@progbits
	.p2align	6, 0x0
	.amdhsa_kernel _ZL20rocblas_gemvn_kernelILi32ELi16ElPK19rocblas_complex_numIdES1_KPS1_EviiT3_lPKT2_lT1_lS9_lSA_lS6_lPT4_lSA_li
		.amdhsa_group_segment_fixed_size 8192
		.amdhsa_private_segment_fixed_size 0
		.amdhsa_kernarg_size 416
		.amdhsa_user_sgpr_count 2
		.amdhsa_user_sgpr_dispatch_ptr 0
		.amdhsa_user_sgpr_queue_ptr 0
		.amdhsa_user_sgpr_kernarg_segment_ptr 1
		.amdhsa_user_sgpr_dispatch_id 0
		.amdhsa_user_sgpr_kernarg_preload_length 0
		.amdhsa_user_sgpr_kernarg_preload_offset 0
		.amdhsa_user_sgpr_private_segment_size 0
		.amdhsa_uses_dynamic_stack 0
		.amdhsa_enable_private_segment 0
		.amdhsa_system_sgpr_workgroup_id_x 1
		.amdhsa_system_sgpr_workgroup_id_y 0
		.amdhsa_system_sgpr_workgroup_id_z 1
		.amdhsa_system_sgpr_workgroup_info 0
		.amdhsa_system_vgpr_workitem_id 1
		.amdhsa_next_free_vgpr 22
		.amdhsa_next_free_sgpr 40
		.amdhsa_accum_offset 24
		.amdhsa_reserve_vcc 1
		.amdhsa_float_round_mode_32 0
		.amdhsa_float_round_mode_16_64 0
		.amdhsa_float_denorm_mode_32 3
		.amdhsa_float_denorm_mode_16_64 3
		.amdhsa_dx10_clamp 1
		.amdhsa_ieee_mode 1
		.amdhsa_fp16_overflow 0
		.amdhsa_tg_split 0
		.amdhsa_exception_fp_ieee_invalid_op 0
		.amdhsa_exception_fp_denorm_src 0
		.amdhsa_exception_fp_ieee_div_zero 0
		.amdhsa_exception_fp_ieee_overflow 0
		.amdhsa_exception_fp_ieee_underflow 0
		.amdhsa_exception_fp_ieee_inexact 0
		.amdhsa_exception_int_div_zero 0
	.end_amdhsa_kernel
	.section	.text._ZL20rocblas_gemvn_kernelILi32ELi16ElPK19rocblas_complex_numIdES1_KPS1_EviiT3_lPKT2_lT1_lS9_lSA_lS6_lPT4_lSA_li,"axG",@progbits,_ZL20rocblas_gemvn_kernelILi32ELi16ElPK19rocblas_complex_numIdES1_KPS1_EviiT3_lPKT2_lT1_lS9_lSA_lS6_lPT4_lSA_li,comdat
.Lfunc_end345:
	.size	_ZL20rocblas_gemvn_kernelILi32ELi16ElPK19rocblas_complex_numIdES1_KPS1_EviiT3_lPKT2_lT1_lS9_lSA_lS6_lPT4_lSA_li, .Lfunc_end345-_ZL20rocblas_gemvn_kernelILi32ELi16ElPK19rocblas_complex_numIdES1_KPS1_EviiT3_lPKT2_lT1_lS9_lSA_lS6_lPT4_lSA_li
                                        ; -- End function
	.section	.AMDGPU.csdata,"",@progbits
; Kernel info:
; codeLenInByte = 1844
; NumSgprs: 46
; NumVgprs: 22
; NumAgprs: 0
; TotalNumVgprs: 22
; ScratchSize: 0
; MemoryBound: 1
; FloatMode: 240
; IeeeMode: 1
; LDSByteSize: 8192 bytes/workgroup (compile time only)
; SGPRBlocks: 5
; VGPRBlocks: 2
; NumSGPRsForWavesPerEU: 46
; NumVGPRsForWavesPerEU: 22
; AccumOffset: 24
; Occupancy: 8
; WaveLimiterHint : 1
; COMPUTE_PGM_RSRC2:SCRATCH_EN: 0
; COMPUTE_PGM_RSRC2:USER_SGPR: 2
; COMPUTE_PGM_RSRC2:TRAP_HANDLER: 0
; COMPUTE_PGM_RSRC2:TGID_X_EN: 1
; COMPUTE_PGM_RSRC2:TGID_Y_EN: 0
; COMPUTE_PGM_RSRC2:TGID_Z_EN: 1
; COMPUTE_PGM_RSRC2:TIDIG_COMP_CNT: 1
; COMPUTE_PGM_RSRC3_GFX90A:ACCUM_OFFSET: 5
; COMPUTE_PGM_RSRC3_GFX90A:TG_SPLIT: 0
	.section	.text._ZL20rocblas_gemvn_kernelILi64ELi16EiPK19rocblas_complex_numIdES3_KPS1_EviiT3_lPKT2_lT1_lS9_lSA_lS6_lPT4_lSA_li,"axG",@progbits,_ZL20rocblas_gemvn_kernelILi64ELi16EiPK19rocblas_complex_numIdES3_KPS1_EviiT3_lPKT2_lT1_lS9_lSA_lS6_lPT4_lSA_li,comdat
	.globl	_ZL20rocblas_gemvn_kernelILi64ELi16EiPK19rocblas_complex_numIdES3_KPS1_EviiT3_lPKT2_lT1_lS9_lSA_lS6_lPT4_lSA_li ; -- Begin function _ZL20rocblas_gemvn_kernelILi64ELi16EiPK19rocblas_complex_numIdES3_KPS1_EviiT3_lPKT2_lT1_lS9_lSA_lS6_lPT4_lSA_li
	.p2align	8
	.type	_ZL20rocblas_gemvn_kernelILi64ELi16EiPK19rocblas_complex_numIdES3_KPS1_EviiT3_lPKT2_lT1_lS9_lSA_lS6_lPT4_lSA_li,@function
_ZL20rocblas_gemvn_kernelILi64ELi16EiPK19rocblas_complex_numIdES3_KPS1_EviiT3_lPKT2_lT1_lS9_lSA_lS6_lPT4_lSA_li: ; @_ZL20rocblas_gemvn_kernelILi64ELi16EiPK19rocblas_complex_numIdES3_KPS1_EviiT3_lPKT2_lT1_lS9_lSA_lS6_lPT4_lSA_li
; %bb.0:
	s_load_dwordx2 s[4:5], s[0:1], 0x9c
	s_mov_b32 s26, s3
	s_waitcnt lgkmcnt(0)
	s_lshr_b32 s6, s4, 16
	s_and_b32 s3, s4, 0xffff
	s_and_b32 s5, s5, 0xffff
	s_mul_i32 s4, s6, s3
	s_mul_i32 s4, s4, s5
	s_cmpk_lg_i32 s4, 0x400
	s_cbranch_scc1 .LBB346_4
; %bb.1:
	s_load_dwordx8 s[12:19], s[0:1], 0x8
	s_load_dwordx8 s[4:11], s[0:1], 0x58
	s_mov_b32 s27, 0
	s_waitcnt lgkmcnt(0)
	s_mul_i32 s15, s26, s15
	s_mul_hi_u32 s20, s26, s14
	s_mul_i32 s14, s26, s14
	s_add_i32 s15, s20, s15
	s_lshl_b64 s[14:15], s[14:15], 4
	s_add_u32 s12, s12, s14
	s_addc_u32 s13, s13, s15
	s_load_dwordx4 s[20:23], s[12:13], 0x0
	s_mul_i32 s7, s26, s7
	s_mul_hi_u32 s12, s26, s6
	s_add_i32 s7, s12, s7
	s_mul_i32 s6, s26, s6
	s_lshl_b64 s[6:7], s[6:7], 4
	s_add_u32 s4, s4, s6
	s_addc_u32 s5, s5, s7
	s_load_dwordx4 s[12:15], s[4:5], 0x0
	s_waitcnt lgkmcnt(0)
	v_cmp_neq_f64_e64 s[4:5], s[20:21], 0
	v_cmp_neq_f64_e64 s[24:25], s[22:23], 0
	s_or_b64 s[4:5], s[4:5], s[24:25]
	s_mov_b64 s[6:7], 0
	s_mov_b64 s[24:25], -1
	s_and_b64 vcc, exec, s[4:5]
	s_cbranch_vccz .LBB346_5
; %bb.2:
	s_andn2_b64 vcc, exec, s[24:25]
	s_cbranch_vccz .LBB346_6
.LBB346_3:
	s_andn2_b64 vcc, exec, s[6:7]
	s_cbranch_vccz .LBB346_7
.LBB346_4:
	s_endpgm
.LBB346_5:
	v_cmp_neq_f64_e64 s[6:7], s[12:13], 1.0
	v_cmp_neq_f64_e64 s[28:29], s[14:15], 0
	s_mov_b64 s[24:25], 0
	s_or_b64 s[6:7], s[6:7], s[28:29]
	s_cbranch_execnz .LBB346_3
.LBB346_6:
	s_lshl_b64 s[6:7], s[26:27], 3
	s_add_u32 s6, s16, s6
	s_addc_u32 s7, s17, s7
	s_load_dwordx2 s[6:7], s[6:7], 0x0
	s_lshl_b64 s[16:17], s[18:19], 4
	s_waitcnt lgkmcnt(0)
	s_add_u32 s24, s6, s16
	s_addc_u32 s25, s7, s17
.LBB346_7:
	s_xor_b64 s[28:29], s[4:5], -1
	s_mov_b64 s[16:17], 0
	s_andn2_b64 vcc, exec, s[4:5]
	s_mov_b64 s[18:19], 0
	s_cbranch_vccnz .LBB346_9
; %bb.8:
	s_load_dwordx4 s[4:7], s[0:1], 0x38
	s_lshl_b64 s[18:19], s[26:27], 3
	s_waitcnt lgkmcnt(0)
	s_add_u32 s4, s4, s18
	s_addc_u32 s5, s5, s19
	s_load_dwordx2 s[4:5], s[4:5], 0x0
	s_lshl_b64 s[6:7], s[6:7], 4
	s_waitcnt lgkmcnt(0)
	s_add_u32 s18, s4, s6
	s_addc_u32 s19, s5, s7
.LBB346_9:
	s_lshl_b64 s[4:5], s[26:27], 3
	s_add_u32 s4, s8, s4
	s_addc_u32 s5, s9, s5
	s_load_dwordx2 s[6:7], s[4:5], 0x0
	s_load_dwordx2 s[8:9], s[0:1], 0x0
	s_load_dword s30, s[0:1], 0x78
	v_and_b32_e32 v1, 0x3ff, v0
	s_lshl_b64 s[4:5], s[10:11], 4
	v_bfe_u32 v0, v0, 10, 10
	s_waitcnt lgkmcnt(0)
	s_add_u32 s6, s6, s4
	v_mad_u32_u24 v10, v0, s3, v1
	s_addc_u32 s7, s7, s5
	s_andn2_b64 vcc, exec, s[28:29]
	v_cmp_gt_u32_e64 s[4:5], 64, v10
	s_cbranch_vccnz .LBB346_16
; %bb.10:
	s_mov_b64 s[10:11], 0
                                        ; implicit-def: $vgpr2_vgpr3
                                        ; implicit-def: $vgpr8_vgpr9
	s_and_saveexec_b64 s[26:27], s[4:5]
	s_cbranch_execz .LBB346_17
; %bb.11:
	v_lshl_or_b32 v0, s2, 6, v10
	v_mov_b32_e32 v1, 0
	s_ashr_i32 s5, s8, 31
	s_mov_b32 s4, s8
	v_cmp_gt_i64_e32 vcc, s[4:5], v[0:1]
                                        ; implicit-def: $vgpr2_vgpr3
                                        ; implicit-def: $vgpr8_vgpr9
	s_and_saveexec_b64 s[4:5], vcc
	s_cbranch_execz .LBB346_15
; %bb.12:
	v_mad_u64_u32 v[8:9], s[34:35], v0, s30, 0
	v_cmp_neq_f64_e64 s[16:17], s[12:13], 0
	v_cmp_neq_f64_e64 s[28:29], s[14:15], 0
	s_ashr_i32 s3, s30, 31
	v_mov_b32_e32 v4, v9
	v_mov_b64_e32 v[2:3], 0
	v_mad_u64_u32 v[0:1], s[34:35], v0, s3, v[4:5]
	s_or_b64 s[16:17], s[16:17], s[28:29]
	v_mov_b32_e32 v9, v0
	s_andn2_b64 vcc, exec, s[16:17]
	v_mov_b64_e32 v[0:1], v[2:3]
	s_cbranch_vccnz .LBB346_14
; %bb.13:
	v_lshl_add_u64 v[0:1], v[8:9], 4, s[6:7]
	global_load_dwordx4 v[4:7], v[0:1], off
	s_waitcnt vmcnt(0)
	v_mul_f64 v[0:1], s[14:15], v[6:7]
	v_mul_f64 v[2:3], s[12:13], v[6:7]
	v_fma_f64 v[0:1], s[12:13], v[4:5], -v[0:1]
	v_fmac_f64_e32 v[2:3], s[14:15], v[4:5]
.LBB346_14:
	s_mov_b64 s[16:17], exec
.LBB346_15:
	s_or_b64 exec, exec, s[4:5]
	s_and_b64 s[16:17], s[16:17], exec
	s_or_b64 exec, exec, s[26:27]
	s_and_b64 vcc, exec, s[10:11]
	s_cbranch_vccnz .LBB346_18
	s_branch .LBB346_37
.LBB346_16:
                                        ; implicit-def: $vgpr2_vgpr3
                                        ; implicit-def: $vgpr8_vgpr9
	s_cbranch_execnz .LBB346_18
	s_branch .LBB346_37
.LBB346_17:
	s_or_b64 exec, exec, s[26:27]
	s_and_b64 vcc, exec, s[10:11]
	s_cbranch_vccz .LBB346_37
.LBB346_18:
	s_load_dword s11, s[0:1], 0x28
	s_load_dword s26, s[0:1], 0x48
	s_ashr_i32 s0, s9, 31
	s_lshr_b32 s0, s0, 28
	s_add_i32 s0, s9, s0
	v_and_b32_e32 v5, 63, v10
	v_lshrrev_b32_e32 v9, 6, v10
	s_lshl_b32 s10, s2, 6
	s_and_b32 s27, s0, -16
	v_mov_b64_e32 v[2:3], 0
	v_or_b32_e32 v8, s10, v5
	v_cmp_gt_i32_e32 vcc, s27, v9
	v_mov_b64_e32 v[0:1], v[2:3]
	s_and_saveexec_b64 s[2:3], vcc
	s_cbranch_execz .LBB346_24
; %bb.19:
	s_waitcnt lgkmcnt(0)
	v_mul_lo_u32 v0, s11, v9
	v_mov_b64_e32 v[2:3], 0
	v_cmp_gt_i32_e32 vcc, s8, v8
	v_mul_lo_u32 v4, s26, v9
	s_lshl_b32 s28, s26, 4
	v_add3_u32 v6, v0, s10, v5
	s_lshl_b32 s29, s11, 4
	s_mov_b64 s[4:5], 0
	v_mov_b64_e32 v[0:1], v[2:3]
	s_branch .LBB346_21
.LBB346_20:                             ;   in Loop: Header=BB346_21 Depth=1
	s_or_b64 exec, exec, s[0:1]
	v_add_u32_e32 v9, 16, v9
	v_cmp_le_i32_e64 s[0:1], s27, v9
	v_add_u32_e32 v4, s28, v4
	s_or_b64 s[4:5], s[0:1], s[4:5]
	v_add_u32_e32 v6, s29, v6
	s_andn2_b64 exec, exec, s[4:5]
	s_cbranch_execz .LBB346_23
.LBB346_21:                             ; =>This Inner Loop Header: Depth=1
	s_and_saveexec_b64 s[0:1], vcc
	s_cbranch_execz .LBB346_20
; %bb.22:                               ;   in Loop: Header=BB346_21 Depth=1
	v_ashrrev_i32_e32 v5, 31, v4
	v_ashrrev_i32_e32 v7, 31, v6
	v_lshl_add_u64 v[22:23], v[4:5], 4, s[18:19]
	v_lshl_add_u64 v[20:21], v[6:7], 4, s[24:25]
	flat_load_dwordx4 v[12:15], v[22:23]
	flat_load_dwordx4 v[16:19], v[20:21]
	s_waitcnt vmcnt(0) lgkmcnt(0)
	v_mul_f64 v[20:21], v[14:15], v[18:19]
	v_mul_f64 v[18:19], v[12:13], v[18:19]
	v_fma_f64 v[12:13], v[12:13], v[16:17], -v[20:21]
	v_fmac_f64_e32 v[18:19], v[14:15], v[16:17]
	v_add_f64 v[0:1], v[0:1], v[12:13]
	v_add_f64 v[2:3], v[2:3], v[18:19]
	s_branch .LBB346_20
.LBB346_23:
	s_or_b64 exec, exec, s[4:5]
.LBB346_24:
	s_or_b64 exec, exec, s[2:3]
	s_sub_i32 s0, s9, s27
	s_cmp_lt_i32 s0, 1
	s_cbranch_scc1 .LBB346_30
; %bb.25:
	v_mov_b64_e32 v[4:5], 0
	v_cmp_gt_i32_e32 vcc, s9, v9
	v_mov_b64_e32 v[6:7], v[4:5]
	s_and_saveexec_b64 s[0:1], vcc
	s_cbranch_execz .LBB346_27
; %bb.26:
	s_waitcnt lgkmcnt(0)
	v_mul_lo_u32 v4, v9, s26
	v_ashrrev_i32_e32 v5, 31, v4
	v_lshl_add_u64 v[4:5], v[4:5], 4, s[18:19]
	flat_load_dwordx4 v[4:7], v[4:5]
.LBB346_27:
	s_or_b64 exec, exec, s[0:1]
	v_cmp_gt_i32_e64 s[0:1], s8, v8
	s_and_saveexec_b64 s[2:3], s[0:1]
	s_cbranch_execz .LBB346_29
; %bb.28:
	s_waitcnt lgkmcnt(0)
	v_mul_lo_u32 v9, v9, s11
	v_cndmask_b32_e32 v9, 0, v9, vcc
	v_add_u32_e32 v8, v9, v8
	v_ashrrev_i32_e32 v9, 31, v8
	v_lshl_add_u64 v[8:9], v[8:9], 4, s[24:25]
	flat_load_dwordx4 v[12:15], v[8:9]
	s_waitcnt vmcnt(0) lgkmcnt(0)
	v_mul_f64 v[8:9], v[6:7], v[14:15]
	v_mul_f64 v[14:15], v[4:5], v[14:15]
	v_fma_f64 v[4:5], v[4:5], v[12:13], -v[8:9]
	v_fmac_f64_e32 v[14:15], v[6:7], v[12:13]
	v_add_f64 v[0:1], v[0:1], v[4:5]
	v_add_f64 v[2:3], v[2:3], v[14:15]
.LBB346_29:
	s_or_b64 exec, exec, s[2:3]
.LBB346_30:
	v_lshlrev_b32_e32 v11, 4, v10
	v_cmp_gt_u32_e32 vcc, 64, v10
	ds_write_b128 v11, v[0:3]
	s_waitcnt lgkmcnt(0)
	s_barrier
	s_waitcnt lgkmcnt(0)
                                        ; implicit-def: $vgpr2_vgpr3
                                        ; implicit-def: $vgpr8_vgpr9
	s_and_saveexec_b64 s[0:1], vcc
	s_cbranch_execz .LBB346_36
; %bb.31:
	ds_read_b128 v[0:3], v11
	s_waitcnt vmcnt(0)
	ds_read_b128 v[4:7], v11 offset:1024
	ds_read_b128 v[12:15], v11 offset:2048
	;; [unrolled: 1-line block ×3, first 2 shown]
	v_or_b32_e32 v10, s10, v10
	v_cmp_gt_i32_e32 vcc, s8, v10
	s_waitcnt lgkmcnt(2)
	v_add_f64 v[0:1], v[0:1], v[4:5]
	v_add_f64 v[4:5], v[2:3], v[6:7]
	s_waitcnt lgkmcnt(1)
	v_add_f64 v[6:7], v[0:1], v[12:13]
	ds_read_b128 v[0:3], v11 offset:4096
	v_add_f64 v[8:9], v[4:5], v[14:15]
	s_waitcnt lgkmcnt(1)
	v_add_f64 v[12:13], v[6:7], v[16:17]
	ds_read_b128 v[4:7], v11 offset:5120
	;; [unrolled: 4-line block ×9, first 2 shown]
	v_add_f64 v[2:3], v[8:9], v[2:3]
	s_waitcnt lgkmcnt(1)
	v_add_f64 v[4:5], v[0:1], v[4:5]
	v_add_f64 v[8:9], v[2:3], v[6:7]
	ds_read_b128 v[0:3], v11 offset:13312
	s_waitcnt lgkmcnt(1)
	v_add_f64 v[16:17], v[4:5], v[12:13]
	ds_read_b128 v[4:7], v11 offset:14336
	v_add_f64 v[8:9], v[8:9], v[14:15]
	ds_read_b128 v[12:15], v11 offset:15360
	s_waitcnt lgkmcnt(2)
	v_add_f64 v[0:1], v[16:17], v[0:1]
	v_add_f64 v[2:3], v[8:9], v[2:3]
	s_waitcnt lgkmcnt(1)
	v_add_f64 v[0:1], v[0:1], v[4:5]
	v_add_f64 v[2:3], v[2:3], v[6:7]
	;; [unrolled: 3-line block ×3, first 2 shown]
	s_mov_b64 s[4:5], s[16:17]
	ds_write_b128 v11, v[4:7]
                                        ; implicit-def: $vgpr2_vgpr3
                                        ; implicit-def: $vgpr8_vgpr9
	s_and_saveexec_b64 s[2:3], vcc
	s_cbranch_execz .LBB346_35
; %bb.32:
	v_cmp_neq_f64_e64 s[4:5], s[12:13], 0
	v_cmp_neq_f64_e64 s[8:9], s[14:15], 0
	v_mul_f64 v[0:1], s[22:23], v[6:7]
	v_mul_f64 v[2:3], s[20:21], v[6:7]
	v_mul_lo_u32 v8, v10, s30
	s_or_b64 s[4:5], s[4:5], s[8:9]
	v_fma_f64 v[0:1], s[20:21], v[4:5], -v[0:1]
	v_fmac_f64_e32 v[2:3], s[22:23], v[4:5]
	s_andn2_b64 vcc, exec, s[4:5]
	v_ashrrev_i32_e32 v9, 31, v8
	s_cbranch_vccnz .LBB346_34
; %bb.33:
	v_lshl_add_u64 v[4:5], v[8:9], 4, s[6:7]
	global_load_dwordx4 v[4:7], v[4:5], off
	s_waitcnt vmcnt(0)
	v_mul_f64 v[10:11], s[14:15], v[6:7]
	v_mul_f64 v[6:7], s[12:13], v[6:7]
	v_fma_f64 v[10:11], s[12:13], v[4:5], -v[10:11]
	v_fmac_f64_e32 v[6:7], s[14:15], v[4:5]
	v_add_f64 v[0:1], v[0:1], v[10:11]
	v_add_f64 v[2:3], v[2:3], v[6:7]
.LBB346_34:
	s_or_b64 s[4:5], s[16:17], exec
.LBB346_35:
	s_or_b64 exec, exec, s[2:3]
	s_andn2_b64 s[2:3], s[16:17], exec
	s_and_b64 s[4:5], s[4:5], exec
	s_or_b64 s[16:17], s[2:3], s[4:5]
.LBB346_36:
	s_or_b64 exec, exec, s[0:1]
.LBB346_37:
	s_and_saveexec_b64 s[0:1], s[16:17]
	s_cbranch_execz .LBB346_4
; %bb.38:
	s_waitcnt vmcnt(0)
	v_lshl_add_u64 v[4:5], v[8:9], 4, s[6:7]
	global_store_dwordx4 v[4:5], v[0:3], off
	s_endpgm
	.section	.rodata,"a",@progbits
	.p2align	6, 0x0
	.amdhsa_kernel _ZL20rocblas_gemvn_kernelILi64ELi16EiPK19rocblas_complex_numIdES3_KPS1_EviiT3_lPKT2_lT1_lS9_lSA_lS6_lPT4_lSA_li
		.amdhsa_group_segment_fixed_size 16384
		.amdhsa_private_segment_fixed_size 0
		.amdhsa_kernarg_size 400
		.amdhsa_user_sgpr_count 2
		.amdhsa_user_sgpr_dispatch_ptr 0
		.amdhsa_user_sgpr_queue_ptr 0
		.amdhsa_user_sgpr_kernarg_segment_ptr 1
		.amdhsa_user_sgpr_dispatch_id 0
		.amdhsa_user_sgpr_kernarg_preload_length 0
		.amdhsa_user_sgpr_kernarg_preload_offset 0
		.amdhsa_user_sgpr_private_segment_size 0
		.amdhsa_uses_dynamic_stack 0
		.amdhsa_enable_private_segment 0
		.amdhsa_system_sgpr_workgroup_id_x 1
		.amdhsa_system_sgpr_workgroup_id_y 0
		.amdhsa_system_sgpr_workgroup_id_z 1
		.amdhsa_system_sgpr_workgroup_info 0
		.amdhsa_system_vgpr_workitem_id 1
		.amdhsa_next_free_vgpr 24
		.amdhsa_next_free_sgpr 36
		.amdhsa_accum_offset 24
		.amdhsa_reserve_vcc 1
		.amdhsa_float_round_mode_32 0
		.amdhsa_float_round_mode_16_64 0
		.amdhsa_float_denorm_mode_32 3
		.amdhsa_float_denorm_mode_16_64 3
		.amdhsa_dx10_clamp 1
		.amdhsa_ieee_mode 1
		.amdhsa_fp16_overflow 0
		.amdhsa_tg_split 0
		.amdhsa_exception_fp_ieee_invalid_op 0
		.amdhsa_exception_fp_denorm_src 0
		.amdhsa_exception_fp_ieee_div_zero 0
		.amdhsa_exception_fp_ieee_overflow 0
		.amdhsa_exception_fp_ieee_underflow 0
		.amdhsa_exception_fp_ieee_inexact 0
		.amdhsa_exception_int_div_zero 0
	.end_amdhsa_kernel
	.section	.text._ZL20rocblas_gemvn_kernelILi64ELi16EiPK19rocblas_complex_numIdES3_KPS1_EviiT3_lPKT2_lT1_lS9_lSA_lS6_lPT4_lSA_li,"axG",@progbits,_ZL20rocblas_gemvn_kernelILi64ELi16EiPK19rocblas_complex_numIdES3_KPS1_EviiT3_lPKT2_lT1_lS9_lSA_lS6_lPT4_lSA_li,comdat
.Lfunc_end346:
	.size	_ZL20rocblas_gemvn_kernelILi64ELi16EiPK19rocblas_complex_numIdES3_KPS1_EviiT3_lPKT2_lT1_lS9_lSA_lS6_lPT4_lSA_li, .Lfunc_end346-_ZL20rocblas_gemvn_kernelILi64ELi16EiPK19rocblas_complex_numIdES3_KPS1_EviiT3_lPKT2_lT1_lS9_lSA_lS6_lPT4_lSA_li
                                        ; -- End function
	.section	.AMDGPU.csdata,"",@progbits
; Kernel info:
; codeLenInByte = 1764
; NumSgprs: 42
; NumVgprs: 24
; NumAgprs: 0
; TotalNumVgprs: 24
; ScratchSize: 0
; MemoryBound: 1
; FloatMode: 240
; IeeeMode: 1
; LDSByteSize: 16384 bytes/workgroup (compile time only)
; SGPRBlocks: 5
; VGPRBlocks: 2
; NumSGPRsForWavesPerEU: 42
; NumVGPRsForWavesPerEU: 24
; AccumOffset: 24
; Occupancy: 8
; WaveLimiterHint : 1
; COMPUTE_PGM_RSRC2:SCRATCH_EN: 0
; COMPUTE_PGM_RSRC2:USER_SGPR: 2
; COMPUTE_PGM_RSRC2:TRAP_HANDLER: 0
; COMPUTE_PGM_RSRC2:TGID_X_EN: 1
; COMPUTE_PGM_RSRC2:TGID_Y_EN: 0
; COMPUTE_PGM_RSRC2:TGID_Z_EN: 1
; COMPUTE_PGM_RSRC2:TIDIG_COMP_CNT: 1
; COMPUTE_PGM_RSRC3_GFX90A:ACCUM_OFFSET: 5
; COMPUTE_PGM_RSRC3_GFX90A:TG_SPLIT: 0
	.section	.text._ZL20rocblas_gemvn_kernelILi64ELi16ElPK19rocblas_complex_numIdES3_KPS1_EviiT3_lPKT2_lT1_lS9_lSA_lS6_lPT4_lSA_li,"axG",@progbits,_ZL20rocblas_gemvn_kernelILi64ELi16ElPK19rocblas_complex_numIdES3_KPS1_EviiT3_lPKT2_lT1_lS9_lSA_lS6_lPT4_lSA_li,comdat
	.globl	_ZL20rocblas_gemvn_kernelILi64ELi16ElPK19rocblas_complex_numIdES3_KPS1_EviiT3_lPKT2_lT1_lS9_lSA_lS6_lPT4_lSA_li ; -- Begin function _ZL20rocblas_gemvn_kernelILi64ELi16ElPK19rocblas_complex_numIdES3_KPS1_EviiT3_lPKT2_lT1_lS9_lSA_lS6_lPT4_lSA_li
	.p2align	8
	.type	_ZL20rocblas_gemvn_kernelILi64ELi16ElPK19rocblas_complex_numIdES3_KPS1_EviiT3_lPKT2_lT1_lS9_lSA_lS6_lPT4_lSA_li,@function
_ZL20rocblas_gemvn_kernelILi64ELi16ElPK19rocblas_complex_numIdES3_KPS1_EviiT3_lPKT2_lT1_lS9_lSA_lS6_lPT4_lSA_li: ; @_ZL20rocblas_gemvn_kernelILi64ELi16ElPK19rocblas_complex_numIdES3_KPS1_EviiT3_lPKT2_lT1_lS9_lSA_lS6_lPT4_lSA_li
; %bb.0:
	s_load_dwordx2 s[4:5], s[0:1], 0x9c
	s_mov_b32 s34, s3
	s_waitcnt lgkmcnt(0)
	s_lshr_b32 s6, s4, 16
	s_and_b32 s3, s4, 0xffff
	s_and_b32 s5, s5, 0xffff
	s_mul_i32 s4, s6, s3
	s_mul_i32 s4, s4, s5
	s_cmpk_lg_i32 s4, 0x400
	s_cbranch_scc1 .LBB347_4
; %bb.1:
	s_load_dwordx8 s[12:19], s[0:1], 0x8
	s_load_dwordx2 s[24:25], s[0:1], 0x28
	s_load_dwordx8 s[4:11], s[0:1], 0x58
	s_mov_b32 s35, 0
	s_waitcnt lgkmcnt(0)
	s_mul_i32 s15, s34, s15
	s_mul_hi_u32 s20, s34, s14
	s_add_i32 s15, s20, s15
	s_mul_i32 s14, s34, s14
	s_lshl_b64 s[14:15], s[14:15], 4
	s_add_u32 s12, s12, s14
	s_mul_i32 s7, s34, s7
	s_mul_hi_u32 s20, s34, s6
	s_addc_u32 s13, s13, s15
	s_add_i32 s7, s20, s7
	s_mul_i32 s6, s34, s6
	s_load_dwordx4 s[12:15], s[12:13], 0x0
	s_lshl_b64 s[6:7], s[6:7], 4
	s_add_u32 s4, s4, s6
	s_addc_u32 s5, s5, s7
	s_load_dwordx4 s[4:7], s[4:5], 0x0
	s_waitcnt lgkmcnt(0)
	v_cmp_neq_f64_e64 s[22:23], s[12:13], 0
	v_cmp_neq_f64_e64 s[26:27], s[14:15], 0
	s_or_b64 s[30:31], s[22:23], s[26:27]
	s_mov_b64 s[20:21], 0
	s_mov_b64 s[26:27], -1
	s_and_b64 vcc, exec, s[30:31]
	s_cbranch_vccz .LBB347_5
; %bb.2:
	s_andn2_b64 vcc, exec, s[26:27]
	s_cbranch_vccz .LBB347_6
.LBB347_3:
	s_andn2_b64 vcc, exec, s[20:21]
	s_cbranch_vccz .LBB347_7
.LBB347_4:
	s_endpgm
.LBB347_5:
	v_cmp_neq_f64_e64 s[20:21], s[4:5], 1.0
	v_cmp_neq_f64_e64 s[22:23], s[6:7], 0
	s_mov_b64 s[26:27], 0
	s_or_b64 s[20:21], s[20:21], s[22:23]
	s_cbranch_execnz .LBB347_3
.LBB347_6:
	s_lshl_b64 s[20:21], s[34:35], 3
	s_add_u32 s16, s16, s20
	s_addc_u32 s17, s17, s21
	s_load_dwordx2 s[16:17], s[16:17], 0x0
	s_lshl_b64 s[18:19], s[18:19], 4
	s_waitcnt lgkmcnt(0)
	s_add_u32 s26, s16, s18
	s_addc_u32 s27, s17, s19
.LBB347_7:
	s_load_dwordx2 s[22:23], s[0:1], 0x78
	s_load_dwordx4 s[16:19], s[0:1], 0x38
	s_load_dwordx2 s[28:29], s[0:1], 0x48
	s_xor_b64 s[36:37], s[30:31], -1
	s_mov_b64 s[20:21], 0
	s_andn2_b64 vcc, exec, s[30:31]
	s_mov_b64 s[30:31], 0
	s_cbranch_vccnz .LBB347_9
; %bb.8:
	s_lshl_b64 s[30:31], s[34:35], 3
	s_waitcnt lgkmcnt(0)
	s_add_u32 s16, s16, s30
	s_addc_u32 s17, s17, s31
	s_load_dwordx2 s[16:17], s[16:17], 0x0
	s_lshl_b64 s[18:19], s[18:19], 4
	s_waitcnt lgkmcnt(0)
	s_add_u32 s30, s16, s18
	s_addc_u32 s31, s17, s19
.LBB347_9:
	s_waitcnt lgkmcnt(0)
	s_lshl_b64 s[16:17], s[34:35], 3
	s_add_u32 s8, s8, s16
	s_addc_u32 s9, s9, s17
	s_load_dwordx2 s[18:19], s[8:9], 0x0
	s_load_dwordx2 s[16:17], s[0:1], 0x0
	v_and_b32_e32 v1, 0x3ff, v0
	v_bfe_u32 v0, v0, 10, 10
	s_lshl_b64 s[0:1], s[10:11], 4
	s_waitcnt lgkmcnt(0)
	s_add_u32 s8, s18, s0
	v_mad_u32_u24 v10, v0, s3, v1
	s_addc_u32 s9, s19, s1
	s_andn2_b64 vcc, exec, s[36:37]
	v_cmp_gt_u32_e64 s[0:1], 64, v10
	s_cbranch_vccnz .LBB347_16
; %bb.10:
	s_mov_b64 s[10:11], 0
                                        ; implicit-def: $vgpr2_vgpr3
                                        ; implicit-def: $vgpr8_vgpr9
	s_and_saveexec_b64 s[18:19], s[0:1]
	s_cbranch_execz .LBB347_17
; %bb.11:
	v_lshl_or_b32 v0, s2, 6, v10
	v_mov_b32_e32 v1, 0
	s_ashr_i32 s1, s16, 31
	s_mov_b32 s0, s16
	v_cmp_gt_i64_e32 vcc, s[0:1], v[0:1]
                                        ; implicit-def: $vgpr2_vgpr3
                                        ; implicit-def: $vgpr8_vgpr9
	s_and_saveexec_b64 s[0:1], vcc
	s_cbranch_execz .LBB347_15
; %bb.12:
	v_mad_u64_u32 v[8:9], s[36:37], v0, s22, 0
	v_cmp_neq_f64_e64 s[20:21], s[4:5], 0
	v_cmp_neq_f64_e64 s[34:35], s[6:7], 0
	v_mov_b32_e32 v4, v9
	v_mov_b64_e32 v[2:3], 0
	v_mad_u64_u32 v[0:1], s[36:37], v0, s23, v[4:5]
	s_or_b64 s[20:21], s[20:21], s[34:35]
	v_mov_b32_e32 v9, v0
	s_andn2_b64 vcc, exec, s[20:21]
	v_mov_b64_e32 v[0:1], v[2:3]
	s_cbranch_vccnz .LBB347_14
; %bb.13:
	v_lshl_add_u64 v[0:1], v[8:9], 4, s[8:9]
	global_load_dwordx4 v[4:7], v[0:1], off
	s_waitcnt vmcnt(0)
	v_mul_f64 v[0:1], s[6:7], v[6:7]
	v_mul_f64 v[2:3], s[4:5], v[6:7]
	v_fma_f64 v[0:1], s[4:5], v[4:5], -v[0:1]
	v_fmac_f64_e32 v[2:3], s[6:7], v[4:5]
.LBB347_14:
	s_mov_b64 s[20:21], exec
.LBB347_15:
	s_or_b64 exec, exec, s[0:1]
	s_and_b64 s[20:21], s[20:21], exec
	s_or_b64 exec, exec, s[18:19]
	s_and_b64 vcc, exec, s[10:11]
	s_cbranch_vccnz .LBB347_18
	s_branch .LBB347_37
.LBB347_16:
                                        ; implicit-def: $vgpr2_vgpr3
                                        ; implicit-def: $vgpr8_vgpr9
	s_cbranch_execnz .LBB347_18
	s_branch .LBB347_37
.LBB347_17:
	s_or_b64 exec, exec, s[18:19]
	s_and_b64 vcc, exec, s[10:11]
	s_cbranch_vccz .LBB347_37
.LBB347_18:
	s_ashr_i32 s0, s17, 31
	s_lshr_b32 s0, s0, 28
	s_add_i32 s0, s17, s0
	v_and_b32_e32 v6, 63, v10
	v_lshrrev_b32_e32 v11, 6, v10
	s_lshl_b32 s33, s2, 6
	s_and_b32 s36, s0, -16
	v_mov_b64_e32 v[2:3], 0
	v_or_b32_e32 v8, s33, v6
	v_cmp_gt_i32_e32 vcc, s36, v11
	v_mov_b64_e32 v[0:1], v[2:3]
	s_and_saveexec_b64 s[2:3], vcc
	s_cbranch_execz .LBB347_24
; %bb.19:
	v_lshrrev_b32_e32 v7, 6, v10
	v_mad_u64_u32 v[0:1], s[0:1], s28, v7, 0
	v_mov_b32_e32 v2, v1
	v_mad_u64_u32 v[2:3], s[0:1], s29, v7, v[2:3]
	v_mov_b32_e32 v1, v2
	v_lshl_add_u64 v[4:5], v[0:1], 4, s[30:31]
	v_mad_u64_u32 v[0:1], s[0:1], s24, v7, 0
	v_mov_b32_e32 v2, v1
	v_mad_u64_u32 v[2:3], s[0:1], s25, v7, v[2:3]
	v_mov_b32_e32 v1, v2
	v_add_u32_e32 v2, s33, v6
	v_ashrrev_i32_e32 v3, 31, v2
	v_lshlrev_b64 v[2:3], 4, v[2:3]
	v_lshl_add_u64 v[0:1], v[0:1], 4, v[2:3]
	v_mov_b64_e32 v[2:3], 0
	v_cmp_gt_i32_e32 vcc, s16, v8
	s_lshl_b64 s[10:11], s[28:29], 8
	v_lshl_add_u64 v[6:7], s[26:27], 0, v[0:1]
	s_lshl_b64 s[34:35], s[24:25], 8
	s_mov_b64 s[18:19], 0
	v_mov_b64_e32 v[0:1], v[2:3]
	s_branch .LBB347_21
.LBB347_20:                             ;   in Loop: Header=BB347_21 Depth=1
	s_or_b64 exec, exec, s[0:1]
	v_add_u32_e32 v11, 16, v11
	v_cmp_le_i32_e64 s[0:1], s36, v11
	v_lshl_add_u64 v[4:5], v[4:5], 0, s[10:11]
	s_or_b64 s[18:19], s[0:1], s[18:19]
	v_lshl_add_u64 v[6:7], v[6:7], 0, s[34:35]
	s_andn2_b64 exec, exec, s[18:19]
	s_cbranch_execz .LBB347_23
.LBB347_21:                             ; =>This Inner Loop Header: Depth=1
	s_and_saveexec_b64 s[0:1], vcc
	s_cbranch_execz .LBB347_20
; %bb.22:                               ;   in Loop: Header=BB347_21 Depth=1
	flat_load_dwordx4 v[12:15], v[4:5]
	flat_load_dwordx4 v[16:19], v[6:7]
	s_waitcnt vmcnt(0) lgkmcnt(0)
	v_mul_f64 v[20:21], v[14:15], v[18:19]
	v_mul_f64 v[18:19], v[12:13], v[18:19]
	v_fma_f64 v[12:13], v[12:13], v[16:17], -v[20:21]
	v_fmac_f64_e32 v[18:19], v[14:15], v[16:17]
	v_add_f64 v[0:1], v[0:1], v[12:13]
	v_add_f64 v[2:3], v[2:3], v[18:19]
	s_branch .LBB347_20
.LBB347_23:
	s_or_b64 exec, exec, s[18:19]
.LBB347_24:
	s_or_b64 exec, exec, s[2:3]
	s_sub_i32 s0, s17, s36
	s_cmp_lt_i32 s0, 1
	s_cbranch_scc1 .LBB347_30
; %bb.25:
	v_mov_b64_e32 v[4:5], 0
	v_cmp_gt_i32_e32 vcc, s17, v11
	v_mov_b64_e32 v[6:7], v[4:5]
	s_and_saveexec_b64 s[0:1], vcc
	s_cbranch_execz .LBB347_27
; %bb.26:
	v_mad_u64_u32 v[4:5], s[2:3], v11, s28, 0
	v_mov_b32_e32 v6, v5
	v_mad_u64_u32 v[6:7], s[2:3], v11, s29, v[6:7]
	v_mov_b32_e32 v5, v6
	v_lshl_add_u64 v[4:5], v[4:5], 4, s[30:31]
	flat_load_dwordx4 v[4:7], v[4:5]
.LBB347_27:
	s_or_b64 exec, exec, s[0:1]
	v_cmp_gt_i32_e64 s[0:1], s16, v8
	s_and_saveexec_b64 s[2:3], s[0:1]
	s_cbranch_execz .LBB347_29
; %bb.28:
	v_mad_u64_u32 v[12:13], s[0:1], v11, s24, 0
	v_mov_b32_e32 v14, v13
	v_mad_u64_u32 v[14:15], s[0:1], v11, s25, v[14:15]
	v_cndmask_b32_e32 v12, 0, v12, vcc
	v_cndmask_b32_e32 v13, 0, v14, vcc
	v_ashrrev_i32_e32 v9, 31, v8
	v_lshl_add_u64 v[12:13], v[12:13], 4, s[26:27]
	v_lshl_add_u64 v[8:9], v[8:9], 4, v[12:13]
	flat_load_dwordx4 v[12:15], v[8:9]
	s_waitcnt vmcnt(0) lgkmcnt(0)
	v_mul_f64 v[8:9], v[6:7], v[14:15]
	v_mul_f64 v[14:15], v[4:5], v[14:15]
	v_fma_f64 v[4:5], v[4:5], v[12:13], -v[8:9]
	v_fmac_f64_e32 v[14:15], v[6:7], v[12:13]
	v_add_f64 v[0:1], v[0:1], v[4:5]
	v_add_f64 v[2:3], v[2:3], v[14:15]
.LBB347_29:
	s_or_b64 exec, exec, s[2:3]
.LBB347_30:
	v_lshlrev_b32_e32 v11, 4, v10
	v_cmp_gt_u32_e32 vcc, 64, v10
	ds_write_b128 v11, v[0:3]
	s_waitcnt lgkmcnt(0)
	s_barrier
	s_waitcnt lgkmcnt(0)
                                        ; implicit-def: $vgpr2_vgpr3
                                        ; implicit-def: $vgpr8_vgpr9
	s_and_saveexec_b64 s[0:1], vcc
	s_cbranch_execz .LBB347_36
; %bb.31:
	ds_read_b128 v[0:3], v11
	s_waitcnt vmcnt(0)
	ds_read_b128 v[4:7], v11 offset:1024
	ds_read_b128 v[12:15], v11 offset:2048
	ds_read_b128 v[16:19], v11 offset:3072
	v_or_b32_e32 v10, s33, v10
	v_cmp_gt_i32_e32 vcc, s16, v10
	s_waitcnt lgkmcnt(2)
	v_add_f64 v[0:1], v[0:1], v[4:5]
	v_add_f64 v[4:5], v[2:3], v[6:7]
	s_waitcnt lgkmcnt(1)
	v_add_f64 v[6:7], v[0:1], v[12:13]
	ds_read_b128 v[0:3], v11 offset:4096
	v_add_f64 v[8:9], v[4:5], v[14:15]
	s_waitcnt lgkmcnt(1)
	v_add_f64 v[12:13], v[6:7], v[16:17]
	ds_read_b128 v[4:7], v11 offset:5120
	;; [unrolled: 4-line block ×9, first 2 shown]
	v_add_f64 v[2:3], v[8:9], v[2:3]
	s_waitcnt lgkmcnt(1)
	v_add_f64 v[4:5], v[0:1], v[4:5]
	v_add_f64 v[8:9], v[2:3], v[6:7]
	ds_read_b128 v[0:3], v11 offset:13312
	s_waitcnt lgkmcnt(1)
	v_add_f64 v[16:17], v[4:5], v[12:13]
	ds_read_b128 v[4:7], v11 offset:14336
	v_add_f64 v[8:9], v[8:9], v[14:15]
	ds_read_b128 v[12:15], v11 offset:15360
	s_waitcnt lgkmcnt(2)
	v_add_f64 v[0:1], v[16:17], v[0:1]
	v_add_f64 v[2:3], v[8:9], v[2:3]
	s_waitcnt lgkmcnt(1)
	v_add_f64 v[0:1], v[0:1], v[4:5]
	v_add_f64 v[2:3], v[2:3], v[6:7]
	;; [unrolled: 3-line block ×3, first 2 shown]
	s_mov_b64 s[10:11], s[20:21]
	ds_write_b128 v11, v[4:7]
                                        ; implicit-def: $vgpr2_vgpr3
                                        ; implicit-def: $vgpr8_vgpr9
	s_and_saveexec_b64 s[2:3], vcc
	s_cbranch_execz .LBB347_35
; %bb.32:
	v_mul_f64 v[0:1], s[14:15], v[6:7]
	v_mul_f64 v[2:3], s[12:13], v[6:7]
	v_cmp_neq_f64_e64 s[10:11], s[4:5], 0
	v_cmp_neq_f64_e64 s[16:17], s[6:7], 0
	v_fma_f64 v[0:1], s[12:13], v[4:5], -v[0:1]
	v_fmac_f64_e32 v[2:3], s[14:15], v[4:5]
	v_ashrrev_i32_e32 v4, 31, v10
	v_mul_lo_u32 v5, v10, s23
	v_mul_lo_u32 v4, v4, s22
	v_mad_u64_u32 v[8:9], s[12:13], v10, s22, 0
	s_or_b64 s[10:11], s[10:11], s[16:17]
	s_andn2_b64 vcc, exec, s[10:11]
	v_add3_u32 v9, v9, v5, v4
	s_cbranch_vccnz .LBB347_34
; %bb.33:
	v_lshl_add_u64 v[4:5], v[8:9], 4, s[8:9]
	global_load_dwordx4 v[4:7], v[4:5], off
	s_waitcnt vmcnt(0)
	v_mul_f64 v[10:11], s[6:7], v[6:7]
	v_mul_f64 v[6:7], s[4:5], v[6:7]
	v_fma_f64 v[10:11], s[4:5], v[4:5], -v[10:11]
	v_fmac_f64_e32 v[6:7], s[6:7], v[4:5]
	v_add_f64 v[0:1], v[0:1], v[10:11]
	v_add_f64 v[2:3], v[2:3], v[6:7]
.LBB347_34:
	s_or_b64 s[10:11], s[20:21], exec
.LBB347_35:
	s_or_b64 exec, exec, s[2:3]
	s_andn2_b64 s[2:3], s[20:21], exec
	s_and_b64 s[4:5], s[10:11], exec
	s_or_b64 s[20:21], s[2:3], s[4:5]
.LBB347_36:
	s_or_b64 exec, exec, s[0:1]
.LBB347_37:
	s_and_saveexec_b64 s[0:1], s[20:21]
	s_cbranch_execz .LBB347_4
; %bb.38:
	s_waitcnt vmcnt(0)
	v_lshl_add_u64 v[4:5], v[8:9], 4, s[8:9]
	global_store_dwordx4 v[4:5], v[0:3], off
	s_endpgm
	.section	.rodata,"a",@progbits
	.p2align	6, 0x0
	.amdhsa_kernel _ZL20rocblas_gemvn_kernelILi64ELi16ElPK19rocblas_complex_numIdES3_KPS1_EviiT3_lPKT2_lT1_lS9_lSA_lS6_lPT4_lSA_li
		.amdhsa_group_segment_fixed_size 16384
		.amdhsa_private_segment_fixed_size 0
		.amdhsa_kernarg_size 400
		.amdhsa_user_sgpr_count 2
		.amdhsa_user_sgpr_dispatch_ptr 0
		.amdhsa_user_sgpr_queue_ptr 0
		.amdhsa_user_sgpr_kernarg_segment_ptr 1
		.amdhsa_user_sgpr_dispatch_id 0
		.amdhsa_user_sgpr_kernarg_preload_length 0
		.amdhsa_user_sgpr_kernarg_preload_offset 0
		.amdhsa_user_sgpr_private_segment_size 0
		.amdhsa_uses_dynamic_stack 0
		.amdhsa_enable_private_segment 0
		.amdhsa_system_sgpr_workgroup_id_x 1
		.amdhsa_system_sgpr_workgroup_id_y 0
		.amdhsa_system_sgpr_workgroup_id_z 1
		.amdhsa_system_sgpr_workgroup_info 0
		.amdhsa_system_vgpr_workitem_id 1
		.amdhsa_next_free_vgpr 22
		.amdhsa_next_free_sgpr 38
		.amdhsa_accum_offset 24
		.amdhsa_reserve_vcc 1
		.amdhsa_float_round_mode_32 0
		.amdhsa_float_round_mode_16_64 0
		.amdhsa_float_denorm_mode_32 3
		.amdhsa_float_denorm_mode_16_64 3
		.amdhsa_dx10_clamp 1
		.amdhsa_ieee_mode 1
		.amdhsa_fp16_overflow 0
		.amdhsa_tg_split 0
		.amdhsa_exception_fp_ieee_invalid_op 0
		.amdhsa_exception_fp_denorm_src 0
		.amdhsa_exception_fp_ieee_div_zero 0
		.amdhsa_exception_fp_ieee_overflow 0
		.amdhsa_exception_fp_ieee_underflow 0
		.amdhsa_exception_fp_ieee_inexact 0
		.amdhsa_exception_int_div_zero 0
	.end_amdhsa_kernel
	.section	.text._ZL20rocblas_gemvn_kernelILi64ELi16ElPK19rocblas_complex_numIdES3_KPS1_EviiT3_lPKT2_lT1_lS9_lSA_lS6_lPT4_lSA_li,"axG",@progbits,_ZL20rocblas_gemvn_kernelILi64ELi16ElPK19rocblas_complex_numIdES3_KPS1_EviiT3_lPKT2_lT1_lS9_lSA_lS6_lPT4_lSA_li,comdat
.Lfunc_end347:
	.size	_ZL20rocblas_gemvn_kernelILi64ELi16ElPK19rocblas_complex_numIdES3_KPS1_EviiT3_lPKT2_lT1_lS9_lSA_lS6_lPT4_lSA_li, .Lfunc_end347-_ZL20rocblas_gemvn_kernelILi64ELi16ElPK19rocblas_complex_numIdES3_KPS1_EviiT3_lPKT2_lT1_lS9_lSA_lS6_lPT4_lSA_li
                                        ; -- End function
	.section	.AMDGPU.csdata,"",@progbits
; Kernel info:
; codeLenInByte = 1860
; NumSgprs: 44
; NumVgprs: 22
; NumAgprs: 0
; TotalNumVgprs: 22
; ScratchSize: 0
; MemoryBound: 1
; FloatMode: 240
; IeeeMode: 1
; LDSByteSize: 16384 bytes/workgroup (compile time only)
; SGPRBlocks: 5
; VGPRBlocks: 2
; NumSGPRsForWavesPerEU: 44
; NumVGPRsForWavesPerEU: 22
; AccumOffset: 24
; Occupancy: 8
; WaveLimiterHint : 1
; COMPUTE_PGM_RSRC2:SCRATCH_EN: 0
; COMPUTE_PGM_RSRC2:USER_SGPR: 2
; COMPUTE_PGM_RSRC2:TRAP_HANDLER: 0
; COMPUTE_PGM_RSRC2:TGID_X_EN: 1
; COMPUTE_PGM_RSRC2:TGID_Y_EN: 0
; COMPUTE_PGM_RSRC2:TGID_Z_EN: 1
; COMPUTE_PGM_RSRC2:TIDIG_COMP_CNT: 1
; COMPUTE_PGM_RSRC3_GFX90A:ACCUM_OFFSET: 5
; COMPUTE_PGM_RSRC3_GFX90A:TG_SPLIT: 0
	.section	.text._ZL20rocblas_gemvn_kernelILi64ELi16EiPK19rocblas_complex_numIdES1_KPS1_EviiT3_lPKT2_lT1_lS9_lSA_lS6_lPT4_lSA_li,"axG",@progbits,_ZL20rocblas_gemvn_kernelILi64ELi16EiPK19rocblas_complex_numIdES1_KPS1_EviiT3_lPKT2_lT1_lS9_lSA_lS6_lPT4_lSA_li,comdat
	.globl	_ZL20rocblas_gemvn_kernelILi64ELi16EiPK19rocblas_complex_numIdES1_KPS1_EviiT3_lPKT2_lT1_lS9_lSA_lS6_lPT4_lSA_li ; -- Begin function _ZL20rocblas_gemvn_kernelILi64ELi16EiPK19rocblas_complex_numIdES1_KPS1_EviiT3_lPKT2_lT1_lS9_lSA_lS6_lPT4_lSA_li
	.p2align	8
	.type	_ZL20rocblas_gemvn_kernelILi64ELi16EiPK19rocblas_complex_numIdES1_KPS1_EviiT3_lPKT2_lT1_lS9_lSA_lS6_lPT4_lSA_li,@function
_ZL20rocblas_gemvn_kernelILi64ELi16EiPK19rocblas_complex_numIdES1_KPS1_EviiT3_lPKT2_lT1_lS9_lSA_lS6_lPT4_lSA_li: ; @_ZL20rocblas_gemvn_kernelILi64ELi16EiPK19rocblas_complex_numIdES1_KPS1_EviiT3_lPKT2_lT1_lS9_lSA_lS6_lPT4_lSA_li
; %bb.0:
	s_load_dwordx2 s[6:7], s[0:1], 0xac
	s_mov_b32 s4, s3
	s_waitcnt lgkmcnt(0)
	s_and_b32 s5, s7, 0xffff
	s_lshr_b32 s7, s6, 16
	s_and_b32 s3, s6, 0xffff
	s_mul_i32 s6, s7, s3
	s_mul_i32 s6, s6, s5
	s_cmpk_lg_i32 s6, 0x400
	s_cbranch_scc1 .LBB348_40
; %bb.1:
	s_load_dwordx4 s[12:15], s[0:1], 0x8
	s_load_dwordx4 s[8:11], s[0:1], 0x60
	s_mov_b64 s[16:17], 0
	s_waitcnt lgkmcnt(0)
	v_cmp_neq_f64_e64 s[6:7], s[12:13], 0
	v_cmp_neq_f64_e64 s[18:19], s[14:15], 0
	s_or_b64 s[6:7], s[6:7], s[18:19]
	s_mov_b64 s[18:19], -1
	s_and_b64 vcc, exec, s[6:7]
	s_cbranch_vccnz .LBB348_4
; %bb.2:
	v_cmp_eq_f64_e64 s[16:17], s[8:9], 1.0
	v_cmp_eq_f64_e64 s[18:19], s[10:11], 0
	s_and_b64 s[16:17], s[16:17], s[18:19]
	s_andn2_b64 vcc, exec, s[16:17]
	s_mov_b64 s[18:19], 0
	s_cbranch_vccz .LBB348_16
; %bb.3:
	s_mov_b32 s5, 0
	s_mov_b64 s[16:17], -1
	s_mov_b64 s[20:21], 0
	s_and_b64 vcc, exec, s[18:19]
	s_cbranch_vccnz .LBB348_5
	s_branch .LBB348_6
.LBB348_4:
                                        ; implicit-def: $sgpr20_sgpr21
	s_and_b64 vcc, exec, s[18:19]
	s_cbranch_vccz .LBB348_6
.LBB348_5:
	s_load_dwordx4 s[16:19], s[0:1], 0x20
	s_mov_b32 s5, 0
	s_lshl_b64 s[20:21], s[4:5], 3
	s_waitcnt lgkmcnt(0)
	s_add_u32 s16, s16, s20
	s_addc_u32 s17, s17, s21
	s_load_dwordx2 s[16:17], s[16:17], 0x0
	s_lshl_b64 s[18:19], s[18:19], 4
	s_waitcnt lgkmcnt(0)
	s_add_u32 s20, s16, s18
	s_addc_u32 s21, s17, s19
	s_mov_b64 s[16:17], -1
.LBB348_6:
	s_andn2_b64 vcc, exec, s[16:17]
	s_cbranch_vccnz .LBB348_40
; %bb.7:
	s_xor_b64 s[24:25], s[6:7], -1
	s_mov_b64 s[16:17], 0
	s_andn2_b64 vcc, exec, s[6:7]
	s_mov_b64 s[22:23], 0
	s_cbranch_vccnz .LBB348_9
; %bb.8:
	s_load_dwordx4 s[28:31], s[0:1], 0x40
	s_lshl_b64 s[6:7], s[4:5], 3
	s_waitcnt lgkmcnt(0)
	s_add_u32 s6, s28, s6
	s_addc_u32 s7, s29, s7
	s_load_dwordx2 s[6:7], s[6:7], 0x0
	s_lshl_b64 s[18:19], s[30:31], 4
	s_waitcnt lgkmcnt(0)
	s_add_u32 s22, s6, s18
	s_addc_u32 s23, s7, s19
.LBB348_9:
	s_load_dwordx4 s[36:39], s[0:1], 0x78
	s_load_dwordx2 s[18:19], s[0:1], 0x0
	s_load_dword s28, s[0:1], 0x88
	s_lshl_b64 s[4:5], s[4:5], 3
	v_and_b32_e32 v1, 0x3ff, v0
	s_waitcnt lgkmcnt(0)
	s_add_u32 s4, s36, s4
	s_addc_u32 s5, s37, s5
	s_load_dwordx2 s[4:5], s[4:5], 0x0
	v_bfe_u32 v0, v0, 10, 10
	s_lshl_b64 s[6:7], s[38:39], 4
	v_mad_u32_u24 v10, v0, s3, v1
	s_waitcnt lgkmcnt(0)
	s_add_u32 s6, s4, s6
	s_addc_u32 s7, s5, s7
	s_andn2_b64 vcc, exec, s[24:25]
	v_cmp_gt_u32_e64 s[4:5], 64, v10
	s_cbranch_vccnz .LBB348_17
; %bb.10:
	s_mov_b64 s[24:25], 0
                                        ; implicit-def: $vgpr2_vgpr3
                                        ; implicit-def: $vgpr8_vgpr9
	s_and_saveexec_b64 s[26:27], s[4:5]
	s_cbranch_execz .LBB348_18
; %bb.11:
	v_lshl_or_b32 v0, s2, 6, v10
	v_mov_b32_e32 v1, 0
	s_ashr_i32 s5, s18, 31
	s_mov_b32 s4, s18
	v_cmp_gt_i64_e32 vcc, s[4:5], v[0:1]
                                        ; implicit-def: $vgpr2_vgpr3
                                        ; implicit-def: $vgpr8_vgpr9
	s_and_saveexec_b64 s[4:5], vcc
	s_cbranch_execz .LBB348_15
; %bb.12:
	v_mad_u64_u32 v[8:9], s[34:35], v0, s28, 0
	v_cmp_neq_f64_e64 s[16:17], s[8:9], 0
	v_cmp_neq_f64_e64 s[30:31], s[10:11], 0
	s_ashr_i32 s3, s28, 31
	v_mov_b32_e32 v4, v9
	v_mov_b64_e32 v[2:3], 0
	v_mad_u64_u32 v[0:1], s[34:35], v0, s3, v[4:5]
	s_or_b64 s[16:17], s[16:17], s[30:31]
	v_mov_b32_e32 v9, v0
	s_andn2_b64 vcc, exec, s[16:17]
	v_mov_b64_e32 v[0:1], v[2:3]
	s_cbranch_vccnz .LBB348_14
; %bb.13:
	v_lshl_add_u64 v[0:1], v[8:9], 4, s[6:7]
	global_load_dwordx4 v[4:7], v[0:1], off
	s_waitcnt vmcnt(0)
	v_mul_f64 v[0:1], s[10:11], v[6:7]
	v_mul_f64 v[2:3], s[8:9], v[6:7]
	v_fma_f64 v[0:1], s[8:9], v[4:5], -v[0:1]
	v_fmac_f64_e32 v[2:3], s[10:11], v[4:5]
.LBB348_14:
	s_mov_b64 s[16:17], exec
.LBB348_15:
	s_or_b64 exec, exec, s[4:5]
	s_and_b64 s[16:17], s[16:17], exec
	s_or_b64 exec, exec, s[26:27]
	s_and_b64 vcc, exec, s[24:25]
	s_cbranch_vccnz .LBB348_19
	s_branch .LBB348_38
.LBB348_16:
                                        ; implicit-def: $sgpr20_sgpr21
	s_mov_b64 s[16:17], 0
	s_and_b64 vcc, exec, s[18:19]
	s_cbranch_vccnz .LBB348_5
	s_branch .LBB348_6
.LBB348_17:
                                        ; implicit-def: $vgpr2_vgpr3
                                        ; implicit-def: $vgpr8_vgpr9
	s_cbranch_execnz .LBB348_19
	s_branch .LBB348_38
.LBB348_18:
	s_or_b64 exec, exec, s[26:27]
	s_and_b64 vcc, exec, s[24:25]
	s_cbranch_vccz .LBB348_38
.LBB348_19:
	s_load_dword s25, s[0:1], 0x30
	s_load_dword s26, s[0:1], 0x50
	s_ashr_i32 s0, s19, 31
	s_lshr_b32 s0, s0, 28
	s_add_i32 s0, s19, s0
	v_and_b32_e32 v5, 63, v10
	v_lshrrev_b32_e32 v9, 6, v10
	s_lshl_b32 s24, s2, 6
	s_and_b32 s27, s0, -16
	v_mov_b64_e32 v[2:3], 0
	v_or_b32_e32 v8, s24, v5
	v_cmp_gt_i32_e32 vcc, s27, v9
	v_mov_b64_e32 v[0:1], v[2:3]
	s_and_saveexec_b64 s[2:3], vcc
	s_cbranch_execz .LBB348_25
; %bb.20:
	s_waitcnt lgkmcnt(0)
	v_mul_lo_u32 v0, s25, v9
	v_mov_b64_e32 v[2:3], 0
	v_cmp_gt_i32_e32 vcc, s18, v8
	v_mul_lo_u32 v4, s26, v9
	s_lshl_b32 s29, s26, 4
	v_add3_u32 v6, v0, s24, v5
	s_lshl_b32 s30, s25, 4
	s_mov_b64 s[4:5], 0
	v_mov_b64_e32 v[0:1], v[2:3]
	s_branch .LBB348_22
.LBB348_21:                             ;   in Loop: Header=BB348_22 Depth=1
	s_or_b64 exec, exec, s[0:1]
	v_add_u32_e32 v9, 16, v9
	v_cmp_le_i32_e64 s[0:1], s27, v9
	v_add_u32_e32 v4, s29, v4
	s_or_b64 s[4:5], s[0:1], s[4:5]
	v_add_u32_e32 v6, s30, v6
	s_andn2_b64 exec, exec, s[4:5]
	s_cbranch_execz .LBB348_24
.LBB348_22:                             ; =>This Inner Loop Header: Depth=1
	s_and_saveexec_b64 s[0:1], vcc
	s_cbranch_execz .LBB348_21
; %bb.23:                               ;   in Loop: Header=BB348_22 Depth=1
	v_ashrrev_i32_e32 v5, 31, v4
	v_ashrrev_i32_e32 v7, 31, v6
	v_lshl_add_u64 v[22:23], v[4:5], 4, s[22:23]
	v_lshl_add_u64 v[20:21], v[6:7], 4, s[20:21]
	flat_load_dwordx4 v[12:15], v[22:23]
	flat_load_dwordx4 v[16:19], v[20:21]
	s_waitcnt vmcnt(0) lgkmcnt(0)
	v_mul_f64 v[20:21], v[14:15], v[18:19]
	v_mul_f64 v[18:19], v[12:13], v[18:19]
	v_fma_f64 v[12:13], v[12:13], v[16:17], -v[20:21]
	v_fmac_f64_e32 v[18:19], v[14:15], v[16:17]
	v_add_f64 v[0:1], v[0:1], v[12:13]
	v_add_f64 v[2:3], v[2:3], v[18:19]
	s_branch .LBB348_21
.LBB348_24:
	s_or_b64 exec, exec, s[4:5]
.LBB348_25:
	s_or_b64 exec, exec, s[2:3]
	s_sub_i32 s0, s19, s27
	s_cmp_lt_i32 s0, 1
	s_cbranch_scc1 .LBB348_31
; %bb.26:
	v_mov_b64_e32 v[4:5], 0
	v_cmp_gt_i32_e32 vcc, s19, v9
	v_mov_b64_e32 v[6:7], v[4:5]
	s_and_saveexec_b64 s[0:1], vcc
	s_cbranch_execz .LBB348_28
; %bb.27:
	s_waitcnt lgkmcnt(0)
	v_mul_lo_u32 v4, v9, s26
	v_ashrrev_i32_e32 v5, 31, v4
	v_lshl_add_u64 v[4:5], v[4:5], 4, s[22:23]
	flat_load_dwordx4 v[4:7], v[4:5]
.LBB348_28:
	s_or_b64 exec, exec, s[0:1]
	v_cmp_gt_i32_e64 s[0:1], s18, v8
	s_and_saveexec_b64 s[2:3], s[0:1]
	s_cbranch_execz .LBB348_30
; %bb.29:
	s_waitcnt lgkmcnt(0)
	v_mul_lo_u32 v9, v9, s25
	v_cndmask_b32_e32 v9, 0, v9, vcc
	v_add_u32_e32 v8, v9, v8
	v_ashrrev_i32_e32 v9, 31, v8
	v_lshl_add_u64 v[8:9], v[8:9], 4, s[20:21]
	flat_load_dwordx4 v[12:15], v[8:9]
	s_waitcnt vmcnt(0) lgkmcnt(0)
	v_mul_f64 v[8:9], v[6:7], v[14:15]
	v_mul_f64 v[14:15], v[4:5], v[14:15]
	v_fma_f64 v[4:5], v[4:5], v[12:13], -v[8:9]
	v_fmac_f64_e32 v[14:15], v[6:7], v[12:13]
	v_add_f64 v[0:1], v[0:1], v[4:5]
	v_add_f64 v[2:3], v[2:3], v[14:15]
.LBB348_30:
	s_or_b64 exec, exec, s[2:3]
.LBB348_31:
	v_lshlrev_b32_e32 v11, 4, v10
	v_cmp_gt_u32_e32 vcc, 64, v10
	ds_write_b128 v11, v[0:3]
	s_waitcnt lgkmcnt(0)
	s_barrier
	s_waitcnt lgkmcnt(0)
                                        ; implicit-def: $vgpr2_vgpr3
                                        ; implicit-def: $vgpr8_vgpr9
	s_and_saveexec_b64 s[0:1], vcc
	s_cbranch_execz .LBB348_37
; %bb.32:
	ds_read_b128 v[0:3], v11
	s_waitcnt vmcnt(0)
	ds_read_b128 v[4:7], v11 offset:1024
	ds_read_b128 v[12:15], v11 offset:2048
	;; [unrolled: 1-line block ×3, first 2 shown]
	v_or_b32_e32 v10, s24, v10
	v_cmp_gt_i32_e32 vcc, s18, v10
	s_waitcnt lgkmcnt(2)
	v_add_f64 v[0:1], v[0:1], v[4:5]
	v_add_f64 v[4:5], v[2:3], v[6:7]
	s_waitcnt lgkmcnt(1)
	v_add_f64 v[6:7], v[0:1], v[12:13]
	ds_read_b128 v[0:3], v11 offset:4096
	v_add_f64 v[8:9], v[4:5], v[14:15]
	s_waitcnt lgkmcnt(1)
	v_add_f64 v[12:13], v[6:7], v[16:17]
	ds_read_b128 v[4:7], v11 offset:5120
	;; [unrolled: 4-line block ×9, first 2 shown]
	v_add_f64 v[2:3], v[8:9], v[2:3]
	s_waitcnt lgkmcnt(1)
	v_add_f64 v[4:5], v[0:1], v[4:5]
	v_add_f64 v[8:9], v[2:3], v[6:7]
	ds_read_b128 v[0:3], v11 offset:13312
	s_waitcnt lgkmcnt(1)
	v_add_f64 v[16:17], v[4:5], v[12:13]
	ds_read_b128 v[4:7], v11 offset:14336
	v_add_f64 v[8:9], v[8:9], v[14:15]
	ds_read_b128 v[12:15], v11 offset:15360
	s_waitcnt lgkmcnt(2)
	v_add_f64 v[0:1], v[16:17], v[0:1]
	v_add_f64 v[2:3], v[8:9], v[2:3]
	s_waitcnt lgkmcnt(1)
	v_add_f64 v[0:1], v[0:1], v[4:5]
	v_add_f64 v[2:3], v[2:3], v[6:7]
	;; [unrolled: 3-line block ×3, first 2 shown]
	s_mov_b64 s[4:5], s[16:17]
	ds_write_b128 v11, v[4:7]
                                        ; implicit-def: $vgpr2_vgpr3
                                        ; implicit-def: $vgpr8_vgpr9
	s_and_saveexec_b64 s[2:3], vcc
	s_cbranch_execz .LBB348_36
; %bb.33:
	v_cmp_neq_f64_e64 s[4:5], s[8:9], 0
	v_cmp_neq_f64_e64 s[18:19], s[10:11], 0
	v_mul_f64 v[0:1], s[14:15], v[6:7]
	v_mul_f64 v[2:3], s[12:13], v[6:7]
	v_mul_lo_u32 v8, v10, s28
	s_or_b64 s[4:5], s[4:5], s[18:19]
	v_fma_f64 v[0:1], s[12:13], v[4:5], -v[0:1]
	v_fmac_f64_e32 v[2:3], s[14:15], v[4:5]
	s_andn2_b64 vcc, exec, s[4:5]
	v_ashrrev_i32_e32 v9, 31, v8
	s_cbranch_vccnz .LBB348_35
; %bb.34:
	v_lshl_add_u64 v[4:5], v[8:9], 4, s[6:7]
	global_load_dwordx4 v[4:7], v[4:5], off
	s_waitcnt vmcnt(0)
	v_mul_f64 v[10:11], s[10:11], v[6:7]
	v_mul_f64 v[6:7], s[8:9], v[6:7]
	v_fma_f64 v[10:11], s[8:9], v[4:5], -v[10:11]
	v_fmac_f64_e32 v[6:7], s[10:11], v[4:5]
	v_add_f64 v[0:1], v[0:1], v[10:11]
	v_add_f64 v[2:3], v[2:3], v[6:7]
.LBB348_35:
	s_or_b64 s[4:5], s[16:17], exec
.LBB348_36:
	s_or_b64 exec, exec, s[2:3]
	s_andn2_b64 s[2:3], s[16:17], exec
	s_and_b64 s[4:5], s[4:5], exec
	s_or_b64 s[16:17], s[2:3], s[4:5]
.LBB348_37:
	s_or_b64 exec, exec, s[0:1]
.LBB348_38:
	s_and_saveexec_b64 s[0:1], s[16:17]
	s_cbranch_execz .LBB348_40
; %bb.39:
	s_waitcnt vmcnt(0)
	v_lshl_add_u64 v[4:5], v[8:9], 4, s[6:7]
	global_store_dwordx4 v[4:5], v[0:3], off
.LBB348_40:
	s_endpgm
	.section	.rodata,"a",@progbits
	.p2align	6, 0x0
	.amdhsa_kernel _ZL20rocblas_gemvn_kernelILi64ELi16EiPK19rocblas_complex_numIdES1_KPS1_EviiT3_lPKT2_lT1_lS9_lSA_lS6_lPT4_lSA_li
		.amdhsa_group_segment_fixed_size 16384
		.amdhsa_private_segment_fixed_size 0
		.amdhsa_kernarg_size 416
		.amdhsa_user_sgpr_count 2
		.amdhsa_user_sgpr_dispatch_ptr 0
		.amdhsa_user_sgpr_queue_ptr 0
		.amdhsa_user_sgpr_kernarg_segment_ptr 1
		.amdhsa_user_sgpr_dispatch_id 0
		.amdhsa_user_sgpr_kernarg_preload_length 0
		.amdhsa_user_sgpr_kernarg_preload_offset 0
		.amdhsa_user_sgpr_private_segment_size 0
		.amdhsa_uses_dynamic_stack 0
		.amdhsa_enable_private_segment 0
		.amdhsa_system_sgpr_workgroup_id_x 1
		.amdhsa_system_sgpr_workgroup_id_y 0
		.amdhsa_system_sgpr_workgroup_id_z 1
		.amdhsa_system_sgpr_workgroup_info 0
		.amdhsa_system_vgpr_workitem_id 1
		.amdhsa_next_free_vgpr 24
		.amdhsa_next_free_sgpr 40
		.amdhsa_accum_offset 24
		.amdhsa_reserve_vcc 1
		.amdhsa_float_round_mode_32 0
		.amdhsa_float_round_mode_16_64 0
		.amdhsa_float_denorm_mode_32 3
		.amdhsa_float_denorm_mode_16_64 3
		.amdhsa_dx10_clamp 1
		.amdhsa_ieee_mode 1
		.amdhsa_fp16_overflow 0
		.amdhsa_tg_split 0
		.amdhsa_exception_fp_ieee_invalid_op 0
		.amdhsa_exception_fp_denorm_src 0
		.amdhsa_exception_fp_ieee_div_zero 0
		.amdhsa_exception_fp_ieee_overflow 0
		.amdhsa_exception_fp_ieee_underflow 0
		.amdhsa_exception_fp_ieee_inexact 0
		.amdhsa_exception_int_div_zero 0
	.end_amdhsa_kernel
	.section	.text._ZL20rocblas_gemvn_kernelILi64ELi16EiPK19rocblas_complex_numIdES1_KPS1_EviiT3_lPKT2_lT1_lS9_lSA_lS6_lPT4_lSA_li,"axG",@progbits,_ZL20rocblas_gemvn_kernelILi64ELi16EiPK19rocblas_complex_numIdES1_KPS1_EviiT3_lPKT2_lT1_lS9_lSA_lS6_lPT4_lSA_li,comdat
.Lfunc_end348:
	.size	_ZL20rocblas_gemvn_kernelILi64ELi16EiPK19rocblas_complex_numIdES1_KPS1_EviiT3_lPKT2_lT1_lS9_lSA_lS6_lPT4_lSA_li, .Lfunc_end348-_ZL20rocblas_gemvn_kernelILi64ELi16EiPK19rocblas_complex_numIdES1_KPS1_EviiT3_lPKT2_lT1_lS9_lSA_lS6_lPT4_lSA_li
                                        ; -- End function
	.section	.AMDGPU.csdata,"",@progbits
; Kernel info:
; codeLenInByte = 1756
; NumSgprs: 46
; NumVgprs: 24
; NumAgprs: 0
; TotalNumVgprs: 24
; ScratchSize: 0
; MemoryBound: 1
; FloatMode: 240
; IeeeMode: 1
; LDSByteSize: 16384 bytes/workgroup (compile time only)
; SGPRBlocks: 5
; VGPRBlocks: 2
; NumSGPRsForWavesPerEU: 46
; NumVGPRsForWavesPerEU: 24
; AccumOffset: 24
; Occupancy: 8
; WaveLimiterHint : 1
; COMPUTE_PGM_RSRC2:SCRATCH_EN: 0
; COMPUTE_PGM_RSRC2:USER_SGPR: 2
; COMPUTE_PGM_RSRC2:TRAP_HANDLER: 0
; COMPUTE_PGM_RSRC2:TGID_X_EN: 1
; COMPUTE_PGM_RSRC2:TGID_Y_EN: 0
; COMPUTE_PGM_RSRC2:TGID_Z_EN: 1
; COMPUTE_PGM_RSRC2:TIDIG_COMP_CNT: 1
; COMPUTE_PGM_RSRC3_GFX90A:ACCUM_OFFSET: 5
; COMPUTE_PGM_RSRC3_GFX90A:TG_SPLIT: 0
	.section	.text._ZL20rocblas_gemvn_kernelILi64ELi16ElPK19rocblas_complex_numIdES1_KPS1_EviiT3_lPKT2_lT1_lS9_lSA_lS6_lPT4_lSA_li,"axG",@progbits,_ZL20rocblas_gemvn_kernelILi64ELi16ElPK19rocblas_complex_numIdES1_KPS1_EviiT3_lPKT2_lT1_lS9_lSA_lS6_lPT4_lSA_li,comdat
	.globl	_ZL20rocblas_gemvn_kernelILi64ELi16ElPK19rocblas_complex_numIdES1_KPS1_EviiT3_lPKT2_lT1_lS9_lSA_lS6_lPT4_lSA_li ; -- Begin function _ZL20rocblas_gemvn_kernelILi64ELi16ElPK19rocblas_complex_numIdES1_KPS1_EviiT3_lPKT2_lT1_lS9_lSA_lS6_lPT4_lSA_li
	.p2align	8
	.type	_ZL20rocblas_gemvn_kernelILi64ELi16ElPK19rocblas_complex_numIdES1_KPS1_EviiT3_lPKT2_lT1_lS9_lSA_lS6_lPT4_lSA_li,@function
_ZL20rocblas_gemvn_kernelILi64ELi16ElPK19rocblas_complex_numIdES1_KPS1_EviiT3_lPKT2_lT1_lS9_lSA_lS6_lPT4_lSA_li: ; @_ZL20rocblas_gemvn_kernelILi64ELi16ElPK19rocblas_complex_numIdES1_KPS1_EviiT3_lPKT2_lT1_lS9_lSA_lS6_lPT4_lSA_li
; %bb.0:
	s_load_dwordx2 s[4:5], s[0:1], 0xac
	s_mov_b32 s28, s3
	s_waitcnt lgkmcnt(0)
	s_lshr_b32 s6, s4, 16
	s_and_b32 s3, s4, 0xffff
	s_and_b32 s5, s5, 0xffff
	s_mul_i32 s4, s6, s3
	s_mul_i32 s4, s4, s5
	s_cmpk_lg_i32 s4, 0x400
	s_cbranch_scc1 .LBB349_40
; %bb.1:
	s_load_dwordx4 s[8:11], s[0:1], 0x8
	s_load_dwordx4 s[12:15], s[0:1], 0x20
	s_load_dwordx2 s[20:21], s[0:1], 0x30
	s_load_dwordx4 s[4:7], s[0:1], 0x60
	s_mov_b64 s[16:17], 0
	s_waitcnt lgkmcnt(0)
	v_cmp_neq_f64_e64 s[18:19], s[8:9], 0
	v_cmp_neq_f64_e64 s[22:23], s[10:11], 0
	s_or_b64 s[18:19], s[18:19], s[22:23]
	s_mov_b64 s[24:25], -1
	s_and_b64 vcc, exec, s[18:19]
	s_cbranch_vccnz .LBB349_4
; %bb.2:
	v_cmp_eq_f64_e64 s[16:17], s[4:5], 1.0
	v_cmp_eq_f64_e64 s[22:23], s[6:7], 0
	s_and_b64 s[16:17], s[16:17], s[22:23]
	s_andn2_b64 vcc, exec, s[16:17]
	s_mov_b64 s[24:25], 0
	s_cbranch_vccz .LBB349_16
; %bb.3:
	s_mov_b32 s29, 0
	s_mov_b64 s[16:17], -1
	s_mov_b64 s[22:23], 0
	s_and_b64 vcc, exec, s[24:25]
	s_cbranch_vccnz .LBB349_5
	s_branch .LBB349_6
.LBB349_4:
                                        ; implicit-def: $sgpr22_sgpr23
	s_and_b64 vcc, exec, s[24:25]
	s_cbranch_vccz .LBB349_6
.LBB349_5:
	s_mov_b32 s29, 0
	s_lshl_b64 s[16:17], s[28:29], 3
	s_add_u32 s12, s12, s16
	s_addc_u32 s13, s13, s17
	s_load_dwordx2 s[12:13], s[12:13], 0x0
	s_lshl_b64 s[14:15], s[14:15], 4
	s_mov_b64 s[16:17], -1
	s_waitcnt lgkmcnt(0)
	s_add_u32 s22, s12, s14
	s_addc_u32 s23, s13, s15
.LBB349_6:
	s_andn2_b64 vcc, exec, s[16:17]
	s_cbranch_vccnz .LBB349_40
; %bb.7:
	s_load_dwordx4 s[12:15], s[0:1], 0x40
	s_load_dwordx2 s[24:25], s[0:1], 0x50
	s_xor_b64 s[30:31], s[18:19], -1
	s_mov_b64 s[16:17], 0
	s_andn2_b64 vcc, exec, s[18:19]
	s_mov_b64 s[26:27], 0
	s_cbranch_vccnz .LBB349_9
; %bb.8:
	s_lshl_b64 s[18:19], s[28:29], 3
	s_waitcnt lgkmcnt(0)
	s_add_u32 s12, s12, s18
	s_addc_u32 s13, s13, s19
	s_load_dwordx2 s[12:13], s[12:13], 0x0
	s_lshl_b64 s[14:15], s[14:15], 4
	s_waitcnt lgkmcnt(0)
	s_add_u32 s26, s12, s14
	s_addc_u32 s27, s13, s15
.LBB349_9:
	s_load_dwordx4 s[36:39], s[0:1], 0x78
	s_load_dwordx2 s[18:19], s[0:1], 0x0
	s_waitcnt lgkmcnt(0)
	s_load_dwordx2 s[14:15], s[0:1], 0x88
	s_lshl_b64 s[0:1], s[28:29], 3
	v_and_b32_e32 v1, 0x3ff, v0
	s_add_u32 s0, s36, s0
	s_addc_u32 s1, s37, s1
	s_load_dwordx2 s[0:1], s[0:1], 0x0
	v_bfe_u32 v0, v0, 10, 10
	s_lshl_b64 s[12:13], s[38:39], 4
	v_mad_u32_u24 v10, v0, s3, v1
	s_waitcnt lgkmcnt(0)
	s_add_u32 s12, s0, s12
	s_addc_u32 s13, s1, s13
	s_andn2_b64 vcc, exec, s[30:31]
	v_cmp_gt_u32_e64 s[0:1], 64, v10
	s_cbranch_vccnz .LBB349_17
; %bb.10:
	s_mov_b64 s[28:29], 0
                                        ; implicit-def: $vgpr2_vgpr3
                                        ; implicit-def: $vgpr8_vgpr9
	s_and_saveexec_b64 s[30:31], s[0:1]
	s_cbranch_execz .LBB349_18
; %bb.11:
	v_lshl_or_b32 v0, s2, 6, v10
	v_mov_b32_e32 v1, 0
	s_ashr_i32 s1, s18, 31
	s_mov_b32 s0, s18
	v_cmp_gt_i64_e32 vcc, s[0:1], v[0:1]
                                        ; implicit-def: $vgpr2_vgpr3
                                        ; implicit-def: $vgpr8_vgpr9
	s_and_saveexec_b64 s[0:1], vcc
	s_cbranch_execz .LBB349_15
; %bb.12:
	v_mad_u64_u32 v[8:9], s[36:37], v0, s14, 0
	v_cmp_neq_f64_e64 s[16:17], s[4:5], 0
	v_cmp_neq_f64_e64 s[34:35], s[6:7], 0
	v_mov_b32_e32 v4, v9
	v_mov_b64_e32 v[2:3], 0
	v_mad_u64_u32 v[0:1], s[36:37], v0, s15, v[4:5]
	s_or_b64 s[16:17], s[16:17], s[34:35]
	v_mov_b32_e32 v9, v0
	s_andn2_b64 vcc, exec, s[16:17]
	v_mov_b64_e32 v[0:1], v[2:3]
	s_cbranch_vccnz .LBB349_14
; %bb.13:
	v_lshl_add_u64 v[0:1], v[8:9], 4, s[12:13]
	global_load_dwordx4 v[4:7], v[0:1], off
	s_waitcnt vmcnt(0)
	v_mul_f64 v[0:1], s[6:7], v[6:7]
	v_mul_f64 v[2:3], s[4:5], v[6:7]
	v_fma_f64 v[0:1], s[4:5], v[4:5], -v[0:1]
	v_fmac_f64_e32 v[2:3], s[6:7], v[4:5]
.LBB349_14:
	s_mov_b64 s[16:17], exec
.LBB349_15:
	s_or_b64 exec, exec, s[0:1]
	s_and_b64 s[16:17], s[16:17], exec
	s_or_b64 exec, exec, s[30:31]
	s_and_b64 vcc, exec, s[28:29]
	s_cbranch_vccnz .LBB349_19
	s_branch .LBB349_38
.LBB349_16:
                                        ; implicit-def: $sgpr22_sgpr23
	s_mov_b64 s[16:17], 0
	s_and_b64 vcc, exec, s[24:25]
	s_cbranch_vccnz .LBB349_5
	s_branch .LBB349_6
.LBB349_17:
                                        ; implicit-def: $vgpr2_vgpr3
                                        ; implicit-def: $vgpr8_vgpr9
	s_cbranch_execnz .LBB349_19
	s_branch .LBB349_38
.LBB349_18:
	s_or_b64 exec, exec, s[30:31]
	s_and_b64 vcc, exec, s[28:29]
	s_cbranch_vccz .LBB349_38
.LBB349_19:
	s_ashr_i32 s0, s19, 31
	s_lshr_b32 s0, s0, 28
	s_add_i32 s0, s19, s0
	v_and_b32_e32 v6, 63, v10
	v_lshrrev_b32_e32 v11, 6, v10
	s_lshl_b32 s33, s2, 6
	s_and_b32 s36, s0, -16
	v_mov_b64_e32 v[2:3], 0
	v_or_b32_e32 v8, s33, v6
	v_cmp_gt_i32_e32 vcc, s36, v11
	v_mov_b64_e32 v[0:1], v[2:3]
	s_and_saveexec_b64 s[2:3], vcc
	s_cbranch_execz .LBB349_25
; %bb.20:
	v_lshrrev_b32_e32 v7, 6, v10
	v_mad_u64_u32 v[0:1], s[0:1], s24, v7, 0
	v_mov_b32_e32 v2, v1
	v_mad_u64_u32 v[2:3], s[0:1], s25, v7, v[2:3]
	v_mov_b32_e32 v1, v2
	v_lshl_add_u64 v[4:5], v[0:1], 4, s[26:27]
	v_mad_u64_u32 v[0:1], s[0:1], s20, v7, 0
	v_mov_b32_e32 v2, v1
	v_mad_u64_u32 v[2:3], s[0:1], s21, v7, v[2:3]
	v_mov_b32_e32 v1, v2
	v_add_u32_e32 v2, s33, v6
	v_ashrrev_i32_e32 v3, 31, v2
	v_lshlrev_b64 v[2:3], 4, v[2:3]
	v_lshl_add_u64 v[0:1], v[0:1], 4, v[2:3]
	v_mov_b64_e32 v[2:3], 0
	v_cmp_gt_i32_e32 vcc, s18, v8
	s_lshl_b64 s[28:29], s[24:25], 8
	v_lshl_add_u64 v[6:7], s[22:23], 0, v[0:1]
	s_lshl_b64 s[34:35], s[20:21], 8
	s_mov_b64 s[30:31], 0
	v_mov_b64_e32 v[0:1], v[2:3]
	s_branch .LBB349_22
.LBB349_21:                             ;   in Loop: Header=BB349_22 Depth=1
	s_or_b64 exec, exec, s[0:1]
	v_add_u32_e32 v11, 16, v11
	v_cmp_le_i32_e64 s[0:1], s36, v11
	v_lshl_add_u64 v[4:5], v[4:5], 0, s[28:29]
	s_or_b64 s[30:31], s[0:1], s[30:31]
	v_lshl_add_u64 v[6:7], v[6:7], 0, s[34:35]
	s_andn2_b64 exec, exec, s[30:31]
	s_cbranch_execz .LBB349_24
.LBB349_22:                             ; =>This Inner Loop Header: Depth=1
	s_and_saveexec_b64 s[0:1], vcc
	s_cbranch_execz .LBB349_21
; %bb.23:                               ;   in Loop: Header=BB349_22 Depth=1
	flat_load_dwordx4 v[12:15], v[4:5]
	flat_load_dwordx4 v[16:19], v[6:7]
	s_waitcnt vmcnt(0) lgkmcnt(0)
	v_mul_f64 v[20:21], v[14:15], v[18:19]
	v_mul_f64 v[18:19], v[12:13], v[18:19]
	v_fma_f64 v[12:13], v[12:13], v[16:17], -v[20:21]
	v_fmac_f64_e32 v[18:19], v[14:15], v[16:17]
	v_add_f64 v[0:1], v[0:1], v[12:13]
	v_add_f64 v[2:3], v[2:3], v[18:19]
	s_branch .LBB349_21
.LBB349_24:
	s_or_b64 exec, exec, s[30:31]
.LBB349_25:
	s_or_b64 exec, exec, s[2:3]
	s_sub_i32 s0, s19, s36
	s_cmp_lt_i32 s0, 1
	s_cbranch_scc1 .LBB349_31
; %bb.26:
	v_mov_b64_e32 v[4:5], 0
	v_cmp_gt_i32_e32 vcc, s19, v11
	v_mov_b64_e32 v[6:7], v[4:5]
	s_and_saveexec_b64 s[0:1], vcc
	s_cbranch_execz .LBB349_28
; %bb.27:
	v_mad_u64_u32 v[4:5], s[2:3], v11, s24, 0
	v_mov_b32_e32 v6, v5
	v_mad_u64_u32 v[6:7], s[2:3], v11, s25, v[6:7]
	v_mov_b32_e32 v5, v6
	v_lshl_add_u64 v[4:5], v[4:5], 4, s[26:27]
	flat_load_dwordx4 v[4:7], v[4:5]
.LBB349_28:
	s_or_b64 exec, exec, s[0:1]
	v_cmp_gt_i32_e64 s[0:1], s18, v8
	s_and_saveexec_b64 s[2:3], s[0:1]
	s_cbranch_execz .LBB349_30
; %bb.29:
	v_mad_u64_u32 v[12:13], s[0:1], v11, s20, 0
	v_mov_b32_e32 v14, v13
	v_mad_u64_u32 v[14:15], s[0:1], v11, s21, v[14:15]
	v_cndmask_b32_e32 v12, 0, v12, vcc
	v_cndmask_b32_e32 v13, 0, v14, vcc
	v_ashrrev_i32_e32 v9, 31, v8
	v_lshl_add_u64 v[12:13], v[12:13], 4, s[22:23]
	v_lshl_add_u64 v[8:9], v[8:9], 4, v[12:13]
	flat_load_dwordx4 v[12:15], v[8:9]
	s_waitcnt vmcnt(0) lgkmcnt(0)
	v_mul_f64 v[8:9], v[6:7], v[14:15]
	v_mul_f64 v[14:15], v[4:5], v[14:15]
	v_fma_f64 v[4:5], v[4:5], v[12:13], -v[8:9]
	v_fmac_f64_e32 v[14:15], v[6:7], v[12:13]
	v_add_f64 v[0:1], v[0:1], v[4:5]
	v_add_f64 v[2:3], v[2:3], v[14:15]
.LBB349_30:
	s_or_b64 exec, exec, s[2:3]
.LBB349_31:
	v_lshlrev_b32_e32 v11, 4, v10
	v_cmp_gt_u32_e32 vcc, 64, v10
	ds_write_b128 v11, v[0:3]
	s_waitcnt lgkmcnt(0)
	s_barrier
	s_waitcnt lgkmcnt(0)
                                        ; implicit-def: $vgpr2_vgpr3
                                        ; implicit-def: $vgpr8_vgpr9
	s_and_saveexec_b64 s[0:1], vcc
	s_cbranch_execz .LBB349_37
; %bb.32:
	ds_read_b128 v[0:3], v11
	s_waitcnt vmcnt(0)
	ds_read_b128 v[4:7], v11 offset:1024
	ds_read_b128 v[12:15], v11 offset:2048
	;; [unrolled: 1-line block ×3, first 2 shown]
	v_or_b32_e32 v10, s33, v10
	v_cmp_gt_i32_e32 vcc, s18, v10
	s_waitcnt lgkmcnt(2)
	v_add_f64 v[0:1], v[0:1], v[4:5]
	v_add_f64 v[4:5], v[2:3], v[6:7]
	s_waitcnt lgkmcnt(1)
	v_add_f64 v[6:7], v[0:1], v[12:13]
	ds_read_b128 v[0:3], v11 offset:4096
	v_add_f64 v[8:9], v[4:5], v[14:15]
	s_waitcnt lgkmcnt(1)
	v_add_f64 v[12:13], v[6:7], v[16:17]
	ds_read_b128 v[4:7], v11 offset:5120
	;; [unrolled: 4-line block ×9, first 2 shown]
	v_add_f64 v[2:3], v[8:9], v[2:3]
	s_waitcnt lgkmcnt(1)
	v_add_f64 v[4:5], v[0:1], v[4:5]
	v_add_f64 v[8:9], v[2:3], v[6:7]
	ds_read_b128 v[0:3], v11 offset:13312
	s_waitcnt lgkmcnt(1)
	v_add_f64 v[16:17], v[4:5], v[12:13]
	ds_read_b128 v[4:7], v11 offset:14336
	v_add_f64 v[8:9], v[8:9], v[14:15]
	ds_read_b128 v[12:15], v11 offset:15360
	s_waitcnt lgkmcnt(2)
	v_add_f64 v[0:1], v[16:17], v[0:1]
	v_add_f64 v[2:3], v[8:9], v[2:3]
	s_waitcnt lgkmcnt(1)
	v_add_f64 v[0:1], v[0:1], v[4:5]
	v_add_f64 v[2:3], v[2:3], v[6:7]
	;; [unrolled: 3-line block ×3, first 2 shown]
	s_mov_b64 s[18:19], s[16:17]
	ds_write_b128 v11, v[4:7]
                                        ; implicit-def: $vgpr2_vgpr3
                                        ; implicit-def: $vgpr8_vgpr9
	s_and_saveexec_b64 s[2:3], vcc
	s_cbranch_execz .LBB349_36
; %bb.33:
	v_mul_f64 v[0:1], s[10:11], v[6:7]
	v_mul_f64 v[2:3], s[8:9], v[6:7]
	v_cmp_neq_f64_e64 s[18:19], s[4:5], 0
	v_cmp_neq_f64_e64 s[20:21], s[6:7], 0
	v_fma_f64 v[0:1], s[8:9], v[4:5], -v[0:1]
	v_fmac_f64_e32 v[2:3], s[10:11], v[4:5]
	v_ashrrev_i32_e32 v4, 31, v10
	v_mad_u64_u32 v[8:9], s[8:9], v10, s14, 0
	v_mul_lo_u32 v5, v10, s15
	v_mul_lo_u32 v4, v4, s14
	s_or_b64 s[8:9], s[18:19], s[20:21]
	s_andn2_b64 vcc, exec, s[8:9]
	v_add3_u32 v9, v9, v5, v4
	s_cbranch_vccnz .LBB349_35
; %bb.34:
	v_lshl_add_u64 v[4:5], v[8:9], 4, s[12:13]
	global_load_dwordx4 v[4:7], v[4:5], off
	s_waitcnt vmcnt(0)
	v_mul_f64 v[10:11], s[6:7], v[6:7]
	v_mul_f64 v[6:7], s[4:5], v[6:7]
	v_fma_f64 v[10:11], s[4:5], v[4:5], -v[10:11]
	v_fmac_f64_e32 v[6:7], s[6:7], v[4:5]
	v_add_f64 v[0:1], v[0:1], v[10:11]
	v_add_f64 v[2:3], v[2:3], v[6:7]
.LBB349_35:
	s_or_b64 s[18:19], s[16:17], exec
.LBB349_36:
	s_or_b64 exec, exec, s[2:3]
	s_andn2_b64 s[2:3], s[16:17], exec
	s_and_b64 s[4:5], s[18:19], exec
	s_or_b64 s[16:17], s[2:3], s[4:5]
.LBB349_37:
	s_or_b64 exec, exec, s[0:1]
.LBB349_38:
	s_and_saveexec_b64 s[0:1], s[16:17]
	s_cbranch_execz .LBB349_40
; %bb.39:
	s_waitcnt vmcnt(0)
	v_lshl_add_u64 v[4:5], v[8:9], 4, s[12:13]
	global_store_dwordx4 v[4:5], v[0:3], off
.LBB349_40:
	s_endpgm
	.section	.rodata,"a",@progbits
	.p2align	6, 0x0
	.amdhsa_kernel _ZL20rocblas_gemvn_kernelILi64ELi16ElPK19rocblas_complex_numIdES1_KPS1_EviiT3_lPKT2_lT1_lS9_lSA_lS6_lPT4_lSA_li
		.amdhsa_group_segment_fixed_size 16384
		.amdhsa_private_segment_fixed_size 0
		.amdhsa_kernarg_size 416
		.amdhsa_user_sgpr_count 2
		.amdhsa_user_sgpr_dispatch_ptr 0
		.amdhsa_user_sgpr_queue_ptr 0
		.amdhsa_user_sgpr_kernarg_segment_ptr 1
		.amdhsa_user_sgpr_dispatch_id 0
		.amdhsa_user_sgpr_kernarg_preload_length 0
		.amdhsa_user_sgpr_kernarg_preload_offset 0
		.amdhsa_user_sgpr_private_segment_size 0
		.amdhsa_uses_dynamic_stack 0
		.amdhsa_enable_private_segment 0
		.amdhsa_system_sgpr_workgroup_id_x 1
		.amdhsa_system_sgpr_workgroup_id_y 0
		.amdhsa_system_sgpr_workgroup_id_z 1
		.amdhsa_system_sgpr_workgroup_info 0
		.amdhsa_system_vgpr_workitem_id 1
		.amdhsa_next_free_vgpr 22
		.amdhsa_next_free_sgpr 40
		.amdhsa_accum_offset 24
		.amdhsa_reserve_vcc 1
		.amdhsa_float_round_mode_32 0
		.amdhsa_float_round_mode_16_64 0
		.amdhsa_float_denorm_mode_32 3
		.amdhsa_float_denorm_mode_16_64 3
		.amdhsa_dx10_clamp 1
		.amdhsa_ieee_mode 1
		.amdhsa_fp16_overflow 0
		.amdhsa_tg_split 0
		.amdhsa_exception_fp_ieee_invalid_op 0
		.amdhsa_exception_fp_denorm_src 0
		.amdhsa_exception_fp_ieee_div_zero 0
		.amdhsa_exception_fp_ieee_overflow 0
		.amdhsa_exception_fp_ieee_underflow 0
		.amdhsa_exception_fp_ieee_inexact 0
		.amdhsa_exception_int_div_zero 0
	.end_amdhsa_kernel
	.section	.text._ZL20rocblas_gemvn_kernelILi64ELi16ElPK19rocblas_complex_numIdES1_KPS1_EviiT3_lPKT2_lT1_lS9_lSA_lS6_lPT4_lSA_li,"axG",@progbits,_ZL20rocblas_gemvn_kernelILi64ELi16ElPK19rocblas_complex_numIdES1_KPS1_EviiT3_lPKT2_lT1_lS9_lSA_lS6_lPT4_lSA_li,comdat
.Lfunc_end349:
	.size	_ZL20rocblas_gemvn_kernelILi64ELi16ElPK19rocblas_complex_numIdES1_KPS1_EviiT3_lPKT2_lT1_lS9_lSA_lS6_lPT4_lSA_li, .Lfunc_end349-_ZL20rocblas_gemvn_kernelILi64ELi16ElPK19rocblas_complex_numIdES1_KPS1_EviiT3_lPKT2_lT1_lS9_lSA_lS6_lPT4_lSA_li
                                        ; -- End function
	.section	.AMDGPU.csdata,"",@progbits
; Kernel info:
; codeLenInByte = 1844
; NumSgprs: 46
; NumVgprs: 22
; NumAgprs: 0
; TotalNumVgprs: 22
; ScratchSize: 0
; MemoryBound: 1
; FloatMode: 240
; IeeeMode: 1
; LDSByteSize: 16384 bytes/workgroup (compile time only)
; SGPRBlocks: 5
; VGPRBlocks: 2
; NumSGPRsForWavesPerEU: 46
; NumVGPRsForWavesPerEU: 22
; AccumOffset: 24
; Occupancy: 8
; WaveLimiterHint : 1
; COMPUTE_PGM_RSRC2:SCRATCH_EN: 0
; COMPUTE_PGM_RSRC2:USER_SGPR: 2
; COMPUTE_PGM_RSRC2:TRAP_HANDLER: 0
; COMPUTE_PGM_RSRC2:TGID_X_EN: 1
; COMPUTE_PGM_RSRC2:TGID_Y_EN: 0
; COMPUTE_PGM_RSRC2:TGID_Z_EN: 1
; COMPUTE_PGM_RSRC2:TIDIG_COMP_CNT: 1
; COMPUTE_PGM_RSRC3_GFX90A:ACCUM_OFFSET: 5
; COMPUTE_PGM_RSRC3_GFX90A:TG_SPLIT: 0
	.section	.text._ZL22rocblas_gemvtsm_kernelILb0ELi256EPK19rocblas_complex_numIdES3_KPS1_EviiT2_lPKT1_lilS9_lilS6_lPT3_lil,"axG",@progbits,_ZL22rocblas_gemvtsm_kernelILb0ELi256EPK19rocblas_complex_numIdES3_KPS1_EviiT2_lPKT1_lilS9_lilS6_lPT3_lil,comdat
	.globl	_ZL22rocblas_gemvtsm_kernelILb0ELi256EPK19rocblas_complex_numIdES3_KPS1_EviiT2_lPKT1_lilS9_lilS6_lPT3_lil ; -- Begin function _ZL22rocblas_gemvtsm_kernelILb0ELi256EPK19rocblas_complex_numIdES3_KPS1_EviiT2_lPKT1_lilS9_lilS6_lPT3_lil
	.p2align	8
	.type	_ZL22rocblas_gemvtsm_kernelILb0ELi256EPK19rocblas_complex_numIdES3_KPS1_EviiT2_lPKT1_lilS9_lilS6_lPT3_lil,@function
_ZL22rocblas_gemvtsm_kernelILb0ELi256EPK19rocblas_complex_numIdES3_KPS1_EviiT2_lPKT1_lilS9_lilS6_lPT3_lil: ; @_ZL22rocblas_gemvtsm_kernelILb0ELi256EPK19rocblas_complex_numIdES3_KPS1_EviiT2_lPKT1_lilS9_lilS6_lPT3_lil
; %bb.0:
	s_load_dwordx8 s[12:19], s[0:1], 0x8
	s_load_dwordx8 s[4:11], s[0:1], 0x58
	s_mov_b32 s3, 0
	s_mov_b64 s[24:25], 0
	s_waitcnt lgkmcnt(0)
	s_mul_i32 s15, s2, s15
	s_mul_hi_u32 s20, s2, s14
	s_add_i32 s15, s20, s15
	s_mul_i32 s14, s2, s14
	s_lshl_b64 s[14:15], s[14:15], 4
	s_add_u32 s12, s12, s14
	s_addc_u32 s13, s13, s15
	s_load_dwordx4 s[20:23], s[12:13], 0x0
	s_mul_i32 s7, s2, s7
	s_mul_hi_u32 s12, s2, s6
	s_add_i32 s7, s12, s7
	s_mul_i32 s6, s2, s6
	s_lshl_b64 s[6:7], s[6:7], 4
	s_add_u32 s4, s4, s6
	s_addc_u32 s5, s5, s7
	s_load_dwordx4 s[12:15], s[4:5], 0x0
	s_waitcnt lgkmcnt(0)
	v_cmp_neq_f64_e64 s[4:5], s[20:21], 0
	v_cmp_neq_f64_e64 s[6:7], s[22:23], 0
	s_or_b64 s[6:7], s[4:5], s[6:7]
	s_mov_b64 s[4:5], -1
	s_and_b64 vcc, exec, s[6:7]
	s_cbranch_vccz .LBB350_3
; %bb.1:
	s_andn2_b64 vcc, exec, s[4:5]
	s_cbranch_vccz .LBB350_4
.LBB350_2:
	s_andn2_b64 vcc, exec, s[24:25]
	s_cbranch_vccz .LBB350_5
	s_branch .LBB350_40
.LBB350_3:
	v_cmp_neq_f64_e64 s[24:25], s[12:13], 1.0
	v_cmp_neq_f64_e64 s[26:27], s[14:15], 0
	s_mov_b64 s[4:5], 0
	s_or_b64 s[24:25], s[24:25], s[26:27]
	s_cbranch_execnz .LBB350_2
.LBB350_4:
	s_lshl_b64 s[4:5], s[2:3], 3
	s_add_u32 s4, s16, s4
	s_addc_u32 s5, s17, s5
	s_load_dwordx2 s[4:5], s[4:5], 0x0
	s_lshl_b64 s[16:17], s[18:19], 4
	s_waitcnt lgkmcnt(0)
	s_add_u32 s4, s4, s16
	s_addc_u32 s5, s5, s17
.LBB350_5:
	s_xor_b64 s[24:25], s[6:7], -1
	s_andn2_b64 vcc, exec, s[6:7]
	s_mov_b64 s[18:19], 0
	s_cbranch_vccnz .LBB350_7
; %bb.6:
	s_load_dwordx4 s[16:19], s[0:1], 0x38
	s_lshl_b64 s[6:7], s[2:3], 3
	s_waitcnt lgkmcnt(0)
	s_add_u32 s6, s16, s6
	s_addc_u32 s7, s17, s7
	s_load_dwordx2 s[6:7], s[6:7], 0x0
	s_lshl_b64 s[16:17], s[18:19], 4
	s_waitcnt lgkmcnt(0)
	s_add_u32 s18, s6, s16
	s_addc_u32 s19, s7, s17
.LBB350_7:
	s_lshl_b64 s[2:3], s[2:3], 3
	s_add_u32 s2, s8, s2
	s_addc_u32 s3, s9, s3
	s_load_dwordx2 s[6:7], s[0:1], 0x0
	s_load_dword s16, s[0:1], 0x78
	s_andn2_b64 vcc, exec, s[24:25]
	s_load_dwordx2 s[2:3], s[2:3], 0x0
	s_mov_b64 s[8:9], -1
	s_cbranch_vccnz .LBB350_22
; %bb.8:
	v_cmp_neq_f64_e64 s[8:9], s[12:13], 0
	v_cmp_neq_f64_e64 s[24:25], s[14:15], 0
	s_or_b64 s[26:27], s[8:9], s[24:25]
	s_waitcnt lgkmcnt(0)
	s_cmp_gt_i32 s7, 0
	s_mov_b64 s[24:25], -1
	s_cselect_b64 s[8:9], -1, 0
	s_and_b64 vcc, exec, s[26:27]
	s_cbranch_vccnz .LBB350_15
; %bb.9:
	s_andn2_b64 vcc, exec, s[8:9]
	s_cbranch_vccnz .LBB350_14
; %bb.10:
	v_mad_i64_i32 v[2:3], s[24:25], s16, v0, 0
	s_ashr_i32 s17, s16, 31
	s_lshl_b64 s[24:25], s[10:11], 4
	s_add_u32 s24, s2, s24
	s_addc_u32 s25, s3, s25
	v_lshl_add_u64 v[2:3], v[2:3], 4, s[24:25]
	v_lshl_add_u64 v[6:7], v[2:3], 0, 8
	s_lshl_b64 s[24:25], s[16:17], 12
	s_mov_b32 s17, 0
	v_mov_b32_e32 v2, 0
	s_branch .LBB350_12
.LBB350_11:                             ;   in Loop: Header=BB350_12 Depth=1
	s_or_b64 exec, exec, s[26:27]
	s_addk_i32 s17, 0x100
	s_cmp_ge_i32 s17, s7
	v_lshl_add_u64 v[6:7], v[6:7], 0, s[24:25]
	s_cbranch_scc1 .LBB350_14
.LBB350_12:                             ; =>This Inner Loop Header: Depth=1
	v_add_u32_e32 v1, s17, v0
	v_cmp_gt_i32_e32 vcc, s7, v1
	s_and_saveexec_b64 s[26:27], vcc
	s_cbranch_execz .LBB350_11
; %bb.13:                               ;   in Loop: Header=BB350_12 Depth=1
	v_mov_b32_e32 v3, v2
	v_mov_b32_e32 v4, v2
	;; [unrolled: 1-line block ×3, first 2 shown]
	global_store_dwordx4 v[6:7], v[2:5], off offset:-8
	s_branch .LBB350_11
.LBB350_14:
	s_mov_b64 s[24:25], 0
.LBB350_15:
	s_andn2_b64 vcc, exec, s[24:25]
	s_cbranch_vccnz .LBB350_21
; %bb.16:
	s_andn2_b64 vcc, exec, s[8:9]
	s_cbranch_vccnz .LBB350_21
; %bb.17:
	v_mad_i64_i32 v[2:3], s[8:9], s16, v0, 0
	s_ashr_i32 s17, s16, 31
	s_lshl_b64 s[8:9], s[10:11], 4
	s_add_u32 s8, s2, s8
	s_addc_u32 s9, s3, s9
	v_lshl_add_u64 v[2:3], v[2:3], 4, s[8:9]
	v_lshl_add_u64 v[2:3], v[2:3], 0, 8
	s_lshl_b64 s[8:9], s[16:17], 12
	s_mov_b32 s17, 0
	s_branch .LBB350_19
.LBB350_18:                             ;   in Loop: Header=BB350_19 Depth=1
	s_or_b64 exec, exec, s[24:25]
	s_addk_i32 s17, 0x100
	s_cmp_ge_i32 s17, s7
	v_lshl_add_u64 v[2:3], v[2:3], 0, s[8:9]
	s_cbranch_scc1 .LBB350_21
.LBB350_19:                             ; =>This Inner Loop Header: Depth=1
	v_add_u32_e32 v1, s17, v0
	v_cmp_gt_i32_e32 vcc, s7, v1
	s_and_saveexec_b64 s[24:25], vcc
	s_cbranch_execz .LBB350_18
; %bb.20:                               ;   in Loop: Header=BB350_19 Depth=1
	global_load_dwordx4 v[4:7], v[2:3], off offset:-8
	s_waitcnt vmcnt(0)
	v_mul_f64 v[10:11], s[14:15], v[6:7]
	v_mul_f64 v[8:9], s[12:13], v[6:7]
	v_fma_f64 v[6:7], s[12:13], v[4:5], -v[10:11]
	v_fmac_f64_e32 v[8:9], s[14:15], v[4:5]
	global_store_dwordx4 v[2:3], v[6:9], off offset:-8
	s_branch .LBB350_18
.LBB350_21:
	s_mov_b64 s[8:9], 0
.LBB350_22:
	s_andn2_b64 vcc, exec, s[8:9]
	s_cbranch_vccnz .LBB350_40
; %bb.23:
	s_waitcnt lgkmcnt(0)
	v_cmp_gt_i32_e32 vcc, s6, v0
	s_and_saveexec_b64 s[8:9], vcc
	s_cbranch_execz .LBB350_25
; %bb.24:
	s_load_dword s17, s[0:1], 0x48
	v_lshlrev_b32_e32 v1, 4, v0
	s_waitcnt lgkmcnt(0)
	v_mad_i64_i32 v[2:3], s[24:25], s17, v0, 0
	v_lshl_add_u64 v[2:3], v[2:3], 4, s[18:19]
	flat_load_dwordx4 v[2:5], v[2:3]
	s_waitcnt vmcnt(0) lgkmcnt(0)
	v_mul_f64 v[8:9], s[22:23], v[4:5]
	v_mul_f64 v[6:7], s[20:21], v[4:5]
	v_fma_f64 v[4:5], s[20:21], v[2:3], -v[8:9]
	v_fmac_f64_e32 v[6:7], s[22:23], v[2:3]
	ds_write_b128 v1, v[4:7]
.LBB350_25:
	s_or_b64 exec, exec, s[8:9]
	s_cmp_lt_i32 s7, 1
	s_waitcnt lgkmcnt(0)
	s_barrier
	s_cbranch_scc1 .LBB350_40
; %bb.26:
	s_load_dword s0, s[0:1], 0x28
	s_lshl_b64 s[8:9], s[10:11], 4
	s_add_u32 s8, s2, s8
	s_addc_u32 s9, s3, s9
	v_cmp_neq_f64_e64 s[2:3], s[12:13], 0
	v_cmp_neq_f64_e64 s[18:19], s[14:15], 0
	s_ashr_i32 s17, s16, 31
	s_waitcnt lgkmcnt(0)
	s_ashr_i32 s1, s0, 31
	s_or_b64 s[2:3], s[2:3], s[18:19]
	s_cmp_gt_i32 s6, 0
	s_cselect_b64 s[22:23], -1, 0
	s_and_b32 s28, s6, 7
	s_cmp_gt_u32 s6, 7
	s_cselect_b64 s[24:25], -1, 0
	s_and_b32 s6, s6, 0x7ffffff8
	s_cmp_lg_u32 s28, 0
	v_mad_i64_i32 v[2:3], s[20:21], s0, v0, 0
	v_cndmask_b32_e64 v1, 0, 1, s[2:3]
	s_cselect_b64 s[18:19], -1, 0
	s_lshl_b64 s[20:21], s[0:1], 12
	v_cmp_ne_u32_e64 s[0:1], 1, v1
	v_cndmask_b32_e64 v1, 0, 1, s[22:23]
	v_cmp_ne_u32_e64 s[2:3], 1, v1
	v_cndmask_b32_e64 v1, 0, 1, s[24:25]
	s_mov_b32 s11, 0
	v_lshl_add_u64 v[6:7], v[2:3], 4, s[4:5]
	v_cmp_ne_u32_e64 s[4:5], 1, v1
	s_mov_b64 s[22:23], 0x80
	s_mov_b32 s29, 0
	s_branch .LBB350_29
.LBB350_27:                             ;   in Loop: Header=BB350_29 Depth=1
	global_store_dwordx4 v[8:9], v[2:5], off
.LBB350_28:                             ;   in Loop: Header=BB350_29 Depth=1
	s_or_b64 exec, exec, s[24:25]
	s_addk_i32 s29, 0x100
	s_cmp_ge_i32 s29, s7
	v_lshl_add_u64 v[6:7], v[6:7], 0, s[20:21]
	s_cbranch_scc1 .LBB350_40
.LBB350_29:                             ; =>This Loop Header: Depth=1
                                        ;     Child Loop BB350_35 Depth 2
                                        ;     Child Loop BB350_39 Depth 2
	v_add_u32_e32 v1, s29, v0
	v_cmp_gt_i32_e32 vcc, s7, v1
	s_and_saveexec_b64 s[24:25], vcc
	s_cbranch_execz .LBB350_28
; %bb.30:                               ;   in Loop: Header=BB350_29 Depth=1
	v_mad_u64_u32 v[4:5], s[26:27], v1, s16, 0
	v_mov_b32_e32 v2, v5
	v_mad_u64_u32 v[2:3], s[26:27], v1, s17, v[2:3]
	v_mov_b32_e32 v5, v2
	v_mov_b64_e32 v[2:3], 0
	s_and_b64 vcc, exec, s[0:1]
	v_lshl_add_u64 v[8:9], v[4:5], 4, s[8:9]
	v_mov_b64_e32 v[4:5], v[2:3]
	s_cbranch_vccnz .LBB350_32
; %bb.31:                               ;   in Loop: Header=BB350_29 Depth=1
	global_load_dwordx4 v[10:13], v[8:9], off
	s_waitcnt vmcnt(0)
	v_mul_f64 v[2:3], s[14:15], v[12:13]
	v_mul_f64 v[4:5], s[12:13], v[12:13]
	v_fma_f64 v[2:3], s[12:13], v[10:11], -v[2:3]
	v_fmac_f64_e32 v[4:5], s[14:15], v[10:11]
.LBB350_32:                             ;   in Loop: Header=BB350_29 Depth=1
	s_and_b64 vcc, exec, s[2:3]
	s_cbranch_vccnz .LBB350_27
; %bb.33:                               ;   in Loop: Header=BB350_29 Depth=1
	s_mov_b32 s10, 0
	s_and_b64 vcc, exec, s[4:5]
	s_cbranch_vccnz .LBB350_37
; %bb.34:                               ;   in Loop: Header=BB350_29 Depth=1
	s_mov_b32 s26, 0
	v_mov_b64_e32 v[10:11], v[6:7]
.LBB350_35:                             ;   Parent Loop BB350_29 Depth=1
                                        ; =>  This Inner Loop Header: Depth=2
	flat_load_dwordx4 v[12:15], v[10:11]
	flat_load_dwordx4 v[16:19], v[10:11] offset:16
	flat_load_dwordx4 v[20:23], v[10:11] offset:32
	;; [unrolled: 1-line block ×7, first 2 shown]
	v_mov_b32_e32 v1, s10
	ds_read_b128 v[44:47], v1
	ds_read_b128 v[48:51], v1 offset:16
	s_add_i32 s26, s26, 8
	s_addk_i32 s10, 0x80
	v_lshl_add_u64 v[10:11], v[10:11], 0, s[22:23]
	s_cmp_eq_u32 s6, s26
	s_waitcnt vmcnt(0) lgkmcnt(0)
	v_mul_f64 v[52:53], v[14:15], v[46:47]
	v_mul_f64 v[46:47], v[12:13], v[46:47]
	v_fma_f64 v[52:53], v[12:13], v[44:45], -v[52:53]
	v_fmac_f64_e32 v[46:47], v[14:15], v[44:45]
	ds_read_b128 v[12:15], v1 offset:32
	v_mul_f64 v[44:45], v[18:19], v[50:51]
	v_mul_f64 v[50:51], v[16:17], v[50:51]
	v_fma_f64 v[44:45], v[16:17], v[48:49], -v[44:45]
	v_fmac_f64_e32 v[50:51], v[18:19], v[48:49]
	ds_read_b128 v[16:19], v1 offset:48
	s_waitcnt lgkmcnt(1)
	v_mul_f64 v[48:49], v[22:23], v[14:15]
	v_mul_f64 v[54:55], v[20:21], v[14:15]
	v_fma_f64 v[20:21], v[20:21], v[12:13], -v[48:49]
	v_fmac_f64_e32 v[54:55], v[22:23], v[12:13]
	ds_read_b128 v[12:15], v1 offset:64
	s_waitcnt lgkmcnt(1)
	;; [unrolled: 6-line block ×4, first 2 shown]
	v_mul_f64 v[28:29], v[34:35], v[18:19]
	v_mul_f64 v[30:31], v[32:33], v[18:19]
	v_fma_f64 v[28:29], v[32:33], v[16:17], -v[28:29]
	v_fmac_f64_e32 v[30:31], v[34:35], v[16:17]
	ds_read_b128 v[16:19], v1 offset:112
	v_add_f64 v[2:3], v[2:3], v[52:53]
	v_add_f64 v[4:5], v[4:5], v[46:47]
	;; [unrolled: 1-line block ×8, first 2 shown]
	s_waitcnt lgkmcnt(1)
	v_mul_f64 v[32:33], v[38:39], v[14:15]
	v_mul_f64 v[14:15], v[36:37], v[14:15]
	v_add_f64 v[2:3], v[2:3], v[24:25]
	v_add_f64 v[4:5], v[4:5], v[26:27]
	s_waitcnt lgkmcnt(0)
	v_mul_f64 v[34:35], v[42:43], v[18:19]
	v_fma_f64 v[32:33], v[36:37], v[12:13], -v[32:33]
	v_fmac_f64_e32 v[14:15], v[38:39], v[12:13]
	v_mul_f64 v[12:13], v[40:41], v[18:19]
	v_add_f64 v[2:3], v[2:3], v[28:29]
	v_add_f64 v[4:5], v[4:5], v[30:31]
	v_fma_f64 v[18:19], v[40:41], v[16:17], -v[34:35]
	v_fmac_f64_e32 v[12:13], v[42:43], v[16:17]
	v_add_f64 v[2:3], v[2:3], v[32:33]
	v_add_f64 v[4:5], v[4:5], v[14:15]
	;; [unrolled: 1-line block ×4, first 2 shown]
	s_cbranch_scc0 .LBB350_35
; %bb.36:                               ;   in Loop: Header=BB350_29 Depth=1
	s_mov_b32 s10, s6
.LBB350_37:                             ;   in Loop: Header=BB350_29 Depth=1
	s_andn2_b64 vcc, exec, s[18:19]
	s_cbranch_vccnz .LBB350_27
; %bb.38:                               ;   in Loop: Header=BB350_29 Depth=1
	s_lshl_b32 s30, s10, 4
	s_lshl_b64 s[26:27], s[10:11], 4
	s_mov_b32 s10, s28
.LBB350_39:                             ;   Parent Loop BB350_29 Depth=1
                                        ; =>  This Inner Loop Header: Depth=2
	v_lshl_add_u64 v[10:11], v[6:7], 0, s[26:27]
	flat_load_dwordx4 v[10:13], v[10:11]
	v_mov_b32_e32 v1, s30
	ds_read_b128 v[14:17], v1
	s_add_i32 s30, s30, 16
	s_add_u32 s26, s26, 16
	s_addc_u32 s27, s27, 0
	s_add_i32 s10, s10, -1
	s_cmp_lg_u32 s10, 0
	s_waitcnt vmcnt(0) lgkmcnt(0)
	v_mul_f64 v[18:19], v[12:13], v[16:17]
	v_mul_f64 v[16:17], v[10:11], v[16:17]
	v_fma_f64 v[10:11], v[10:11], v[14:15], -v[18:19]
	v_fmac_f64_e32 v[16:17], v[12:13], v[14:15]
	v_add_f64 v[2:3], v[2:3], v[10:11]
	v_add_f64 v[4:5], v[4:5], v[16:17]
	s_cbranch_scc1 .LBB350_39
	s_branch .LBB350_27
.LBB350_40:
	s_endpgm
	.section	.rodata,"a",@progbits
	.p2align	6, 0x0
	.amdhsa_kernel _ZL22rocblas_gemvtsm_kernelILb0ELi256EPK19rocblas_complex_numIdES3_KPS1_EviiT2_lPKT1_lilS9_lilS6_lPT3_lil
		.amdhsa_group_segment_fixed_size 1024
		.amdhsa_private_segment_fixed_size 0
		.amdhsa_kernarg_size 136
		.amdhsa_user_sgpr_count 2
		.amdhsa_user_sgpr_dispatch_ptr 0
		.amdhsa_user_sgpr_queue_ptr 0
		.amdhsa_user_sgpr_kernarg_segment_ptr 1
		.amdhsa_user_sgpr_dispatch_id 0
		.amdhsa_user_sgpr_kernarg_preload_length 0
		.amdhsa_user_sgpr_kernarg_preload_offset 0
		.amdhsa_user_sgpr_private_segment_size 0
		.amdhsa_uses_dynamic_stack 0
		.amdhsa_enable_private_segment 0
		.amdhsa_system_sgpr_workgroup_id_x 1
		.amdhsa_system_sgpr_workgroup_id_y 0
		.amdhsa_system_sgpr_workgroup_id_z 0
		.amdhsa_system_sgpr_workgroup_info 0
		.amdhsa_system_vgpr_workitem_id 0
		.amdhsa_next_free_vgpr 56
		.amdhsa_next_free_sgpr 31
		.amdhsa_accum_offset 56
		.amdhsa_reserve_vcc 1
		.amdhsa_float_round_mode_32 0
		.amdhsa_float_round_mode_16_64 0
		.amdhsa_float_denorm_mode_32 3
		.amdhsa_float_denorm_mode_16_64 3
		.amdhsa_dx10_clamp 1
		.amdhsa_ieee_mode 1
		.amdhsa_fp16_overflow 0
		.amdhsa_tg_split 0
		.amdhsa_exception_fp_ieee_invalid_op 0
		.amdhsa_exception_fp_denorm_src 0
		.amdhsa_exception_fp_ieee_div_zero 0
		.amdhsa_exception_fp_ieee_overflow 0
		.amdhsa_exception_fp_ieee_underflow 0
		.amdhsa_exception_fp_ieee_inexact 0
		.amdhsa_exception_int_div_zero 0
	.end_amdhsa_kernel
	.section	.text._ZL22rocblas_gemvtsm_kernelILb0ELi256EPK19rocblas_complex_numIdES3_KPS1_EviiT2_lPKT1_lilS9_lilS6_lPT3_lil,"axG",@progbits,_ZL22rocblas_gemvtsm_kernelILb0ELi256EPK19rocblas_complex_numIdES3_KPS1_EviiT2_lPKT1_lilS9_lilS6_lPT3_lil,comdat
.Lfunc_end350:
	.size	_ZL22rocblas_gemvtsm_kernelILb0ELi256EPK19rocblas_complex_numIdES3_KPS1_EviiT2_lPKT1_lilS9_lilS6_lPT3_lil, .Lfunc_end350-_ZL22rocblas_gemvtsm_kernelILb0ELi256EPK19rocblas_complex_numIdES3_KPS1_EviiT2_lPKT1_lilS9_lilS6_lPT3_lil
                                        ; -- End function
	.section	.AMDGPU.csdata,"",@progbits
; Kernel info:
; codeLenInByte = 1804
; NumSgprs: 37
; NumVgprs: 56
; NumAgprs: 0
; TotalNumVgprs: 56
; ScratchSize: 0
; MemoryBound: 0
; FloatMode: 240
; IeeeMode: 1
; LDSByteSize: 1024 bytes/workgroup (compile time only)
; SGPRBlocks: 4
; VGPRBlocks: 6
; NumSGPRsForWavesPerEU: 37
; NumVGPRsForWavesPerEU: 56
; AccumOffset: 56
; Occupancy: 8
; WaveLimiterHint : 1
; COMPUTE_PGM_RSRC2:SCRATCH_EN: 0
; COMPUTE_PGM_RSRC2:USER_SGPR: 2
; COMPUTE_PGM_RSRC2:TRAP_HANDLER: 0
; COMPUTE_PGM_RSRC2:TGID_X_EN: 1
; COMPUTE_PGM_RSRC2:TGID_Y_EN: 0
; COMPUTE_PGM_RSRC2:TGID_Z_EN: 0
; COMPUTE_PGM_RSRC2:TIDIG_COMP_CNT: 0
; COMPUTE_PGM_RSRC3_GFX90A:ACCUM_OFFSET: 13
; COMPUTE_PGM_RSRC3_GFX90A:TG_SPLIT: 0
	.section	.text._ZL22rocblas_gemvtsm_kernelILb0ELi256EPK19rocblas_complex_numIdES1_KPS1_EviiT2_lPKT1_lilS9_lilS6_lPT3_lil,"axG",@progbits,_ZL22rocblas_gemvtsm_kernelILb0ELi256EPK19rocblas_complex_numIdES1_KPS1_EviiT2_lPKT1_lilS9_lilS6_lPT3_lil,comdat
	.globl	_ZL22rocblas_gemvtsm_kernelILb0ELi256EPK19rocblas_complex_numIdES1_KPS1_EviiT2_lPKT1_lilS9_lilS6_lPT3_lil ; -- Begin function _ZL22rocblas_gemvtsm_kernelILb0ELi256EPK19rocblas_complex_numIdES1_KPS1_EviiT2_lPKT1_lilS9_lilS6_lPT3_lil
	.p2align	8
	.type	_ZL22rocblas_gemvtsm_kernelILb0ELi256EPK19rocblas_complex_numIdES1_KPS1_EviiT2_lPKT1_lilS9_lilS6_lPT3_lil,@function
_ZL22rocblas_gemvtsm_kernelILb0ELi256EPK19rocblas_complex_numIdES1_KPS1_EviiT2_lPKT1_lilS9_lilS6_lPT3_lil: ; @_ZL22rocblas_gemvtsm_kernelILb0ELi256EPK19rocblas_complex_numIdES1_KPS1_EviiT2_lPKT1_lilS9_lilS6_lPT3_lil
; %bb.0:
	s_load_dwordx4 s[12:15], s[0:1], 0x8
	s_load_dwordx4 s[8:11], s[0:1], 0x60
	s_waitcnt lgkmcnt(0)
	v_cmp_neq_f64_e64 s[4:5], s[12:13], 0
	v_cmp_neq_f64_e64 s[6:7], s[14:15], 0
	s_or_b64 s[6:7], s[4:5], s[6:7]
	s_mov_b64 s[4:5], -1
	s_and_b64 vcc, exec, s[6:7]
	s_cbranch_vccnz .LBB351_2
; %bb.1:
	v_cmp_neq_f64_e64 s[4:5], s[8:9], 1.0
	v_cmp_neq_f64_e64 s[16:17], s[10:11], 0
	s_or_b64 s[4:5], s[4:5], s[16:17]
.LBB351_2:
	s_andn2_b64 vcc, exec, s[4:5]
	s_cbranch_vccnz .LBB351_42
; %bb.3:
	s_xor_b64 s[16:17], s[6:7], -1
	v_cndmask_b32_e64 v1, 0, 1, s[16:17]
	v_cmp_ne_u32_e64 s[4:5], 1, v1
	s_andn2_b64 vcc, exec, s[16:17]
	s_cbranch_vccnz .LBB351_5
; %bb.4:
	s_mov_b32 s3, 0
	s_mov_b64 s[22:23], 0
	s_cbranch_execz .LBB351_6
	s_branch .LBB351_7
.LBB351_5:
                                        ; implicit-def: $sgpr22_sgpr23
.LBB351_6:
	s_load_dwordx4 s[16:19], s[0:1], 0x20
	s_mov_b32 s3, 0
	s_lshl_b64 s[20:21], s[2:3], 3
	s_waitcnt lgkmcnt(0)
	s_add_u32 s16, s16, s20
	s_addc_u32 s17, s17, s21
	s_load_dwordx2 s[16:17], s[16:17], 0x0
	s_lshl_b64 s[18:19], s[18:19], 4
	s_waitcnt lgkmcnt(0)
	s_add_u32 s22, s16, s18
	s_addc_u32 s23, s17, s19
.LBB351_7:
	s_andn2_b64 vcc, exec, s[6:7]
	s_mov_b64 s[24:25], 0
	s_cbranch_vccnz .LBB351_9
; %bb.8:
	s_load_dwordx4 s[16:19], s[0:1], 0x40
	s_lshl_b64 s[6:7], s[2:3], 3
	s_waitcnt lgkmcnt(0)
	s_add_u32 s6, s16, s6
	s_addc_u32 s7, s17, s7
	s_load_dwordx2 s[6:7], s[6:7], 0x0
	s_lshl_b64 s[16:17], s[18:19], 4
	s_waitcnt lgkmcnt(0)
	s_add_u32 s24, s6, s16
	s_addc_u32 s25, s7, s17
.LBB351_9:
	s_load_dwordx4 s[16:19], s[0:1], 0x78
	s_load_dwordx2 s[6:7], s[0:1], 0x0
	s_load_dword s20, s[0:1], 0x88
	s_lshl_b64 s[2:3], s[2:3], 3
	s_waitcnt lgkmcnt(0)
	s_add_u32 s2, s16, s2
	s_addc_u32 s3, s17, s3
	s_load_dwordx2 s[2:3], s[2:3], 0x0
	s_and_b64 vcc, exec, s[4:5]
	s_mov_b64 s[4:5], -1
	s_cbranch_vccnz .LBB351_24
; %bb.10:
	v_cmp_neq_f64_e64 s[4:5], s[8:9], 0
	v_cmp_neq_f64_e64 s[16:17], s[10:11], 0
	s_or_b64 s[26:27], s[4:5], s[16:17]
	s_cmp_gt_i32 s7, 0
	s_mov_b64 s[16:17], -1
	s_cselect_b64 s[4:5], -1, 0
	s_and_b64 vcc, exec, s[26:27]
	s_cbranch_vccnz .LBB351_17
; %bb.11:
	s_andn2_b64 vcc, exec, s[4:5]
	s_cbranch_vccnz .LBB351_16
; %bb.12:
	v_mad_i64_i32 v[2:3], s[16:17], s20, v0, 0
	s_ashr_i32 s21, s20, 31
	s_lshl_b64 s[16:17], s[18:19], 4
	s_waitcnt lgkmcnt(0)
	s_add_u32 s16, s2, s16
	s_addc_u32 s17, s3, s17
	v_lshl_add_u64 v[2:3], v[2:3], 4, s[16:17]
	v_lshl_add_u64 v[6:7], v[2:3], 0, 8
	s_lshl_b64 s[16:17], s[20:21], 12
	s_mov_b32 s21, 0
	v_mov_b32_e32 v2, 0
	s_branch .LBB351_14
.LBB351_13:                             ;   in Loop: Header=BB351_14 Depth=1
	s_or_b64 exec, exec, s[26:27]
	s_addk_i32 s21, 0x100
	s_cmp_ge_i32 s21, s7
	v_lshl_add_u64 v[6:7], v[6:7], 0, s[16:17]
	s_cbranch_scc1 .LBB351_16
.LBB351_14:                             ; =>This Inner Loop Header: Depth=1
	v_add_u32_e32 v1, s21, v0
	v_cmp_gt_i32_e32 vcc, s7, v1
	s_and_saveexec_b64 s[26:27], vcc
	s_cbranch_execz .LBB351_13
; %bb.15:                               ;   in Loop: Header=BB351_14 Depth=1
	v_mov_b32_e32 v3, v2
	v_mov_b32_e32 v4, v2
	;; [unrolled: 1-line block ×3, first 2 shown]
	global_store_dwordx4 v[6:7], v[2:5], off offset:-8
	s_branch .LBB351_13
.LBB351_16:
	s_mov_b64 s[16:17], 0
.LBB351_17:
	s_andn2_b64 vcc, exec, s[16:17]
	s_cbranch_vccnz .LBB351_23
; %bb.18:
	s_andn2_b64 vcc, exec, s[4:5]
	s_cbranch_vccnz .LBB351_23
; %bb.19:
	v_mad_i64_i32 v[2:3], s[4:5], s20, v0, 0
	s_ashr_i32 s21, s20, 31
	s_lshl_b64 s[4:5], s[18:19], 4
	s_waitcnt lgkmcnt(0)
	s_add_u32 s4, s2, s4
	s_addc_u32 s5, s3, s5
	v_lshl_add_u64 v[2:3], v[2:3], 4, s[4:5]
	v_lshl_add_u64 v[2:3], v[2:3], 0, 8
	s_lshl_b64 s[4:5], s[20:21], 12
	s_mov_b32 s21, 0
	s_branch .LBB351_21
.LBB351_20:                             ;   in Loop: Header=BB351_21 Depth=1
	s_or_b64 exec, exec, s[16:17]
	s_addk_i32 s21, 0x100
	s_cmp_ge_i32 s21, s7
	v_lshl_add_u64 v[2:3], v[2:3], 0, s[4:5]
	s_cbranch_scc1 .LBB351_23
.LBB351_21:                             ; =>This Inner Loop Header: Depth=1
	v_add_u32_e32 v1, s21, v0
	v_cmp_gt_i32_e32 vcc, s7, v1
	s_and_saveexec_b64 s[16:17], vcc
	s_cbranch_execz .LBB351_20
; %bb.22:                               ;   in Loop: Header=BB351_21 Depth=1
	global_load_dwordx4 v[4:7], v[2:3], off offset:-8
	s_waitcnt vmcnt(0)
	v_mul_f64 v[10:11], s[10:11], v[6:7]
	v_mul_f64 v[8:9], s[8:9], v[6:7]
	v_fma_f64 v[6:7], s[8:9], v[4:5], -v[10:11]
	v_fmac_f64_e32 v[8:9], s[10:11], v[4:5]
	global_store_dwordx4 v[2:3], v[6:9], off offset:-8
	s_branch .LBB351_20
.LBB351_23:
	s_mov_b64 s[4:5], 0
.LBB351_24:
	s_andn2_b64 vcc, exec, s[4:5]
	s_cbranch_vccnz .LBB351_42
; %bb.25:
	v_cmp_gt_i32_e32 vcc, s6, v0
	s_and_saveexec_b64 s[4:5], vcc
	s_cbranch_execz .LBB351_27
; %bb.26:
	s_load_dword s16, s[0:1], 0x50
	v_lshlrev_b32_e32 v1, 4, v0
	s_waitcnt lgkmcnt(0)
	v_mad_i64_i32 v[2:3], s[16:17], s16, v0, 0
	v_lshl_add_u64 v[2:3], v[2:3], 4, s[24:25]
	flat_load_dwordx4 v[2:5], v[2:3]
	s_waitcnt vmcnt(0) lgkmcnt(0)
	v_mul_f64 v[8:9], s[14:15], v[4:5]
	v_mul_f64 v[6:7], s[12:13], v[4:5]
	v_fma_f64 v[4:5], s[12:13], v[2:3], -v[8:9]
	v_fmac_f64_e32 v[6:7], s[14:15], v[2:3]
	ds_write_b128 v1, v[4:7]
.LBB351_27:
	s_or_b64 exec, exec, s[4:5]
	s_cmp_lt_i32 s7, 1
	s_waitcnt lgkmcnt(0)
	s_barrier
	s_cbranch_scc1 .LBB351_42
; %bb.28:
	s_load_dword s0, s[0:1], 0x30
	s_lshl_b64 s[4:5], s[18:19], 4
	s_add_u32 s12, s2, s4
	s_addc_u32 s13, s3, s5
	v_cmp_neq_f64_e64 s[2:3], s[8:9], 0
	v_cmp_neq_f64_e64 s[4:5], s[10:11], 0
	s_ashr_i32 s21, s20, 31
	s_waitcnt lgkmcnt(0)
	s_ashr_i32 s1, s0, 31
	s_or_b64 s[2:3], s[2:3], s[4:5]
	s_cmp_gt_i32 s6, 0
	s_cselect_b64 s[4:5], -1, 0
	s_and_b32 s28, s6, 7
	s_cmp_gt_u32 s6, 7
	s_cselect_b64 s[24:25], -1, 0
	s_and_b32 s6, s6, 0x7ffffff8
	s_cmp_lg_u32 s28, 0
	v_mad_i64_i32 v[2:3], s[18:19], s0, v0, 0
	v_cndmask_b32_e64 v1, 0, 1, s[2:3]
	s_cselect_b64 s[16:17], -1, 0
	s_lshl_b64 s[18:19], s[0:1], 12
	v_cmp_ne_u32_e64 s[0:1], 1, v1
	v_cndmask_b32_e64 v1, 0, 1, s[4:5]
	v_cmp_ne_u32_e64 s[2:3], 1, v1
	v_cndmask_b32_e64 v1, 0, 1, s[24:25]
	s_mov_b32 s15, 0
	v_lshl_add_u64 v[6:7], v[2:3], 4, s[22:23]
	v_cmp_ne_u32_e64 s[4:5], 1, v1
	s_mov_b64 s[22:23], 0x80
	s_mov_b32 s29, 0
	s_branch .LBB351_31
.LBB351_29:                             ;   in Loop: Header=BB351_31 Depth=1
	global_store_dwordx4 v[8:9], v[2:5], off
.LBB351_30:                             ;   in Loop: Header=BB351_31 Depth=1
	s_or_b64 exec, exec, s[24:25]
	s_addk_i32 s29, 0x100
	s_cmp_ge_i32 s29, s7
	v_lshl_add_u64 v[6:7], v[6:7], 0, s[18:19]
	s_cbranch_scc1 .LBB351_42
.LBB351_31:                             ; =>This Loop Header: Depth=1
                                        ;     Child Loop BB351_37 Depth 2
                                        ;     Child Loop BB351_41 Depth 2
	v_add_u32_e32 v1, s29, v0
	v_cmp_gt_i32_e32 vcc, s7, v1
	s_and_saveexec_b64 s[24:25], vcc
	s_cbranch_execz .LBB351_30
; %bb.32:                               ;   in Loop: Header=BB351_31 Depth=1
	v_mad_u64_u32 v[4:5], s[26:27], v1, s20, 0
	v_mov_b32_e32 v2, v5
	v_mad_u64_u32 v[2:3], s[26:27], v1, s21, v[2:3]
	v_mov_b32_e32 v5, v2
	v_mov_b64_e32 v[2:3], 0
	s_and_b64 vcc, exec, s[0:1]
	v_lshl_add_u64 v[8:9], v[4:5], 4, s[12:13]
	v_mov_b64_e32 v[4:5], v[2:3]
	s_cbranch_vccnz .LBB351_34
; %bb.33:                               ;   in Loop: Header=BB351_31 Depth=1
	global_load_dwordx4 v[10:13], v[8:9], off
	s_waitcnt vmcnt(0)
	v_mul_f64 v[2:3], s[10:11], v[12:13]
	v_mul_f64 v[4:5], s[8:9], v[12:13]
	v_fma_f64 v[2:3], s[8:9], v[10:11], -v[2:3]
	v_fmac_f64_e32 v[4:5], s[10:11], v[10:11]
.LBB351_34:                             ;   in Loop: Header=BB351_31 Depth=1
	s_and_b64 vcc, exec, s[2:3]
	s_cbranch_vccnz .LBB351_29
; %bb.35:                               ;   in Loop: Header=BB351_31 Depth=1
	s_mov_b32 s14, 0
	s_and_b64 vcc, exec, s[4:5]
	s_cbranch_vccnz .LBB351_39
; %bb.36:                               ;   in Loop: Header=BB351_31 Depth=1
	s_mov_b32 s26, 0
	v_mov_b64_e32 v[10:11], v[6:7]
.LBB351_37:                             ;   Parent Loop BB351_31 Depth=1
                                        ; =>  This Inner Loop Header: Depth=2
	flat_load_dwordx4 v[12:15], v[10:11]
	flat_load_dwordx4 v[16:19], v[10:11] offset:16
	flat_load_dwordx4 v[20:23], v[10:11] offset:32
	;; [unrolled: 1-line block ×7, first 2 shown]
	v_mov_b32_e32 v1, s14
	ds_read_b128 v[44:47], v1
	ds_read_b128 v[48:51], v1 offset:16
	s_add_i32 s26, s26, 8
	s_addk_i32 s14, 0x80
	v_lshl_add_u64 v[10:11], v[10:11], 0, s[22:23]
	s_cmp_eq_u32 s6, s26
	s_waitcnt vmcnt(0) lgkmcnt(0)
	v_mul_f64 v[52:53], v[14:15], v[46:47]
	v_mul_f64 v[46:47], v[12:13], v[46:47]
	v_fma_f64 v[52:53], v[12:13], v[44:45], -v[52:53]
	v_fmac_f64_e32 v[46:47], v[14:15], v[44:45]
	ds_read_b128 v[12:15], v1 offset:32
	v_mul_f64 v[44:45], v[18:19], v[50:51]
	v_mul_f64 v[50:51], v[16:17], v[50:51]
	v_fma_f64 v[44:45], v[16:17], v[48:49], -v[44:45]
	v_fmac_f64_e32 v[50:51], v[18:19], v[48:49]
	ds_read_b128 v[16:19], v1 offset:48
	s_waitcnt lgkmcnt(1)
	v_mul_f64 v[48:49], v[22:23], v[14:15]
	v_mul_f64 v[54:55], v[20:21], v[14:15]
	v_fma_f64 v[20:21], v[20:21], v[12:13], -v[48:49]
	v_fmac_f64_e32 v[54:55], v[22:23], v[12:13]
	ds_read_b128 v[12:15], v1 offset:64
	s_waitcnt lgkmcnt(1)
	;; [unrolled: 6-line block ×4, first 2 shown]
	v_mul_f64 v[28:29], v[34:35], v[18:19]
	v_mul_f64 v[30:31], v[32:33], v[18:19]
	v_fma_f64 v[28:29], v[32:33], v[16:17], -v[28:29]
	v_fmac_f64_e32 v[30:31], v[34:35], v[16:17]
	ds_read_b128 v[16:19], v1 offset:112
	v_add_f64 v[2:3], v[2:3], v[52:53]
	v_add_f64 v[4:5], v[4:5], v[46:47]
	;; [unrolled: 1-line block ×8, first 2 shown]
	s_waitcnt lgkmcnt(1)
	v_mul_f64 v[32:33], v[38:39], v[14:15]
	v_mul_f64 v[14:15], v[36:37], v[14:15]
	v_add_f64 v[2:3], v[2:3], v[24:25]
	v_add_f64 v[4:5], v[4:5], v[26:27]
	s_waitcnt lgkmcnt(0)
	v_mul_f64 v[34:35], v[42:43], v[18:19]
	v_fma_f64 v[32:33], v[36:37], v[12:13], -v[32:33]
	v_fmac_f64_e32 v[14:15], v[38:39], v[12:13]
	v_mul_f64 v[12:13], v[40:41], v[18:19]
	v_add_f64 v[2:3], v[2:3], v[28:29]
	v_add_f64 v[4:5], v[4:5], v[30:31]
	v_fma_f64 v[18:19], v[40:41], v[16:17], -v[34:35]
	v_fmac_f64_e32 v[12:13], v[42:43], v[16:17]
	v_add_f64 v[2:3], v[2:3], v[32:33]
	v_add_f64 v[4:5], v[4:5], v[14:15]
	;; [unrolled: 1-line block ×4, first 2 shown]
	s_cbranch_scc0 .LBB351_37
; %bb.38:                               ;   in Loop: Header=BB351_31 Depth=1
	s_mov_b32 s14, s6
.LBB351_39:                             ;   in Loop: Header=BB351_31 Depth=1
	s_andn2_b64 vcc, exec, s[16:17]
	s_cbranch_vccnz .LBB351_29
; %bb.40:                               ;   in Loop: Header=BB351_31 Depth=1
	s_lshl_b32 s30, s14, 4
	s_lshl_b64 s[26:27], s[14:15], 4
	s_mov_b32 s14, s28
.LBB351_41:                             ;   Parent Loop BB351_31 Depth=1
                                        ; =>  This Inner Loop Header: Depth=2
	v_lshl_add_u64 v[10:11], v[6:7], 0, s[26:27]
	flat_load_dwordx4 v[10:13], v[10:11]
	v_mov_b32_e32 v1, s30
	ds_read_b128 v[14:17], v1
	s_add_i32 s30, s30, 16
	s_add_u32 s26, s26, 16
	s_addc_u32 s27, s27, 0
	s_add_i32 s14, s14, -1
	s_cmp_lg_u32 s14, 0
	s_waitcnt vmcnt(0) lgkmcnt(0)
	v_mul_f64 v[18:19], v[12:13], v[16:17]
	v_mul_f64 v[16:17], v[10:11], v[16:17]
	v_fma_f64 v[10:11], v[10:11], v[14:15], -v[18:19]
	v_fmac_f64_e32 v[16:17], v[12:13], v[14:15]
	v_add_f64 v[2:3], v[2:3], v[10:11]
	v_add_f64 v[4:5], v[4:5], v[16:17]
	s_cbranch_scc1 .LBB351_41
	s_branch .LBB351_29
.LBB351_42:
	s_endpgm
	.section	.rodata,"a",@progbits
	.p2align	6, 0x0
	.amdhsa_kernel _ZL22rocblas_gemvtsm_kernelILb0ELi256EPK19rocblas_complex_numIdES1_KPS1_EviiT2_lPKT1_lilS9_lilS6_lPT3_lil
		.amdhsa_group_segment_fixed_size 1024
		.amdhsa_private_segment_fixed_size 0
		.amdhsa_kernarg_size 152
		.amdhsa_user_sgpr_count 2
		.amdhsa_user_sgpr_dispatch_ptr 0
		.amdhsa_user_sgpr_queue_ptr 0
		.amdhsa_user_sgpr_kernarg_segment_ptr 1
		.amdhsa_user_sgpr_dispatch_id 0
		.amdhsa_user_sgpr_kernarg_preload_length 0
		.amdhsa_user_sgpr_kernarg_preload_offset 0
		.amdhsa_user_sgpr_private_segment_size 0
		.amdhsa_uses_dynamic_stack 0
		.amdhsa_enable_private_segment 0
		.amdhsa_system_sgpr_workgroup_id_x 1
		.amdhsa_system_sgpr_workgroup_id_y 0
		.amdhsa_system_sgpr_workgroup_id_z 0
		.amdhsa_system_sgpr_workgroup_info 0
		.amdhsa_system_vgpr_workitem_id 0
		.amdhsa_next_free_vgpr 56
		.amdhsa_next_free_sgpr 31
		.amdhsa_accum_offset 56
		.amdhsa_reserve_vcc 1
		.amdhsa_float_round_mode_32 0
		.amdhsa_float_round_mode_16_64 0
		.amdhsa_float_denorm_mode_32 3
		.amdhsa_float_denorm_mode_16_64 3
		.amdhsa_dx10_clamp 1
		.amdhsa_ieee_mode 1
		.amdhsa_fp16_overflow 0
		.amdhsa_tg_split 0
		.amdhsa_exception_fp_ieee_invalid_op 0
		.amdhsa_exception_fp_denorm_src 0
		.amdhsa_exception_fp_ieee_div_zero 0
		.amdhsa_exception_fp_ieee_overflow 0
		.amdhsa_exception_fp_ieee_underflow 0
		.amdhsa_exception_fp_ieee_inexact 0
		.amdhsa_exception_int_div_zero 0
	.end_amdhsa_kernel
	.section	.text._ZL22rocblas_gemvtsm_kernelILb0ELi256EPK19rocblas_complex_numIdES1_KPS1_EviiT2_lPKT1_lilS9_lilS6_lPT3_lil,"axG",@progbits,_ZL22rocblas_gemvtsm_kernelILb0ELi256EPK19rocblas_complex_numIdES1_KPS1_EviiT2_lPKT1_lilS9_lilS6_lPT3_lil,comdat
.Lfunc_end351:
	.size	_ZL22rocblas_gemvtsm_kernelILb0ELi256EPK19rocblas_complex_numIdES1_KPS1_EviiT2_lPKT1_lilS9_lilS6_lPT3_lil, .Lfunc_end351-_ZL22rocblas_gemvtsm_kernelILb0ELi256EPK19rocblas_complex_numIdES1_KPS1_EviiT2_lPKT1_lilS9_lilS6_lPT3_lil
                                        ; -- End function
	.section	.AMDGPU.csdata,"",@progbits
; Kernel info:
; codeLenInByte = 1768
; NumSgprs: 37
; NumVgprs: 56
; NumAgprs: 0
; TotalNumVgprs: 56
; ScratchSize: 0
; MemoryBound: 0
; FloatMode: 240
; IeeeMode: 1
; LDSByteSize: 1024 bytes/workgroup (compile time only)
; SGPRBlocks: 4
; VGPRBlocks: 6
; NumSGPRsForWavesPerEU: 37
; NumVGPRsForWavesPerEU: 56
; AccumOffset: 56
; Occupancy: 8
; WaveLimiterHint : 1
; COMPUTE_PGM_RSRC2:SCRATCH_EN: 0
; COMPUTE_PGM_RSRC2:USER_SGPR: 2
; COMPUTE_PGM_RSRC2:TRAP_HANDLER: 0
; COMPUTE_PGM_RSRC2:TGID_X_EN: 1
; COMPUTE_PGM_RSRC2:TGID_Y_EN: 0
; COMPUTE_PGM_RSRC2:TGID_Z_EN: 0
; COMPUTE_PGM_RSRC2:TIDIG_COMP_CNT: 0
; COMPUTE_PGM_RSRC3_GFX90A:ACCUM_OFFSET: 13
; COMPUTE_PGM_RSRC3_GFX90A:TG_SPLIT: 0
	.section	.text._ZL23rocblas_gemvt_sn_kernelILb0ELi256ELi4EiPK19rocblas_complex_numIdES3_S1_EviiT4_lPKT3_lilS7_lilPT5_i,"axG",@progbits,_ZL23rocblas_gemvt_sn_kernelILb0ELi256ELi4EiPK19rocblas_complex_numIdES3_S1_EviiT4_lPKT3_lilS7_lilPT5_i,comdat
	.globl	_ZL23rocblas_gemvt_sn_kernelILb0ELi256ELi4EiPK19rocblas_complex_numIdES3_S1_EviiT4_lPKT3_lilS7_lilPT5_i ; -- Begin function _ZL23rocblas_gemvt_sn_kernelILb0ELi256ELi4EiPK19rocblas_complex_numIdES3_S1_EviiT4_lPKT3_lilS7_lilPT5_i
	.p2align	8
	.type	_ZL23rocblas_gemvt_sn_kernelILb0ELi256ELi4EiPK19rocblas_complex_numIdES3_S1_EviiT4_lPKT3_lilS7_lilPT5_i,@function
_ZL23rocblas_gemvt_sn_kernelILb0ELi256ELi4EiPK19rocblas_complex_numIdES3_S1_EviiT4_lPKT3_lilS7_lilPT5_i: ; @_ZL23rocblas_gemvt_sn_kernelILb0ELi256ELi4EiPK19rocblas_complex_numIdES3_S1_EviiT4_lPKT3_lilS7_lilPT5_i
; %bb.0:
	s_load_dwordx8 s[4:11], s[0:1], 0x8
	s_mov_b32 s12, s3
	s_mov_b32 s13, 0
	s_mov_b64 s[14:15], 0
	s_waitcnt lgkmcnt(0)
	s_mul_i32 s3, s3, s7
	s_mul_hi_u32 s7, s12, s6
	s_add_i32 s7, s7, s3
	s_mul_i32 s6, s12, s6
	s_lshl_b64 s[6:7], s[6:7], 4
	s_add_u32 s4, s4, s6
	s_addc_u32 s5, s5, s7
	s_load_dwordx4 s[16:19], s[4:5], 0x0
	s_waitcnt lgkmcnt(0)
	v_cmp_neq_f64_e64 s[4:5], s[16:17], 0
	v_cmp_neq_f64_e64 s[6:7], s[18:19], 0
	s_or_b64 s[20:21], s[4:5], s[6:7]
	s_xor_b64 s[4:5], s[20:21], -1
	s_and_b64 vcc, exec, s[4:5]
	s_mov_b64 s[6:7], 0
	s_cbranch_vccnz .LBB352_2
; %bb.1:
	s_lshl_b64 s[6:7], s[12:13], 3
	s_add_u32 s6, s8, s6
	s_addc_u32 s7, s9, s7
	s_load_dwordx2 s[6:7], s[6:7], 0x0
	s_lshl_b64 s[8:9], s[10:11], 4
	s_waitcnt lgkmcnt(0)
	s_add_u32 s6, s6, s8
	s_addc_u32 s7, s7, s9
.LBB352_2:
	s_andn2_b64 vcc, exec, s[20:21]
	s_cbranch_vccnz .LBB352_4
; %bb.3:
	s_load_dwordx4 s[8:11], s[0:1], 0x38
	s_lshl_b64 s[14:15], s[12:13], 3
	s_waitcnt lgkmcnt(0)
	s_add_u32 s8, s8, s14
	s_addc_u32 s9, s9, s15
	s_load_dwordx2 s[8:9], s[8:9], 0x0
	s_lshl_b64 s[10:11], s[10:11], 4
	s_waitcnt lgkmcnt(0)
	s_add_u32 s14, s8, s10
	s_addc_u32 s15, s9, s11
.LBB352_4:
	s_load_dwordx2 s[20:21], s[0:1], 0x0
	s_load_dwordx2 s[8:9], s[0:1], 0x58
	s_load_dword s22, s[0:1], 0x68
	s_mov_b32 s23, 0
	s_andn2_b64 vcc, exec, s[4:5]
	s_waitcnt lgkmcnt(0)
	s_ashr_i32 s26, s21, 31
	s_mul_hi_u32 s3, s21, s12
	s_mul_i32 s10, s26, s12
	s_add_i32 s3, s3, s10
	s_mul_i32 s10, s21, s12
	s_mul_i32 s3, s3, s22
	s_mul_hi_u32 s11, s10, s22
	s_add_i32 s11, s11, s3
	s_mul_i32 s10, s10, s22
	s_mov_b64 s[12:13], -1
	v_cmp_eq_u32_e64 s[4:5], 0, v0
	s_cbranch_vccnz .LBB352_9
; %bb.5:
	s_cmp_gt_i32 s21, 0
	s_cselect_b64 s[12:13], -1, 0
	s_and_b64 s[12:13], s[4:5], s[12:13]
	s_and_saveexec_b64 s[4:5], s[12:13]
	s_cbranch_execz .LBB352_8
; %bb.6:
	s_mov_b32 s3, 0
	s_lshl_b64 s[12:13], s[10:11], 4
	s_lshl_b64 s[24:25], s[2:3], 4
	s_add_u32 s3, s12, s24
	s_addc_u32 s12, s13, s25
	s_add_u32 s3, s3, s8
	s_addc_u32 s13, s12, s9
	s_add_u32 s12, s3, 8
	v_mov_b32_e32 v2, 0
	s_addc_u32 s13, s13, 0
	s_lshl_b64 s[24:25], s[22:23], 4
	v_mov_b32_e32 v3, v2
	v_mov_b32_e32 v4, v2
	;; [unrolled: 1-line block ×3, first 2 shown]
	s_mov_b32 s3, s21
.LBB352_7:                              ; =>This Inner Loop Header: Depth=1
	s_add_i32 s3, s3, -1
	global_store_dwordx4 v2, v[2:5], s[12:13] offset:-8
	s_add_u32 s12, s12, s24
	s_addc_u32 s13, s13, s25
	s_cmp_eq_u32 s3, 0
	s_cbranch_scc0 .LBB352_7
.LBB352_8:
	s_or_b64 exec, exec, s[4:5]
	s_mov_b64 s[12:13], 0
.LBB352_9:
	s_andn2_b64 vcc, exec, s[12:13]
	s_cbranch_vccnz .LBB352_80
; %bb.10:
	s_lshl_b64 s[4:5], s[10:11], 4
	s_add_u32 s44, s8, s4
	s_addc_u32 s45, s9, s5
	s_load_dword s23, s[0:1], 0x28
	s_load_dword s33, s[0:1], 0x48
	s_lshl_b32 s0, s2, 10
	v_lshl_or_b32 v2, v0, 2, s0
	s_lshr_b32 s0, s26, 30
	s_add_i32 s0, s21, s0
	s_and_b32 s3, s0, -4
	s_ashr_i32 s0, s20, 31
	s_lshr_b32 s0, s0, 30
	s_add_i32 s0, s20, s0
	s_and_b32 s0, s0, -4
	v_ashrrev_i32_e32 v3, 31, v2
	s_sub_i32 s42, s20, s0
	v_lshl_add_u64 v[22:23], v[2:3], 4, s[6:7]
	s_cmp_lt_i32 s3, 1
	v_add_u32_e32 v41, 4, v2
	v_add_u32_e32 v42, s42, v2
	v_and_b32_e32 v1, 63, v0
	v_cmp_gt_u32_e64 s[0:1], 64, v0
	v_mbcnt_lo_u32_b32 v40, -1, 0
	v_cmp_gt_u32_e64 s[4:5], 4, v0
	v_lshrrev_b32_e32 v25, 2, v0
	s_waitcnt lgkmcnt(0)
	v_mul_lo_u32 v24, v2, s33
	s_cbranch_scc1 .LBB352_57
; %bb.11:
	v_mbcnt_hi_u32_b32 v3, -1, v40
	v_and_b32_e32 v4, 63, v3
	v_cmp_gt_u32_e32 vcc, 32, v4
	v_mul_lo_u32 v26, v2, s33
	v_add_u32_e32 v2, s33, v26
	v_cndmask_b32_e64 v5, 0, 1, vcc
	v_lshlrev_b32_e32 v5, 5, v5
	v_cmp_gt_u32_e32 vcc, 48, v4
	v_add_lshl_u32 v43, v5, v3, 2
	s_mov_b32 s25, 0
	v_cndmask_b32_e64 v5, 0, 1, vcc
	v_lshlrev_b32_e32 v5, 4, v5
	v_cmp_gt_u32_e32 vcc, 56, v4
	v_add_lshl_u32 v44, v5, v3, 2
	s_cmp_gt_i32 s42, 0
	v_cndmask_b32_e64 v5, 0, 1, vcc
	v_lshlrev_b32_e32 v5, 3, v5
	v_cmp_gt_u32_e32 vcc, 60, v4
	v_add_lshl_u32 v45, v5, v3, 2
	v_ashrrev_i32_e32 v27, 31, v26
	v_cndmask_b32_e64 v5, 0, 1, vcc
	v_lshlrev_b32_e32 v5, 2, v5
	v_cmp_gt_u32_e32 vcc, 62, v4
	v_add_lshl_u32 v46, v5, v3, 2
	v_cmp_ge_i32_e64 s[6:7], s20, v41
	v_cndmask_b32_e64 v5, 0, 1, vcc
	v_lshlrev_b32_e32 v5, 1, v5
	v_cmp_ne_u32_e32 vcc, 63, v4
	v_add_lshl_u32 v47, v5, v3, 2
	v_mov_b32_e32 v4, 0
	v_addc_co_u32_e32 v3, vcc, 0, v3, vcc
	v_lshlrev_b32_e32 v48, 2, v3
	v_ashrrev_i32_e32 v3, 31, v2
	v_lshl_add_u64 v[30:31], v[2:3], 4, s[14:15]
	v_add_u32_e32 v2, s33, v2
	v_ashrrev_i32_e32 v3, 31, v2
	v_lshl_add_u64 v[32:33], v[2:3], 4, s[14:15]
	v_add_u32_e32 v2, s33, v2
	v_ashrrev_i32_e32 v3, 31, v2
	v_cmp_ge_i32_e64 s[8:9], s20, v42
	s_cselect_b64 s[26:27], -1, 0
	v_cmp_eq_u32_e64 s[10:11], 0, v1
	v_lshlrev_b32_e32 v49, 4, v1
	v_and_b32_e32 v50, 48, v25
	v_cmp_eq_u32_e64 s[12:13], 0, v0
	v_lshl_add_u64 v[28:29], v[26:27], 4, s[14:15]
	v_add_u32_e32 v27, 16, v4
	v_add_u32_e32 v51, 32, v4
	v_lshl_add_u64 v[34:35], v[2:3], 4, s[14:15]
	v_add_u32_e32 v52, 48, v4
	s_lshl_b32 s46, s23, 2
	s_lshl_b32 s47, s23, 1
	s_mul_i32 s48, s23, 3
	v_mov_b32_e32 v2, 0
	s_mov_b32 s28, s25
	s_mov_b32 s49, s23
	;; [unrolled: 1-line block ×3, first 2 shown]
	s_branch .LBB352_13
.LBB352_12:                             ;   in Loop: Header=BB352_13 Depth=1
	s_or_b64 exec, exec, s[30:31]
	s_add_i32 s43, s43, 4
	s_add_i32 s49, s49, s46
	;; [unrolled: 1-line block ×5, first 2 shown]
	s_cmp_ge_i32 s43, s3
	s_cbranch_scc1 .LBB352_58
.LBB352_13:                             ; =>This Loop Header: Depth=1
                                        ;     Child Loop BB352_44 Depth 2
                                        ;     Child Loop BB352_46 Depth 2
                                        ; implicit-def: $vgpr18_vgpr19
                                        ; implicit-def: $vgpr20_vgpr21
                                        ; implicit-def: $vgpr14_vgpr15
                                        ; implicit-def: $vgpr16_vgpr17
                                        ; implicit-def: $vgpr10_vgpr11
                                        ; implicit-def: $vgpr12_vgpr13
                                        ; implicit-def: $vgpr36_vgpr37
                                        ; implicit-def: $vgpr8_vgpr9
	s_and_saveexec_b64 s[30:31], s[6:7]
	s_xor_b64 s[30:31], exec, s[30:31]
	s_cbranch_execnz .LBB352_40
; %bb.14:                               ;   in Loop: Header=BB352_13 Depth=1
	s_andn2_saveexec_b64 s[30:31], s[30:31]
	s_cbranch_execnz .LBB352_41
.LBB352_15:                             ;   in Loop: Header=BB352_13 Depth=1
	s_or_b64 exec, exec, s[30:31]
	s_and_saveexec_b64 s[30:31], s[0:1]
	s_cbranch_execz .LBB352_17
.LBB352_16:                             ;   in Loop: Header=BB352_13 Depth=1
	v_mov_b32_e32 v3, v2
	v_mov_b32_e32 v4, v2
	;; [unrolled: 1-line block ×3, first 2 shown]
	ds_write_b128 v49, v[2:5]
.LBB352_17:                             ;   in Loop: Header=BB352_13 Depth=1
	s_or_b64 exec, exec, s[30:31]
	ds_bpermute_b32 v4, v43, v36
	ds_bpermute_b32 v5, v43, v37
	;; [unrolled: 1-line block ×4, first 2 shown]
	s_waitcnt lgkmcnt(0)
	s_barrier
	v_add_f64 v[4:5], v[36:37], v[4:5]
	v_add_f64 v[6:7], v[8:9], v[6:7]
	ds_bpermute_b32 v8, v44, v4
	ds_bpermute_b32 v9, v44, v5
	;; [unrolled: 1-line block ×4, first 2 shown]
	s_waitcnt lgkmcnt(2)
	v_add_f64 v[4:5], v[4:5], v[8:9]
	ds_bpermute_b32 v8, v45, v4
	s_waitcnt lgkmcnt(1)
	v_add_f64 v[6:7], v[6:7], v[36:37]
	ds_bpermute_b32 v9, v45, v5
	ds_bpermute_b32 v36, v45, v6
	ds_bpermute_b32 v37, v45, v7
	s_waitcnt lgkmcnt(2)
	v_add_f64 v[4:5], v[4:5], v[8:9]
	ds_bpermute_b32 v8, v46, v4
	s_waitcnt lgkmcnt(1)
	v_add_f64 v[6:7], v[6:7], v[36:37]
	ds_bpermute_b32 v9, v46, v5
	ds_bpermute_b32 v36, v46, v6
	ds_bpermute_b32 v37, v46, v7
	;; [unrolled: 8-line block ×3, first 2 shown]
	s_waitcnt lgkmcnt(2)
	v_add_f64 v[4:5], v[4:5], v[8:9]
	s_waitcnt lgkmcnt(0)
	v_add_f64 v[8:9], v[6:7], v[36:37]
	ds_bpermute_b32 v6, v48, v4
	ds_bpermute_b32 v7, v48, v5
	;; [unrolled: 1-line block ×4, first 2 shown]
	s_and_saveexec_b64 s[30:31], s[10:11]
	s_cbranch_execz .LBB352_19
; %bb.18:                               ;   in Loop: Header=BB352_13 Depth=1
	s_waitcnt lgkmcnt(0)
	v_add_f64 v[8:9], v[8:9], v[36:37]
	v_add_f64 v[6:7], v[4:5], v[6:7]
	ds_write_b128 v50, v[6:9]
.LBB352_19:                             ;   in Loop: Header=BB352_13 Depth=1
	s_or_b64 exec, exec, s[30:31]
	v_mov_b64_e32 v[8:9], 0
	s_waitcnt lgkmcnt(2)
	v_mov_b64_e32 v[6:7], v[8:9]
	s_waitcnt lgkmcnt(0)
	s_barrier
	s_and_saveexec_b64 s[30:31], s[4:5]
	s_cbranch_execnz .LBB352_48
; %bb.20:                               ;   in Loop: Header=BB352_13 Depth=1
	s_or_b64 exec, exec, s[30:31]
	s_and_saveexec_b64 s[30:31], s[0:1]
	s_cbranch_execnz .LBB352_49
.LBB352_21:                             ;   in Loop: Header=BB352_13 Depth=1
	s_or_b64 exec, exec, s[30:31]
	s_and_saveexec_b64 s[30:31], s[0:1]
	s_cbranch_execz .LBB352_23
.LBB352_22:                             ;   in Loop: Header=BB352_13 Depth=1
	v_mov_b32_e32 v3, v2
	v_mov_b32_e32 v4, v2
	;; [unrolled: 1-line block ×3, first 2 shown]
	ds_write_b128 v49, v[2:5]
.LBB352_23:                             ;   in Loop: Header=BB352_13 Depth=1
	s_or_b64 exec, exec, s[30:31]
	ds_bpermute_b32 v4, v43, v10
	ds_bpermute_b32 v5, v43, v11
	;; [unrolled: 1-line block ×4, first 2 shown]
	s_waitcnt lgkmcnt(0)
	s_barrier
	v_add_f64 v[4:5], v[10:11], v[4:5]
	v_add_f64 v[10:11], v[12:13], v[36:37]
	ds_bpermute_b32 v12, v44, v4
	ds_bpermute_b32 v13, v44, v5
	;; [unrolled: 1-line block ×4, first 2 shown]
	s_waitcnt lgkmcnt(2)
	v_add_f64 v[4:5], v[4:5], v[12:13]
	ds_bpermute_b32 v12, v45, v4
	s_waitcnt lgkmcnt(1)
	v_add_f64 v[10:11], v[10:11], v[36:37]
	ds_bpermute_b32 v13, v45, v5
	ds_bpermute_b32 v36, v45, v10
	ds_bpermute_b32 v37, v45, v11
	s_waitcnt lgkmcnt(2)
	v_add_f64 v[4:5], v[4:5], v[12:13]
	ds_bpermute_b32 v12, v46, v4
	s_waitcnt lgkmcnt(1)
	v_add_f64 v[10:11], v[10:11], v[36:37]
	ds_bpermute_b32 v13, v46, v5
	ds_bpermute_b32 v36, v46, v10
	ds_bpermute_b32 v37, v46, v11
	;; [unrolled: 8-line block ×3, first 2 shown]
	s_waitcnt lgkmcnt(2)
	v_add_f64 v[4:5], v[4:5], v[12:13]
	s_waitcnt lgkmcnt(0)
	v_add_f64 v[12:13], v[10:11], v[36:37]
	ds_bpermute_b32 v10, v48, v4
	ds_bpermute_b32 v11, v48, v5
	;; [unrolled: 1-line block ×4, first 2 shown]
	s_and_saveexec_b64 s[30:31], s[10:11]
	s_cbranch_execz .LBB352_25
; %bb.24:                               ;   in Loop: Header=BB352_13 Depth=1
	s_waitcnt lgkmcnt(0)
	v_add_f64 v[12:13], v[12:13], v[36:37]
	v_add_f64 v[10:11], v[4:5], v[10:11]
	ds_write_b128 v50, v[10:13]
.LBB352_25:                             ;   in Loop: Header=BB352_13 Depth=1
	s_or_b64 exec, exec, s[30:31]
	v_mov_b64_e32 v[12:13], 0
	s_waitcnt lgkmcnt(2)
	v_mov_b64_e32 v[10:11], v[12:13]
	s_waitcnt lgkmcnt(0)
	s_barrier
	s_and_saveexec_b64 s[30:31], s[4:5]
	s_cbranch_execnz .LBB352_50
; %bb.26:                               ;   in Loop: Header=BB352_13 Depth=1
	s_or_b64 exec, exec, s[30:31]
	s_and_saveexec_b64 s[30:31], s[0:1]
	s_cbranch_execnz .LBB352_51
.LBB352_27:                             ;   in Loop: Header=BB352_13 Depth=1
	s_or_b64 exec, exec, s[30:31]
	s_and_saveexec_b64 s[30:31], s[0:1]
	s_cbranch_execz .LBB352_29
.LBB352_28:                             ;   in Loop: Header=BB352_13 Depth=1
	v_mov_b32_e32 v3, v2
	v_mov_b32_e32 v4, v2
	;; [unrolled: 1-line block ×3, first 2 shown]
	ds_write_b128 v49, v[2:5]
.LBB352_29:                             ;   in Loop: Header=BB352_13 Depth=1
	s_or_b64 exec, exec, s[30:31]
	ds_bpermute_b32 v4, v43, v14
	ds_bpermute_b32 v5, v43, v15
	;; [unrolled: 1-line block ×4, first 2 shown]
	s_waitcnt lgkmcnt(0)
	s_barrier
	v_add_f64 v[4:5], v[14:15], v[4:5]
	v_add_f64 v[14:15], v[16:17], v[36:37]
	ds_bpermute_b32 v16, v44, v4
	ds_bpermute_b32 v17, v44, v5
	;; [unrolled: 1-line block ×4, first 2 shown]
	s_waitcnt lgkmcnt(2)
	v_add_f64 v[4:5], v[4:5], v[16:17]
	ds_bpermute_b32 v16, v45, v4
	s_waitcnt lgkmcnt(1)
	v_add_f64 v[14:15], v[14:15], v[36:37]
	ds_bpermute_b32 v17, v45, v5
	ds_bpermute_b32 v36, v45, v14
	ds_bpermute_b32 v37, v45, v15
	s_waitcnt lgkmcnt(2)
	v_add_f64 v[4:5], v[4:5], v[16:17]
	ds_bpermute_b32 v16, v46, v4
	s_waitcnt lgkmcnt(1)
	v_add_f64 v[14:15], v[14:15], v[36:37]
	ds_bpermute_b32 v17, v46, v5
	ds_bpermute_b32 v36, v46, v14
	ds_bpermute_b32 v37, v46, v15
	;; [unrolled: 8-line block ×3, first 2 shown]
	s_waitcnt lgkmcnt(2)
	v_add_f64 v[4:5], v[4:5], v[16:17]
	s_waitcnt lgkmcnt(0)
	v_add_f64 v[16:17], v[14:15], v[36:37]
	ds_bpermute_b32 v14, v48, v4
	ds_bpermute_b32 v15, v48, v5
	;; [unrolled: 1-line block ×4, first 2 shown]
	s_and_saveexec_b64 s[30:31], s[10:11]
	s_cbranch_execz .LBB352_31
; %bb.30:                               ;   in Loop: Header=BB352_13 Depth=1
	s_waitcnt lgkmcnt(0)
	v_add_f64 v[16:17], v[16:17], v[36:37]
	v_add_f64 v[14:15], v[4:5], v[14:15]
	ds_write_b128 v50, v[14:17]
.LBB352_31:                             ;   in Loop: Header=BB352_13 Depth=1
	s_or_b64 exec, exec, s[30:31]
	v_mov_b64_e32 v[16:17], 0
	s_waitcnt lgkmcnt(2)
	v_mov_b64_e32 v[14:15], v[16:17]
	s_waitcnt lgkmcnt(0)
	s_barrier
	s_and_saveexec_b64 s[30:31], s[4:5]
	s_cbranch_execnz .LBB352_52
; %bb.32:                               ;   in Loop: Header=BB352_13 Depth=1
	s_or_b64 exec, exec, s[30:31]
	s_and_saveexec_b64 s[30:31], s[0:1]
	s_cbranch_execnz .LBB352_53
.LBB352_33:                             ;   in Loop: Header=BB352_13 Depth=1
	s_or_b64 exec, exec, s[30:31]
	s_and_saveexec_b64 s[30:31], s[0:1]
	s_cbranch_execz .LBB352_35
.LBB352_34:                             ;   in Loop: Header=BB352_13 Depth=1
	v_mov_b32_e32 v3, v2
	v_mov_b32_e32 v4, v2
	;; [unrolled: 1-line block ×3, first 2 shown]
	ds_write_b128 v49, v[2:5]
.LBB352_35:                             ;   in Loop: Header=BB352_13 Depth=1
	s_or_b64 exec, exec, s[30:31]
	ds_bpermute_b32 v4, v43, v18
	ds_bpermute_b32 v5, v43, v19
	;; [unrolled: 1-line block ×4, first 2 shown]
	s_waitcnt lgkmcnt(0)
	s_barrier
	v_add_f64 v[4:5], v[18:19], v[4:5]
	v_add_f64 v[18:19], v[20:21], v[36:37]
	ds_bpermute_b32 v20, v44, v4
	ds_bpermute_b32 v21, v44, v5
	ds_bpermute_b32 v36, v44, v18
	ds_bpermute_b32 v37, v44, v19
	s_waitcnt lgkmcnt(2)
	v_add_f64 v[4:5], v[4:5], v[20:21]
	ds_bpermute_b32 v20, v45, v4
	s_waitcnt lgkmcnt(1)
	v_add_f64 v[18:19], v[18:19], v[36:37]
	ds_bpermute_b32 v21, v45, v5
	ds_bpermute_b32 v36, v45, v18
	ds_bpermute_b32 v37, v45, v19
	s_waitcnt lgkmcnt(2)
	v_add_f64 v[4:5], v[4:5], v[20:21]
	ds_bpermute_b32 v20, v46, v4
	s_waitcnt lgkmcnt(1)
	v_add_f64 v[18:19], v[18:19], v[36:37]
	ds_bpermute_b32 v21, v46, v5
	ds_bpermute_b32 v36, v46, v18
	ds_bpermute_b32 v37, v46, v19
	;; [unrolled: 8-line block ×3, first 2 shown]
	s_waitcnt lgkmcnt(2)
	v_add_f64 v[4:5], v[4:5], v[20:21]
	s_waitcnt lgkmcnt(0)
	v_add_f64 v[20:21], v[18:19], v[36:37]
	ds_bpermute_b32 v18, v48, v4
	ds_bpermute_b32 v19, v48, v5
	;; [unrolled: 1-line block ×4, first 2 shown]
	s_and_saveexec_b64 s[30:31], s[10:11]
	s_cbranch_execz .LBB352_37
; %bb.36:                               ;   in Loop: Header=BB352_13 Depth=1
	s_waitcnt lgkmcnt(0)
	v_add_f64 v[20:21], v[20:21], v[36:37]
	v_add_f64 v[18:19], v[4:5], v[18:19]
	ds_write_b128 v50, v[18:21]
.LBB352_37:                             ;   in Loop: Header=BB352_13 Depth=1
	s_or_b64 exec, exec, s[30:31]
	v_mov_b64_e32 v[20:21], 0
	s_waitcnt lgkmcnt(2)
	v_mov_b64_e32 v[18:19], v[20:21]
	s_waitcnt lgkmcnt(0)
	s_barrier
	s_and_saveexec_b64 s[30:31], s[4:5]
	s_cbranch_execnz .LBB352_54
; %bb.38:                               ;   in Loop: Header=BB352_13 Depth=1
	s_or_b64 exec, exec, s[30:31]
	s_and_saveexec_b64 s[30:31], s[0:1]
	s_cbranch_execnz .LBB352_55
.LBB352_39:                             ;   in Loop: Header=BB352_13 Depth=1
	s_or_b64 exec, exec, s[30:31]
	s_and_saveexec_b64 s[30:31], s[12:13]
	s_cbranch_execz .LBB352_12
	s_branch .LBB352_56
.LBB352_40:                             ;   in Loop: Header=BB352_13 Depth=1
	flat_load_dwordx4 v[4:7], v[28:29]
	flat_load_dwordx4 v[8:11], v[30:31]
	s_mul_i32 s34, s43, s23
	s_ashr_i32 s35, s34, 31
	s_waitcnt vmcnt(0) lgkmcnt(0)
	scratch_store_dwordx4 off, v[4:7], off
	scratch_store_dwordx4 v27, v[8:11], off
	flat_load_dwordx4 v[8:11], v[32:33]
	s_waitcnt vmcnt(0) lgkmcnt(0)
	scratch_store_dwordx4 v51, v[8:11], off
	flat_load_dwordx4 v[8:11], v[34:35]
	s_waitcnt vmcnt(0) lgkmcnt(0)
	scratch_store_dwordx4 v52, v[8:11], off
	s_nop 1
	v_lshl_add_u64 v[8:9], s[34:35], 4, v[22:23]
	flat_load_dwordx4 v[10:13], v[8:9]
	s_add_i32 s34, s34, s23
	s_ashr_i32 s35, s34, 31
	s_waitcnt vmcnt(0) lgkmcnt(0)
	v_mul_f64 v[14:15], v[6:7], v[12:13]
	v_mul_f64 v[12:13], v[4:5], v[12:13]
	v_fma_f64 v[14:15], v[4:5], v[10:11], -v[14:15]
	v_fmac_f64_e32 v[12:13], v[6:7], v[10:11]
	v_lshl_add_u64 v[10:11], s[34:35], 4, v[22:23]
	v_add_f64 v[38:39], v[14:15], 0
	v_add_f64 v[58:59], v[12:13], 0
	flat_load_dwordx4 v[12:15], v[10:11]
	s_add_i32 s34, s34, s23
	s_ashr_i32 s35, s34, 31
	s_waitcnt vmcnt(0) lgkmcnt(0)
	v_mul_f64 v[16:17], v[6:7], v[14:15]
	v_mul_f64 v[14:15], v[4:5], v[14:15]
	v_fmac_f64_e32 v[14:15], v[6:7], v[12:13]
	v_fma_f64 v[16:17], v[4:5], v[12:13], -v[16:17]
	v_add_f64 v[62:63], v[14:15], 0
	v_lshl_add_u64 v[14:15], s[34:35], 4, v[22:23]
	v_add_f64 v[60:61], v[16:17], 0
	flat_load_dwordx4 v[16:19], v[14:15]
	s_add_i32 s34, s34, s23
	s_ashr_i32 s35, s34, 31
	s_waitcnt vmcnt(0) lgkmcnt(0)
	v_mul_f64 v[12:13], v[6:7], v[18:19]
	v_mul_f64 v[18:19], v[4:5], v[18:19]
	v_fmac_f64_e32 v[18:19], v[6:7], v[16:17]
	v_add_f64 v[36:37], v[18:19], 0
	v_lshl_add_u64 v[18:19], s[34:35], 4, v[22:23]
	flat_load_dwordx4 v[54:57], v[18:19]
	v_fma_f64 v[12:13], v[4:5], v[16:17], -v[12:13]
	v_add_f64 v[20:21], v[12:13], 0
	s_waitcnt vmcnt(0) lgkmcnt(0)
	v_mul_f64 v[12:13], v[6:7], v[56:57]
	v_fma_f64 v[12:13], v[4:5], v[54:55], -v[12:13]
	v_mul_f64 v[4:5], v[4:5], v[56:57]
	v_fmac_f64_e32 v[4:5], v[6:7], v[54:55]
	v_add_f64 v[16:17], v[4:5], 0
	scratch_load_dwordx4 v[4:7], off, off offset:16
	flat_load_dwordx4 v[54:57], v[8:9] offset:16
	v_add_f64 v[12:13], v[12:13], 0
	s_waitcnt vmcnt(0) lgkmcnt(0)
	v_mul_f64 v[64:65], v[6:7], v[56:57]
	v_mul_f64 v[56:57], v[4:5], v[56:57]
	v_fmac_f64_e32 v[56:57], v[6:7], v[54:55]
	v_fma_f64 v[64:65], v[4:5], v[54:55], -v[64:65]
	v_add_f64 v[58:59], v[58:59], v[56:57]
	flat_load_dwordx4 v[54:57], v[10:11] offset:16
	v_add_f64 v[64:65], v[38:39], v[64:65]
	s_waitcnt vmcnt(0) lgkmcnt(0)
	v_mul_f64 v[38:39], v[6:7], v[56:57]
	v_mul_f64 v[56:57], v[4:5], v[56:57]
	v_fmac_f64_e32 v[56:57], v[6:7], v[54:55]
	v_fma_f64 v[38:39], v[4:5], v[54:55], -v[38:39]
	v_add_f64 v[62:63], v[62:63], v[56:57]
	flat_load_dwordx4 v[54:57], v[14:15] offset:16
	v_add_f64 v[60:61], v[60:61], v[38:39]
	s_waitcnt vmcnt(0) lgkmcnt(0)
	v_mul_f64 v[38:39], v[6:7], v[56:57]
	v_mul_f64 v[56:57], v[4:5], v[56:57]
	v_fma_f64 v[38:39], v[4:5], v[54:55], -v[38:39]
	v_fmac_f64_e32 v[56:57], v[6:7], v[54:55]
	v_add_f64 v[20:21], v[20:21], v[38:39]
	v_add_f64 v[54:55], v[36:37], v[56:57]
	flat_load_dwordx4 v[36:39], v[18:19] offset:16
	s_waitcnt vmcnt(0) lgkmcnt(0)
	v_mul_f64 v[56:57], v[6:7], v[38:39]
	v_fma_f64 v[56:57], v[4:5], v[36:37], -v[56:57]
	v_mul_f64 v[4:5], v[4:5], v[38:39]
	v_fmac_f64_e32 v[4:5], v[6:7], v[36:37]
	v_add_f64 v[16:17], v[16:17], v[4:5]
	scratch_load_dwordx4 v[4:7], off, off offset:32
	flat_load_dwordx4 v[36:39], v[8:9] offset:32
	v_add_f64 v[12:13], v[12:13], v[56:57]
	s_waitcnt vmcnt(0) lgkmcnt(0)
	v_mul_f64 v[56:57], v[6:7], v[38:39]
	v_mul_f64 v[38:39], v[4:5], v[38:39]
	v_fmac_f64_e32 v[38:39], v[6:7], v[36:37]
	v_fma_f64 v[56:57], v[4:5], v[36:37], -v[56:57]
	v_add_f64 v[58:59], v[58:59], v[38:39]
	flat_load_dwordx4 v[36:39], v[10:11] offset:32
	v_add_f64 v[64:65], v[64:65], v[56:57]
	s_waitcnt vmcnt(0) lgkmcnt(0)
	v_mul_f64 v[56:57], v[6:7], v[38:39]
	v_mul_f64 v[38:39], v[4:5], v[38:39]
	v_fmac_f64_e32 v[38:39], v[6:7], v[36:37]
	v_fma_f64 v[56:57], v[4:5], v[36:37], -v[56:57]
	v_add_f64 v[62:63], v[62:63], v[38:39]
	;; [unrolled: 8-line block ×3, first 2 shown]
	flat_load_dwordx4 v[36:39], v[18:19] offset:32
	v_add_f64 v[66:67], v[20:21], v[56:57]
	s_waitcnt vmcnt(0) lgkmcnt(0)
	v_mul_f64 v[20:21], v[6:7], v[38:39]
	v_fma_f64 v[20:21], v[4:5], v[36:37], -v[20:21]
	v_mul_f64 v[4:5], v[4:5], v[38:39]
	v_fmac_f64_e32 v[4:5], v[6:7], v[36:37]
	v_add_f64 v[38:39], v[16:17], v[4:5]
	scratch_load_dwordx4 v[4:7], off, off offset:48
	flat_load_dwordx4 v[54:57], v[8:9] offset:48
	v_add_f64 v[20:21], v[12:13], v[20:21]
	s_waitcnt vmcnt(0) lgkmcnt(0)
	v_mul_f64 v[8:9], v[6:7], v[56:57]
	v_mul_f64 v[12:13], v[4:5], v[56:57]
	v_fma_f64 v[8:9], v[4:5], v[54:55], -v[8:9]
	v_fmac_f64_e32 v[12:13], v[6:7], v[54:55]
	v_add_f64 v[36:37], v[64:65], v[8:9]
	v_add_f64 v[8:9], v[58:59], v[12:13]
	flat_load_dwordx4 v[10:13], v[10:11] offset:48
	s_waitcnt vmcnt(0) lgkmcnt(0)
	v_mul_f64 v[16:17], v[6:7], v[12:13]
	v_fma_f64 v[16:17], v[4:5], v[10:11], -v[16:17]
	v_mul_f64 v[12:13], v[4:5], v[12:13]
	v_fmac_f64_e32 v[12:13], v[6:7], v[10:11]
	v_add_f64 v[10:11], v[60:61], v[16:17]
	flat_load_dwordx4 v[14:17], v[14:15] offset:48
	v_add_f64 v[12:13], v[62:63], v[12:13]
	s_waitcnt vmcnt(0) lgkmcnt(0)
	v_mul_f64 v[54:55], v[6:7], v[16:17]
	v_fma_f64 v[54:55], v[4:5], v[14:15], -v[54:55]
	v_mul_f64 v[16:17], v[4:5], v[16:17]
	v_fmac_f64_e32 v[16:17], v[6:7], v[14:15]
	v_add_f64 v[14:15], v[66:67], v[54:55]
	flat_load_dwordx4 v[54:57], v[18:19] offset:48
	v_add_f64 v[16:17], v[68:69], v[16:17]
	s_waitcnt vmcnt(0) lgkmcnt(0)
	v_mul_f64 v[18:19], v[6:7], v[56:57]
	v_fma_f64 v[18:19], v[4:5], v[54:55], -v[18:19]
	v_mul_f64 v[4:5], v[4:5], v[56:57]
	v_fmac_f64_e32 v[4:5], v[6:7], v[54:55]
	v_add_f64 v[18:19], v[20:21], v[18:19]
	v_add_f64 v[20:21], v[38:39], v[4:5]
	s_andn2_saveexec_b64 s[30:31], s[30:31]
	s_cbranch_execz .LBB352_15
.LBB352_41:                             ;   in Loop: Header=BB352_13 Depth=1
	s_waitcnt lgkmcnt(0)
	v_mov_b64_e32 v[18:19], 0
	v_mov_b64_e32 v[20:21], v[18:19]
	;; [unrolled: 1-line block ×8, first 2 shown]
	s_and_saveexec_b64 s[34:35], s[8:9]
	s_cbranch_execz .LBB352_47
; %bb.42:                               ;   in Loop: Header=BB352_13 Depth=1
	v_mov_b64_e32 v[18:19], 0
	s_andn2_b64 vcc, exec, s[26:27]
	v_mov_b64_e32 v[20:21], v[18:19]
	v_mov_b64_e32 v[14:15], v[18:19]
	;; [unrolled: 1-line block ×7, first 2 shown]
	s_cbranch_vccnz .LBB352_47
; %bb.43:                               ;   in Loop: Header=BB352_13 Depth=1
	v_mov_b32_e32 v3, 0
	v_mov_b32_e32 v4, v26
	s_mov_b32 s24, s42
.LBB352_44:                             ;   Parent Loop BB352_13 Depth=1
                                        ; =>  This Inner Loop Header: Depth=2
	v_ashrrev_i32_e32 v5, 31, v4
	v_lshl_add_u64 v[6:7], v[4:5], 4, s[14:15]
	flat_load_dwordx4 v[6:9], v[6:7]
	s_add_i32 s24, s24, -1
	v_add_u32_e32 v4, s33, v4
	s_cmp_eq_u32 s24, 0
	s_waitcnt vmcnt(0) lgkmcnt(0)
	scratch_store_dwordx4 v3, v[6:9], off
	v_add_u32_e32 v3, 16, v3
	s_cbranch_scc0 .LBB352_44
; %bb.45:                               ;   in Loop: Header=BB352_13 Depth=1
	s_ashr_i32 s29, s28, 31
	v_mov_b64_e32 v[8:9], 0
	v_lshl_add_u64 v[4:5], s[28:29], 4, v[22:23]
	v_mov_b32_e32 v3, 0
	s_mov_b32 s36, s48
	s_mov_b32 s38, s47
	;; [unrolled: 1-line block ×4, first 2 shown]
	v_mov_b64_e32 v[36:37], v[8:9]
	v_mov_b64_e32 v[12:13], v[8:9]
	;; [unrolled: 1-line block ×7, first 2 shown]
.LBB352_46:                             ;   Parent Loop BB352_13 Depth=1
                                        ; =>  This Inner Loop Header: Depth=2
	scratch_load_dwordx4 v[54:57], v3, off
	flat_load_dwordx4 v[58:61], v[4:5]
	s_ashr_i32 s41, s40, 31
	s_ashr_i32 s39, s38, 31
	;; [unrolled: 1-line block ×3, first 2 shown]
	s_add_i32 s24, s24, -1
	v_add_u32_e32 v3, 16, v3
	v_lshl_add_u64 v[4:5], v[4:5], 0, 16
	s_waitcnt vmcnt(0) lgkmcnt(0)
	v_mul_f64 v[6:7], v[56:57], v[60:61]
	v_fma_f64 v[6:7], v[54:55], v[58:59], -v[6:7]
	v_mul_f64 v[38:39], v[54:55], v[60:61]
	v_add_f64 v[36:37], v[36:37], v[6:7]
	v_lshl_add_u64 v[6:7], s[40:41], 4, v[22:23]
	v_fmac_f64_e32 v[38:39], v[56:57], v[58:59]
	flat_load_dwordx4 v[58:61], v[6:7]
	v_add_f64 v[8:9], v[8:9], v[38:39]
	s_add_i32 s40, s40, 1
	s_waitcnt vmcnt(0) lgkmcnt(0)
	v_mul_f64 v[6:7], v[56:57], v[60:61]
	v_fma_f64 v[6:7], v[54:55], v[58:59], -v[6:7]
	v_mul_f64 v[38:39], v[54:55], v[60:61]
	v_add_f64 v[10:11], v[10:11], v[6:7]
	v_lshl_add_u64 v[6:7], s[38:39], 4, v[22:23]
	v_fmac_f64_e32 v[38:39], v[56:57], v[58:59]
	flat_load_dwordx4 v[58:61], v[6:7]
	v_add_f64 v[12:13], v[12:13], v[38:39]
	s_add_i32 s38, s38, 1
	;; [unrolled: 10-line block ×3, first 2 shown]
	s_cmp_lg_u32 s24, 0
	s_waitcnt vmcnt(0) lgkmcnt(0)
	v_mul_f64 v[6:7], v[56:57], v[60:61]
	v_mul_f64 v[38:39], v[54:55], v[60:61]
	v_fma_f64 v[6:7], v[54:55], v[58:59], -v[6:7]
	v_fmac_f64_e32 v[38:39], v[56:57], v[58:59]
	v_add_f64 v[18:19], v[18:19], v[6:7]
	v_add_f64 v[20:21], v[20:21], v[38:39]
	s_cbranch_scc1 .LBB352_46
.LBB352_47:                             ;   in Loop: Header=BB352_13 Depth=1
	s_or_b64 exec, exec, s[34:35]
	s_or_b64 exec, exec, s[30:31]
	s_and_saveexec_b64 s[30:31], s[0:1]
	s_cbranch_execnz .LBB352_16
	s_branch .LBB352_17
.LBB352_48:                             ;   in Loop: Header=BB352_13 Depth=1
	ds_read_b128 v[6:9], v49
	s_or_b64 exec, exec, s[30:31]
	s_and_saveexec_b64 s[30:31], s[0:1]
	s_cbranch_execz .LBB352_21
.LBB352_49:                             ;   in Loop: Header=BB352_13 Depth=1
	s_waitcnt lgkmcnt(0)
	ds_bpermute_b32 v4, v47, v6
	ds_bpermute_b32 v5, v47, v7
	;; [unrolled: 1-line block ×4, first 2 shown]
	s_waitcnt lgkmcnt(2)
	v_add_f64 v[4:5], v[6:7], v[4:5]
	ds_bpermute_b32 v6, v48, v4
	s_waitcnt lgkmcnt(1)
	v_add_f64 v[8:9], v[8:9], v[36:37]
	ds_bpermute_b32 v7, v48, v5
	ds_bpermute_b32 v36, v48, v8
	;; [unrolled: 1-line block ×3, first 2 shown]
	s_waitcnt lgkmcnt(2)
	v_add_f64 v[6:7], v[4:5], v[6:7]
	s_waitcnt lgkmcnt(0)
	v_add_f64 v[8:9], v[8:9], v[36:37]
	s_or_b64 exec, exec, s[30:31]
	s_and_saveexec_b64 s[30:31], s[0:1]
	s_cbranch_execnz .LBB352_22
	s_branch .LBB352_23
.LBB352_50:                             ;   in Loop: Header=BB352_13 Depth=1
	ds_read_b128 v[10:13], v49
	s_or_b64 exec, exec, s[30:31]
	s_and_saveexec_b64 s[30:31], s[0:1]
	s_cbranch_execz .LBB352_27
.LBB352_51:                             ;   in Loop: Header=BB352_13 Depth=1
	s_waitcnt lgkmcnt(0)
	ds_bpermute_b32 v4, v47, v10
	ds_bpermute_b32 v5, v47, v11
	;; [unrolled: 1-line block ×4, first 2 shown]
	s_waitcnt lgkmcnt(2)
	v_add_f64 v[4:5], v[10:11], v[4:5]
	ds_bpermute_b32 v10, v48, v4
	s_waitcnt lgkmcnt(1)
	v_add_f64 v[12:13], v[12:13], v[36:37]
	ds_bpermute_b32 v11, v48, v5
	ds_bpermute_b32 v36, v48, v12
	;; [unrolled: 1-line block ×3, first 2 shown]
	s_waitcnt lgkmcnt(2)
	v_add_f64 v[10:11], v[4:5], v[10:11]
	s_waitcnt lgkmcnt(0)
	v_add_f64 v[12:13], v[12:13], v[36:37]
	s_or_b64 exec, exec, s[30:31]
	s_and_saveexec_b64 s[30:31], s[0:1]
	s_cbranch_execnz .LBB352_28
	s_branch .LBB352_29
.LBB352_52:                             ;   in Loop: Header=BB352_13 Depth=1
	ds_read_b128 v[14:17], v49
	s_or_b64 exec, exec, s[30:31]
	s_and_saveexec_b64 s[30:31], s[0:1]
	s_cbranch_execz .LBB352_33
.LBB352_53:                             ;   in Loop: Header=BB352_13 Depth=1
	s_waitcnt lgkmcnt(0)
	ds_bpermute_b32 v4, v47, v14
	ds_bpermute_b32 v5, v47, v15
	;; [unrolled: 1-line block ×4, first 2 shown]
	s_waitcnt lgkmcnt(2)
	v_add_f64 v[4:5], v[14:15], v[4:5]
	ds_bpermute_b32 v14, v48, v4
	s_waitcnt lgkmcnt(1)
	v_add_f64 v[16:17], v[16:17], v[36:37]
	ds_bpermute_b32 v15, v48, v5
	ds_bpermute_b32 v36, v48, v16
	;; [unrolled: 1-line block ×3, first 2 shown]
	s_waitcnt lgkmcnt(2)
	v_add_f64 v[14:15], v[4:5], v[14:15]
	s_waitcnt lgkmcnt(0)
	v_add_f64 v[16:17], v[16:17], v[36:37]
	s_or_b64 exec, exec, s[30:31]
	s_and_saveexec_b64 s[30:31], s[0:1]
	s_cbranch_execnz .LBB352_34
	s_branch .LBB352_35
.LBB352_54:                             ;   in Loop: Header=BB352_13 Depth=1
	ds_read_b128 v[18:21], v49
	s_or_b64 exec, exec, s[30:31]
	s_and_saveexec_b64 s[30:31], s[0:1]
	s_cbranch_execz .LBB352_39
.LBB352_55:                             ;   in Loop: Header=BB352_13 Depth=1
	s_waitcnt lgkmcnt(0)
	ds_bpermute_b32 v4, v47, v18
	ds_bpermute_b32 v5, v47, v19
	;; [unrolled: 1-line block ×4, first 2 shown]
	s_waitcnt lgkmcnt(2)
	v_add_f64 v[4:5], v[18:19], v[4:5]
	ds_bpermute_b32 v18, v48, v4
	s_waitcnt lgkmcnt(1)
	v_add_f64 v[20:21], v[20:21], v[36:37]
	ds_bpermute_b32 v19, v48, v5
	ds_bpermute_b32 v36, v48, v20
	;; [unrolled: 1-line block ×3, first 2 shown]
	s_waitcnt lgkmcnt(2)
	v_add_f64 v[18:19], v[4:5], v[18:19]
	s_waitcnt lgkmcnt(0)
	v_add_f64 v[20:21], v[20:21], v[36:37]
	s_or_b64 exec, exec, s[30:31]
	s_and_saveexec_b64 s[30:31], s[12:13]
	s_cbranch_execz .LBB352_12
.LBB352_56:                             ;   in Loop: Header=BB352_13 Depth=1
	s_mul_i32 s24, s43, s22
	s_add_i32 s24, s24, s2
	s_lshl_b64 s[34:35], s[24:25], 4
	v_mul_f64 v[4:5], s[18:19], v[8:9]
	v_mul_f64 v[38:39], s[16:17], v[8:9]
	s_add_u32 s34, s44, s34
	v_fma_f64 v[36:37], s[16:17], v[6:7], -v[4:5]
	v_fmac_f64_e32 v[38:39], s[18:19], v[6:7]
	s_addc_u32 s35, s45, s35
	s_add_i32 s24, s24, s22
	global_store_dwordx4 v2, v[36:39], s[34:35]
	s_lshl_b64 s[34:35], s[24:25], 4
	v_mul_f64 v[4:5], s[18:19], v[12:13]
	v_mul_f64 v[6:7], s[16:17], v[12:13]
	s_add_u32 s34, s44, s34
	v_fma_f64 v[4:5], s[16:17], v[10:11], -v[4:5]
	v_fmac_f64_e32 v[6:7], s[18:19], v[10:11]
	s_addc_u32 s35, s45, s35
	s_add_i32 s24, s24, s22
	global_store_dwordx4 v2, v[4:7], s[34:35]
	s_lshl_b64 s[34:35], s[24:25], 4
	s_add_u32 s34, s44, s34
	v_mul_f64 v[4:5], s[18:19], v[16:17]
	v_mul_f64 v[6:7], s[16:17], v[16:17]
	v_fma_f64 v[4:5], s[16:17], v[14:15], -v[4:5]
	v_fmac_f64_e32 v[6:7], s[18:19], v[14:15]
	s_addc_u32 s35, s45, s35
	s_add_i32 s24, s24, s22
	global_store_dwordx4 v2, v[4:7], s[34:35]
	s_lshl_b64 s[34:35], s[24:25], 4
	s_add_u32 s34, s44, s34
	s_waitcnt lgkmcnt(0)
	v_mul_f64 v[4:5], s[18:19], v[20:21]
	v_mul_f64 v[6:7], s[16:17], v[20:21]
	v_fma_f64 v[4:5], s[16:17], v[18:19], -v[4:5]
	v_fmac_f64_e32 v[6:7], s[18:19], v[18:19]
	s_addc_u32 s35, s45, s35
	global_store_dwordx4 v2, v[4:7], s[34:35]
	s_branch .LBB352_12
.LBB352_57:
	s_mov_b32 s43, 0
.LBB352_58:
	s_cmp_ge_i32 s43, s21
	s_cbranch_scc1 .LBB352_80
; %bb.59:
	v_mbcnt_hi_u32_b32 v2, -1, v40
	v_and_b32_e32 v3, 63, v2
	v_cmp_gt_u32_e64 s[4:5], 32, v3
	v_cmp_gt_u32_e64 s[0:1], 64, v0
	;; [unrolled: 1-line block ×3, first 2 shown]
	v_cndmask_b32_e64 v4, 0, 1, s[4:5]
	v_lshlrev_b32_e32 v4, 5, v4
	v_cmp_gt_u32_e64 s[4:5], 48, v3
	s_waitcnt lgkmcnt(0)
	v_add_lshl_u32 v19, v4, v2, 2
	v_cmp_eq_u32_e64 s[8:9], 0, v0
	v_cndmask_b32_e64 v4, 0, 1, s[4:5]
	v_lshlrev_b32_e32 v4, 4, v4
	v_cmp_gt_u32_e64 s[4:5], 56, v3
	v_add_lshl_u32 v20, v4, v2, 2
	v_add_u32_e32 v0, s33, v24
	v_cndmask_b32_e64 v4, 0, 1, s[4:5]
	v_lshlrev_b32_e32 v4, 3, v4
	v_cmp_gt_u32_e64 s[4:5], 60, v3
	v_add_lshl_u32 v21, v4, v2, 2
	v_lshlrev_b32_e32 v18, 4, v1
	v_cndmask_b32_e64 v4, 0, 1, s[4:5]
	v_lshlrev_b32_e32 v4, 2, v4
	v_cmp_gt_u32_e64 s[4:5], 62, v3
	v_add_lshl_u32 v26, v4, v2, 2
	s_mov_b32 s3, 0
	v_cndmask_b32_e64 v4, 0, 1, s[4:5]
	v_lshlrev_b32_e32 v4, 1, v4
	v_cmp_ne_u32_e64 s[4:5], 63, v3
	v_add_lshl_u32 v27, v4, v2, 2
	s_cmp_gt_i32 s42, 0
	v_addc_co_u32_e64 v2, s[4:5], 0, v2, s[4:5]
	v_cmp_eq_u32_e64 s[4:5], 0, v1
	v_ashrrev_i32_e32 v1, 31, v0
	v_lshl_add_u64 v[8:9], v[0:1], 4, s[14:15]
	v_add_u32_e32 v0, s33, v0
	v_ashrrev_i32_e32 v1, 31, v0
	s_cselect_b64 s[12:13], -1, 0
	s_lshl_b64 s[2:3], s[2:3], 4
	v_lshl_add_u64 v[10:11], v[0:1], 4, s[14:15]
	v_add_u32_e32 v0, s33, v0
	v_cmp_ge_i32_e32 vcc, s20, v41
	v_cmp_ge_i32_e64 s[10:11], s20, v42
	v_lshlrev_b32_e32 v28, 2, v2
	v_and_b32_e32 v29, 48, v25
	s_add_u32 s20, s44, s2
	v_ashrrev_i32_e32 v25, 31, v24
	v_mov_b32_e32 v2, 0
	v_ashrrev_i32_e32 v1, 31, v0
	s_addc_u32 s26, s45, s3
	v_lshl_add_u64 v[6:7], v[24:25], 4, s[14:15]
	v_add_u32_e32 v25, 16, v2
	v_add_u32_e32 v30, 32, v2
	v_lshl_add_u64 v[12:13], v[0:1], 4, s[14:15]
	v_add_u32_e32 v31, 48, v2
	s_and_b64 s[2:3], s[12:13], s[10:11]
	s_mul_i32 s10, s43, s23
	v_mov_b32_e32 v0, 0
	s_branch .LBB352_61
.LBB352_60:                             ;   in Loop: Header=BB352_61 Depth=1
	s_or_b64 exec, exec, s[12:13]
	s_add_i32 s43, s43, 1
	s_add_i32 s10, s10, s23
	s_cmp_lt_i32 s43, s21
	s_cbranch_scc0 .LBB352_80
.LBB352_61:                             ; =>This Loop Header: Depth=1
                                        ;     Child Loop BB352_73 Depth 2
                                        ;     Child Loop BB352_75 Depth 2
                                        ; implicit-def: $vgpr4_vgpr5
                                        ; implicit-def: $vgpr14_vgpr15
	s_and_saveexec_b64 s[12:13], vcc
	s_xor_b64 s[12:13], exec, s[12:13]
	s_cbranch_execnz .LBB352_70
; %bb.62:                               ;   in Loop: Header=BB352_61 Depth=1
	s_andn2_saveexec_b64 s[12:13], s[12:13]
	s_cbranch_execnz .LBB352_71
.LBB352_63:                             ;   in Loop: Header=BB352_61 Depth=1
	s_or_b64 exec, exec, s[12:13]
	s_and_saveexec_b64 s[12:13], s[0:1]
	s_cbranch_execz .LBB352_65
.LBB352_64:                             ;   in Loop: Header=BB352_61 Depth=1
	v_mov_b32_e32 v1, v0
	s_waitcnt lgkmcnt(0)
	v_mov_b32_e32 v2, v0
	v_mov_b32_e32 v3, v0
	ds_write_b128 v18, v[0:3]
.LBB352_65:                             ;   in Loop: Header=BB352_61 Depth=1
	s_or_b64 exec, exec, s[12:13]
	s_waitcnt lgkmcnt(0)
	ds_bpermute_b32 v2, v19, v4
	ds_bpermute_b32 v3, v19, v5
	;; [unrolled: 1-line block ×4, first 2 shown]
	s_waitcnt lgkmcnt(0)
	s_barrier
	v_add_f64 v[2:3], v[4:5], v[2:3]
	v_add_f64 v[4:5], v[14:15], v[16:17]
	ds_bpermute_b32 v14, v20, v2
	ds_bpermute_b32 v15, v20, v3
	;; [unrolled: 1-line block ×4, first 2 shown]
	s_waitcnt lgkmcnt(2)
	v_add_f64 v[2:3], v[2:3], v[14:15]
	ds_bpermute_b32 v14, v21, v2
	s_waitcnt lgkmcnt(1)
	v_add_f64 v[4:5], v[4:5], v[16:17]
	ds_bpermute_b32 v15, v21, v3
	ds_bpermute_b32 v16, v21, v4
	ds_bpermute_b32 v17, v21, v5
	s_waitcnt lgkmcnt(2)
	v_add_f64 v[2:3], v[2:3], v[14:15]
	ds_bpermute_b32 v14, v26, v2
	s_waitcnt lgkmcnt(1)
	v_add_f64 v[4:5], v[4:5], v[16:17]
	ds_bpermute_b32 v15, v26, v3
	ds_bpermute_b32 v16, v26, v4
	ds_bpermute_b32 v17, v26, v5
	;; [unrolled: 8-line block ×3, first 2 shown]
	s_waitcnt lgkmcnt(2)
	v_add_f64 v[2:3], v[2:3], v[14:15]
	s_waitcnt lgkmcnt(0)
	v_add_f64 v[14:15], v[4:5], v[16:17]
	ds_bpermute_b32 v4, v28, v2
	ds_bpermute_b32 v5, v28, v3
	;; [unrolled: 1-line block ×4, first 2 shown]
	s_and_saveexec_b64 s[12:13], s[4:5]
	s_cbranch_execz .LBB352_67
; %bb.66:                               ;   in Loop: Header=BB352_61 Depth=1
	s_waitcnt lgkmcnt(0)
	v_add_f64 v[16:17], v[14:15], v[16:17]
	v_add_f64 v[14:15], v[2:3], v[4:5]
	ds_write_b128 v29, v[14:17]
.LBB352_67:                             ;   in Loop: Header=BB352_61 Depth=1
	s_or_b64 exec, exec, s[12:13]
	s_waitcnt lgkmcnt(2)
	v_mov_b64_e32 v[4:5], 0
	v_mov_b64_e32 v[2:3], v[4:5]
	s_waitcnt lgkmcnt(0)
	s_barrier
	s_and_saveexec_b64 s[12:13], s[6:7]
	s_cbranch_execnz .LBB352_77
; %bb.68:                               ;   in Loop: Header=BB352_61 Depth=1
	s_or_b64 exec, exec, s[12:13]
	s_and_saveexec_b64 s[12:13], s[0:1]
	s_cbranch_execnz .LBB352_78
.LBB352_69:                             ;   in Loop: Header=BB352_61 Depth=1
	s_or_b64 exec, exec, s[12:13]
	s_and_saveexec_b64 s[12:13], s[8:9]
	s_cbranch_execz .LBB352_60
	s_branch .LBB352_79
.LBB352_70:                             ;   in Loop: Header=BB352_61 Depth=1
	s_waitcnt lgkmcnt(0)
	flat_load_dwordx4 v[2:5], v[8:9]
	flat_load_dwordx4 v[14:17], v[10:11]
	flat_load_dwordx4 v[32:35], v[12:13]
	flat_load_dwordx4 v[36:39], v[6:7]
	s_mul_i32 s24, s43, s23
	s_ashr_i32 s25, s24, 31
	v_lshl_add_u64 v[56:57], s[24:25], 4, v[22:23]
	flat_load_dwordx4 v[40:43], v[56:57]
	flat_load_dwordx4 v[44:47], v[56:57] offset:16
	flat_load_dwordx4 v[48:51], v[56:57] offset:32
	;; [unrolled: 1-line block ×3, first 2 shown]
	s_waitcnt vmcnt(0) lgkmcnt(0)
	v_mul_f64 v[56:57], v[42:43], v[38:39]
	scratch_store_dwordx4 v25, v[2:5], off
	scratch_load_dwordx4 v[2:5], off, off offset:16
	s_nop 0
	scratch_store_dwordx4 v30, v[14:17], off
	scratch_load_dwordx4 v[14:17], off, off offset:32
	s_nop 0
	;; [unrolled: 3-line block ×3, first 2 shown]
	scratch_store_dwordx4 off, v[36:39], off
	s_nop 1
	v_mul_f64 v[38:39], v[40:41], v[38:39]
	v_fma_f64 v[40:41], v[40:41], v[36:37], -v[56:57]
	v_fmac_f64_e32 v[38:39], v[42:43], v[36:37]
	v_add_f64 v[36:37], v[40:41], 0
	v_add_f64 v[38:39], v[38:39], 0
	s_waitcnt vmcnt(5)
	v_mul_f64 v[40:41], v[46:47], v[4:5]
	v_mul_f64 v[4:5], v[44:45], v[4:5]
	v_fma_f64 v[40:41], v[44:45], v[2:3], -v[40:41]
	s_waitcnt vmcnt(3)
	v_mul_f64 v[42:43], v[50:51], v[16:17]
	v_mul_f64 v[16:17], v[48:49], v[16:17]
	v_fmac_f64_e32 v[4:5], v[46:47], v[2:3]
	s_waitcnt vmcnt(1)
	v_mul_f64 v[56:57], v[54:55], v[34:35]
	v_mul_f64 v[34:35], v[52:53], v[34:35]
	v_fma_f64 v[2:3], v[48:49], v[14:15], -v[42:43]
	v_fmac_f64_e32 v[16:17], v[50:51], v[14:15]
	v_fma_f64 v[14:15], v[52:53], v[32:33], -v[56:57]
	v_fmac_f64_e32 v[34:35], v[54:55], v[32:33]
	v_add_f64 v[32:33], v[36:37], v[40:41]
	v_add_f64 v[4:5], v[38:39], v[4:5]
	;; [unrolled: 1-line block ×6, first 2 shown]
	s_andn2_saveexec_b64 s[12:13], s[12:13]
	s_cbranch_execz .LBB352_63
.LBB352_71:                             ;   in Loop: Header=BB352_61 Depth=1
	s_waitcnt lgkmcnt(0)
	v_mov_b64_e32 v[4:5], 0
	v_mov_b64_e32 v[14:15], v[4:5]
	s_and_saveexec_b64 s[24:25], s[2:3]
	s_cbranch_execz .LBB352_76
; %bb.72:                               ;   in Loop: Header=BB352_61 Depth=1
	v_mov_b32_e32 v1, 0
	v_mov_b32_e32 v2, v24
	s_mov_b32 s11, s42
.LBB352_73:                             ;   Parent Loop BB352_61 Depth=1
                                        ; =>  This Inner Loop Header: Depth=2
	v_ashrrev_i32_e32 v3, 31, v2
	v_lshl_add_u64 v[4:5], v[2:3], 4, s[14:15]
	flat_load_dwordx4 v[14:17], v[4:5]
	s_add_i32 s11, s11, -1
	v_add_u32_e32 v2, s33, v2
	s_cmp_eq_u32 s11, 0
	s_waitcnt vmcnt(0) lgkmcnt(0)
	scratch_store_dwordx4 v1, v[14:17], off
	v_add_u32_e32 v1, 16, v1
	s_cbranch_scc0 .LBB352_73
; %bb.74:                               ;   in Loop: Header=BB352_61 Depth=1
	s_ashr_i32 s11, s10, 31
	v_mov_b64_e32 v[4:5], 0
	v_lshl_add_u64 v[2:3], s[10:11], 4, v[22:23]
	v_mov_b32_e32 v1, 0
	s_mov_b32 s11, s42
	v_mov_b64_e32 v[14:15], v[4:5]
.LBB352_75:                             ;   Parent Loop BB352_61 Depth=1
                                        ; =>  This Inner Loop Header: Depth=2
	flat_load_dwordx4 v[32:35], v[2:3]
	scratch_load_dwordx4 v[36:39], v1, off
	s_add_i32 s11, s11, -1
	v_add_u32_e32 v1, 16, v1
	v_lshl_add_u64 v[2:3], v[2:3], 0, 16
	s_cmp_lg_u32 s11, 0
	s_waitcnt vmcnt(0) lgkmcnt(0)
	v_mul_f64 v[16:17], v[34:35], v[38:39]
	v_mul_f64 v[38:39], v[32:33], v[38:39]
	v_fma_f64 v[16:17], v[32:33], v[36:37], -v[16:17]
	v_fmac_f64_e32 v[38:39], v[34:35], v[36:37]
	v_add_f64 v[4:5], v[4:5], v[16:17]
	v_add_f64 v[14:15], v[14:15], v[38:39]
	s_cbranch_scc1 .LBB352_75
.LBB352_76:                             ;   in Loop: Header=BB352_61 Depth=1
	s_or_b64 exec, exec, s[24:25]
	s_or_b64 exec, exec, s[12:13]
	s_and_saveexec_b64 s[12:13], s[0:1]
	s_cbranch_execnz .LBB352_64
	s_branch .LBB352_65
.LBB352_77:                             ;   in Loop: Header=BB352_61 Depth=1
	ds_read_b128 v[2:5], v18
	s_or_b64 exec, exec, s[12:13]
	s_and_saveexec_b64 s[12:13], s[0:1]
	s_cbranch_execz .LBB352_69
.LBB352_78:                             ;   in Loop: Header=BB352_61 Depth=1
	s_waitcnt lgkmcnt(0)
	ds_bpermute_b32 v14, v27, v2
	ds_bpermute_b32 v15, v27, v3
	;; [unrolled: 1-line block ×4, first 2 shown]
	s_waitcnt lgkmcnt(2)
	v_add_f64 v[2:3], v[2:3], v[14:15]
	ds_bpermute_b32 v14, v28, v2
	s_waitcnt lgkmcnt(1)
	v_add_f64 v[4:5], v[4:5], v[16:17]
	ds_bpermute_b32 v15, v28, v3
	ds_bpermute_b32 v16, v28, v4
	;; [unrolled: 1-line block ×3, first 2 shown]
	s_waitcnt lgkmcnt(2)
	v_add_f64 v[2:3], v[2:3], v[14:15]
	s_waitcnt lgkmcnt(0)
	v_add_f64 v[4:5], v[4:5], v[16:17]
	s_or_b64 exec, exec, s[12:13]
	s_and_saveexec_b64 s[12:13], s[8:9]
	s_cbranch_execz .LBB352_60
.LBB352_79:                             ;   in Loop: Header=BB352_61 Depth=1
	s_mul_hi_u32 s25, s43, s22
	s_mul_i32 s24, s43, s22
	s_lshl_b64 s[24:25], s[24:25], 4
	s_waitcnt lgkmcnt(0)
	v_mul_f64 v[14:15], s[18:19], v[4:5]
	v_mul_f64 v[16:17], s[16:17], v[4:5]
	s_add_u32 s24, s20, s24
	v_fma_f64 v[14:15], s[16:17], v[2:3], -v[14:15]
	v_fmac_f64_e32 v[16:17], s[18:19], v[2:3]
	s_addc_u32 s25, s26, s25
	global_store_dwordx4 v0, v[14:17], s[24:25]
	s_branch .LBB352_60
.LBB352_80:
	s_endpgm
	.section	.rodata,"a",@progbits
	.p2align	6, 0x0
	.amdhsa_kernel _ZL23rocblas_gemvt_sn_kernelILb0ELi256ELi4EiPK19rocblas_complex_numIdES3_S1_EviiT4_lPKT3_lilS7_lilPT5_i
		.amdhsa_group_segment_fixed_size 1024
		.amdhsa_private_segment_fixed_size 80
		.amdhsa_kernarg_size 360
		.amdhsa_user_sgpr_count 2
		.amdhsa_user_sgpr_dispatch_ptr 0
		.amdhsa_user_sgpr_queue_ptr 0
		.amdhsa_user_sgpr_kernarg_segment_ptr 1
		.amdhsa_user_sgpr_dispatch_id 0
		.amdhsa_user_sgpr_kernarg_preload_length 0
		.amdhsa_user_sgpr_kernarg_preload_offset 0
		.amdhsa_user_sgpr_private_segment_size 0
		.amdhsa_uses_dynamic_stack 0
		.amdhsa_enable_private_segment 1
		.amdhsa_system_sgpr_workgroup_id_x 1
		.amdhsa_system_sgpr_workgroup_id_y 0
		.amdhsa_system_sgpr_workgroup_id_z 1
		.amdhsa_system_sgpr_workgroup_info 0
		.amdhsa_system_vgpr_workitem_id 0
		.amdhsa_next_free_vgpr 70
		.amdhsa_next_free_sgpr 50
		.amdhsa_accum_offset 72
		.amdhsa_reserve_vcc 1
		.amdhsa_float_round_mode_32 0
		.amdhsa_float_round_mode_16_64 0
		.amdhsa_float_denorm_mode_32 3
		.amdhsa_float_denorm_mode_16_64 3
		.amdhsa_dx10_clamp 1
		.amdhsa_ieee_mode 1
		.amdhsa_fp16_overflow 0
		.amdhsa_tg_split 0
		.amdhsa_exception_fp_ieee_invalid_op 0
		.amdhsa_exception_fp_denorm_src 0
		.amdhsa_exception_fp_ieee_div_zero 0
		.amdhsa_exception_fp_ieee_overflow 0
		.amdhsa_exception_fp_ieee_underflow 0
		.amdhsa_exception_fp_ieee_inexact 0
		.amdhsa_exception_int_div_zero 0
	.end_amdhsa_kernel
	.section	.text._ZL23rocblas_gemvt_sn_kernelILb0ELi256ELi4EiPK19rocblas_complex_numIdES3_S1_EviiT4_lPKT3_lilS7_lilPT5_i,"axG",@progbits,_ZL23rocblas_gemvt_sn_kernelILb0ELi256ELi4EiPK19rocblas_complex_numIdES3_S1_EviiT4_lPKT3_lilS7_lilPT5_i,comdat
.Lfunc_end352:
	.size	_ZL23rocblas_gemvt_sn_kernelILb0ELi256ELi4EiPK19rocblas_complex_numIdES3_S1_EviiT4_lPKT3_lilS7_lilPT5_i, .Lfunc_end352-_ZL23rocblas_gemvt_sn_kernelILb0ELi256ELi4EiPK19rocblas_complex_numIdES3_S1_EviiT4_lPKT3_lilS7_lilPT5_i
                                        ; -- End function
	.section	.AMDGPU.csdata,"",@progbits
; Kernel info:
; codeLenInByte = 6712
; NumSgprs: 56
; NumVgprs: 70
; NumAgprs: 0
; TotalNumVgprs: 70
; ScratchSize: 80
; MemoryBound: 0
; FloatMode: 240
; IeeeMode: 1
; LDSByteSize: 1024 bytes/workgroup (compile time only)
; SGPRBlocks: 6
; VGPRBlocks: 8
; NumSGPRsForWavesPerEU: 56
; NumVGPRsForWavesPerEU: 70
; AccumOffset: 72
; Occupancy: 7
; WaveLimiterHint : 0
; COMPUTE_PGM_RSRC2:SCRATCH_EN: 1
; COMPUTE_PGM_RSRC2:USER_SGPR: 2
; COMPUTE_PGM_RSRC2:TRAP_HANDLER: 0
; COMPUTE_PGM_RSRC2:TGID_X_EN: 1
; COMPUTE_PGM_RSRC2:TGID_Y_EN: 0
; COMPUTE_PGM_RSRC2:TGID_Z_EN: 1
; COMPUTE_PGM_RSRC2:TIDIG_COMP_CNT: 0
; COMPUTE_PGM_RSRC3_GFX90A:ACCUM_OFFSET: 17
; COMPUTE_PGM_RSRC3_GFX90A:TG_SPLIT: 0
	.section	.text._ZL23rocblas_gemvt_sn_kernelILb0ELi256ELi4ElPK19rocblas_complex_numIdES3_S1_EviiT4_lPKT3_lilS7_lilPT5_i,"axG",@progbits,_ZL23rocblas_gemvt_sn_kernelILb0ELi256ELi4ElPK19rocblas_complex_numIdES3_S1_EviiT4_lPKT3_lilS7_lilPT5_i,comdat
	.globl	_ZL23rocblas_gemvt_sn_kernelILb0ELi256ELi4ElPK19rocblas_complex_numIdES3_S1_EviiT4_lPKT3_lilS7_lilPT5_i ; -- Begin function _ZL23rocblas_gemvt_sn_kernelILb0ELi256ELi4ElPK19rocblas_complex_numIdES3_S1_EviiT4_lPKT3_lilS7_lilPT5_i
	.p2align	8
	.type	_ZL23rocblas_gemvt_sn_kernelILb0ELi256ELi4ElPK19rocblas_complex_numIdES3_S1_EviiT4_lPKT3_lilS7_lilPT5_i,@function
_ZL23rocblas_gemvt_sn_kernelILb0ELi256ELi4ElPK19rocblas_complex_numIdES3_S1_EviiT4_lPKT3_lilS7_lilPT5_i: ; @_ZL23rocblas_gemvt_sn_kernelILb0ELi256ELi4ElPK19rocblas_complex_numIdES3_S1_EviiT4_lPKT3_lilS7_lilPT5_i
; %bb.0:
	s_load_dwordx8 s[4:11], s[0:1], 0x8
	s_mov_b32 s12, s3
	s_mov_b32 s13, 0
	s_mov_b64 s[26:27], 0
	s_mov_b64 s[24:25], 0
	s_waitcnt lgkmcnt(0)
	s_mul_i32 s3, s3, s7
	s_mul_hi_u32 s7, s12, s6
	s_add_i32 s7, s7, s3
	s_mul_i32 s6, s12, s6
	s_lshl_b64 s[6:7], s[6:7], 4
	s_add_u32 s4, s4, s6
	s_addc_u32 s5, s5, s7
	s_load_dwordx4 s[16:19], s[4:5], 0x0
	s_waitcnt lgkmcnt(0)
	v_cmp_neq_f64_e64 s[4:5], s[16:17], 0
	v_cmp_neq_f64_e64 s[6:7], s[18:19], 0
	s_or_b64 s[6:7], s[4:5], s[6:7]
	s_xor_b64 s[4:5], s[6:7], -1
	s_and_b64 vcc, exec, s[4:5]
	s_cbranch_vccnz .LBB353_2
; %bb.1:
	s_lshl_b64 s[14:15], s[12:13], 3
	s_add_u32 s8, s8, s14
	s_addc_u32 s9, s9, s15
	s_load_dwordx2 s[8:9], s[8:9], 0x0
	s_lshl_b64 s[10:11], s[10:11], 4
	s_waitcnt lgkmcnt(0)
	s_add_u32 s24, s8, s10
	s_addc_u32 s25, s9, s11
.LBB353_2:
	s_andn2_b64 vcc, exec, s[6:7]
	s_cbranch_vccnz .LBB353_4
; %bb.3:
	s_load_dwordx4 s[8:11], s[0:1], 0x38
	s_lshl_b64 s[6:7], s[12:13], 3
	s_waitcnt lgkmcnt(0)
	s_add_u32 s6, s8, s6
	s_addc_u32 s7, s9, s7
	s_load_dwordx2 s[6:7], s[6:7], 0x0
	s_lshl_b64 s[8:9], s[10:11], 4
	s_waitcnt lgkmcnt(0)
	s_add_u32 s26, s6, s8
	s_addc_u32 s27, s7, s9
.LBB353_4:
	s_load_dwordx2 s[14:15], s[0:1], 0x0
	s_load_dwordx2 s[6:7], s[0:1], 0x58
	s_load_dword s20, s[0:1], 0x68
	s_mov_b32 s21, 0
	s_mov_b64 s[10:11], -1
	s_waitcnt lgkmcnt(0)
	s_ashr_i32 s30, s15, 31
	s_mul_hi_u32 s3, s15, s12
	s_mul_i32 s8, s30, s12
	s_add_i32 s3, s3, s8
	s_mul_i32 s8, s15, s12
	s_mul_i32 s3, s3, s20
	s_mul_hi_u32 s9, s8, s20
	s_add_i32 s9, s9, s3
	s_mul_i32 s8, s8, s20
	s_andn2_b64 vcc, exec, s[4:5]
	v_cmp_eq_u32_e64 s[4:5], 0, v0
	s_cbranch_vccnz .LBB353_9
; %bb.5:
	s_cmp_gt_i32 s15, 0
	s_cselect_b64 s[10:11], -1, 0
	s_and_b64 s[10:11], s[4:5], s[10:11]
	s_and_saveexec_b64 s[4:5], s[10:11]
	s_cbranch_execz .LBB353_8
; %bb.6:
	s_mov_b32 s3, 0
	s_lshl_b64 s[10:11], s[8:9], 4
	s_lshl_b64 s[12:13], s[2:3], 4
	s_add_u32 s3, s10, s12
	s_addc_u32 s10, s11, s13
	s_add_u32 s3, s3, s6
	s_addc_u32 s11, s10, s7
	s_add_u32 s10, s3, 8
	v_mov_b32_e32 v2, 0
	s_addc_u32 s11, s11, 0
	s_lshl_b64 s[12:13], s[20:21], 4
	v_mov_b32_e32 v3, v2
	v_mov_b32_e32 v4, v2
	;; [unrolled: 1-line block ×3, first 2 shown]
	s_mov_b32 s3, s15
.LBB353_7:                              ; =>This Inner Loop Header: Depth=1
	s_add_i32 s3, s3, -1
	global_store_dwordx4 v2, v[2:5], s[10:11] offset:-8
	s_add_u32 s10, s10, s12
	s_addc_u32 s11, s11, s13
	s_cmp_eq_u32 s3, 0
	s_cbranch_scc0 .LBB353_7
.LBB353_8:
	s_or_b64 exec, exec, s[4:5]
	s_mov_b64 s[10:11], 0
.LBB353_9:
	s_andn2_b64 vcc, exec, s[10:11]
	s_cbranch_vccnz .LBB353_80
; %bb.10:
	s_load_dword s22, s[0:1], 0x28
	s_load_dword s28, s[0:1], 0x48
	s_lshl_b64 s[0:1], s[8:9], 4
	v_and_b32_e32 v42, 63, v0
	v_mbcnt_lo_u32_b32 v44, -1, 0
	s_waitcnt lgkmcnt(0)
	s_ashr_i32 s23, s22, 31
	s_ashr_i32 s29, s28, 31
	s_add_u32 s33, s6, s0
	s_addc_u32 s44, s7, s1
	s_lshl_b32 s0, s2, 10
	v_lshl_or_b32 v24, v0, 2, s0
	s_lshr_b32 s0, s30, 30
	s_add_i32 s0, s15, s0
	s_and_b32 s45, s0, -4
	s_ashr_i32 s0, s14, 31
	s_lshr_b32 s0, s0, 30
	s_add_i32 s0, s14, s0
	s_and_b32 s0, s0, -4
	v_ashrrev_i32_e32 v25, 31, v24
	s_sub_i32 s21, s14, s0
	v_lshl_add_u64 v[22:23], v[24:25], 4, s[24:25]
	s_cmp_lt_i32 s45, 1
	v_add_u32_e32 v45, 4, v24
	v_add_u32_e32 v46, s21, v24
	v_cmp_gt_u32_e64 s[0:1], 64, v0
	v_cmp_gt_u32_e64 s[4:5], 4, v0
	v_lshrrev_b32_e32 v43, 2, v0
	v_or_b32_e32 v41, 1, v24
	v_or_b32_e32 v40, 2, v24
	;; [unrolled: 1-line block ×3, first 2 shown]
	s_cbranch_scc1 .LBB353_57
; %bb.11:
	v_mbcnt_hi_u32_b32 v2, -1, v44
	v_and_b32_e32 v3, 63, v2
	v_cmp_gt_u32_e32 vcc, 32, v3
	s_mov_b32 s3, 0
	s_cmp_gt_i32 s21, 0
	v_cndmask_b32_e64 v4, 0, 1, vcc
	v_lshlrev_b32_e32 v4, 5, v4
	v_cmp_gt_u32_e32 vcc, 48, v3
	v_add_lshl_u32 v47, v4, v2, 2
	s_cselect_b64 s[30:31], -1, 0
	v_cndmask_b32_e64 v4, 0, 1, vcc
	v_lshlrev_b32_e32 v4, 4, v4
	v_cmp_gt_u32_e32 vcc, 56, v3
	v_add_lshl_u32 v48, v4, v2, 2
	s_lshl_b64 s[34:35], s[2:3], 4
	v_cndmask_b32_e64 v4, 0, 1, vcc
	v_lshlrev_b32_e32 v4, 3, v4
	v_cmp_gt_u32_e32 vcc, 60, v3
	v_add_lshl_u32 v49, v4, v2, 2
	s_add_u32 s46, s33, s34
	v_cndmask_b32_e64 v4, 0, 1, vcc
	v_lshlrev_b32_e32 v4, 2, v4
	v_cmp_gt_u32_e32 vcc, 62, v3
	v_add_lshl_u32 v50, v4, v2, 2
	s_addc_u32 s47, s44, s35
	v_cndmask_b32_e64 v4, 0, 1, vcc
	v_lshlrev_b32_e32 v4, 1, v4
	v_cmp_ne_u32_e32 vcc, 63, v3
	v_add_lshl_u32 v51, v4, v2, 2
	v_mov_b32_e32 v4, 0
	v_addc_co_u32_e32 v2, vcc, 0, v2, vcc
	v_lshlrev_b32_e32 v52, 2, v2
	v_mad_i64_i32 v[2:3], s[34:35], s28, v24, 0
	v_lshl_add_u64 v[26:27], v[2:3], 4, s[26:27]
	v_mad_i64_i32 v[2:3], s[34:35], s28, v41, 0
	v_lshl_add_u64 v[28:29], v[2:3], 4, s[26:27]
	;; [unrolled: 2-line block ×3, first 2 shown]
	v_mad_i64_i32 v[2:3], s[34:35], s28, v1, 0
	v_cmp_ge_i32_e64 s[6:7], s14, v45
	v_cmp_ge_i32_e64 s[8:9], s14, v46
	v_cmp_eq_u32_e64 s[10:11], 0, v42
	v_lshlrev_b32_e32 v53, 4, v42
	v_and_b32_e32 v54, 48, v43
	v_cmp_eq_u32_e64 s[12:13], 0, v0
	v_add_u32_e32 v55, 16, v4
	v_add_u32_e32 v56, 32, v4
	v_lshl_add_u64 v[32:33], v[2:3], 4, s[26:27]
	v_add_u32_e32 v57, 48, v4
	s_lshl_b64 s[34:35], s[28:29], 4
	s_lshl_b64 s[36:37], s[22:23], 6
	;; [unrolled: 1-line block ×3, first 2 shown]
	v_mov_b32_e32 v2, 0
	v_mov_b64_e32 v[34:35], v[22:23]
	s_branch .LBB353_13
.LBB353_12:                             ;   in Loop: Header=BB353_13 Depth=1
	s_or_b64 exec, exec, s[40:41]
	s_add_i32 s3, s3, 4
	s_cmp_ge_i32 s3, s45
	v_lshl_add_u64 v[34:35], v[34:35], 0, s[36:37]
	s_cbranch_scc1 .LBB353_58
.LBB353_13:                             ; =>This Loop Header: Depth=1
                                        ;     Child Loop BB353_44 Depth 2
                                        ;     Child Loop BB353_46 Depth 2
                                        ; implicit-def: $vgpr18_vgpr19
                                        ; implicit-def: $vgpr20_vgpr21
                                        ; implicit-def: $vgpr14_vgpr15
                                        ; implicit-def: $vgpr16_vgpr17
                                        ; implicit-def: $vgpr10_vgpr11
                                        ; implicit-def: $vgpr12_vgpr13
                                        ; implicit-def: $vgpr36_vgpr37
                                        ; implicit-def: $vgpr8_vgpr9
	s_and_saveexec_b64 s[40:41], s[6:7]
	s_xor_b64 s[40:41], exec, s[40:41]
	s_cbranch_execnz .LBB353_40
; %bb.14:                               ;   in Loop: Header=BB353_13 Depth=1
	s_andn2_saveexec_b64 s[40:41], s[40:41]
	s_cbranch_execnz .LBB353_41
.LBB353_15:                             ;   in Loop: Header=BB353_13 Depth=1
	s_or_b64 exec, exec, s[40:41]
	s_and_saveexec_b64 s[40:41], s[0:1]
	s_cbranch_execz .LBB353_17
.LBB353_16:                             ;   in Loop: Header=BB353_13 Depth=1
	v_mov_b32_e32 v3, v2
	v_mov_b32_e32 v4, v2
	;; [unrolled: 1-line block ×3, first 2 shown]
	ds_write_b128 v53, v[2:5]
.LBB353_17:                             ;   in Loop: Header=BB353_13 Depth=1
	s_or_b64 exec, exec, s[40:41]
	ds_bpermute_b32 v4, v47, v36
	ds_bpermute_b32 v5, v47, v37
	;; [unrolled: 1-line block ×4, first 2 shown]
	s_waitcnt lgkmcnt(0)
	s_barrier
	v_add_f64 v[4:5], v[36:37], v[4:5]
	v_add_f64 v[6:7], v[8:9], v[6:7]
	ds_bpermute_b32 v8, v48, v4
	ds_bpermute_b32 v9, v48, v5
	ds_bpermute_b32 v36, v48, v6
	ds_bpermute_b32 v37, v48, v7
	s_waitcnt lgkmcnt(2)
	v_add_f64 v[4:5], v[4:5], v[8:9]
	ds_bpermute_b32 v8, v49, v4
	s_waitcnt lgkmcnt(1)
	v_add_f64 v[6:7], v[6:7], v[36:37]
	ds_bpermute_b32 v9, v49, v5
	ds_bpermute_b32 v36, v49, v6
	ds_bpermute_b32 v37, v49, v7
	s_waitcnt lgkmcnt(2)
	v_add_f64 v[4:5], v[4:5], v[8:9]
	ds_bpermute_b32 v8, v50, v4
	s_waitcnt lgkmcnt(1)
	v_add_f64 v[6:7], v[6:7], v[36:37]
	ds_bpermute_b32 v9, v50, v5
	ds_bpermute_b32 v36, v50, v6
	ds_bpermute_b32 v37, v50, v7
	;; [unrolled: 8-line block ×3, first 2 shown]
	s_waitcnt lgkmcnt(2)
	v_add_f64 v[4:5], v[4:5], v[8:9]
	s_waitcnt lgkmcnt(0)
	v_add_f64 v[8:9], v[6:7], v[36:37]
	ds_bpermute_b32 v6, v52, v4
	ds_bpermute_b32 v7, v52, v5
	;; [unrolled: 1-line block ×4, first 2 shown]
	s_and_saveexec_b64 s[40:41], s[10:11]
	s_cbranch_execz .LBB353_19
; %bb.18:                               ;   in Loop: Header=BB353_13 Depth=1
	s_waitcnt lgkmcnt(0)
	v_add_f64 v[8:9], v[8:9], v[36:37]
	v_add_f64 v[6:7], v[4:5], v[6:7]
	ds_write_b128 v54, v[6:9]
.LBB353_19:                             ;   in Loop: Header=BB353_13 Depth=1
	s_or_b64 exec, exec, s[40:41]
	v_mov_b64_e32 v[8:9], 0
	s_waitcnt lgkmcnt(2)
	v_mov_b64_e32 v[6:7], v[8:9]
	s_waitcnt lgkmcnt(0)
	s_barrier
	s_and_saveexec_b64 s[40:41], s[4:5]
	s_cbranch_execnz .LBB353_48
; %bb.20:                               ;   in Loop: Header=BB353_13 Depth=1
	s_or_b64 exec, exec, s[40:41]
	s_and_saveexec_b64 s[40:41], s[0:1]
	s_cbranch_execnz .LBB353_49
.LBB353_21:                             ;   in Loop: Header=BB353_13 Depth=1
	s_or_b64 exec, exec, s[40:41]
	s_and_saveexec_b64 s[40:41], s[0:1]
	s_cbranch_execz .LBB353_23
.LBB353_22:                             ;   in Loop: Header=BB353_13 Depth=1
	v_mov_b32_e32 v3, v2
	v_mov_b32_e32 v4, v2
	;; [unrolled: 1-line block ×3, first 2 shown]
	ds_write_b128 v53, v[2:5]
.LBB353_23:                             ;   in Loop: Header=BB353_13 Depth=1
	s_or_b64 exec, exec, s[40:41]
	ds_bpermute_b32 v4, v47, v10
	ds_bpermute_b32 v5, v47, v11
	ds_bpermute_b32 v36, v47, v12
	ds_bpermute_b32 v37, v47, v13
	s_waitcnt lgkmcnt(0)
	s_barrier
	v_add_f64 v[4:5], v[10:11], v[4:5]
	v_add_f64 v[10:11], v[12:13], v[36:37]
	ds_bpermute_b32 v12, v48, v4
	ds_bpermute_b32 v13, v48, v5
	;; [unrolled: 1-line block ×4, first 2 shown]
	s_waitcnt lgkmcnt(2)
	v_add_f64 v[4:5], v[4:5], v[12:13]
	ds_bpermute_b32 v12, v49, v4
	s_waitcnt lgkmcnt(1)
	v_add_f64 v[10:11], v[10:11], v[36:37]
	ds_bpermute_b32 v13, v49, v5
	ds_bpermute_b32 v36, v49, v10
	ds_bpermute_b32 v37, v49, v11
	s_waitcnt lgkmcnt(2)
	v_add_f64 v[4:5], v[4:5], v[12:13]
	ds_bpermute_b32 v12, v50, v4
	s_waitcnt lgkmcnt(1)
	v_add_f64 v[10:11], v[10:11], v[36:37]
	ds_bpermute_b32 v13, v50, v5
	ds_bpermute_b32 v36, v50, v10
	ds_bpermute_b32 v37, v50, v11
	;; [unrolled: 8-line block ×3, first 2 shown]
	s_waitcnt lgkmcnt(2)
	v_add_f64 v[4:5], v[4:5], v[12:13]
	s_waitcnt lgkmcnt(0)
	v_add_f64 v[12:13], v[10:11], v[36:37]
	ds_bpermute_b32 v10, v52, v4
	ds_bpermute_b32 v11, v52, v5
	;; [unrolled: 1-line block ×4, first 2 shown]
	s_and_saveexec_b64 s[40:41], s[10:11]
	s_cbranch_execz .LBB353_25
; %bb.24:                               ;   in Loop: Header=BB353_13 Depth=1
	s_waitcnt lgkmcnt(0)
	v_add_f64 v[12:13], v[12:13], v[36:37]
	v_add_f64 v[10:11], v[4:5], v[10:11]
	ds_write_b128 v54, v[10:13]
.LBB353_25:                             ;   in Loop: Header=BB353_13 Depth=1
	s_or_b64 exec, exec, s[40:41]
	v_mov_b64_e32 v[12:13], 0
	s_waitcnt lgkmcnt(2)
	v_mov_b64_e32 v[10:11], v[12:13]
	s_waitcnt lgkmcnt(0)
	s_barrier
	s_and_saveexec_b64 s[40:41], s[4:5]
	s_cbranch_execnz .LBB353_50
; %bb.26:                               ;   in Loop: Header=BB353_13 Depth=1
	s_or_b64 exec, exec, s[40:41]
	s_and_saveexec_b64 s[40:41], s[0:1]
	s_cbranch_execnz .LBB353_51
.LBB353_27:                             ;   in Loop: Header=BB353_13 Depth=1
	s_or_b64 exec, exec, s[40:41]
	s_and_saveexec_b64 s[40:41], s[0:1]
	s_cbranch_execz .LBB353_29
.LBB353_28:                             ;   in Loop: Header=BB353_13 Depth=1
	v_mov_b32_e32 v3, v2
	v_mov_b32_e32 v4, v2
	;; [unrolled: 1-line block ×3, first 2 shown]
	ds_write_b128 v53, v[2:5]
.LBB353_29:                             ;   in Loop: Header=BB353_13 Depth=1
	s_or_b64 exec, exec, s[40:41]
	ds_bpermute_b32 v4, v47, v14
	ds_bpermute_b32 v5, v47, v15
	;; [unrolled: 1-line block ×4, first 2 shown]
	s_waitcnt lgkmcnt(0)
	s_barrier
	v_add_f64 v[4:5], v[14:15], v[4:5]
	v_add_f64 v[14:15], v[16:17], v[36:37]
	ds_bpermute_b32 v16, v48, v4
	ds_bpermute_b32 v17, v48, v5
	;; [unrolled: 1-line block ×4, first 2 shown]
	s_waitcnt lgkmcnt(2)
	v_add_f64 v[4:5], v[4:5], v[16:17]
	ds_bpermute_b32 v16, v49, v4
	s_waitcnt lgkmcnt(1)
	v_add_f64 v[14:15], v[14:15], v[36:37]
	ds_bpermute_b32 v17, v49, v5
	ds_bpermute_b32 v36, v49, v14
	ds_bpermute_b32 v37, v49, v15
	s_waitcnt lgkmcnt(2)
	v_add_f64 v[4:5], v[4:5], v[16:17]
	ds_bpermute_b32 v16, v50, v4
	s_waitcnt lgkmcnt(1)
	v_add_f64 v[14:15], v[14:15], v[36:37]
	ds_bpermute_b32 v17, v50, v5
	ds_bpermute_b32 v36, v50, v14
	ds_bpermute_b32 v37, v50, v15
	;; [unrolled: 8-line block ×3, first 2 shown]
	s_waitcnt lgkmcnt(2)
	v_add_f64 v[4:5], v[4:5], v[16:17]
	s_waitcnt lgkmcnt(0)
	v_add_f64 v[16:17], v[14:15], v[36:37]
	ds_bpermute_b32 v14, v52, v4
	ds_bpermute_b32 v15, v52, v5
	ds_bpermute_b32 v36, v52, v16
	ds_bpermute_b32 v37, v52, v17
	s_and_saveexec_b64 s[40:41], s[10:11]
	s_cbranch_execz .LBB353_31
; %bb.30:                               ;   in Loop: Header=BB353_13 Depth=1
	s_waitcnt lgkmcnt(0)
	v_add_f64 v[16:17], v[16:17], v[36:37]
	v_add_f64 v[14:15], v[4:5], v[14:15]
	ds_write_b128 v54, v[14:17]
.LBB353_31:                             ;   in Loop: Header=BB353_13 Depth=1
	s_or_b64 exec, exec, s[40:41]
	v_mov_b64_e32 v[16:17], 0
	s_waitcnt lgkmcnt(2)
	v_mov_b64_e32 v[14:15], v[16:17]
	s_waitcnt lgkmcnt(0)
	s_barrier
	s_and_saveexec_b64 s[40:41], s[4:5]
	s_cbranch_execnz .LBB353_52
; %bb.32:                               ;   in Loop: Header=BB353_13 Depth=1
	s_or_b64 exec, exec, s[40:41]
	s_and_saveexec_b64 s[40:41], s[0:1]
	s_cbranch_execnz .LBB353_53
.LBB353_33:                             ;   in Loop: Header=BB353_13 Depth=1
	s_or_b64 exec, exec, s[40:41]
	s_and_saveexec_b64 s[40:41], s[0:1]
	s_cbranch_execz .LBB353_35
.LBB353_34:                             ;   in Loop: Header=BB353_13 Depth=1
	v_mov_b32_e32 v3, v2
	v_mov_b32_e32 v4, v2
	v_mov_b32_e32 v5, v2
	ds_write_b128 v53, v[2:5]
.LBB353_35:                             ;   in Loop: Header=BB353_13 Depth=1
	s_or_b64 exec, exec, s[40:41]
	ds_bpermute_b32 v4, v47, v18
	ds_bpermute_b32 v5, v47, v19
	;; [unrolled: 1-line block ×4, first 2 shown]
	s_waitcnt lgkmcnt(0)
	s_barrier
	v_add_f64 v[4:5], v[18:19], v[4:5]
	v_add_f64 v[18:19], v[20:21], v[36:37]
	ds_bpermute_b32 v20, v48, v4
	ds_bpermute_b32 v21, v48, v5
	ds_bpermute_b32 v36, v48, v18
	ds_bpermute_b32 v37, v48, v19
	s_waitcnt lgkmcnt(2)
	v_add_f64 v[4:5], v[4:5], v[20:21]
	ds_bpermute_b32 v20, v49, v4
	s_waitcnt lgkmcnt(1)
	v_add_f64 v[18:19], v[18:19], v[36:37]
	ds_bpermute_b32 v21, v49, v5
	ds_bpermute_b32 v36, v49, v18
	ds_bpermute_b32 v37, v49, v19
	s_waitcnt lgkmcnt(2)
	v_add_f64 v[4:5], v[4:5], v[20:21]
	ds_bpermute_b32 v20, v50, v4
	s_waitcnt lgkmcnt(1)
	v_add_f64 v[18:19], v[18:19], v[36:37]
	ds_bpermute_b32 v21, v50, v5
	ds_bpermute_b32 v36, v50, v18
	ds_bpermute_b32 v37, v50, v19
	;; [unrolled: 8-line block ×3, first 2 shown]
	s_waitcnt lgkmcnt(2)
	v_add_f64 v[4:5], v[4:5], v[20:21]
	s_waitcnt lgkmcnt(0)
	v_add_f64 v[20:21], v[18:19], v[36:37]
	ds_bpermute_b32 v18, v52, v4
	ds_bpermute_b32 v19, v52, v5
	;; [unrolled: 1-line block ×4, first 2 shown]
	s_and_saveexec_b64 s[40:41], s[10:11]
	s_cbranch_execz .LBB353_37
; %bb.36:                               ;   in Loop: Header=BB353_13 Depth=1
	s_waitcnt lgkmcnt(0)
	v_add_f64 v[20:21], v[20:21], v[36:37]
	v_add_f64 v[18:19], v[4:5], v[18:19]
	ds_write_b128 v54, v[18:21]
.LBB353_37:                             ;   in Loop: Header=BB353_13 Depth=1
	s_or_b64 exec, exec, s[40:41]
	v_mov_b64_e32 v[20:21], 0
	s_waitcnt lgkmcnt(2)
	v_mov_b64_e32 v[18:19], v[20:21]
	s_waitcnt lgkmcnt(0)
	s_barrier
	s_and_saveexec_b64 s[40:41], s[4:5]
	s_cbranch_execnz .LBB353_54
; %bb.38:                               ;   in Loop: Header=BB353_13 Depth=1
	s_or_b64 exec, exec, s[40:41]
	s_and_saveexec_b64 s[40:41], s[0:1]
	s_cbranch_execnz .LBB353_55
.LBB353_39:                             ;   in Loop: Header=BB353_13 Depth=1
	s_or_b64 exec, exec, s[40:41]
	s_and_saveexec_b64 s[40:41], s[12:13]
	s_cbranch_execz .LBB353_12
	s_branch .LBB353_56
.LBB353_40:                             ;   in Loop: Header=BB353_13 Depth=1
	flat_load_dwordx4 v[36:39], v[26:27]
	flat_load_dwordx4 v[4:7], v[28:29]
	s_mul_i32 s42, s3, s23
	s_mul_hi_u32 s43, s3, s22
	s_add_i32 s43, s43, s42
	s_mul_i32 s42, s3, s22
	v_lshl_add_u64 v[8:9], s[42:43], 4, v[22:23]
	s_or_b32 s42, s3, 1
	s_mul_i32 s43, s42, s23
	s_mul_hi_u32 s48, s42, s22
	s_add_i32 s43, s48, s43
	s_mul_i32 s42, s42, s22
	s_waitcnt vmcnt(0) lgkmcnt(0)
	scratch_store_dwordx4 off, v[36:39], off
	scratch_store_dwordx4 v55, v[4:7], off
	flat_load_dwordx4 v[4:7], v[30:31]
	s_waitcnt vmcnt(0) lgkmcnt(0)
	scratch_store_dwordx4 v56, v[4:7], off
	flat_load_dwordx4 v[4:7], v[32:33]
	s_waitcnt vmcnt(0) lgkmcnt(0)
	;; [unrolled: 3-line block ×3, first 2 shown]
	v_mul_f64 v[10:11], v[38:39], v[6:7]
	v_fma_f64 v[10:11], v[36:37], v[4:5], -v[10:11]
	v_mul_f64 v[6:7], v[36:37], v[6:7]
	v_fmac_f64_e32 v[6:7], v[38:39], v[4:5]
	v_add_f64 v[4:5], v[10:11], 0
	v_lshl_add_u64 v[10:11], s[42:43], 4, v[22:23]
	flat_load_dwordx4 v[12:15], v[10:11]
	s_or_b32 s42, s3, 2
	s_mul_i32 s43, s42, s23
	s_mul_hi_u32 s48, s42, s22
	s_add_i32 s43, s48, s43
	s_mul_i32 s42, s42, s22
	v_add_f64 v[6:7], v[6:7], 0
	s_waitcnt vmcnt(0) lgkmcnt(0)
	v_mul_f64 v[16:17], v[38:39], v[14:15]
	v_mul_f64 v[14:15], v[36:37], v[14:15]
	v_fmac_f64_e32 v[14:15], v[38:39], v[12:13]
	v_fma_f64 v[16:17], v[36:37], v[12:13], -v[16:17]
	v_add_f64 v[20:21], v[14:15], 0
	v_lshl_add_u64 v[14:15], s[42:43], 4, v[22:23]
	v_add_f64 v[12:13], v[16:17], 0
	flat_load_dwordx4 v[16:19], v[14:15]
	s_or_b32 s42, s3, 3
	s_mul_i32 s43, s42, s23
	s_mul_hi_u32 s48, s42, s22
	s_add_i32 s43, s48, s43
	s_mul_i32 s42, s42, s22
	s_waitcnt vmcnt(0) lgkmcnt(0)
	v_mul_f64 v[58:59], v[38:39], v[18:19]
	v_mul_f64 v[18:19], v[36:37], v[18:19]
	v_fmac_f64_e32 v[18:19], v[38:39], v[16:17]
	v_fma_f64 v[58:59], v[36:37], v[16:17], -v[58:59]
	v_add_f64 v[62:63], v[18:19], 0
	v_lshl_add_u64 v[18:19], s[42:43], 4, v[22:23]
	v_add_f64 v[16:17], v[58:59], 0
	flat_load_dwordx4 v[58:61], v[18:19]
	s_waitcnt vmcnt(0) lgkmcnt(0)
	v_mul_f64 v[64:65], v[38:39], v[60:61]
	v_fma_f64 v[64:65], v[36:37], v[58:59], -v[64:65]
	v_mul_f64 v[36:37], v[36:37], v[60:61]
	v_fmac_f64_e32 v[36:37], v[38:39], v[58:59]
	v_add_f64 v[66:67], v[36:37], 0
	scratch_load_dwordx4 v[36:39], off, off offset:16
	flat_load_dwordx4 v[58:61], v[8:9] offset:16
	v_add_f64 v[64:65], v[64:65], 0
	s_waitcnt vmcnt(0) lgkmcnt(0)
	v_mul_f64 v[68:69], v[38:39], v[60:61]
	v_mul_f64 v[60:61], v[36:37], v[60:61]
	v_fma_f64 v[68:69], v[36:37], v[58:59], -v[68:69]
	v_fmac_f64_e32 v[60:61], v[38:39], v[58:59]
	v_add_f64 v[58:59], v[4:5], v[68:69]
	v_add_f64 v[60:61], v[6:7], v[60:61]
	flat_load_dwordx4 v[4:7], v[10:11] offset:16
	s_waitcnt vmcnt(0) lgkmcnt(0)
	v_mul_f64 v[68:69], v[38:39], v[6:7]
	v_mul_f64 v[6:7], v[36:37], v[6:7]
	v_fmac_f64_e32 v[6:7], v[38:39], v[4:5]
	v_fma_f64 v[68:69], v[36:37], v[4:5], -v[68:69]
	v_add_f64 v[20:21], v[20:21], v[6:7]
	flat_load_dwordx4 v[4:7], v[14:15] offset:16
	v_add_f64 v[12:13], v[12:13], v[68:69]
	s_waitcnt vmcnt(0) lgkmcnt(0)
	v_mul_f64 v[68:69], v[38:39], v[6:7]
	v_mul_f64 v[6:7], v[36:37], v[6:7]
	v_fmac_f64_e32 v[6:7], v[38:39], v[4:5]
	v_fma_f64 v[68:69], v[36:37], v[4:5], -v[68:69]
	v_add_f64 v[62:63], v[62:63], v[6:7]
	flat_load_dwordx4 v[4:7], v[18:19] offset:16
	v_add_f64 v[16:17], v[16:17], v[68:69]
	s_waitcnt vmcnt(0) lgkmcnt(0)
	v_mul_f64 v[68:69], v[38:39], v[6:7]
	v_mul_f64 v[6:7], v[36:37], v[6:7]
	v_fmac_f64_e32 v[6:7], v[38:39], v[4:5]
	v_fma_f64 v[68:69], v[36:37], v[4:5], -v[68:69]
	v_add_f64 v[66:67], v[66:67], v[6:7]
	scratch_load_dwordx4 v[4:7], off, off offset:32
	flat_load_dwordx4 v[36:39], v[8:9] offset:32
	v_add_f64 v[64:65], v[64:65], v[68:69]
	s_waitcnt vmcnt(0) lgkmcnt(0)
	v_mul_f64 v[68:69], v[6:7], v[38:39]
	v_mul_f64 v[38:39], v[4:5], v[38:39]
	v_fmac_f64_e32 v[38:39], v[6:7], v[36:37]
	v_fma_f64 v[68:69], v[4:5], v[36:37], -v[68:69]
	v_add_f64 v[70:71], v[60:61], v[38:39]
	flat_load_dwordx4 v[36:39], v[10:11] offset:32
	v_add_f64 v[68:69], v[58:59], v[68:69]
	s_waitcnt vmcnt(0) lgkmcnt(0)
	v_mul_f64 v[58:59], v[6:7], v[38:39]
	v_mul_f64 v[38:39], v[4:5], v[38:39]
	v_fmac_f64_e32 v[38:39], v[6:7], v[36:37]
	v_fma_f64 v[58:59], v[4:5], v[36:37], -v[58:59]
	v_add_f64 v[74:75], v[20:21], v[38:39]
	flat_load_dwordx4 v[36:39], v[14:15] offset:32
	v_add_f64 v[72:73], v[12:13], v[58:59]
	s_waitcnt vmcnt(0) lgkmcnt(0)
	v_mul_f64 v[12:13], v[6:7], v[38:39]
	v_mul_f64 v[20:21], v[4:5], v[38:39]
	v_fma_f64 v[12:13], v[4:5], v[36:37], -v[12:13]
	v_fmac_f64_e32 v[20:21], v[6:7], v[36:37]
	flat_load_dwordx4 v[36:39], v[18:19] offset:32
	v_add_f64 v[76:77], v[16:17], v[12:13]
	v_add_f64 v[62:63], v[62:63], v[20:21]
	s_waitcnt vmcnt(0) lgkmcnt(0)
	v_mul_f64 v[12:13], v[6:7], v[38:39]
	v_fma_f64 v[12:13], v[4:5], v[36:37], -v[12:13]
	v_mul_f64 v[4:5], v[4:5], v[38:39]
	v_fmac_f64_e32 v[4:5], v[6:7], v[36:37]
	v_add_f64 v[38:39], v[66:67], v[4:5]
	scratch_load_dwordx4 v[4:7], off, off offset:48
	flat_load_dwordx4 v[58:61], v[8:9] offset:48
	v_add_f64 v[20:21], v[64:65], v[12:13]
	s_waitcnt vmcnt(0) lgkmcnt(0)
	v_mul_f64 v[8:9], v[6:7], v[60:61]
	v_mul_f64 v[12:13], v[4:5], v[60:61]
	v_fma_f64 v[8:9], v[4:5], v[58:59], -v[8:9]
	v_fmac_f64_e32 v[12:13], v[6:7], v[58:59]
	v_add_f64 v[36:37], v[68:69], v[8:9]
	v_add_f64 v[8:9], v[70:71], v[12:13]
	flat_load_dwordx4 v[10:13], v[10:11] offset:48
	s_waitcnt vmcnt(0) lgkmcnt(0)
	v_mul_f64 v[16:17], v[6:7], v[12:13]
	v_fma_f64 v[16:17], v[4:5], v[10:11], -v[16:17]
	v_mul_f64 v[12:13], v[4:5], v[12:13]
	v_fmac_f64_e32 v[12:13], v[6:7], v[10:11]
	v_add_f64 v[10:11], v[72:73], v[16:17]
	flat_load_dwordx4 v[14:17], v[14:15] offset:48
	v_add_f64 v[12:13], v[74:75], v[12:13]
	s_waitcnt vmcnt(0) lgkmcnt(0)
	v_mul_f64 v[58:59], v[6:7], v[16:17]
	v_fma_f64 v[58:59], v[4:5], v[14:15], -v[58:59]
	v_mul_f64 v[16:17], v[4:5], v[16:17]
	v_fmac_f64_e32 v[16:17], v[6:7], v[14:15]
	v_add_f64 v[14:15], v[76:77], v[58:59]
	flat_load_dwordx4 v[58:61], v[18:19] offset:48
	v_add_f64 v[16:17], v[62:63], v[16:17]
	s_waitcnt vmcnt(0) lgkmcnt(0)
	v_mul_f64 v[18:19], v[6:7], v[60:61]
	v_fma_f64 v[18:19], v[4:5], v[58:59], -v[18:19]
	v_mul_f64 v[4:5], v[4:5], v[60:61]
	v_fmac_f64_e32 v[4:5], v[6:7], v[58:59]
	v_add_f64 v[18:19], v[20:21], v[18:19]
	v_add_f64 v[20:21], v[38:39], v[4:5]
	s_andn2_saveexec_b64 s[40:41], s[40:41]
	s_cbranch_execz .LBB353_15
.LBB353_41:                             ;   in Loop: Header=BB353_13 Depth=1
	s_waitcnt lgkmcnt(0)
	v_mov_b64_e32 v[18:19], 0
	v_mov_b64_e32 v[20:21], v[18:19]
	;; [unrolled: 1-line block ×8, first 2 shown]
	s_and_saveexec_b64 s[42:43], s[8:9]
	s_cbranch_execz .LBB353_47
; %bb.42:                               ;   in Loop: Header=BB353_13 Depth=1
	v_mov_b64_e32 v[18:19], 0
	s_andn2_b64 vcc, exec, s[30:31]
	v_mov_b64_e32 v[20:21], v[18:19]
	v_mov_b64_e32 v[14:15], v[18:19]
	;; [unrolled: 1-line block ×7, first 2 shown]
	s_cbranch_vccnz .LBB353_47
; %bb.43:                               ;   in Loop: Header=BB353_13 Depth=1
	v_mov_b32_e32 v3, 0
	v_mov_b64_e32 v[4:5], v[26:27]
	s_mov_b32 s48, s21
.LBB353_44:                             ;   Parent Loop BB353_13 Depth=1
                                        ; =>  This Inner Loop Header: Depth=2
	flat_load_dwordx4 v[6:9], v[4:5]
	s_add_i32 s48, s48, -1
	v_lshl_add_u64 v[4:5], v[4:5], 0, s[34:35]
	s_cmp_eq_u32 s48, 0
	s_waitcnt vmcnt(0) lgkmcnt(0)
	scratch_store_dwordx4 v3, v[6:9], off
	v_add_u32_e32 v3, 16, v3
	s_cbranch_scc0 .LBB353_44
; %bb.45:                               ;   in Loop: Header=BB353_13 Depth=1
	v_mov_b64_e32 v[8:9], 0
	v_mov_b32_e32 v3, 0
	v_mov_b64_e32 v[4:5], v[34:35]
	s_mov_b32 s48, s21
	v_mov_b64_e32 v[36:37], v[8:9]
	v_mov_b64_e32 v[12:13], v[8:9]
	v_mov_b64_e32 v[10:11], v[8:9]
	v_mov_b64_e32 v[16:17], v[8:9]
	v_mov_b64_e32 v[14:15], v[8:9]
	v_mov_b64_e32 v[20:21], v[8:9]
	v_mov_b64_e32 v[18:19], v[8:9]
.LBB353_46:                             ;   Parent Loop BB353_13 Depth=1
                                        ; =>  This Inner Loop Header: Depth=2
	scratch_load_dwordx4 v[58:61], v3, off
	flat_load_dwordx4 v[62:65], v[4:5]
	s_add_i32 s48, s48, -1
	v_add_u32_e32 v3, 16, v3
	s_cmp_lg_u32 s48, 0
	s_waitcnt vmcnt(0) lgkmcnt(0)
	v_mul_f64 v[6:7], v[60:61], v[64:65]
	v_fma_f64 v[6:7], v[58:59], v[62:63], -v[6:7]
	v_mul_f64 v[38:39], v[58:59], v[64:65]
	v_add_f64 v[36:37], v[36:37], v[6:7]
	v_lshl_add_u64 v[6:7], v[4:5], 0, s[38:39]
	v_fmac_f64_e32 v[38:39], v[60:61], v[62:63]
	flat_load_dwordx4 v[62:65], v[6:7]
	v_add_f64 v[8:9], v[8:9], v[38:39]
	v_lshl_add_u64 v[6:7], v[6:7], 0, s[38:39]
	v_lshl_add_u64 v[4:5], v[4:5], 0, 16
	s_waitcnt vmcnt(0) lgkmcnt(0)
	v_mul_f64 v[38:39], v[60:61], v[64:65]
	v_mul_f64 v[64:65], v[58:59], v[64:65]
	v_fmac_f64_e32 v[64:65], v[60:61], v[62:63]
	v_fma_f64 v[38:39], v[58:59], v[62:63], -v[38:39]
	v_add_f64 v[12:13], v[12:13], v[64:65]
	flat_load_dwordx4 v[62:65], v[6:7]
	v_add_f64 v[10:11], v[10:11], v[38:39]
	v_lshl_add_u64 v[6:7], v[6:7], 0, s[38:39]
	s_waitcnt vmcnt(0) lgkmcnt(0)
	v_mul_f64 v[38:39], v[60:61], v[64:65]
	v_mul_f64 v[64:65], v[58:59], v[64:65]
	v_fmac_f64_e32 v[64:65], v[60:61], v[62:63]
	v_fma_f64 v[38:39], v[58:59], v[62:63], -v[38:39]
	v_add_f64 v[16:17], v[16:17], v[64:65]
	flat_load_dwordx4 v[62:65], v[6:7]
	v_add_f64 v[14:15], v[14:15], v[38:39]
	s_waitcnt vmcnt(0) lgkmcnt(0)
	v_mul_f64 v[6:7], v[60:61], v[64:65]
	v_mul_f64 v[38:39], v[58:59], v[64:65]
	v_fma_f64 v[6:7], v[58:59], v[62:63], -v[6:7]
	v_fmac_f64_e32 v[38:39], v[60:61], v[62:63]
	v_add_f64 v[18:19], v[18:19], v[6:7]
	v_add_f64 v[20:21], v[20:21], v[38:39]
	s_cbranch_scc1 .LBB353_46
.LBB353_47:                             ;   in Loop: Header=BB353_13 Depth=1
	s_or_b64 exec, exec, s[42:43]
	s_or_b64 exec, exec, s[40:41]
	s_and_saveexec_b64 s[40:41], s[0:1]
	s_cbranch_execnz .LBB353_16
	s_branch .LBB353_17
.LBB353_48:                             ;   in Loop: Header=BB353_13 Depth=1
	ds_read_b128 v[6:9], v53
	s_or_b64 exec, exec, s[40:41]
	s_and_saveexec_b64 s[40:41], s[0:1]
	s_cbranch_execz .LBB353_21
.LBB353_49:                             ;   in Loop: Header=BB353_13 Depth=1
	s_waitcnt lgkmcnt(0)
	ds_bpermute_b32 v4, v51, v6
	ds_bpermute_b32 v5, v51, v7
	;; [unrolled: 1-line block ×4, first 2 shown]
	s_waitcnt lgkmcnt(2)
	v_add_f64 v[4:5], v[6:7], v[4:5]
	ds_bpermute_b32 v6, v52, v4
	s_waitcnt lgkmcnt(1)
	v_add_f64 v[8:9], v[8:9], v[36:37]
	ds_bpermute_b32 v7, v52, v5
	ds_bpermute_b32 v36, v52, v8
	;; [unrolled: 1-line block ×3, first 2 shown]
	s_waitcnt lgkmcnt(2)
	v_add_f64 v[6:7], v[4:5], v[6:7]
	s_waitcnt lgkmcnt(0)
	v_add_f64 v[8:9], v[8:9], v[36:37]
	s_or_b64 exec, exec, s[40:41]
	s_and_saveexec_b64 s[40:41], s[0:1]
	s_cbranch_execnz .LBB353_22
	s_branch .LBB353_23
.LBB353_50:                             ;   in Loop: Header=BB353_13 Depth=1
	ds_read_b128 v[10:13], v53
	s_or_b64 exec, exec, s[40:41]
	s_and_saveexec_b64 s[40:41], s[0:1]
	s_cbranch_execz .LBB353_27
.LBB353_51:                             ;   in Loop: Header=BB353_13 Depth=1
	s_waitcnt lgkmcnt(0)
	ds_bpermute_b32 v4, v51, v10
	ds_bpermute_b32 v5, v51, v11
	;; [unrolled: 1-line block ×4, first 2 shown]
	s_waitcnt lgkmcnt(2)
	v_add_f64 v[4:5], v[10:11], v[4:5]
	ds_bpermute_b32 v10, v52, v4
	s_waitcnt lgkmcnt(1)
	v_add_f64 v[12:13], v[12:13], v[36:37]
	ds_bpermute_b32 v11, v52, v5
	ds_bpermute_b32 v36, v52, v12
	;; [unrolled: 1-line block ×3, first 2 shown]
	s_waitcnt lgkmcnt(2)
	v_add_f64 v[10:11], v[4:5], v[10:11]
	s_waitcnt lgkmcnt(0)
	v_add_f64 v[12:13], v[12:13], v[36:37]
	s_or_b64 exec, exec, s[40:41]
	s_and_saveexec_b64 s[40:41], s[0:1]
	s_cbranch_execnz .LBB353_28
	s_branch .LBB353_29
.LBB353_52:                             ;   in Loop: Header=BB353_13 Depth=1
	ds_read_b128 v[14:17], v53
	s_or_b64 exec, exec, s[40:41]
	s_and_saveexec_b64 s[40:41], s[0:1]
	s_cbranch_execz .LBB353_33
.LBB353_53:                             ;   in Loop: Header=BB353_13 Depth=1
	s_waitcnt lgkmcnt(0)
	ds_bpermute_b32 v4, v51, v14
	ds_bpermute_b32 v5, v51, v15
	;; [unrolled: 1-line block ×4, first 2 shown]
	s_waitcnt lgkmcnt(2)
	v_add_f64 v[4:5], v[14:15], v[4:5]
	ds_bpermute_b32 v14, v52, v4
	s_waitcnt lgkmcnt(1)
	v_add_f64 v[16:17], v[16:17], v[36:37]
	ds_bpermute_b32 v15, v52, v5
	ds_bpermute_b32 v36, v52, v16
	ds_bpermute_b32 v37, v52, v17
	s_waitcnt lgkmcnt(2)
	v_add_f64 v[14:15], v[4:5], v[14:15]
	s_waitcnt lgkmcnt(0)
	v_add_f64 v[16:17], v[16:17], v[36:37]
	s_or_b64 exec, exec, s[40:41]
	s_and_saveexec_b64 s[40:41], s[0:1]
	s_cbranch_execnz .LBB353_34
	s_branch .LBB353_35
.LBB353_54:                             ;   in Loop: Header=BB353_13 Depth=1
	ds_read_b128 v[18:21], v53
	s_or_b64 exec, exec, s[40:41]
	s_and_saveexec_b64 s[40:41], s[0:1]
	s_cbranch_execz .LBB353_39
.LBB353_55:                             ;   in Loop: Header=BB353_13 Depth=1
	s_waitcnt lgkmcnt(0)
	ds_bpermute_b32 v4, v51, v18
	ds_bpermute_b32 v5, v51, v19
	;; [unrolled: 1-line block ×4, first 2 shown]
	s_waitcnt lgkmcnt(2)
	v_add_f64 v[4:5], v[18:19], v[4:5]
	ds_bpermute_b32 v18, v52, v4
	s_waitcnt lgkmcnt(1)
	v_add_f64 v[20:21], v[20:21], v[36:37]
	ds_bpermute_b32 v19, v52, v5
	ds_bpermute_b32 v36, v52, v20
	;; [unrolled: 1-line block ×3, first 2 shown]
	s_waitcnt lgkmcnt(2)
	v_add_f64 v[18:19], v[4:5], v[18:19]
	s_waitcnt lgkmcnt(0)
	v_add_f64 v[20:21], v[20:21], v[36:37]
	s_or_b64 exec, exec, s[40:41]
	s_and_saveexec_b64 s[40:41], s[12:13]
	s_cbranch_execz .LBB353_12
.LBB353_56:                             ;   in Loop: Header=BB353_13 Depth=1
	s_mul_hi_u32 s43, s3, s20
	s_mul_i32 s42, s3, s20
	s_lshl_b64 s[42:43], s[42:43], 4
	v_mul_f64 v[4:5], s[18:19], v[8:9]
	v_mul_f64 v[38:39], s[16:17], v[8:9]
	s_add_u32 s42, s46, s42
	v_fma_f64 v[36:37], s[16:17], v[6:7], -v[4:5]
	v_fmac_f64_e32 v[38:39], s[18:19], v[6:7]
	s_addc_u32 s43, s47, s43
	global_store_dwordx4 v2, v[36:39], s[42:43]
	s_or_b32 s42, s3, 1
	s_mul_hi_u32 s43, s42, s20
	s_mul_i32 s42, s42, s20
	s_lshl_b64 s[42:43], s[42:43], 4
	v_mul_f64 v[4:5], s[18:19], v[12:13]
	v_mul_f64 v[6:7], s[16:17], v[12:13]
	s_add_u32 s42, s46, s42
	v_fma_f64 v[4:5], s[16:17], v[10:11], -v[4:5]
	v_fmac_f64_e32 v[6:7], s[18:19], v[10:11]
	s_addc_u32 s43, s47, s43
	global_store_dwordx4 v2, v[4:7], s[42:43]
	s_or_b32 s42, s3, 2
	;; [unrolled: 11-line block ×3, first 2 shown]
	s_mul_hi_u32 s43, s42, s20
	s_mul_i32 s42, s42, s20
	s_lshl_b64 s[42:43], s[42:43], 4
	s_waitcnt lgkmcnt(0)
	v_mul_f64 v[4:5], s[18:19], v[20:21]
	v_mul_f64 v[6:7], s[16:17], v[20:21]
	s_add_u32 s42, s46, s42
	v_fma_f64 v[4:5], s[16:17], v[18:19], -v[4:5]
	v_fmac_f64_e32 v[6:7], s[18:19], v[18:19]
	s_addc_u32 s43, s47, s43
	global_store_dwordx4 v2, v[4:7], s[42:43]
	s_branch .LBB353_12
.LBB353_57:
	s_mov_b32 s3, 0
.LBB353_58:
	s_cmp_ge_i32 s3, s15
	s_cbranch_scc1 .LBB353_80
; %bb.59:
	v_mbcnt_hi_u32_b32 v2, -1, v44
	v_and_b32_e32 v3, 63, v2
	v_cmp_gt_u32_e64 s[4:5], 32, v3
	s_mov_b32 s13, 0
	s_cmp_gt_i32 s21, 0
	v_cndmask_b32_e64 v4, 0, 1, s[4:5]
	v_lshlrev_b32_e32 v4, 5, v4
	v_cmp_gt_u32_e64 s[4:5], 48, v3
	s_waitcnt lgkmcnt(0)
	v_add_lshl_u32 v21, v4, v2, 2
	s_mov_b32 s12, s2
	v_cndmask_b32_e64 v4, 0, 1, s[4:5]
	v_lshlrev_b32_e32 v4, 4, v4
	v_cmp_gt_u32_e64 s[4:5], 56, v3
	v_add_lshl_u32 v26, v4, v2, 2
	s_cselect_b64 s[30:31], -1, 0
	v_cndmask_b32_e64 v4, 0, 1, s[4:5]
	v_lshlrev_b32_e32 v4, 3, v4
	v_cmp_gt_u32_e64 s[4:5], 60, v3
	v_add_lshl_u32 v27, v4, v2, 2
	s_lshl_b64 s[12:13], s[12:13], 4
	v_cndmask_b32_e64 v4, 0, 1, s[4:5]
	v_lshlrev_b32_e32 v4, 2, v4
	v_cmp_gt_u32_e64 s[4:5], 62, v3
	v_add_lshl_u32 v28, v4, v2, 2
	s_add_u32 s2, s33, s12
	v_cndmask_b32_e64 v4, 0, 1, s[4:5]
	v_lshlrev_b32_e32 v4, 1, v4
	v_cmp_ne_u32_e64 s[4:5], 63, v3
	v_add_lshl_u32 v29, v4, v2, 2
	v_cmp_ge_i32_e32 vcc, s14, v45
	v_addc_co_u32_e64 v2, s[4:5], 0, v2, s[4:5]
	v_cmp_ge_i32_e64 s[10:11], s14, v46
	v_lshlrev_b32_e32 v30, 2, v2
	s_addc_u32 s14, s44, s13
	v_mad_i64_i32 v[2:3], s[12:13], s28, v24, 0
	v_lshl_add_u64 v[6:7], v[2:3], 4, s[26:27]
	v_mad_i64_i32 v[2:3], s[12:13], s28, v41, 0
	v_cmp_gt_u32_e64 s[0:1], 64, v0
	v_cmp_gt_u32_e64 s[6:7], 4, v0
	v_cmp_eq_u32_e64 s[8:9], 0, v0
	v_lshl_add_u64 v[8:9], v[2:3], 4, s[26:27]
	v_mad_i64_i32 v[2:3], s[12:13], s28, v40, 0
	v_mad_i64_i32 v[0:1], s[12:13], s28, v1, 0
	v_lshl_add_u64 v[10:11], v[2:3], 4, s[26:27]
	v_lshl_add_u64 v[12:13], v[0:1], 4, s[26:27]
	s_mul_i32 s26, s23, s3
	s_mul_hi_u32 s27, s22, s3
	s_add_i32 s27, s27, s26
	s_mul_i32 s26, s22, s3
	s_and_b64 s[10:11], s[30:31], s[10:11]
	s_lshl_b64 s[12:13], s[28:29], 4
	s_lshl_b64 s[26:27], s[26:27], 4
	s_add_u32 s24, s24, s26
	v_mov_b32_e32 v4, 0
	s_addc_u32 s25, s25, s27
	v_lshlrev_b32_e32 v20, 4, v42
	v_cmp_eq_u32_e64 s[4:5], 0, v42
	v_and_b32_e32 v31, 48, v43
	v_add_u32_e32 v32, 16, v4
	v_add_u32_e32 v33, 32, v4
	;; [unrolled: 1-line block ×3, first 2 shown]
	v_lshl_add_u64 v[14:15], v[24:25], 4, s[24:25]
	s_lshl_b64 s[24:25], s[22:23], 4
	v_mov_b32_e32 v0, 0
	s_branch .LBB353_61
.LBB353_60:                             ;   in Loop: Header=BB353_61 Depth=1
	s_or_b64 exec, exec, s[26:27]
	s_add_i32 s3, s3, 1
	s_cmp_lt_i32 s3, s15
	v_lshl_add_u64 v[14:15], v[14:15], 0, s[24:25]
	s_cbranch_scc0 .LBB353_80
.LBB353_61:                             ; =>This Loop Header: Depth=1
                                        ;     Child Loop BB353_73 Depth 2
                                        ;     Child Loop BB353_75 Depth 2
                                        ; implicit-def: $vgpr4_vgpr5
                                        ; implicit-def: $vgpr16_vgpr17
	s_and_saveexec_b64 s[26:27], vcc
	s_xor_b64 s[26:27], exec, s[26:27]
	s_cbranch_execnz .LBB353_70
; %bb.62:                               ;   in Loop: Header=BB353_61 Depth=1
	s_andn2_saveexec_b64 s[26:27], s[26:27]
	s_cbranch_execnz .LBB353_71
.LBB353_63:                             ;   in Loop: Header=BB353_61 Depth=1
	s_or_b64 exec, exec, s[26:27]
	s_and_saveexec_b64 s[26:27], s[0:1]
	s_cbranch_execz .LBB353_65
.LBB353_64:                             ;   in Loop: Header=BB353_61 Depth=1
	v_mov_b32_e32 v1, v0
	s_waitcnt lgkmcnt(0)
	v_mov_b32_e32 v2, v0
	v_mov_b32_e32 v3, v0
	ds_write_b128 v20, v[0:3]
.LBB353_65:                             ;   in Loop: Header=BB353_61 Depth=1
	s_or_b64 exec, exec, s[26:27]
	s_waitcnt lgkmcnt(0)
	ds_bpermute_b32 v2, v21, v4
	ds_bpermute_b32 v3, v21, v5
	;; [unrolled: 1-line block ×4, first 2 shown]
	s_waitcnt lgkmcnt(0)
	s_barrier
	v_add_f64 v[2:3], v[4:5], v[2:3]
	v_add_f64 v[4:5], v[16:17], v[18:19]
	ds_bpermute_b32 v16, v26, v2
	ds_bpermute_b32 v17, v26, v3
	;; [unrolled: 1-line block ×4, first 2 shown]
	s_waitcnt lgkmcnt(2)
	v_add_f64 v[2:3], v[2:3], v[16:17]
	ds_bpermute_b32 v16, v27, v2
	s_waitcnt lgkmcnt(1)
	v_add_f64 v[4:5], v[4:5], v[18:19]
	ds_bpermute_b32 v17, v27, v3
	ds_bpermute_b32 v18, v27, v4
	ds_bpermute_b32 v19, v27, v5
	s_waitcnt lgkmcnt(2)
	v_add_f64 v[2:3], v[2:3], v[16:17]
	ds_bpermute_b32 v16, v28, v2
	s_waitcnt lgkmcnt(1)
	v_add_f64 v[4:5], v[4:5], v[18:19]
	ds_bpermute_b32 v17, v28, v3
	ds_bpermute_b32 v18, v28, v4
	ds_bpermute_b32 v19, v28, v5
	;; [unrolled: 8-line block ×3, first 2 shown]
	s_waitcnt lgkmcnt(2)
	v_add_f64 v[2:3], v[2:3], v[16:17]
	s_waitcnt lgkmcnt(0)
	v_add_f64 v[16:17], v[4:5], v[18:19]
	ds_bpermute_b32 v4, v30, v2
	ds_bpermute_b32 v5, v30, v3
	ds_bpermute_b32 v18, v30, v16
	ds_bpermute_b32 v19, v30, v17
	s_and_saveexec_b64 s[26:27], s[4:5]
	s_cbranch_execz .LBB353_67
; %bb.66:                               ;   in Loop: Header=BB353_61 Depth=1
	s_waitcnt lgkmcnt(0)
	v_add_f64 v[18:19], v[16:17], v[18:19]
	v_add_f64 v[16:17], v[2:3], v[4:5]
	ds_write_b128 v31, v[16:19]
.LBB353_67:                             ;   in Loop: Header=BB353_61 Depth=1
	s_or_b64 exec, exec, s[26:27]
	s_waitcnt lgkmcnt(2)
	v_mov_b64_e32 v[4:5], 0
	v_mov_b64_e32 v[2:3], v[4:5]
	s_waitcnt lgkmcnt(0)
	s_barrier
	s_and_saveexec_b64 s[26:27], s[6:7]
	s_cbranch_execnz .LBB353_77
; %bb.68:                               ;   in Loop: Header=BB353_61 Depth=1
	s_or_b64 exec, exec, s[26:27]
	s_and_saveexec_b64 s[26:27], s[0:1]
	s_cbranch_execnz .LBB353_78
.LBB353_69:                             ;   in Loop: Header=BB353_61 Depth=1
	s_or_b64 exec, exec, s[26:27]
	s_and_saveexec_b64 s[26:27], s[8:9]
	s_cbranch_execz .LBB353_60
	s_branch .LBB353_79
.LBB353_70:                             ;   in Loop: Header=BB353_61 Depth=1
	s_waitcnt lgkmcnt(0)
	flat_load_dwordx4 v[2:5], v[8:9]
	flat_load_dwordx4 v[16:19], v[10:11]
	;; [unrolled: 1-line block ×4, first 2 shown]
	s_mul_i32 s29, s3, s23
	s_mul_hi_u32 s30, s3, s22
	s_mul_i32 s28, s3, s22
	s_add_i32 s29, s30, s29
	v_lshl_add_u64 v[24:25], s[28:29], 4, v[22:23]
	flat_load_dwordx4 v[44:47], v[24:25]
	flat_load_dwordx4 v[48:51], v[24:25] offset:16
	flat_load_dwordx4 v[52:55], v[24:25] offset:32
	;; [unrolled: 1-line block ×3, first 2 shown]
	s_waitcnt vmcnt(0) lgkmcnt(0)
	v_mul_f64 v[24:25], v[46:47], v[42:43]
	scratch_store_dwordx4 v32, v[2:5], off
	scratch_load_dwordx4 v[2:5], off, off offset:16
	v_fma_f64 v[24:25], v[44:45], v[40:41], -v[24:25]
	scratch_store_dwordx4 v33, v[16:19], off
	scratch_load_dwordx4 v[16:19], off, off offset:32
	v_add_f64 v[24:25], v[24:25], 0
	scratch_store_dwordx4 v34, v[36:39], off
	scratch_load_dwordx4 v[36:39], off, off offset:48
	s_nop 0
	scratch_store_dwordx4 off, v[40:43], off
	s_nop 1
	v_mul_f64 v[42:43], v[44:45], v[42:43]
	v_fmac_f64_e32 v[42:43], v[46:47], v[40:41]
	v_add_f64 v[40:41], v[42:43], 0
	s_waitcnt vmcnt(5)
	v_mul_f64 v[42:43], v[50:51], v[4:5]
	v_mul_f64 v[4:5], v[48:49], v[4:5]
	v_fma_f64 v[42:43], v[48:49], v[2:3], -v[42:43]
	s_waitcnt vmcnt(3)
	v_mul_f64 v[44:45], v[54:55], v[18:19]
	v_mul_f64 v[18:19], v[52:53], v[18:19]
	v_fmac_f64_e32 v[4:5], v[50:51], v[2:3]
	s_waitcnt vmcnt(1)
	v_mul_f64 v[46:47], v[58:59], v[38:39]
	v_mul_f64 v[38:39], v[56:57], v[38:39]
	v_fma_f64 v[2:3], v[52:53], v[16:17], -v[44:45]
	v_fmac_f64_e32 v[18:19], v[54:55], v[16:17]
	v_add_f64 v[24:25], v[24:25], v[42:43]
	v_add_f64 v[4:5], v[40:41], v[4:5]
	v_fma_f64 v[16:17], v[56:57], v[36:37], -v[46:47]
	v_fmac_f64_e32 v[38:39], v[58:59], v[36:37]
	v_add_f64 v[2:3], v[24:25], v[2:3]
	v_add_f64 v[18:19], v[4:5], v[18:19]
	;; [unrolled: 1-line block ×4, first 2 shown]
	s_andn2_saveexec_b64 s[26:27], s[26:27]
	s_cbranch_execz .LBB353_63
.LBB353_71:                             ;   in Loop: Header=BB353_61 Depth=1
	s_waitcnt lgkmcnt(0)
	v_mov_b64_e32 v[4:5], 0
	v_mov_b64_e32 v[16:17], v[4:5]
	s_and_saveexec_b64 s[28:29], s[10:11]
	s_cbranch_execz .LBB353_76
; %bb.72:                               ;   in Loop: Header=BB353_61 Depth=1
	v_mov_b32_e32 v1, 0
	v_mov_b64_e32 v[2:3], v[6:7]
	s_mov_b32 s30, s21
.LBB353_73:                             ;   Parent Loop BB353_61 Depth=1
                                        ; =>  This Inner Loop Header: Depth=2
	flat_load_dwordx4 v[16:19], v[2:3]
	s_add_i32 s30, s30, -1
	v_lshl_add_u64 v[2:3], v[2:3], 0, s[12:13]
	s_cmp_eq_u32 s30, 0
	s_waitcnt vmcnt(0) lgkmcnt(0)
	scratch_store_dwordx4 v1, v[16:19], off
	v_add_u32_e32 v1, 16, v1
	s_cbranch_scc0 .LBB353_73
; %bb.74:                               ;   in Loop: Header=BB353_61 Depth=1
	v_mov_b64_e32 v[4:5], 0
	v_mov_b32_e32 v1, 0
	v_mov_b64_e32 v[2:3], v[14:15]
	s_mov_b32 s30, s21
	v_mov_b64_e32 v[16:17], v[4:5]
.LBB353_75:                             ;   Parent Loop BB353_61 Depth=1
                                        ; =>  This Inner Loop Header: Depth=2
	flat_load_dwordx4 v[36:39], v[2:3]
	scratch_load_dwordx4 v[40:43], v1, off
	s_add_i32 s30, s30, -1
	v_add_u32_e32 v1, 16, v1
	v_lshl_add_u64 v[2:3], v[2:3], 0, 16
	s_cmp_lg_u32 s30, 0
	s_waitcnt vmcnt(0) lgkmcnt(0)
	v_mul_f64 v[18:19], v[38:39], v[42:43]
	v_mul_f64 v[24:25], v[36:37], v[42:43]
	v_fma_f64 v[18:19], v[36:37], v[40:41], -v[18:19]
	v_fmac_f64_e32 v[24:25], v[38:39], v[40:41]
	v_add_f64 v[4:5], v[4:5], v[18:19]
	v_add_f64 v[16:17], v[16:17], v[24:25]
	s_cbranch_scc1 .LBB353_75
.LBB353_76:                             ;   in Loop: Header=BB353_61 Depth=1
	s_or_b64 exec, exec, s[28:29]
	s_or_b64 exec, exec, s[26:27]
	s_and_saveexec_b64 s[26:27], s[0:1]
	s_cbranch_execnz .LBB353_64
	s_branch .LBB353_65
.LBB353_77:                             ;   in Loop: Header=BB353_61 Depth=1
	ds_read_b128 v[2:5], v20
	s_or_b64 exec, exec, s[26:27]
	s_and_saveexec_b64 s[26:27], s[0:1]
	s_cbranch_execz .LBB353_69
.LBB353_78:                             ;   in Loop: Header=BB353_61 Depth=1
	s_waitcnt lgkmcnt(0)
	ds_bpermute_b32 v16, v29, v2
	ds_bpermute_b32 v17, v29, v3
	ds_bpermute_b32 v18, v29, v4
	ds_bpermute_b32 v19, v29, v5
	s_waitcnt lgkmcnt(2)
	v_add_f64 v[2:3], v[2:3], v[16:17]
	ds_bpermute_b32 v16, v30, v2
	s_waitcnt lgkmcnt(1)
	v_add_f64 v[4:5], v[4:5], v[18:19]
	ds_bpermute_b32 v17, v30, v3
	ds_bpermute_b32 v18, v30, v4
	;; [unrolled: 1-line block ×3, first 2 shown]
	s_waitcnt lgkmcnt(2)
	v_add_f64 v[2:3], v[2:3], v[16:17]
	s_waitcnt lgkmcnt(0)
	v_add_f64 v[4:5], v[4:5], v[18:19]
	s_or_b64 exec, exec, s[26:27]
	s_and_saveexec_b64 s[26:27], s[8:9]
	s_cbranch_execz .LBB353_60
.LBB353_79:                             ;   in Loop: Header=BB353_61 Depth=1
	s_mul_hi_u32 s29, s3, s20
	s_mul_i32 s28, s3, s20
	s_lshl_b64 s[28:29], s[28:29], 4
	s_waitcnt lgkmcnt(0)
	v_mul_f64 v[16:17], s[18:19], v[4:5]
	v_mul_f64 v[18:19], s[16:17], v[4:5]
	s_add_u32 s28, s2, s28
	v_fma_f64 v[16:17], s[16:17], v[2:3], -v[16:17]
	v_fmac_f64_e32 v[18:19], s[18:19], v[2:3]
	s_addc_u32 s29, s14, s29
	global_store_dwordx4 v0, v[16:19], s[28:29]
	s_branch .LBB353_60
.LBB353_80:
	s_endpgm
	.section	.rodata,"a",@progbits
	.p2align	6, 0x0
	.amdhsa_kernel _ZL23rocblas_gemvt_sn_kernelILb0ELi256ELi4ElPK19rocblas_complex_numIdES3_S1_EviiT4_lPKT3_lilS7_lilPT5_i
		.amdhsa_group_segment_fixed_size 1024
		.amdhsa_private_segment_fixed_size 80
		.amdhsa_kernarg_size 360
		.amdhsa_user_sgpr_count 2
		.amdhsa_user_sgpr_dispatch_ptr 0
		.amdhsa_user_sgpr_queue_ptr 0
		.amdhsa_user_sgpr_kernarg_segment_ptr 1
		.amdhsa_user_sgpr_dispatch_id 0
		.amdhsa_user_sgpr_kernarg_preload_length 0
		.amdhsa_user_sgpr_kernarg_preload_offset 0
		.amdhsa_user_sgpr_private_segment_size 0
		.amdhsa_uses_dynamic_stack 0
		.amdhsa_enable_private_segment 1
		.amdhsa_system_sgpr_workgroup_id_x 1
		.amdhsa_system_sgpr_workgroup_id_y 0
		.amdhsa_system_sgpr_workgroup_id_z 1
		.amdhsa_system_sgpr_workgroup_info 0
		.amdhsa_system_vgpr_workitem_id 0
		.amdhsa_next_free_vgpr 78
		.amdhsa_next_free_sgpr 49
		.amdhsa_accum_offset 80
		.amdhsa_reserve_vcc 1
		.amdhsa_float_round_mode_32 0
		.amdhsa_float_round_mode_16_64 0
		.amdhsa_float_denorm_mode_32 3
		.amdhsa_float_denorm_mode_16_64 3
		.amdhsa_dx10_clamp 1
		.amdhsa_ieee_mode 1
		.amdhsa_fp16_overflow 0
		.amdhsa_tg_split 0
		.amdhsa_exception_fp_ieee_invalid_op 0
		.amdhsa_exception_fp_denorm_src 0
		.amdhsa_exception_fp_ieee_div_zero 0
		.amdhsa_exception_fp_ieee_overflow 0
		.amdhsa_exception_fp_ieee_underflow 0
		.amdhsa_exception_fp_ieee_inexact 0
		.amdhsa_exception_int_div_zero 0
	.end_amdhsa_kernel
	.section	.text._ZL23rocblas_gemvt_sn_kernelILb0ELi256ELi4ElPK19rocblas_complex_numIdES3_S1_EviiT4_lPKT3_lilS7_lilPT5_i,"axG",@progbits,_ZL23rocblas_gemvt_sn_kernelILb0ELi256ELi4ElPK19rocblas_complex_numIdES3_S1_EviiT4_lPKT3_lilS7_lilPT5_i,comdat
.Lfunc_end353:
	.size	_ZL23rocblas_gemvt_sn_kernelILb0ELi256ELi4ElPK19rocblas_complex_numIdES3_S1_EviiT4_lPKT3_lilS7_lilPT5_i, .Lfunc_end353-_ZL23rocblas_gemvt_sn_kernelILb0ELi256ELi4ElPK19rocblas_complex_numIdES3_S1_EviiT4_lPKT3_lilS7_lilPT5_i
                                        ; -- End function
	.section	.AMDGPU.csdata,"",@progbits
; Kernel info:
; codeLenInByte = 6764
; NumSgprs: 55
; NumVgprs: 78
; NumAgprs: 0
; TotalNumVgprs: 78
; ScratchSize: 80
; MemoryBound: 0
; FloatMode: 240
; IeeeMode: 1
; LDSByteSize: 1024 bytes/workgroup (compile time only)
; SGPRBlocks: 6
; VGPRBlocks: 9
; NumSGPRsForWavesPerEU: 55
; NumVGPRsForWavesPerEU: 78
; AccumOffset: 80
; Occupancy: 6
; WaveLimiterHint : 0
; COMPUTE_PGM_RSRC2:SCRATCH_EN: 1
; COMPUTE_PGM_RSRC2:USER_SGPR: 2
; COMPUTE_PGM_RSRC2:TRAP_HANDLER: 0
; COMPUTE_PGM_RSRC2:TGID_X_EN: 1
; COMPUTE_PGM_RSRC2:TGID_Y_EN: 0
; COMPUTE_PGM_RSRC2:TGID_Z_EN: 1
; COMPUTE_PGM_RSRC2:TIDIG_COMP_CNT: 0
; COMPUTE_PGM_RSRC3_GFX90A:ACCUM_OFFSET: 19
; COMPUTE_PGM_RSRC3_GFX90A:TG_SPLIT: 0
	.section	.text._ZL23rocblas_gemvt_sn_reduceILi256ELi8E19rocblas_complex_numIdEPKS1_KPS1_EviT2_lPT3_lilPT1_i,"axG",@progbits,_ZL23rocblas_gemvt_sn_reduceILi256ELi8E19rocblas_complex_numIdEPKS1_KPS1_EviT2_lPT3_lilPT1_i,comdat
	.globl	_ZL23rocblas_gemvt_sn_reduceILi256ELi8E19rocblas_complex_numIdEPKS1_KPS1_EviT2_lPT3_lilPT1_i ; -- Begin function _ZL23rocblas_gemvt_sn_reduceILi256ELi8E19rocblas_complex_numIdEPKS1_KPS1_EviT2_lPT3_lilPT1_i
	.p2align	8
	.type	_ZL23rocblas_gemvt_sn_reduceILi256ELi8E19rocblas_complex_numIdEPKS1_KPS1_EviT2_lPT3_lilPT1_i,@function
_ZL23rocblas_gemvt_sn_reduceILi256ELi8E19rocblas_complex_numIdEPKS1_KPS1_EviT2_lPT3_lilPT1_i: ; @_ZL23rocblas_gemvt_sn_reduceILi256ELi8E19rocblas_complex_numIdEPKS1_KPS1_EviT2_lPT3_lilPT1_i
; %bb.0:
	s_load_dword s2, s[0:1], 0x0
	s_load_dwordx8 s[8:15], s[0:1], 0x8
	s_mov_b32 s5, 0
	s_lshl_b64 s[6:7], s[4:5], 3
	v_lshlrev_b32_e32 v1, 3, v0
	s_waitcnt lgkmcnt(0)
	s_ashr_i32 s18, s2, 31
	s_add_u32 s6, s12, s6
	s_addc_u32 s7, s13, s7
	s_mul_i32 s11, s4, s11
	s_mul_hi_u32 s12, s4, s10
	s_load_dwordx2 s[6:7], s[6:7], 0x0
	s_add_i32 s11, s12, s11
	s_load_dwordx2 s[12:13], s[0:1], 0x38
	s_load_dword s16, s[0:1], 0x4c
	s_mul_i32 s10, s4, s10
	s_lshl_b64 s[10:11], s[10:11], 4
	s_add_u32 s8, s8, s10
	s_addc_u32 s9, s9, s11
	s_add_u32 s20, s0, 0x48
	s_waitcnt lgkmcnt(0)
	s_mul_i32 s4, s16, s4
	s_addc_u32 s21, s1, 0
	s_add_i32 s4, s4, s3
	s_load_dwordx4 s[8:11], s[8:9], 0x0
	s_mul_i32 s16, s4, s18
	s_mul_hi_u32 s17, s4, s2
	s_add_i32 s17, s17, s16
	s_mul_i32 s16, s4, s2
	s_lshr_b32 s4, s18, 29
	s_add_i32 s4, s2, s4
	s_and_b32 s22, s4, -8
	v_mov_b64_e32 v[2:3], 0
	v_cmp_gt_i32_e32 vcc, s22, v1
	v_mov_b64_e32 v[4:5], v[2:3]
	s_and_saveexec_b64 s[18:19], vcc
	s_cbranch_execz .LBB354_4
; %bb.1:
	s_load_dword s4, s[20:21], 0xc
	s_lshl_b64 s[20:21], s[16:17], 4
	v_lshlrev_b32_e32 v2, 7, v0
	v_mov_b32_e32 v3, 0
	s_waitcnt lgkmcnt(0)
	s_and_b32 s4, s4, 0xffff
	s_lshl_b32 s23, s4, 3
	s_add_u32 s20, s12, s20
	s_addc_u32 s21, s13, s21
	v_lshl_add_u64 v[2:3], s[20:21], 0, v[2:3]
	s_mov_b64 s[20:21], 0x78
	v_lshl_add_u64 v[6:7], v[2:3], 0, s[20:21]
	v_mov_b64_e32 v[2:3], 0
	s_lshl_b32 s4, s4, 7
	s_mov_b64 s[20:21], 0
	v_mov_b64_e32 v[4:5], v[2:3]
.LBB354_2:                              ; =>This Inner Loop Header: Depth=1
	global_load_dwordx4 v[8:11], v[6:7], off offset:-120
	global_load_dwordx4 v[12:15], v[6:7], off offset:-104
	;; [unrolled: 1-line block ×8, first 2 shown]
	v_add_u32_e32 v1, s23, v1
	v_cmp_le_i32_e32 vcc, s22, v1
	v_lshl_add_u64 v[6:7], v[6:7], 0, s[4:5]
	s_or_b64 s[20:21], vcc, s[20:21]
	s_waitcnt vmcnt(7)
	v_add_f64 v[4:5], v[4:5], v[8:9]
	v_add_f64 v[2:3], v[2:3], v[10:11]
	s_waitcnt vmcnt(6)
	v_add_f64 v[4:5], v[4:5], v[12:13]
	v_add_f64 v[2:3], v[2:3], v[14:15]
	;; [unrolled: 3-line block ×8, first 2 shown]
	s_andn2_b64 exec, exec, s[20:21]
	s_cbranch_execnz .LBB354_2
; %bb.3:
	s_or_b64 exec, exec, s[20:21]
.LBB354_4:
	s_or_b64 exec, exec, s[18:19]
	s_sub_i32 s4, s2, s22
	v_cmp_gt_u32_e32 vcc, s4, v0
	s_and_saveexec_b64 s[4:5], vcc
	s_cbranch_execz .LBB354_6
; %bb.5:
	s_lshl_b64 s[16:17], s[16:17], 4
	s_add_u32 s12, s12, s16
	s_addc_u32 s13, s13, s17
	v_xad_u32 v6, v0, -1, s2
	v_mov_b32_e32 v7, 0
	v_lshl_add_u64 v[6:7], v[6:7], 4, s[12:13]
	global_load_dwordx4 v[6:9], v[6:7], off
	s_waitcnt vmcnt(0)
	v_add_f64 v[4:5], v[4:5], v[6:7]
	v_add_f64 v[2:3], v[2:3], v[8:9]
.LBB354_6:
	s_or_b64 exec, exec, s[4:5]
	v_and_b32_e32 v10, 63, v0
	v_cmp_gt_u32_e32 vcc, 64, v0
	v_lshlrev_b32_e32 v1, 4, v10
	s_and_saveexec_b64 s[4:5], vcc
	s_cbranch_execz .LBB354_8
; %bb.7:
	v_mov_b32_e32 v6, 0
	v_mov_b32_e32 v7, v6
	;; [unrolled: 1-line block ×4, first 2 shown]
	ds_write_b128 v1, v[6:9]
.LBB354_8:
	s_or_b64 exec, exec, s[4:5]
	v_mbcnt_lo_u32_b32 v6, -1, 0
	v_mbcnt_hi_u32_b32 v12, -1, v6
	v_and_b32_e32 v13, 63, v12
	v_cmp_gt_u32_e64 s[4:5], 32, v13
	s_waitcnt lgkmcnt(0)
	s_barrier
	v_cndmask_b32_e64 v6, 0, 1, s[4:5]
	v_lshlrev_b32_e32 v6, 5, v6
	v_add_lshl_u32 v9, v6, v12, 2
	ds_bpermute_b32 v6, v9, v4
	ds_bpermute_b32 v7, v9, v5
	;; [unrolled: 1-line block ×4, first 2 shown]
	v_cmp_gt_u32_e64 s[4:5], 48, v13
	s_waitcnt lgkmcnt(0)
	v_add_f64 v[4:5], v[4:5], v[6:7]
	v_cndmask_b32_e64 v6, 0, 1, s[4:5]
	v_lshlrev_b32_e32 v6, 4, v6
	v_add_f64 v[2:3], v[2:3], v[8:9]
	v_add_lshl_u32 v9, v6, v12, 2
	ds_bpermute_b32 v6, v9, v4
	ds_bpermute_b32 v7, v9, v5
	ds_bpermute_b32 v8, v9, v2
	ds_bpermute_b32 v9, v9, v3
	v_cmp_gt_u32_e64 s[4:5], 56, v13
	s_waitcnt lgkmcnt(2)
	v_add_f64 v[4:5], v[4:5], v[6:7]
	v_cndmask_b32_e64 v6, 0, 1, s[4:5]
	v_lshlrev_b32_e32 v6, 3, v6
	s_waitcnt lgkmcnt(0)
	v_add_f64 v[2:3], v[2:3], v[8:9]
	v_add_lshl_u32 v9, v6, v12, 2
	ds_bpermute_b32 v6, v9, v4
	ds_bpermute_b32 v7, v9, v5
	;; [unrolled: 1-line block ×4, first 2 shown]
	v_cmp_gt_u32_e64 s[4:5], 60, v13
	s_waitcnt lgkmcnt(2)
	v_add_f64 v[4:5], v[4:5], v[6:7]
	v_cndmask_b32_e64 v6, 0, 1, s[4:5]
	v_lshlrev_b32_e32 v6, 2, v6
	s_waitcnt lgkmcnt(0)
	v_add_f64 v[2:3], v[2:3], v[8:9]
	v_add_lshl_u32 v9, v6, v12, 2
	ds_bpermute_b32 v6, v9, v4
	ds_bpermute_b32 v7, v9, v5
	ds_bpermute_b32 v8, v9, v2
	ds_bpermute_b32 v9, v9, v3
	v_cmp_gt_u32_e64 s[4:5], 62, v13
	s_waitcnt lgkmcnt(2)
	v_add_f64 v[4:5], v[4:5], v[6:7]
	s_waitcnt lgkmcnt(0)
	v_add_f64 v[6:7], v[2:3], v[8:9]
	v_cndmask_b32_e64 v2, 0, 1, s[4:5]
	v_lshlrev_b32_e32 v2, 1, v2
	v_add_lshl_u32 v11, v2, v12, 2
	ds_bpermute_b32 v2, v11, v4
	ds_bpermute_b32 v3, v11, v5
	;; [unrolled: 1-line block ×4, first 2 shown]
	v_cmp_ne_u32_e64 s[4:5], 63, v13
	s_waitcnt lgkmcnt(2)
	v_add_f64 v[2:3], v[4:5], v[2:3]
	v_addc_co_u32_e64 v4, s[4:5], 0, v12, s[4:5]
	s_waitcnt lgkmcnt(0)
	v_add_f64 v[6:7], v[6:7], v[8:9]
	v_lshlrev_b32_e32 v12, 2, v4
	ds_bpermute_b32 v4, v12, v2
	ds_bpermute_b32 v5, v12, v3
	;; [unrolled: 1-line block ×4, first 2 shown]
	v_cmp_eq_u32_e64 s[4:5], 0, v10
	s_and_saveexec_b64 s[12:13], s[4:5]
	s_cbranch_execz .LBB354_10
; %bb.9:
	v_lshrrev_b32_e32 v10, 2, v0
	v_and_b32_e32 v10, 48, v10
	s_waitcnt lgkmcnt(0)
	v_add_f64 v[6:7], v[6:7], v[8:9]
	v_add_f64 v[4:5], v[2:3], v[4:5]
	ds_write_b128 v10, v[4:7]
.LBB354_10:
	s_or_b64 exec, exec, s[12:13]
	s_waitcnt lgkmcnt(2)
	v_mov_b64_e32 v[4:5], 0
	v_cmp_gt_u32_e64 s[4:5], 4, v0
	v_mov_b64_e32 v[2:3], v[4:5]
	s_waitcnt lgkmcnt(0)
	s_barrier
	s_and_saveexec_b64 s[12:13], s[4:5]
	s_cbranch_execnz .LBB354_14
; %bb.11:
	s_or_b64 exec, exec, s[12:13]
	s_and_saveexec_b64 s[4:5], vcc
	s_cbranch_execnz .LBB354_15
.LBB354_12:
	s_or_b64 exec, exec, s[4:5]
	v_cmp_eq_u32_e32 vcc, 0, v0
	s_and_saveexec_b64 s[4:5], vcc
	s_cbranch_execnz .LBB354_16
.LBB354_13:
	s_endpgm
.LBB354_14:
	ds_read_b128 v[2:5], v1
	s_or_b64 exec, exec, s[12:13]
	s_and_saveexec_b64 s[4:5], vcc
	s_cbranch_execz .LBB354_12
.LBB354_15:
	s_waitcnt lgkmcnt(0)
	ds_bpermute_b32 v6, v11, v2
	ds_bpermute_b32 v7, v11, v3
	;; [unrolled: 1-line block ×4, first 2 shown]
	s_waitcnt lgkmcnt(2)
	v_add_f64 v[2:3], v[2:3], v[6:7]
	ds_bpermute_b32 v6, v12, v2
	s_waitcnt lgkmcnt(1)
	v_add_f64 v[4:5], v[4:5], v[8:9]
	ds_bpermute_b32 v7, v12, v3
	ds_bpermute_b32 v8, v12, v4
	;; [unrolled: 1-line block ×3, first 2 shown]
	s_waitcnt lgkmcnt(2)
	v_add_f64 v[2:3], v[2:3], v[6:7]
	s_waitcnt lgkmcnt(0)
	v_add_f64 v[4:5], v[4:5], v[8:9]
	s_or_b64 exec, exec, s[4:5]
	v_cmp_eq_u32_e32 vcc, 0, v0
	s_and_saveexec_b64 s[4:5], vcc
	s_cbranch_execz .LBB354_13
.LBB354_16:
	s_load_dword s5, s[0:1], 0x28
	s_lshl_b64 s[0:1], s[14:15], 4
	v_cmp_neq_f64_e64 s[12:13], s[8:9], 0
	v_cmp_neq_f64_e64 s[14:15], s[10:11], 0
	s_waitcnt lgkmcnt(0)
	s_ashr_i32 s16, s5, 31
	s_add_u32 s2, s6, s0
	s_mul_hi_u32 s17, s5, s3
	s_addc_u32 s4, s7, s1
	s_mul_i32 s16, s16, s3
	s_or_b64 s[6:7], s[12:13], s[14:15]
	s_add_i32 s1, s17, s16
	s_andn2_b64 vcc, exec, s[6:7]
	s_mul_i32 s0, s5, s3
	s_cbranch_vccnz .LBB354_18
; %bb.17:
	s_lshl_b64 s[6:7], s[0:1], 4
	s_add_u32 s6, s2, s6
	s_addc_u32 s7, s4, s7
	s_load_dwordx4 s[12:15], s[6:7], 0x0
	s_waitcnt lgkmcnt(0)
	v_mov_b64_e32 v[0:1], s[14:15]
	v_mov_b64_e32 v[6:7], s[12:13]
	v_mul_f64 v[8:9], s[10:11], v[0:1]
	v_mul_f64 v[0:1], s[8:9], v[0:1]
	v_fma_f64 v[8:9], s[8:9], v[6:7], -v[8:9]
	v_fmac_f64_e32 v[0:1], s[10:11], v[6:7]
	v_add_f64 v[2:3], v[2:3], v[8:9]
	v_add_f64 v[4:5], v[4:5], v[0:1]
.LBB354_18:
	s_lshl_b64 s[0:1], s[0:1], 4
	s_add_u32 s0, s2, s0
	s_addc_u32 s1, s4, s1
	v_mov_b32_e32 v0, 0
	global_store_dwordx4 v0, v[2:5], s[0:1]
	s_endpgm
	.section	.rodata,"a",@progbits
	.p2align	6, 0x0
	.amdhsa_kernel _ZL23rocblas_gemvt_sn_reduceILi256ELi8E19rocblas_complex_numIdEPKS1_KPS1_EviT2_lPT3_lilPT1_i
		.amdhsa_group_segment_fixed_size 1024
		.amdhsa_private_segment_fixed_size 0
		.amdhsa_kernarg_size 328
		.amdhsa_user_sgpr_count 2
		.amdhsa_user_sgpr_dispatch_ptr 0
		.amdhsa_user_sgpr_queue_ptr 0
		.amdhsa_user_sgpr_kernarg_segment_ptr 1
		.amdhsa_user_sgpr_dispatch_id 0
		.amdhsa_user_sgpr_kernarg_preload_length 0
		.amdhsa_user_sgpr_kernarg_preload_offset 0
		.amdhsa_user_sgpr_private_segment_size 0
		.amdhsa_uses_dynamic_stack 0
		.amdhsa_enable_private_segment 0
		.amdhsa_system_sgpr_workgroup_id_x 1
		.amdhsa_system_sgpr_workgroup_id_y 1
		.amdhsa_system_sgpr_workgroup_id_z 1
		.amdhsa_system_sgpr_workgroup_info 0
		.amdhsa_system_vgpr_workitem_id 0
		.amdhsa_next_free_vgpr 40
		.amdhsa_next_free_sgpr 24
		.amdhsa_accum_offset 40
		.amdhsa_reserve_vcc 1
		.amdhsa_float_round_mode_32 0
		.amdhsa_float_round_mode_16_64 0
		.amdhsa_float_denorm_mode_32 3
		.amdhsa_float_denorm_mode_16_64 3
		.amdhsa_dx10_clamp 1
		.amdhsa_ieee_mode 1
		.amdhsa_fp16_overflow 0
		.amdhsa_tg_split 0
		.amdhsa_exception_fp_ieee_invalid_op 0
		.amdhsa_exception_fp_denorm_src 0
		.amdhsa_exception_fp_ieee_div_zero 0
		.amdhsa_exception_fp_ieee_overflow 0
		.amdhsa_exception_fp_ieee_underflow 0
		.amdhsa_exception_fp_ieee_inexact 0
		.amdhsa_exception_int_div_zero 0
	.end_amdhsa_kernel
	.section	.text._ZL23rocblas_gemvt_sn_reduceILi256ELi8E19rocblas_complex_numIdEPKS1_KPS1_EviT2_lPT3_lilPT1_i,"axG",@progbits,_ZL23rocblas_gemvt_sn_reduceILi256ELi8E19rocblas_complex_numIdEPKS1_KPS1_EviT2_lPT3_lilPT1_i,comdat
.Lfunc_end354:
	.size	_ZL23rocblas_gemvt_sn_reduceILi256ELi8E19rocblas_complex_numIdEPKS1_KPS1_EviT2_lPT3_lilPT1_i, .Lfunc_end354-_ZL23rocblas_gemvt_sn_reduceILi256ELi8E19rocblas_complex_numIdEPKS1_KPS1_EviT2_lPT3_lilPT1_i
                                        ; -- End function
	.section	.AMDGPU.csdata,"",@progbits
; Kernel info:
; codeLenInByte = 1596
; NumSgprs: 30
; NumVgprs: 40
; NumAgprs: 0
; TotalNumVgprs: 40
; ScratchSize: 0
; MemoryBound: 1
; FloatMode: 240
; IeeeMode: 1
; LDSByteSize: 1024 bytes/workgroup (compile time only)
; SGPRBlocks: 3
; VGPRBlocks: 4
; NumSGPRsForWavesPerEU: 30
; NumVGPRsForWavesPerEU: 40
; AccumOffset: 40
; Occupancy: 8
; WaveLimiterHint : 1
; COMPUTE_PGM_RSRC2:SCRATCH_EN: 0
; COMPUTE_PGM_RSRC2:USER_SGPR: 2
; COMPUTE_PGM_RSRC2:TRAP_HANDLER: 0
; COMPUTE_PGM_RSRC2:TGID_X_EN: 1
; COMPUTE_PGM_RSRC2:TGID_Y_EN: 1
; COMPUTE_PGM_RSRC2:TGID_Z_EN: 1
; COMPUTE_PGM_RSRC2:TIDIG_COMP_CNT: 0
; COMPUTE_PGM_RSRC3_GFX90A:ACCUM_OFFSET: 9
; COMPUTE_PGM_RSRC3_GFX90A:TG_SPLIT: 0
	.section	.text._ZL23rocblas_gemvt_sn_kernelILb0ELi256ELi4EiPK19rocblas_complex_numIdES1_S1_EviiT4_lPKT3_lilS7_lilPT5_i,"axG",@progbits,_ZL23rocblas_gemvt_sn_kernelILb0ELi256ELi4EiPK19rocblas_complex_numIdES1_S1_EviiT4_lPKT3_lilS7_lilPT5_i,comdat
	.globl	_ZL23rocblas_gemvt_sn_kernelILb0ELi256ELi4EiPK19rocblas_complex_numIdES1_S1_EviiT4_lPKT3_lilS7_lilPT5_i ; -- Begin function _ZL23rocblas_gemvt_sn_kernelILb0ELi256ELi4EiPK19rocblas_complex_numIdES1_S1_EviiT4_lPKT3_lilS7_lilPT5_i
	.p2align	8
	.type	_ZL23rocblas_gemvt_sn_kernelILb0ELi256ELi4EiPK19rocblas_complex_numIdES1_S1_EviiT4_lPKT3_lilS7_lilPT5_i,@function
_ZL23rocblas_gemvt_sn_kernelILb0ELi256ELi4EiPK19rocblas_complex_numIdES1_S1_EviiT4_lPKT3_lilS7_lilPT5_i: ; @_ZL23rocblas_gemvt_sn_kernelILb0ELi256ELi4EiPK19rocblas_complex_numIdES1_S1_EviiT4_lPKT3_lilS7_lilPT5_i
; %bb.0:
	s_load_dwordx4 s[16:19], s[0:1], 0x8
	s_mov_b32 s4, s3
	s_mov_b64 s[10:11], -1
	s_waitcnt lgkmcnt(0)
	v_cmp_neq_f64_e64 s[6:7], s[16:17], 0
	v_cmp_neq_f64_e64 s[8:9], s[18:19], 0
	s_or_b64 s[8:9], s[6:7], s[8:9]
	s_and_b64 vcc, exec, s[8:9]
	s_cbranch_vccnz .LBB355_2
; %bb.1:
	s_mov_b32 s5, 0
	s_mov_b64 s[6:7], 0
	s_cbranch_execz .LBB355_3
	s_branch .LBB355_4
.LBB355_2:
                                        ; implicit-def: $sgpr6_sgpr7
	s_andn2_b64 vcc, exec, s[10:11]
	s_cbranch_vccnz .LBB355_4
.LBB355_3:
	s_load_dwordx4 s[12:15], s[0:1], 0x20
	s_mov_b32 s5, 0
	s_lshl_b64 s[6:7], s[4:5], 3
	s_waitcnt lgkmcnt(0)
	s_add_u32 s6, s12, s6
	s_addc_u32 s7, s13, s7
	s_load_dwordx2 s[6:7], s[6:7], 0x0
	s_lshl_b64 s[10:11], s[14:15], 4
	s_waitcnt lgkmcnt(0)
	s_add_u32 s6, s6, s10
	s_addc_u32 s7, s7, s11
.LBB355_4:
	s_xor_b64 s[12:13], s[8:9], -1
	s_andn2_b64 vcc, exec, s[8:9]
	s_mov_b64 s[14:15], 0
	s_cbranch_vccnz .LBB355_6
; %bb.5:
	s_load_dwordx4 s[8:11], s[0:1], 0x40
	s_lshl_b64 s[14:15], s[4:5], 3
	s_waitcnt lgkmcnt(0)
	s_add_u32 s8, s8, s14
	s_addc_u32 s9, s9, s15
	s_load_dwordx2 s[8:9], s[8:9], 0x0
	s_lshl_b64 s[10:11], s[10:11], 4
	s_waitcnt lgkmcnt(0)
	s_add_u32 s14, s8, s10
	s_addc_u32 s15, s9, s11
.LBB355_6:
	s_load_dwordx2 s[20:21], s[0:1], 0x0
	s_load_dwordx2 s[8:9], s[0:1], 0x60
	s_load_dword s22, s[0:1], 0x70
	s_mov_b32 s23, 0
	s_mov_b64 s[24:25], -1
	s_waitcnt lgkmcnt(0)
	s_ashr_i32 s26, s21, 31
	s_mul_hi_u32 s3, s4, s21
	s_mul_i32 s10, s4, s26
	s_add_i32 s3, s3, s10
	s_mul_i32 s5, s5, s21
	s_add_i32 s3, s3, s5
	s_mul_i32 s4, s4, s21
	s_mul_i32 s3, s3, s22
	s_mul_hi_u32 s5, s4, s22
	s_add_i32 s11, s5, s3
	s_mul_i32 s10, s4, s22
	s_andn2_b64 vcc, exec, s[12:13]
	v_cmp_eq_u32_e64 s[4:5], 0, v0
	s_cbranch_vccnz .LBB355_11
; %bb.7:
	s_cmp_gt_i32 s21, 0
	s_cselect_b64 s[12:13], -1, 0
	s_and_b64 s[12:13], s[4:5], s[12:13]
	s_and_saveexec_b64 s[4:5], s[12:13]
	s_cbranch_execz .LBB355_10
; %bb.8:
	s_mov_b32 s3, 0
	s_lshl_b64 s[12:13], s[10:11], 4
	s_lshl_b64 s[24:25], s[2:3], 4
	s_add_u32 s3, s12, s24
	s_addc_u32 s12, s13, s25
	s_add_u32 s3, s3, s8
	s_addc_u32 s13, s12, s9
	s_add_u32 s12, s3, 8
	v_mov_b32_e32 v2, 0
	s_addc_u32 s13, s13, 0
	s_lshl_b64 s[24:25], s[22:23], 4
	v_mov_b32_e32 v3, v2
	v_mov_b32_e32 v4, v2
	;; [unrolled: 1-line block ×3, first 2 shown]
	s_mov_b32 s3, s21
.LBB355_9:                              ; =>This Inner Loop Header: Depth=1
	s_add_i32 s3, s3, -1
	global_store_dwordx4 v2, v[2:5], s[12:13] offset:-8
	s_add_u32 s12, s12, s24
	s_addc_u32 s13, s13, s25
	s_cmp_eq_u32 s3, 0
	s_cbranch_scc0 .LBB355_9
.LBB355_10:
	s_or_b64 exec, exec, s[4:5]
	s_mov_b64 s[24:25], 0
.LBB355_11:
	s_andn2_b64 vcc, exec, s[24:25]
	s_cbranch_vccnz .LBB355_82
; %bb.12:
	s_lshl_b64 s[4:5], s[10:11], 4
	s_add_u32 s44, s8, s4
	s_addc_u32 s45, s9, s5
	s_load_dword s23, s[0:1], 0x30
	s_load_dword s33, s[0:1], 0x50
	s_lshl_b32 s0, s2, 10
	v_lshl_or_b32 v2, v0, 2, s0
	s_lshr_b32 s0, s26, 30
	s_add_i32 s0, s21, s0
	s_and_b32 s3, s0, -4
	s_ashr_i32 s0, s20, 31
	s_lshr_b32 s0, s0, 30
	s_add_i32 s0, s20, s0
	s_and_b32 s0, s0, -4
	v_ashrrev_i32_e32 v3, 31, v2
	s_sub_i32 s42, s20, s0
	v_lshl_add_u64 v[22:23], v[2:3], 4, s[6:7]
	s_cmp_lt_i32 s3, 1
	v_add_u32_e32 v41, 4, v2
	v_add_u32_e32 v42, s42, v2
	v_and_b32_e32 v1, 63, v0
	v_cmp_gt_u32_e64 s[0:1], 64, v0
	v_mbcnt_lo_u32_b32 v40, -1, 0
	v_cmp_gt_u32_e64 s[4:5], 4, v0
	v_lshrrev_b32_e32 v25, 2, v0
	s_waitcnt lgkmcnt(0)
	v_mul_lo_u32 v24, v2, s33
	s_cbranch_scc1 .LBB355_59
; %bb.13:
	v_mbcnt_hi_u32_b32 v3, -1, v40
	v_and_b32_e32 v4, 63, v3
	v_cmp_gt_u32_e32 vcc, 32, v4
	v_mul_lo_u32 v26, v2, s33
	v_add_u32_e32 v2, s33, v26
	v_cndmask_b32_e64 v5, 0, 1, vcc
	v_lshlrev_b32_e32 v5, 5, v5
	v_cmp_gt_u32_e32 vcc, 48, v4
	v_add_lshl_u32 v43, v5, v3, 2
	s_mov_b32 s25, 0
	v_cndmask_b32_e64 v5, 0, 1, vcc
	v_lshlrev_b32_e32 v5, 4, v5
	v_cmp_gt_u32_e32 vcc, 56, v4
	v_add_lshl_u32 v44, v5, v3, 2
	s_cmp_gt_i32 s42, 0
	v_cndmask_b32_e64 v5, 0, 1, vcc
	v_lshlrev_b32_e32 v5, 3, v5
	v_cmp_gt_u32_e32 vcc, 60, v4
	v_add_lshl_u32 v45, v5, v3, 2
	v_ashrrev_i32_e32 v27, 31, v26
	v_cndmask_b32_e64 v5, 0, 1, vcc
	v_lshlrev_b32_e32 v5, 2, v5
	v_cmp_gt_u32_e32 vcc, 62, v4
	v_add_lshl_u32 v46, v5, v3, 2
	v_cmp_ge_i32_e64 s[6:7], s20, v41
	v_cndmask_b32_e64 v5, 0, 1, vcc
	v_lshlrev_b32_e32 v5, 1, v5
	v_cmp_ne_u32_e32 vcc, 63, v4
	v_add_lshl_u32 v47, v5, v3, 2
	v_mov_b32_e32 v4, 0
	v_addc_co_u32_e32 v3, vcc, 0, v3, vcc
	v_lshlrev_b32_e32 v48, 2, v3
	v_ashrrev_i32_e32 v3, 31, v2
	v_lshl_add_u64 v[30:31], v[2:3], 4, s[14:15]
	v_add_u32_e32 v2, s33, v2
	v_ashrrev_i32_e32 v3, 31, v2
	v_lshl_add_u64 v[32:33], v[2:3], 4, s[14:15]
	v_add_u32_e32 v2, s33, v2
	v_ashrrev_i32_e32 v3, 31, v2
	v_cmp_ge_i32_e64 s[8:9], s20, v42
	s_cselect_b64 s[26:27], -1, 0
	v_cmp_eq_u32_e64 s[10:11], 0, v1
	v_lshlrev_b32_e32 v49, 4, v1
	v_and_b32_e32 v50, 48, v25
	v_cmp_eq_u32_e64 s[12:13], 0, v0
	v_lshl_add_u64 v[28:29], v[26:27], 4, s[14:15]
	v_add_u32_e32 v27, 16, v4
	v_add_u32_e32 v51, 32, v4
	v_lshl_add_u64 v[34:35], v[2:3], 4, s[14:15]
	v_add_u32_e32 v52, 48, v4
	s_lshl_b32 s46, s23, 2
	s_lshl_b32 s47, s23, 1
	s_mul_i32 s48, s23, 3
	v_mov_b32_e32 v2, 0
	s_mov_b32 s28, s25
	s_mov_b32 s49, s23
	;; [unrolled: 1-line block ×3, first 2 shown]
	s_branch .LBB355_15
.LBB355_14:                             ;   in Loop: Header=BB355_15 Depth=1
	s_or_b64 exec, exec, s[30:31]
	s_add_i32 s43, s43, 4
	s_add_i32 s49, s49, s46
	;; [unrolled: 1-line block ×5, first 2 shown]
	s_cmp_ge_i32 s43, s3
	s_cbranch_scc1 .LBB355_60
.LBB355_15:                             ; =>This Loop Header: Depth=1
                                        ;     Child Loop BB355_46 Depth 2
                                        ;     Child Loop BB355_48 Depth 2
                                        ; implicit-def: $vgpr18_vgpr19
                                        ; implicit-def: $vgpr20_vgpr21
                                        ; implicit-def: $vgpr14_vgpr15
                                        ; implicit-def: $vgpr16_vgpr17
                                        ; implicit-def: $vgpr10_vgpr11
                                        ; implicit-def: $vgpr12_vgpr13
                                        ; implicit-def: $vgpr36_vgpr37
                                        ; implicit-def: $vgpr8_vgpr9
	s_and_saveexec_b64 s[30:31], s[6:7]
	s_xor_b64 s[30:31], exec, s[30:31]
	s_cbranch_execnz .LBB355_42
; %bb.16:                               ;   in Loop: Header=BB355_15 Depth=1
	s_andn2_saveexec_b64 s[30:31], s[30:31]
	s_cbranch_execnz .LBB355_43
.LBB355_17:                             ;   in Loop: Header=BB355_15 Depth=1
	s_or_b64 exec, exec, s[30:31]
	s_and_saveexec_b64 s[30:31], s[0:1]
	s_cbranch_execz .LBB355_19
.LBB355_18:                             ;   in Loop: Header=BB355_15 Depth=1
	v_mov_b32_e32 v3, v2
	v_mov_b32_e32 v4, v2
	;; [unrolled: 1-line block ×3, first 2 shown]
	ds_write_b128 v49, v[2:5]
.LBB355_19:                             ;   in Loop: Header=BB355_15 Depth=1
	s_or_b64 exec, exec, s[30:31]
	ds_bpermute_b32 v4, v43, v36
	ds_bpermute_b32 v5, v43, v37
	;; [unrolled: 1-line block ×4, first 2 shown]
	s_waitcnt lgkmcnt(0)
	s_barrier
	v_add_f64 v[4:5], v[36:37], v[4:5]
	v_add_f64 v[6:7], v[8:9], v[6:7]
	ds_bpermute_b32 v8, v44, v4
	ds_bpermute_b32 v9, v44, v5
	;; [unrolled: 1-line block ×4, first 2 shown]
	s_waitcnt lgkmcnt(2)
	v_add_f64 v[4:5], v[4:5], v[8:9]
	ds_bpermute_b32 v8, v45, v4
	s_waitcnt lgkmcnt(1)
	v_add_f64 v[6:7], v[6:7], v[36:37]
	ds_bpermute_b32 v9, v45, v5
	ds_bpermute_b32 v36, v45, v6
	ds_bpermute_b32 v37, v45, v7
	s_waitcnt lgkmcnt(2)
	v_add_f64 v[4:5], v[4:5], v[8:9]
	ds_bpermute_b32 v8, v46, v4
	s_waitcnt lgkmcnt(1)
	v_add_f64 v[6:7], v[6:7], v[36:37]
	ds_bpermute_b32 v9, v46, v5
	ds_bpermute_b32 v36, v46, v6
	ds_bpermute_b32 v37, v46, v7
	;; [unrolled: 8-line block ×3, first 2 shown]
	s_waitcnt lgkmcnt(2)
	v_add_f64 v[4:5], v[4:5], v[8:9]
	s_waitcnt lgkmcnt(0)
	v_add_f64 v[8:9], v[6:7], v[36:37]
	ds_bpermute_b32 v6, v48, v4
	ds_bpermute_b32 v7, v48, v5
	;; [unrolled: 1-line block ×4, first 2 shown]
	s_and_saveexec_b64 s[30:31], s[10:11]
	s_cbranch_execz .LBB355_21
; %bb.20:                               ;   in Loop: Header=BB355_15 Depth=1
	s_waitcnt lgkmcnt(0)
	v_add_f64 v[8:9], v[8:9], v[36:37]
	v_add_f64 v[6:7], v[4:5], v[6:7]
	ds_write_b128 v50, v[6:9]
.LBB355_21:                             ;   in Loop: Header=BB355_15 Depth=1
	s_or_b64 exec, exec, s[30:31]
	v_mov_b64_e32 v[8:9], 0
	s_waitcnt lgkmcnt(2)
	v_mov_b64_e32 v[6:7], v[8:9]
	s_waitcnt lgkmcnt(0)
	s_barrier
	s_and_saveexec_b64 s[30:31], s[4:5]
	s_cbranch_execnz .LBB355_50
; %bb.22:                               ;   in Loop: Header=BB355_15 Depth=1
	s_or_b64 exec, exec, s[30:31]
	s_and_saveexec_b64 s[30:31], s[0:1]
	s_cbranch_execnz .LBB355_51
.LBB355_23:                             ;   in Loop: Header=BB355_15 Depth=1
	s_or_b64 exec, exec, s[30:31]
	s_and_saveexec_b64 s[30:31], s[0:1]
	s_cbranch_execz .LBB355_25
.LBB355_24:                             ;   in Loop: Header=BB355_15 Depth=1
	v_mov_b32_e32 v3, v2
	v_mov_b32_e32 v4, v2
	;; [unrolled: 1-line block ×3, first 2 shown]
	ds_write_b128 v49, v[2:5]
.LBB355_25:                             ;   in Loop: Header=BB355_15 Depth=1
	s_or_b64 exec, exec, s[30:31]
	ds_bpermute_b32 v4, v43, v10
	ds_bpermute_b32 v5, v43, v11
	;; [unrolled: 1-line block ×4, first 2 shown]
	s_waitcnt lgkmcnt(0)
	s_barrier
	v_add_f64 v[4:5], v[10:11], v[4:5]
	v_add_f64 v[10:11], v[12:13], v[36:37]
	ds_bpermute_b32 v12, v44, v4
	ds_bpermute_b32 v13, v44, v5
	;; [unrolled: 1-line block ×4, first 2 shown]
	s_waitcnt lgkmcnt(2)
	v_add_f64 v[4:5], v[4:5], v[12:13]
	ds_bpermute_b32 v12, v45, v4
	s_waitcnt lgkmcnt(1)
	v_add_f64 v[10:11], v[10:11], v[36:37]
	ds_bpermute_b32 v13, v45, v5
	ds_bpermute_b32 v36, v45, v10
	ds_bpermute_b32 v37, v45, v11
	s_waitcnt lgkmcnt(2)
	v_add_f64 v[4:5], v[4:5], v[12:13]
	ds_bpermute_b32 v12, v46, v4
	s_waitcnt lgkmcnt(1)
	v_add_f64 v[10:11], v[10:11], v[36:37]
	ds_bpermute_b32 v13, v46, v5
	ds_bpermute_b32 v36, v46, v10
	ds_bpermute_b32 v37, v46, v11
	;; [unrolled: 8-line block ×3, first 2 shown]
	s_waitcnt lgkmcnt(2)
	v_add_f64 v[4:5], v[4:5], v[12:13]
	s_waitcnt lgkmcnt(0)
	v_add_f64 v[12:13], v[10:11], v[36:37]
	ds_bpermute_b32 v10, v48, v4
	ds_bpermute_b32 v11, v48, v5
	;; [unrolled: 1-line block ×4, first 2 shown]
	s_and_saveexec_b64 s[30:31], s[10:11]
	s_cbranch_execz .LBB355_27
; %bb.26:                               ;   in Loop: Header=BB355_15 Depth=1
	s_waitcnt lgkmcnt(0)
	v_add_f64 v[12:13], v[12:13], v[36:37]
	v_add_f64 v[10:11], v[4:5], v[10:11]
	ds_write_b128 v50, v[10:13]
.LBB355_27:                             ;   in Loop: Header=BB355_15 Depth=1
	s_or_b64 exec, exec, s[30:31]
	v_mov_b64_e32 v[12:13], 0
	s_waitcnt lgkmcnt(2)
	v_mov_b64_e32 v[10:11], v[12:13]
	s_waitcnt lgkmcnt(0)
	s_barrier
	s_and_saveexec_b64 s[30:31], s[4:5]
	s_cbranch_execnz .LBB355_52
; %bb.28:                               ;   in Loop: Header=BB355_15 Depth=1
	s_or_b64 exec, exec, s[30:31]
	s_and_saveexec_b64 s[30:31], s[0:1]
	s_cbranch_execnz .LBB355_53
.LBB355_29:                             ;   in Loop: Header=BB355_15 Depth=1
	s_or_b64 exec, exec, s[30:31]
	s_and_saveexec_b64 s[30:31], s[0:1]
	s_cbranch_execz .LBB355_31
.LBB355_30:                             ;   in Loop: Header=BB355_15 Depth=1
	v_mov_b32_e32 v3, v2
	v_mov_b32_e32 v4, v2
	;; [unrolled: 1-line block ×3, first 2 shown]
	ds_write_b128 v49, v[2:5]
.LBB355_31:                             ;   in Loop: Header=BB355_15 Depth=1
	s_or_b64 exec, exec, s[30:31]
	ds_bpermute_b32 v4, v43, v14
	ds_bpermute_b32 v5, v43, v15
	ds_bpermute_b32 v36, v43, v16
	ds_bpermute_b32 v37, v43, v17
	s_waitcnt lgkmcnt(0)
	s_barrier
	v_add_f64 v[4:5], v[14:15], v[4:5]
	v_add_f64 v[14:15], v[16:17], v[36:37]
	ds_bpermute_b32 v16, v44, v4
	ds_bpermute_b32 v17, v44, v5
	;; [unrolled: 1-line block ×4, first 2 shown]
	s_waitcnt lgkmcnt(2)
	v_add_f64 v[4:5], v[4:5], v[16:17]
	ds_bpermute_b32 v16, v45, v4
	s_waitcnt lgkmcnt(1)
	v_add_f64 v[14:15], v[14:15], v[36:37]
	ds_bpermute_b32 v17, v45, v5
	ds_bpermute_b32 v36, v45, v14
	ds_bpermute_b32 v37, v45, v15
	s_waitcnt lgkmcnt(2)
	v_add_f64 v[4:5], v[4:5], v[16:17]
	ds_bpermute_b32 v16, v46, v4
	s_waitcnt lgkmcnt(1)
	v_add_f64 v[14:15], v[14:15], v[36:37]
	ds_bpermute_b32 v17, v46, v5
	ds_bpermute_b32 v36, v46, v14
	ds_bpermute_b32 v37, v46, v15
	;; [unrolled: 8-line block ×3, first 2 shown]
	s_waitcnt lgkmcnt(2)
	v_add_f64 v[4:5], v[4:5], v[16:17]
	s_waitcnt lgkmcnt(0)
	v_add_f64 v[16:17], v[14:15], v[36:37]
	ds_bpermute_b32 v14, v48, v4
	ds_bpermute_b32 v15, v48, v5
	ds_bpermute_b32 v36, v48, v16
	ds_bpermute_b32 v37, v48, v17
	s_and_saveexec_b64 s[30:31], s[10:11]
	s_cbranch_execz .LBB355_33
; %bb.32:                               ;   in Loop: Header=BB355_15 Depth=1
	s_waitcnt lgkmcnt(0)
	v_add_f64 v[16:17], v[16:17], v[36:37]
	v_add_f64 v[14:15], v[4:5], v[14:15]
	ds_write_b128 v50, v[14:17]
.LBB355_33:                             ;   in Loop: Header=BB355_15 Depth=1
	s_or_b64 exec, exec, s[30:31]
	v_mov_b64_e32 v[16:17], 0
	s_waitcnt lgkmcnt(2)
	v_mov_b64_e32 v[14:15], v[16:17]
	s_waitcnt lgkmcnt(0)
	s_barrier
	s_and_saveexec_b64 s[30:31], s[4:5]
	s_cbranch_execnz .LBB355_54
; %bb.34:                               ;   in Loop: Header=BB355_15 Depth=1
	s_or_b64 exec, exec, s[30:31]
	s_and_saveexec_b64 s[30:31], s[0:1]
	s_cbranch_execnz .LBB355_55
.LBB355_35:                             ;   in Loop: Header=BB355_15 Depth=1
	s_or_b64 exec, exec, s[30:31]
	s_and_saveexec_b64 s[30:31], s[0:1]
	s_cbranch_execz .LBB355_37
.LBB355_36:                             ;   in Loop: Header=BB355_15 Depth=1
	v_mov_b32_e32 v3, v2
	v_mov_b32_e32 v4, v2
	;; [unrolled: 1-line block ×3, first 2 shown]
	ds_write_b128 v49, v[2:5]
.LBB355_37:                             ;   in Loop: Header=BB355_15 Depth=1
	s_or_b64 exec, exec, s[30:31]
	ds_bpermute_b32 v4, v43, v18
	ds_bpermute_b32 v5, v43, v19
	;; [unrolled: 1-line block ×4, first 2 shown]
	s_waitcnt lgkmcnt(0)
	s_barrier
	v_add_f64 v[4:5], v[18:19], v[4:5]
	v_add_f64 v[18:19], v[20:21], v[36:37]
	ds_bpermute_b32 v20, v44, v4
	ds_bpermute_b32 v21, v44, v5
	;; [unrolled: 1-line block ×4, first 2 shown]
	s_waitcnt lgkmcnt(2)
	v_add_f64 v[4:5], v[4:5], v[20:21]
	ds_bpermute_b32 v20, v45, v4
	s_waitcnt lgkmcnt(1)
	v_add_f64 v[18:19], v[18:19], v[36:37]
	ds_bpermute_b32 v21, v45, v5
	ds_bpermute_b32 v36, v45, v18
	ds_bpermute_b32 v37, v45, v19
	s_waitcnt lgkmcnt(2)
	v_add_f64 v[4:5], v[4:5], v[20:21]
	ds_bpermute_b32 v20, v46, v4
	s_waitcnt lgkmcnt(1)
	v_add_f64 v[18:19], v[18:19], v[36:37]
	ds_bpermute_b32 v21, v46, v5
	ds_bpermute_b32 v36, v46, v18
	ds_bpermute_b32 v37, v46, v19
	;; [unrolled: 8-line block ×3, first 2 shown]
	s_waitcnt lgkmcnt(2)
	v_add_f64 v[4:5], v[4:5], v[20:21]
	s_waitcnt lgkmcnt(0)
	v_add_f64 v[20:21], v[18:19], v[36:37]
	ds_bpermute_b32 v18, v48, v4
	ds_bpermute_b32 v19, v48, v5
	;; [unrolled: 1-line block ×4, first 2 shown]
	s_and_saveexec_b64 s[30:31], s[10:11]
	s_cbranch_execz .LBB355_39
; %bb.38:                               ;   in Loop: Header=BB355_15 Depth=1
	s_waitcnt lgkmcnt(0)
	v_add_f64 v[20:21], v[20:21], v[36:37]
	v_add_f64 v[18:19], v[4:5], v[18:19]
	ds_write_b128 v50, v[18:21]
.LBB355_39:                             ;   in Loop: Header=BB355_15 Depth=1
	s_or_b64 exec, exec, s[30:31]
	v_mov_b64_e32 v[20:21], 0
	s_waitcnt lgkmcnt(2)
	v_mov_b64_e32 v[18:19], v[20:21]
	s_waitcnt lgkmcnt(0)
	s_barrier
	s_and_saveexec_b64 s[30:31], s[4:5]
	s_cbranch_execnz .LBB355_56
; %bb.40:                               ;   in Loop: Header=BB355_15 Depth=1
	s_or_b64 exec, exec, s[30:31]
	s_and_saveexec_b64 s[30:31], s[0:1]
	s_cbranch_execnz .LBB355_57
.LBB355_41:                             ;   in Loop: Header=BB355_15 Depth=1
	s_or_b64 exec, exec, s[30:31]
	s_and_saveexec_b64 s[30:31], s[12:13]
	s_cbranch_execz .LBB355_14
	s_branch .LBB355_58
.LBB355_42:                             ;   in Loop: Header=BB355_15 Depth=1
	flat_load_dwordx4 v[4:7], v[28:29]
	flat_load_dwordx4 v[8:11], v[30:31]
	s_mul_i32 s34, s43, s23
	s_ashr_i32 s35, s34, 31
	s_waitcnt vmcnt(0) lgkmcnt(0)
	scratch_store_dwordx4 off, v[4:7], off
	scratch_store_dwordx4 v27, v[8:11], off
	flat_load_dwordx4 v[8:11], v[32:33]
	s_waitcnt vmcnt(0) lgkmcnt(0)
	scratch_store_dwordx4 v51, v[8:11], off
	flat_load_dwordx4 v[8:11], v[34:35]
	s_waitcnt vmcnt(0) lgkmcnt(0)
	scratch_store_dwordx4 v52, v[8:11], off
	s_nop 1
	v_lshl_add_u64 v[8:9], s[34:35], 4, v[22:23]
	flat_load_dwordx4 v[10:13], v[8:9]
	s_add_i32 s34, s34, s23
	s_ashr_i32 s35, s34, 31
	s_waitcnt vmcnt(0) lgkmcnt(0)
	v_mul_f64 v[14:15], v[6:7], v[12:13]
	v_mul_f64 v[12:13], v[4:5], v[12:13]
	v_fma_f64 v[14:15], v[4:5], v[10:11], -v[14:15]
	v_fmac_f64_e32 v[12:13], v[6:7], v[10:11]
	v_lshl_add_u64 v[10:11], s[34:35], 4, v[22:23]
	v_add_f64 v[20:21], v[14:15], 0
	v_add_f64 v[54:55], v[12:13], 0
	flat_load_dwordx4 v[12:15], v[10:11]
	s_add_i32 s34, s34, s23
	s_ashr_i32 s35, s34, 31
	s_waitcnt vmcnt(0) lgkmcnt(0)
	v_mul_f64 v[16:17], v[6:7], v[14:15]
	v_mul_f64 v[14:15], v[4:5], v[14:15]
	v_fmac_f64_e32 v[14:15], v[6:7], v[12:13]
	v_fma_f64 v[16:17], v[4:5], v[12:13], -v[16:17]
	v_add_f64 v[56:57], v[14:15], 0
	v_lshl_add_u64 v[14:15], s[34:35], 4, v[22:23]
	v_add_f64 v[12:13], v[16:17], 0
	flat_load_dwordx4 v[16:19], v[14:15]
	s_add_i32 s34, s34, s23
	s_ashr_i32 s35, s34, 31
	s_waitcnt vmcnt(0) lgkmcnt(0)
	v_mul_f64 v[36:37], v[6:7], v[18:19]
	v_mul_f64 v[18:19], v[4:5], v[18:19]
	v_fmac_f64_e32 v[18:19], v[6:7], v[16:17]
	v_fma_f64 v[36:37], v[4:5], v[16:17], -v[36:37]
	v_add_f64 v[58:59], v[18:19], 0
	v_lshl_add_u64 v[18:19], s[34:35], 4, v[22:23]
	v_add_f64 v[16:17], v[36:37], 0
	flat_load_dwordx4 v[36:39], v[18:19]
	s_waitcnt vmcnt(0) lgkmcnt(0)
	v_mul_f64 v[60:61], v[6:7], v[38:39]
	v_fma_f64 v[60:61], v[4:5], v[36:37], -v[60:61]
	v_mul_f64 v[4:5], v[4:5], v[38:39]
	v_fmac_f64_e32 v[4:5], v[6:7], v[36:37]
	v_add_f64 v[62:63], v[4:5], 0
	scratch_load_dwordx4 v[4:7], off, off offset:16
	flat_load_dwordx4 v[36:39], v[8:9] offset:16
	v_add_f64 v[60:61], v[60:61], 0
	s_waitcnt vmcnt(0) lgkmcnt(0)
	v_mul_f64 v[64:65], v[6:7], v[38:39]
	v_mul_f64 v[38:39], v[4:5], v[38:39]
	v_fmac_f64_e32 v[38:39], v[6:7], v[36:37]
	v_fma_f64 v[64:65], v[4:5], v[36:37], -v[64:65]
	v_add_f64 v[54:55], v[54:55], v[38:39]
	flat_load_dwordx4 v[36:39], v[10:11] offset:16
	v_add_f64 v[20:21], v[20:21], v[64:65]
	s_waitcnt vmcnt(0) lgkmcnt(0)
	v_mul_f64 v[64:65], v[6:7], v[38:39]
	v_mul_f64 v[38:39], v[4:5], v[38:39]
	v_fmac_f64_e32 v[38:39], v[6:7], v[36:37]
	v_fma_f64 v[64:65], v[4:5], v[36:37], -v[64:65]
	v_add_f64 v[56:57], v[56:57], v[38:39]
	;; [unrolled: 8-line block ×3, first 2 shown]
	flat_load_dwordx4 v[36:39], v[18:19] offset:16
	v_add_f64 v[16:17], v[16:17], v[64:65]
	s_waitcnt vmcnt(0) lgkmcnt(0)
	v_mul_f64 v[64:65], v[6:7], v[38:39]
	v_fma_f64 v[64:65], v[4:5], v[36:37], -v[64:65]
	v_mul_f64 v[4:5], v[4:5], v[38:39]
	v_fmac_f64_e32 v[4:5], v[6:7], v[36:37]
	v_add_f64 v[62:63], v[62:63], v[4:5]
	scratch_load_dwordx4 v[4:7], off, off offset:32
	flat_load_dwordx4 v[36:39], v[8:9] offset:32
	v_add_f64 v[60:61], v[60:61], v[64:65]
	s_waitcnt vmcnt(0) lgkmcnt(0)
	v_mul_f64 v[64:65], v[6:7], v[38:39]
	v_mul_f64 v[38:39], v[4:5], v[38:39]
	v_fmac_f64_e32 v[38:39], v[6:7], v[36:37]
	v_fma_f64 v[64:65], v[4:5], v[36:37], -v[64:65]
	v_add_f64 v[66:67], v[54:55], v[38:39]
	flat_load_dwordx4 v[36:39], v[10:11] offset:32
	v_add_f64 v[64:65], v[20:21], v[64:65]
	s_waitcnt vmcnt(0) lgkmcnt(0)
	v_mul_f64 v[20:21], v[6:7], v[38:39]
	v_mul_f64 v[38:39], v[4:5], v[38:39]
	v_fmac_f64_e32 v[38:39], v[6:7], v[36:37]
	v_fma_f64 v[20:21], v[4:5], v[36:37], -v[20:21]
	v_add_f64 v[70:71], v[56:57], v[38:39]
	flat_load_dwordx4 v[36:39], v[14:15] offset:32
	v_add_f64 v[68:69], v[12:13], v[20:21]
	s_waitcnt vmcnt(0) lgkmcnt(0)
	v_mul_f64 v[12:13], v[6:7], v[38:39]
	v_mul_f64 v[20:21], v[4:5], v[38:39]
	v_fma_f64 v[12:13], v[4:5], v[36:37], -v[12:13]
	v_fmac_f64_e32 v[20:21], v[6:7], v[36:37]
	flat_load_dwordx4 v[36:39], v[18:19] offset:32
	v_add_f64 v[72:73], v[16:17], v[12:13]
	v_add_f64 v[58:59], v[58:59], v[20:21]
	s_waitcnt vmcnt(0) lgkmcnt(0)
	v_mul_f64 v[12:13], v[6:7], v[38:39]
	v_fma_f64 v[12:13], v[4:5], v[36:37], -v[12:13]
	v_mul_f64 v[4:5], v[4:5], v[38:39]
	v_fmac_f64_e32 v[4:5], v[6:7], v[36:37]
	v_add_f64 v[38:39], v[62:63], v[4:5]
	scratch_load_dwordx4 v[4:7], off, off offset:48
	flat_load_dwordx4 v[54:57], v[8:9] offset:48
	v_add_f64 v[20:21], v[60:61], v[12:13]
	s_waitcnt vmcnt(0) lgkmcnt(0)
	v_mul_f64 v[8:9], v[6:7], v[56:57]
	v_mul_f64 v[12:13], v[4:5], v[56:57]
	v_fma_f64 v[8:9], v[4:5], v[54:55], -v[8:9]
	v_fmac_f64_e32 v[12:13], v[6:7], v[54:55]
	v_add_f64 v[36:37], v[64:65], v[8:9]
	v_add_f64 v[8:9], v[66:67], v[12:13]
	flat_load_dwordx4 v[10:13], v[10:11] offset:48
	s_waitcnt vmcnt(0) lgkmcnt(0)
	v_mul_f64 v[16:17], v[6:7], v[12:13]
	v_fma_f64 v[16:17], v[4:5], v[10:11], -v[16:17]
	v_mul_f64 v[12:13], v[4:5], v[12:13]
	v_fmac_f64_e32 v[12:13], v[6:7], v[10:11]
	v_add_f64 v[10:11], v[68:69], v[16:17]
	flat_load_dwordx4 v[14:17], v[14:15] offset:48
	v_add_f64 v[12:13], v[70:71], v[12:13]
	s_waitcnt vmcnt(0) lgkmcnt(0)
	v_mul_f64 v[54:55], v[6:7], v[16:17]
	v_fma_f64 v[54:55], v[4:5], v[14:15], -v[54:55]
	v_mul_f64 v[16:17], v[4:5], v[16:17]
	v_fmac_f64_e32 v[16:17], v[6:7], v[14:15]
	v_add_f64 v[14:15], v[72:73], v[54:55]
	flat_load_dwordx4 v[54:57], v[18:19] offset:48
	v_add_f64 v[16:17], v[58:59], v[16:17]
	s_waitcnt vmcnt(0) lgkmcnt(0)
	v_mul_f64 v[18:19], v[6:7], v[56:57]
	v_fma_f64 v[18:19], v[4:5], v[54:55], -v[18:19]
	v_mul_f64 v[4:5], v[4:5], v[56:57]
	v_fmac_f64_e32 v[4:5], v[6:7], v[54:55]
	v_add_f64 v[18:19], v[20:21], v[18:19]
	v_add_f64 v[20:21], v[38:39], v[4:5]
	s_andn2_saveexec_b64 s[30:31], s[30:31]
	s_cbranch_execz .LBB355_17
.LBB355_43:                             ;   in Loop: Header=BB355_15 Depth=1
	s_waitcnt lgkmcnt(0)
	v_mov_b64_e32 v[18:19], 0
	v_mov_b64_e32 v[20:21], v[18:19]
	;; [unrolled: 1-line block ×8, first 2 shown]
	s_and_saveexec_b64 s[34:35], s[8:9]
	s_cbranch_execz .LBB355_49
; %bb.44:                               ;   in Loop: Header=BB355_15 Depth=1
	v_mov_b64_e32 v[18:19], 0
	s_andn2_b64 vcc, exec, s[26:27]
	v_mov_b64_e32 v[20:21], v[18:19]
	v_mov_b64_e32 v[14:15], v[18:19]
	;; [unrolled: 1-line block ×7, first 2 shown]
	s_cbranch_vccnz .LBB355_49
; %bb.45:                               ;   in Loop: Header=BB355_15 Depth=1
	v_mov_b32_e32 v3, 0
	v_mov_b32_e32 v4, v26
	s_mov_b32 s24, s42
.LBB355_46:                             ;   Parent Loop BB355_15 Depth=1
                                        ; =>  This Inner Loop Header: Depth=2
	v_ashrrev_i32_e32 v5, 31, v4
	v_lshl_add_u64 v[6:7], v[4:5], 4, s[14:15]
	flat_load_dwordx4 v[6:9], v[6:7]
	s_add_i32 s24, s24, -1
	v_add_u32_e32 v4, s33, v4
	s_cmp_eq_u32 s24, 0
	s_waitcnt vmcnt(0) lgkmcnt(0)
	scratch_store_dwordx4 v3, v[6:9], off
	v_add_u32_e32 v3, 16, v3
	s_cbranch_scc0 .LBB355_46
; %bb.47:                               ;   in Loop: Header=BB355_15 Depth=1
	s_ashr_i32 s29, s28, 31
	v_mov_b64_e32 v[8:9], 0
	v_lshl_add_u64 v[4:5], s[28:29], 4, v[22:23]
	v_mov_b32_e32 v3, 0
	s_mov_b32 s36, s48
	s_mov_b32 s38, s47
	;; [unrolled: 1-line block ×4, first 2 shown]
	v_mov_b64_e32 v[36:37], v[8:9]
	v_mov_b64_e32 v[12:13], v[8:9]
	;; [unrolled: 1-line block ×7, first 2 shown]
.LBB355_48:                             ;   Parent Loop BB355_15 Depth=1
                                        ; =>  This Inner Loop Header: Depth=2
	scratch_load_dwordx4 v[54:57], v3, off
	flat_load_dwordx4 v[58:61], v[4:5]
	s_ashr_i32 s41, s40, 31
	s_ashr_i32 s39, s38, 31
	;; [unrolled: 1-line block ×3, first 2 shown]
	s_add_i32 s24, s24, -1
	v_add_u32_e32 v3, 16, v3
	v_lshl_add_u64 v[4:5], v[4:5], 0, 16
	s_waitcnt vmcnt(0) lgkmcnt(0)
	v_mul_f64 v[6:7], v[56:57], v[60:61]
	v_fma_f64 v[6:7], v[54:55], v[58:59], -v[6:7]
	v_mul_f64 v[38:39], v[54:55], v[60:61]
	v_add_f64 v[36:37], v[36:37], v[6:7]
	v_lshl_add_u64 v[6:7], s[40:41], 4, v[22:23]
	v_fmac_f64_e32 v[38:39], v[56:57], v[58:59]
	flat_load_dwordx4 v[58:61], v[6:7]
	v_add_f64 v[8:9], v[8:9], v[38:39]
	s_add_i32 s40, s40, 1
	s_waitcnt vmcnt(0) lgkmcnt(0)
	v_mul_f64 v[6:7], v[56:57], v[60:61]
	v_fma_f64 v[6:7], v[54:55], v[58:59], -v[6:7]
	v_mul_f64 v[38:39], v[54:55], v[60:61]
	v_add_f64 v[10:11], v[10:11], v[6:7]
	v_lshl_add_u64 v[6:7], s[38:39], 4, v[22:23]
	v_fmac_f64_e32 v[38:39], v[56:57], v[58:59]
	flat_load_dwordx4 v[58:61], v[6:7]
	v_add_f64 v[12:13], v[12:13], v[38:39]
	s_add_i32 s38, s38, 1
	;; [unrolled: 10-line block ×3, first 2 shown]
	s_cmp_lg_u32 s24, 0
	s_waitcnt vmcnt(0) lgkmcnt(0)
	v_mul_f64 v[6:7], v[56:57], v[60:61]
	v_mul_f64 v[38:39], v[54:55], v[60:61]
	v_fma_f64 v[6:7], v[54:55], v[58:59], -v[6:7]
	v_fmac_f64_e32 v[38:39], v[56:57], v[58:59]
	v_add_f64 v[18:19], v[18:19], v[6:7]
	v_add_f64 v[20:21], v[20:21], v[38:39]
	s_cbranch_scc1 .LBB355_48
.LBB355_49:                             ;   in Loop: Header=BB355_15 Depth=1
	s_or_b64 exec, exec, s[34:35]
	s_or_b64 exec, exec, s[30:31]
	s_and_saveexec_b64 s[30:31], s[0:1]
	s_cbranch_execnz .LBB355_18
	s_branch .LBB355_19
.LBB355_50:                             ;   in Loop: Header=BB355_15 Depth=1
	ds_read_b128 v[6:9], v49
	s_or_b64 exec, exec, s[30:31]
	s_and_saveexec_b64 s[30:31], s[0:1]
	s_cbranch_execz .LBB355_23
.LBB355_51:                             ;   in Loop: Header=BB355_15 Depth=1
	s_waitcnt lgkmcnt(0)
	ds_bpermute_b32 v4, v47, v6
	ds_bpermute_b32 v5, v47, v7
	;; [unrolled: 1-line block ×4, first 2 shown]
	s_waitcnt lgkmcnt(2)
	v_add_f64 v[4:5], v[6:7], v[4:5]
	ds_bpermute_b32 v6, v48, v4
	s_waitcnt lgkmcnt(1)
	v_add_f64 v[8:9], v[8:9], v[36:37]
	ds_bpermute_b32 v7, v48, v5
	ds_bpermute_b32 v36, v48, v8
	;; [unrolled: 1-line block ×3, first 2 shown]
	s_waitcnt lgkmcnt(2)
	v_add_f64 v[6:7], v[4:5], v[6:7]
	s_waitcnt lgkmcnt(0)
	v_add_f64 v[8:9], v[8:9], v[36:37]
	s_or_b64 exec, exec, s[30:31]
	s_and_saveexec_b64 s[30:31], s[0:1]
	s_cbranch_execnz .LBB355_24
	s_branch .LBB355_25
.LBB355_52:                             ;   in Loop: Header=BB355_15 Depth=1
	ds_read_b128 v[10:13], v49
	s_or_b64 exec, exec, s[30:31]
	s_and_saveexec_b64 s[30:31], s[0:1]
	s_cbranch_execz .LBB355_29
.LBB355_53:                             ;   in Loop: Header=BB355_15 Depth=1
	s_waitcnt lgkmcnt(0)
	ds_bpermute_b32 v4, v47, v10
	ds_bpermute_b32 v5, v47, v11
	;; [unrolled: 1-line block ×4, first 2 shown]
	s_waitcnt lgkmcnt(2)
	v_add_f64 v[4:5], v[10:11], v[4:5]
	ds_bpermute_b32 v10, v48, v4
	s_waitcnt lgkmcnt(1)
	v_add_f64 v[12:13], v[12:13], v[36:37]
	ds_bpermute_b32 v11, v48, v5
	ds_bpermute_b32 v36, v48, v12
	ds_bpermute_b32 v37, v48, v13
	s_waitcnt lgkmcnt(2)
	v_add_f64 v[10:11], v[4:5], v[10:11]
	s_waitcnt lgkmcnt(0)
	v_add_f64 v[12:13], v[12:13], v[36:37]
	s_or_b64 exec, exec, s[30:31]
	s_and_saveexec_b64 s[30:31], s[0:1]
	s_cbranch_execnz .LBB355_30
	s_branch .LBB355_31
.LBB355_54:                             ;   in Loop: Header=BB355_15 Depth=1
	ds_read_b128 v[14:17], v49
	s_or_b64 exec, exec, s[30:31]
	s_and_saveexec_b64 s[30:31], s[0:1]
	s_cbranch_execz .LBB355_35
.LBB355_55:                             ;   in Loop: Header=BB355_15 Depth=1
	s_waitcnt lgkmcnt(0)
	ds_bpermute_b32 v4, v47, v14
	ds_bpermute_b32 v5, v47, v15
	ds_bpermute_b32 v36, v47, v16
	ds_bpermute_b32 v37, v47, v17
	s_waitcnt lgkmcnt(2)
	v_add_f64 v[4:5], v[14:15], v[4:5]
	ds_bpermute_b32 v14, v48, v4
	s_waitcnt lgkmcnt(1)
	v_add_f64 v[16:17], v[16:17], v[36:37]
	ds_bpermute_b32 v15, v48, v5
	ds_bpermute_b32 v36, v48, v16
	;; [unrolled: 1-line block ×3, first 2 shown]
	s_waitcnt lgkmcnt(2)
	v_add_f64 v[14:15], v[4:5], v[14:15]
	s_waitcnt lgkmcnt(0)
	v_add_f64 v[16:17], v[16:17], v[36:37]
	s_or_b64 exec, exec, s[30:31]
	s_and_saveexec_b64 s[30:31], s[0:1]
	s_cbranch_execnz .LBB355_36
	s_branch .LBB355_37
.LBB355_56:                             ;   in Loop: Header=BB355_15 Depth=1
	ds_read_b128 v[18:21], v49
	s_or_b64 exec, exec, s[30:31]
	s_and_saveexec_b64 s[30:31], s[0:1]
	s_cbranch_execz .LBB355_41
.LBB355_57:                             ;   in Loop: Header=BB355_15 Depth=1
	s_waitcnt lgkmcnt(0)
	ds_bpermute_b32 v4, v47, v18
	ds_bpermute_b32 v5, v47, v19
	;; [unrolled: 1-line block ×4, first 2 shown]
	s_waitcnt lgkmcnt(2)
	v_add_f64 v[4:5], v[18:19], v[4:5]
	ds_bpermute_b32 v18, v48, v4
	s_waitcnt lgkmcnt(1)
	v_add_f64 v[20:21], v[20:21], v[36:37]
	ds_bpermute_b32 v19, v48, v5
	ds_bpermute_b32 v36, v48, v20
	;; [unrolled: 1-line block ×3, first 2 shown]
	s_waitcnt lgkmcnt(2)
	v_add_f64 v[18:19], v[4:5], v[18:19]
	s_waitcnt lgkmcnt(0)
	v_add_f64 v[20:21], v[20:21], v[36:37]
	s_or_b64 exec, exec, s[30:31]
	s_and_saveexec_b64 s[30:31], s[12:13]
	s_cbranch_execz .LBB355_14
.LBB355_58:                             ;   in Loop: Header=BB355_15 Depth=1
	s_mul_i32 s24, s43, s22
	s_add_i32 s24, s24, s2
	s_lshl_b64 s[34:35], s[24:25], 4
	v_mul_f64 v[4:5], s[18:19], v[8:9]
	v_mul_f64 v[38:39], s[16:17], v[8:9]
	s_add_u32 s34, s44, s34
	v_fma_f64 v[36:37], s[16:17], v[6:7], -v[4:5]
	v_fmac_f64_e32 v[38:39], s[18:19], v[6:7]
	s_addc_u32 s35, s45, s35
	s_add_i32 s24, s24, s22
	global_store_dwordx4 v2, v[36:39], s[34:35]
	s_lshl_b64 s[34:35], s[24:25], 4
	v_mul_f64 v[4:5], s[18:19], v[12:13]
	v_mul_f64 v[6:7], s[16:17], v[12:13]
	s_add_u32 s34, s44, s34
	v_fma_f64 v[4:5], s[16:17], v[10:11], -v[4:5]
	v_fmac_f64_e32 v[6:7], s[18:19], v[10:11]
	s_addc_u32 s35, s45, s35
	s_add_i32 s24, s24, s22
	global_store_dwordx4 v2, v[4:7], s[34:35]
	s_lshl_b64 s[34:35], s[24:25], 4
	s_add_u32 s34, s44, s34
	v_mul_f64 v[4:5], s[18:19], v[16:17]
	v_mul_f64 v[6:7], s[16:17], v[16:17]
	v_fma_f64 v[4:5], s[16:17], v[14:15], -v[4:5]
	v_fmac_f64_e32 v[6:7], s[18:19], v[14:15]
	s_addc_u32 s35, s45, s35
	s_add_i32 s24, s24, s22
	global_store_dwordx4 v2, v[4:7], s[34:35]
	s_lshl_b64 s[34:35], s[24:25], 4
	s_add_u32 s34, s44, s34
	s_waitcnt lgkmcnt(0)
	v_mul_f64 v[4:5], s[18:19], v[20:21]
	v_mul_f64 v[6:7], s[16:17], v[20:21]
	v_fma_f64 v[4:5], s[16:17], v[18:19], -v[4:5]
	v_fmac_f64_e32 v[6:7], s[18:19], v[18:19]
	s_addc_u32 s35, s45, s35
	global_store_dwordx4 v2, v[4:7], s[34:35]
	s_branch .LBB355_14
.LBB355_59:
	s_mov_b32 s43, 0
.LBB355_60:
	s_cmp_ge_i32 s43, s21
	s_cbranch_scc1 .LBB355_82
; %bb.61:
	v_mbcnt_hi_u32_b32 v2, -1, v40
	v_and_b32_e32 v3, 63, v2
	v_cmp_gt_u32_e64 s[4:5], 32, v3
	v_cmp_gt_u32_e64 s[0:1], 64, v0
	;; [unrolled: 1-line block ×3, first 2 shown]
	v_cndmask_b32_e64 v4, 0, 1, s[4:5]
	v_lshlrev_b32_e32 v4, 5, v4
	v_cmp_gt_u32_e64 s[4:5], 48, v3
	s_waitcnt lgkmcnt(0)
	v_add_lshl_u32 v19, v4, v2, 2
	v_cmp_eq_u32_e64 s[8:9], 0, v0
	v_cndmask_b32_e64 v4, 0, 1, s[4:5]
	v_lshlrev_b32_e32 v4, 4, v4
	v_cmp_gt_u32_e64 s[4:5], 56, v3
	v_add_lshl_u32 v20, v4, v2, 2
	v_add_u32_e32 v0, s33, v24
	v_cndmask_b32_e64 v4, 0, 1, s[4:5]
	v_lshlrev_b32_e32 v4, 3, v4
	v_cmp_gt_u32_e64 s[4:5], 60, v3
	v_add_lshl_u32 v21, v4, v2, 2
	v_lshlrev_b32_e32 v18, 4, v1
	v_cndmask_b32_e64 v4, 0, 1, s[4:5]
	v_lshlrev_b32_e32 v4, 2, v4
	v_cmp_gt_u32_e64 s[4:5], 62, v3
	v_add_lshl_u32 v26, v4, v2, 2
	s_mov_b32 s3, 0
	v_cndmask_b32_e64 v4, 0, 1, s[4:5]
	v_lshlrev_b32_e32 v4, 1, v4
	v_cmp_ne_u32_e64 s[4:5], 63, v3
	v_add_lshl_u32 v27, v4, v2, 2
	s_cmp_gt_i32 s42, 0
	v_addc_co_u32_e64 v2, s[4:5], 0, v2, s[4:5]
	v_cmp_eq_u32_e64 s[4:5], 0, v1
	v_ashrrev_i32_e32 v1, 31, v0
	v_lshl_add_u64 v[8:9], v[0:1], 4, s[14:15]
	v_add_u32_e32 v0, s33, v0
	v_ashrrev_i32_e32 v1, 31, v0
	s_cselect_b64 s[12:13], -1, 0
	s_lshl_b64 s[2:3], s[2:3], 4
	v_lshl_add_u64 v[10:11], v[0:1], 4, s[14:15]
	v_add_u32_e32 v0, s33, v0
	v_cmp_ge_i32_e32 vcc, s20, v41
	v_cmp_ge_i32_e64 s[10:11], s20, v42
	v_lshlrev_b32_e32 v28, 2, v2
	v_and_b32_e32 v29, 48, v25
	s_add_u32 s20, s44, s2
	v_ashrrev_i32_e32 v25, 31, v24
	v_mov_b32_e32 v2, 0
	v_ashrrev_i32_e32 v1, 31, v0
	s_addc_u32 s26, s45, s3
	v_lshl_add_u64 v[6:7], v[24:25], 4, s[14:15]
	v_add_u32_e32 v25, 16, v2
	v_add_u32_e32 v30, 32, v2
	v_lshl_add_u64 v[12:13], v[0:1], 4, s[14:15]
	v_add_u32_e32 v31, 48, v2
	s_and_b64 s[2:3], s[12:13], s[10:11]
	s_mul_i32 s10, s43, s23
	v_mov_b32_e32 v0, 0
	s_branch .LBB355_63
.LBB355_62:                             ;   in Loop: Header=BB355_63 Depth=1
	s_or_b64 exec, exec, s[12:13]
	s_add_i32 s43, s43, 1
	s_add_i32 s10, s10, s23
	s_cmp_lt_i32 s43, s21
	s_cbranch_scc0 .LBB355_82
.LBB355_63:                             ; =>This Loop Header: Depth=1
                                        ;     Child Loop BB355_75 Depth 2
                                        ;     Child Loop BB355_77 Depth 2
                                        ; implicit-def: $vgpr4_vgpr5
                                        ; implicit-def: $vgpr14_vgpr15
	s_and_saveexec_b64 s[12:13], vcc
	s_xor_b64 s[12:13], exec, s[12:13]
	s_cbranch_execnz .LBB355_72
; %bb.64:                               ;   in Loop: Header=BB355_63 Depth=1
	s_andn2_saveexec_b64 s[12:13], s[12:13]
	s_cbranch_execnz .LBB355_73
.LBB355_65:                             ;   in Loop: Header=BB355_63 Depth=1
	s_or_b64 exec, exec, s[12:13]
	s_and_saveexec_b64 s[12:13], s[0:1]
	s_cbranch_execz .LBB355_67
.LBB355_66:                             ;   in Loop: Header=BB355_63 Depth=1
	v_mov_b32_e32 v1, v0
	s_waitcnt lgkmcnt(0)
	v_mov_b32_e32 v2, v0
	v_mov_b32_e32 v3, v0
	ds_write_b128 v18, v[0:3]
.LBB355_67:                             ;   in Loop: Header=BB355_63 Depth=1
	s_or_b64 exec, exec, s[12:13]
	s_waitcnt lgkmcnt(0)
	ds_bpermute_b32 v2, v19, v4
	ds_bpermute_b32 v3, v19, v5
	;; [unrolled: 1-line block ×4, first 2 shown]
	s_waitcnt lgkmcnt(0)
	s_barrier
	v_add_f64 v[2:3], v[4:5], v[2:3]
	v_add_f64 v[4:5], v[14:15], v[16:17]
	ds_bpermute_b32 v14, v20, v2
	ds_bpermute_b32 v15, v20, v3
	;; [unrolled: 1-line block ×4, first 2 shown]
	s_waitcnt lgkmcnt(2)
	v_add_f64 v[2:3], v[2:3], v[14:15]
	ds_bpermute_b32 v14, v21, v2
	s_waitcnt lgkmcnt(1)
	v_add_f64 v[4:5], v[4:5], v[16:17]
	ds_bpermute_b32 v15, v21, v3
	ds_bpermute_b32 v16, v21, v4
	ds_bpermute_b32 v17, v21, v5
	s_waitcnt lgkmcnt(2)
	v_add_f64 v[2:3], v[2:3], v[14:15]
	ds_bpermute_b32 v14, v26, v2
	s_waitcnt lgkmcnt(1)
	v_add_f64 v[4:5], v[4:5], v[16:17]
	ds_bpermute_b32 v15, v26, v3
	ds_bpermute_b32 v16, v26, v4
	ds_bpermute_b32 v17, v26, v5
	;; [unrolled: 8-line block ×3, first 2 shown]
	s_waitcnt lgkmcnt(2)
	v_add_f64 v[2:3], v[2:3], v[14:15]
	s_waitcnt lgkmcnt(0)
	v_add_f64 v[14:15], v[4:5], v[16:17]
	ds_bpermute_b32 v4, v28, v2
	ds_bpermute_b32 v5, v28, v3
	;; [unrolled: 1-line block ×4, first 2 shown]
	s_and_saveexec_b64 s[12:13], s[4:5]
	s_cbranch_execz .LBB355_69
; %bb.68:                               ;   in Loop: Header=BB355_63 Depth=1
	s_waitcnt lgkmcnt(0)
	v_add_f64 v[16:17], v[14:15], v[16:17]
	v_add_f64 v[14:15], v[2:3], v[4:5]
	ds_write_b128 v29, v[14:17]
.LBB355_69:                             ;   in Loop: Header=BB355_63 Depth=1
	s_or_b64 exec, exec, s[12:13]
	s_waitcnt lgkmcnt(2)
	v_mov_b64_e32 v[4:5], 0
	v_mov_b64_e32 v[2:3], v[4:5]
	s_waitcnt lgkmcnt(0)
	s_barrier
	s_and_saveexec_b64 s[12:13], s[6:7]
	s_cbranch_execnz .LBB355_79
; %bb.70:                               ;   in Loop: Header=BB355_63 Depth=1
	s_or_b64 exec, exec, s[12:13]
	s_and_saveexec_b64 s[12:13], s[0:1]
	s_cbranch_execnz .LBB355_80
.LBB355_71:                             ;   in Loop: Header=BB355_63 Depth=1
	s_or_b64 exec, exec, s[12:13]
	s_and_saveexec_b64 s[12:13], s[8:9]
	s_cbranch_execz .LBB355_62
	s_branch .LBB355_81
.LBB355_72:                             ;   in Loop: Header=BB355_63 Depth=1
	s_waitcnt lgkmcnt(0)
	flat_load_dwordx4 v[2:5], v[6:7]
	flat_load_dwordx4 v[14:17], v[8:9]
	flat_load_dwordx4 v[32:35], v[10:11]
	flat_load_dwordx4 v[36:39], v[12:13]
	s_mul_i32 s24, s43, s23
	s_ashr_i32 s25, s24, 31
	v_lshl_add_u64 v[52:53], s[24:25], 4, v[22:23]
	s_waitcnt vmcnt(0) lgkmcnt(0)
	scratch_store_dwordx4 off, v[2:5], off
	scratch_store_dwordx4 v25, v[14:17], off
	scratch_store_dwordx4 v30, v[32:35], off
	;; [unrolled: 1-line block ×3, first 2 shown]
	flat_load_dwordx4 v[14:17], v[52:53]
	s_nop 0
	flat_load_dwordx4 v[32:35], v[52:53] offset:16
	scratch_load_dwordx4 v[36:39], off, off offset:16
	scratch_load_dwordx4 v[40:43], off, off offset:32
	flat_load_dwordx4 v[44:47], v[52:53] offset:32
	flat_load_dwordx4 v[48:51], v[52:53] offset:48
                                        ; kill: killed $vgpr52_vgpr53
	s_nop 0
	scratch_load_dwordx4 v[52:55], off, off offset:48
	s_waitcnt vmcnt(0) lgkmcnt(0)
	v_mul_f64 v[56:57], v[16:17], v[4:5]
	v_mul_f64 v[4:5], v[14:15], v[4:5]
	;; [unrolled: 1-line block ×4, first 2 shown]
	v_fma_f64 v[14:15], v[14:15], v[2:3], -v[56:57]
	v_fmac_f64_e32 v[4:5], v[16:17], v[2:3]
	v_mul_f64 v[60:61], v[46:47], v[42:43]
	v_mul_f64 v[42:43], v[44:45], v[42:43]
	v_fma_f64 v[2:3], v[32:33], v[36:37], -v[58:59]
	v_fmac_f64_e32 v[38:39], v[34:35], v[36:37]
	v_add_f64 v[14:15], v[14:15], 0
	v_add_f64 v[4:5], v[4:5], 0
	v_mul_f64 v[62:63], v[50:51], v[54:55]
	v_mul_f64 v[54:55], v[48:49], v[54:55]
	v_fma_f64 v[16:17], v[44:45], v[40:41], -v[60:61]
	v_fmac_f64_e32 v[42:43], v[46:47], v[40:41]
	v_add_f64 v[2:3], v[14:15], v[2:3]
	v_add_f64 v[4:5], v[4:5], v[38:39]
	v_fma_f64 v[32:33], v[48:49], v[52:53], -v[62:63]
	v_fmac_f64_e32 v[54:55], v[50:51], v[52:53]
	v_add_f64 v[2:3], v[2:3], v[16:17]
	v_add_f64 v[14:15], v[4:5], v[42:43]
	v_add_f64 v[4:5], v[2:3], v[32:33]
	v_add_f64 v[14:15], v[14:15], v[54:55]
	s_andn2_saveexec_b64 s[12:13], s[12:13]
	s_cbranch_execz .LBB355_65
.LBB355_73:                             ;   in Loop: Header=BB355_63 Depth=1
	s_waitcnt lgkmcnt(0)
	v_mov_b64_e32 v[4:5], 0
	v_mov_b64_e32 v[14:15], v[4:5]
	s_and_saveexec_b64 s[24:25], s[2:3]
	s_cbranch_execz .LBB355_78
; %bb.74:                               ;   in Loop: Header=BB355_63 Depth=1
	v_mov_b32_e32 v1, 0
	v_mov_b32_e32 v2, v24
	s_mov_b32 s11, s42
.LBB355_75:                             ;   Parent Loop BB355_63 Depth=1
                                        ; =>  This Inner Loop Header: Depth=2
	v_ashrrev_i32_e32 v3, 31, v2
	v_lshl_add_u64 v[4:5], v[2:3], 4, s[14:15]
	flat_load_dwordx4 v[14:17], v[4:5]
	s_add_i32 s11, s11, -1
	v_add_u32_e32 v2, s33, v2
	s_cmp_eq_u32 s11, 0
	s_waitcnt vmcnt(0) lgkmcnt(0)
	scratch_store_dwordx4 v1, v[14:17], off
	v_add_u32_e32 v1, 16, v1
	s_cbranch_scc0 .LBB355_75
; %bb.76:                               ;   in Loop: Header=BB355_63 Depth=1
	s_ashr_i32 s11, s10, 31
	v_mov_b64_e32 v[4:5], 0
	v_lshl_add_u64 v[2:3], s[10:11], 4, v[22:23]
	v_mov_b32_e32 v1, 0
	s_mov_b32 s11, s42
	v_mov_b64_e32 v[14:15], v[4:5]
.LBB355_77:                             ;   Parent Loop BB355_63 Depth=1
                                        ; =>  This Inner Loop Header: Depth=2
	flat_load_dwordx4 v[32:35], v[2:3]
	scratch_load_dwordx4 v[36:39], v1, off
	s_add_i32 s11, s11, -1
	v_add_u32_e32 v1, 16, v1
	v_lshl_add_u64 v[2:3], v[2:3], 0, 16
	s_cmp_lg_u32 s11, 0
	s_waitcnt vmcnt(0) lgkmcnt(0)
	v_mul_f64 v[16:17], v[34:35], v[38:39]
	v_mul_f64 v[38:39], v[32:33], v[38:39]
	v_fma_f64 v[16:17], v[32:33], v[36:37], -v[16:17]
	v_fmac_f64_e32 v[38:39], v[34:35], v[36:37]
	v_add_f64 v[4:5], v[4:5], v[16:17]
	v_add_f64 v[14:15], v[14:15], v[38:39]
	s_cbranch_scc1 .LBB355_77
.LBB355_78:                             ;   in Loop: Header=BB355_63 Depth=1
	s_or_b64 exec, exec, s[24:25]
	s_or_b64 exec, exec, s[12:13]
	s_and_saveexec_b64 s[12:13], s[0:1]
	s_cbranch_execnz .LBB355_66
	s_branch .LBB355_67
.LBB355_79:                             ;   in Loop: Header=BB355_63 Depth=1
	ds_read_b128 v[2:5], v18
	s_or_b64 exec, exec, s[12:13]
	s_and_saveexec_b64 s[12:13], s[0:1]
	s_cbranch_execz .LBB355_71
.LBB355_80:                             ;   in Loop: Header=BB355_63 Depth=1
	s_waitcnt lgkmcnt(0)
	ds_bpermute_b32 v14, v27, v2
	ds_bpermute_b32 v15, v27, v3
	;; [unrolled: 1-line block ×4, first 2 shown]
	s_waitcnt lgkmcnt(2)
	v_add_f64 v[2:3], v[2:3], v[14:15]
	ds_bpermute_b32 v14, v28, v2
	s_waitcnt lgkmcnt(1)
	v_add_f64 v[4:5], v[4:5], v[16:17]
	ds_bpermute_b32 v15, v28, v3
	ds_bpermute_b32 v16, v28, v4
	;; [unrolled: 1-line block ×3, first 2 shown]
	s_waitcnt lgkmcnt(2)
	v_add_f64 v[2:3], v[2:3], v[14:15]
	s_waitcnt lgkmcnt(0)
	v_add_f64 v[4:5], v[4:5], v[16:17]
	s_or_b64 exec, exec, s[12:13]
	s_and_saveexec_b64 s[12:13], s[8:9]
	s_cbranch_execz .LBB355_62
.LBB355_81:                             ;   in Loop: Header=BB355_63 Depth=1
	s_mul_hi_u32 s25, s43, s22
	s_mul_i32 s24, s43, s22
	s_lshl_b64 s[24:25], s[24:25], 4
	s_waitcnt lgkmcnt(0)
	v_mul_f64 v[14:15], s[18:19], v[4:5]
	v_mul_f64 v[16:17], s[16:17], v[4:5]
	s_add_u32 s24, s20, s24
	v_fma_f64 v[14:15], s[16:17], v[2:3], -v[14:15]
	v_fmac_f64_e32 v[16:17], s[18:19], v[2:3]
	s_addc_u32 s25, s26, s25
	global_store_dwordx4 v0, v[14:17], s[24:25]
	s_branch .LBB355_62
.LBB355_82:
	s_endpgm
	.section	.rodata,"a",@progbits
	.p2align	6, 0x0
	.amdhsa_kernel _ZL23rocblas_gemvt_sn_kernelILb0ELi256ELi4EiPK19rocblas_complex_numIdES1_S1_EviiT4_lPKT3_lilS7_lilPT5_i
		.amdhsa_group_segment_fixed_size 1024
		.amdhsa_private_segment_fixed_size 80
		.amdhsa_kernarg_size 368
		.amdhsa_user_sgpr_count 2
		.amdhsa_user_sgpr_dispatch_ptr 0
		.amdhsa_user_sgpr_queue_ptr 0
		.amdhsa_user_sgpr_kernarg_segment_ptr 1
		.amdhsa_user_sgpr_dispatch_id 0
		.amdhsa_user_sgpr_kernarg_preload_length 0
		.amdhsa_user_sgpr_kernarg_preload_offset 0
		.amdhsa_user_sgpr_private_segment_size 0
		.amdhsa_uses_dynamic_stack 0
		.amdhsa_enable_private_segment 1
		.amdhsa_system_sgpr_workgroup_id_x 1
		.amdhsa_system_sgpr_workgroup_id_y 0
		.amdhsa_system_sgpr_workgroup_id_z 1
		.amdhsa_system_sgpr_workgroup_info 0
		.amdhsa_system_vgpr_workitem_id 0
		.amdhsa_next_free_vgpr 74
		.amdhsa_next_free_sgpr 50
		.amdhsa_accum_offset 76
		.amdhsa_reserve_vcc 1
		.amdhsa_float_round_mode_32 0
		.amdhsa_float_round_mode_16_64 0
		.amdhsa_float_denorm_mode_32 3
		.amdhsa_float_denorm_mode_16_64 3
		.amdhsa_dx10_clamp 1
		.amdhsa_ieee_mode 1
		.amdhsa_fp16_overflow 0
		.amdhsa_tg_split 0
		.amdhsa_exception_fp_ieee_invalid_op 0
		.amdhsa_exception_fp_denorm_src 0
		.amdhsa_exception_fp_ieee_div_zero 0
		.amdhsa_exception_fp_ieee_overflow 0
		.amdhsa_exception_fp_ieee_underflow 0
		.amdhsa_exception_fp_ieee_inexact 0
		.amdhsa_exception_int_div_zero 0
	.end_amdhsa_kernel
	.section	.text._ZL23rocblas_gemvt_sn_kernelILb0ELi256ELi4EiPK19rocblas_complex_numIdES1_S1_EviiT4_lPKT3_lilS7_lilPT5_i,"axG",@progbits,_ZL23rocblas_gemvt_sn_kernelILb0ELi256ELi4EiPK19rocblas_complex_numIdES1_S1_EviiT4_lPKT3_lilS7_lilPT5_i,comdat
.Lfunc_end355:
	.size	_ZL23rocblas_gemvt_sn_kernelILb0ELi256ELi4EiPK19rocblas_complex_numIdES1_S1_EviiT4_lPKT3_lilS7_lilPT5_i, .Lfunc_end355-_ZL23rocblas_gemvt_sn_kernelILb0ELi256ELi4EiPK19rocblas_complex_numIdES1_S1_EviiT4_lPKT3_lilS7_lilPT5_i
                                        ; -- End function
	.section	.AMDGPU.csdata,"",@progbits
; Kernel info:
; codeLenInByte = 6700
; NumSgprs: 56
; NumVgprs: 74
; NumAgprs: 0
; TotalNumVgprs: 74
; ScratchSize: 80
; MemoryBound: 0
; FloatMode: 240
; IeeeMode: 1
; LDSByteSize: 1024 bytes/workgroup (compile time only)
; SGPRBlocks: 6
; VGPRBlocks: 9
; NumSGPRsForWavesPerEU: 56
; NumVGPRsForWavesPerEU: 74
; AccumOffset: 76
; Occupancy: 6
; WaveLimiterHint : 0
; COMPUTE_PGM_RSRC2:SCRATCH_EN: 1
; COMPUTE_PGM_RSRC2:USER_SGPR: 2
; COMPUTE_PGM_RSRC2:TRAP_HANDLER: 0
; COMPUTE_PGM_RSRC2:TGID_X_EN: 1
; COMPUTE_PGM_RSRC2:TGID_Y_EN: 0
; COMPUTE_PGM_RSRC2:TGID_Z_EN: 1
; COMPUTE_PGM_RSRC2:TIDIG_COMP_CNT: 0
; COMPUTE_PGM_RSRC3_GFX90A:ACCUM_OFFSET: 18
; COMPUTE_PGM_RSRC3_GFX90A:TG_SPLIT: 0
	.section	.text._ZL23rocblas_gemvt_sn_kernelILb0ELi256ELi4ElPK19rocblas_complex_numIdES1_S1_EviiT4_lPKT3_lilS7_lilPT5_i,"axG",@progbits,_ZL23rocblas_gemvt_sn_kernelILb0ELi256ELi4ElPK19rocblas_complex_numIdES1_S1_EviiT4_lPKT3_lilS7_lilPT5_i,comdat
	.globl	_ZL23rocblas_gemvt_sn_kernelILb0ELi256ELi4ElPK19rocblas_complex_numIdES1_S1_EviiT4_lPKT3_lilS7_lilPT5_i ; -- Begin function _ZL23rocblas_gemvt_sn_kernelILb0ELi256ELi4ElPK19rocblas_complex_numIdES1_S1_EviiT4_lPKT3_lilS7_lilPT5_i
	.p2align	8
	.type	_ZL23rocblas_gemvt_sn_kernelILb0ELi256ELi4ElPK19rocblas_complex_numIdES1_S1_EviiT4_lPKT3_lilS7_lilPT5_i,@function
_ZL23rocblas_gemvt_sn_kernelILb0ELi256ELi4ElPK19rocblas_complex_numIdES1_S1_EviiT4_lPKT3_lilS7_lilPT5_i: ; @_ZL23rocblas_gemvt_sn_kernelILb0ELi256ELi4ElPK19rocblas_complex_numIdES1_S1_EviiT4_lPKT3_lilS7_lilPT5_i
; %bb.0:
	s_load_dwordx4 s[16:19], s[0:1], 0x8
	s_mov_b32 s4, s3
	s_waitcnt lgkmcnt(0)
	v_cmp_neq_f64_e64 s[6:7], s[16:17], 0
	v_cmp_neq_f64_e64 s[8:9], s[18:19], 0
	s_or_b64 s[6:7], s[6:7], s[8:9]
	s_mov_b64 s[8:9], -1
	s_and_b64 vcc, exec, s[6:7]
	s_cbranch_vccnz .LBB356_2
; %bb.1:
	s_mov_b32 s5, 0
	s_mov_b64 s[24:25], 0
	s_cbranch_execz .LBB356_3
	s_branch .LBB356_4
.LBB356_2:
                                        ; implicit-def: $sgpr24_sgpr25
	s_andn2_b64 vcc, exec, s[8:9]
	s_cbranch_vccnz .LBB356_4
.LBB356_3:
	s_load_dwordx4 s[8:11], s[0:1], 0x20
	s_mov_b32 s5, 0
	s_lshl_b64 s[12:13], s[4:5], 3
	s_waitcnt lgkmcnt(0)
	s_add_u32 s8, s8, s12
	s_addc_u32 s9, s9, s13
	s_load_dwordx2 s[8:9], s[8:9], 0x0
	s_lshl_b64 s[10:11], s[10:11], 4
	s_waitcnt lgkmcnt(0)
	s_add_u32 s24, s8, s10
	s_addc_u32 s25, s9, s11
.LBB356_4:
	s_xor_b64 s[10:11], s[6:7], -1
	s_andn2_b64 vcc, exec, s[6:7]
	s_mov_b64 s[26:27], 0
	s_cbranch_vccnz .LBB356_6
; %bb.5:
	s_load_dwordx4 s[12:15], s[0:1], 0x40
	s_lshl_b64 s[6:7], s[4:5], 3
	s_waitcnt lgkmcnt(0)
	s_add_u32 s6, s12, s6
	s_addc_u32 s7, s13, s7
	s_load_dwordx2 s[6:7], s[6:7], 0x0
	s_lshl_b64 s[8:9], s[14:15], 4
	s_waitcnt lgkmcnt(0)
	s_add_u32 s26, s6, s8
	s_addc_u32 s27, s7, s9
.LBB356_6:
	s_load_dwordx2 s[14:15], s[0:1], 0x0
	s_load_dwordx2 s[6:7], s[0:1], 0x60
	s_load_dword s20, s[0:1], 0x70
	s_mov_b32 s21, 0
	s_mov_b64 s[12:13], -1
	s_waitcnt lgkmcnt(0)
	s_ashr_i32 s30, s15, 31
	s_mul_hi_u32 s3, s4, s15
	s_mul_i32 s8, s4, s30
	s_add_i32 s3, s3, s8
	s_mul_i32 s5, s5, s15
	s_add_i32 s3, s3, s5
	s_mul_i32 s4, s4, s15
	s_mul_i32 s3, s3, s20
	s_mul_hi_u32 s5, s4, s20
	s_add_i32 s9, s5, s3
	s_mul_i32 s8, s4, s20
	s_andn2_b64 vcc, exec, s[10:11]
	v_cmp_eq_u32_e64 s[4:5], 0, v0
	s_cbranch_vccnz .LBB356_11
; %bb.7:
	s_cmp_gt_i32 s15, 0
	s_cselect_b64 s[10:11], -1, 0
	s_and_b64 s[10:11], s[4:5], s[10:11]
	s_and_saveexec_b64 s[4:5], s[10:11]
	s_cbranch_execz .LBB356_10
; %bb.8:
	s_mov_b32 s3, 0
	s_lshl_b64 s[10:11], s[8:9], 4
	s_lshl_b64 s[12:13], s[2:3], 4
	s_add_u32 s3, s10, s12
	s_addc_u32 s10, s11, s13
	s_add_u32 s3, s3, s6
	s_addc_u32 s11, s10, s7
	s_add_u32 s10, s3, 8
	v_mov_b32_e32 v2, 0
	s_addc_u32 s11, s11, 0
	s_lshl_b64 s[12:13], s[20:21], 4
	v_mov_b32_e32 v3, v2
	v_mov_b32_e32 v4, v2
	;; [unrolled: 1-line block ×3, first 2 shown]
	s_mov_b32 s3, s15
.LBB356_9:                              ; =>This Inner Loop Header: Depth=1
	s_add_i32 s3, s3, -1
	global_store_dwordx4 v2, v[2:5], s[10:11] offset:-8
	s_add_u32 s10, s10, s12
	s_addc_u32 s11, s11, s13
	s_cmp_eq_u32 s3, 0
	s_cbranch_scc0 .LBB356_9
.LBB356_10:
	s_or_b64 exec, exec, s[4:5]
	s_mov_b64 s[12:13], 0
.LBB356_11:
	s_andn2_b64 vcc, exec, s[12:13]
	s_cbranch_vccnz .LBB356_82
; %bb.12:
	s_load_dword s22, s[0:1], 0x30
	s_load_dword s28, s[0:1], 0x50
	s_lshl_b64 s[0:1], s[8:9], 4
	v_and_b32_e32 v42, 63, v0
	v_mbcnt_lo_u32_b32 v44, -1, 0
	s_waitcnt lgkmcnt(0)
	s_ashr_i32 s23, s22, 31
	s_ashr_i32 s29, s28, 31
	s_add_u32 s33, s6, s0
	s_addc_u32 s44, s7, s1
	s_lshl_b32 s0, s2, 10
	v_lshl_or_b32 v24, v0, 2, s0
	s_lshr_b32 s0, s30, 30
	s_add_i32 s0, s15, s0
	s_and_b32 s45, s0, -4
	s_ashr_i32 s0, s14, 31
	s_lshr_b32 s0, s0, 30
	s_add_i32 s0, s14, s0
	s_and_b32 s0, s0, -4
	v_ashrrev_i32_e32 v25, 31, v24
	s_sub_i32 s21, s14, s0
	v_lshl_add_u64 v[22:23], v[24:25], 4, s[24:25]
	s_cmp_lt_i32 s45, 1
	v_add_u32_e32 v45, 4, v24
	v_add_u32_e32 v46, s21, v24
	v_cmp_gt_u32_e64 s[0:1], 64, v0
	v_cmp_gt_u32_e64 s[4:5], 4, v0
	v_lshrrev_b32_e32 v43, 2, v0
	v_or_b32_e32 v41, 1, v24
	v_or_b32_e32 v40, 2, v24
	;; [unrolled: 1-line block ×3, first 2 shown]
	s_cbranch_scc1 .LBB356_59
; %bb.13:
	v_mbcnt_hi_u32_b32 v2, -1, v44
	v_and_b32_e32 v3, 63, v2
	v_cmp_gt_u32_e32 vcc, 32, v3
	s_mov_b32 s3, 0
	s_cmp_gt_i32 s21, 0
	v_cndmask_b32_e64 v4, 0, 1, vcc
	v_lshlrev_b32_e32 v4, 5, v4
	v_cmp_gt_u32_e32 vcc, 48, v3
	v_add_lshl_u32 v47, v4, v2, 2
	s_cselect_b64 s[30:31], -1, 0
	v_cndmask_b32_e64 v4, 0, 1, vcc
	v_lshlrev_b32_e32 v4, 4, v4
	v_cmp_gt_u32_e32 vcc, 56, v3
	v_add_lshl_u32 v48, v4, v2, 2
	s_lshl_b64 s[34:35], s[2:3], 4
	v_cndmask_b32_e64 v4, 0, 1, vcc
	v_lshlrev_b32_e32 v4, 3, v4
	v_cmp_gt_u32_e32 vcc, 60, v3
	v_add_lshl_u32 v49, v4, v2, 2
	s_add_u32 s46, s33, s34
	v_cndmask_b32_e64 v4, 0, 1, vcc
	v_lshlrev_b32_e32 v4, 2, v4
	v_cmp_gt_u32_e32 vcc, 62, v3
	v_add_lshl_u32 v50, v4, v2, 2
	s_addc_u32 s47, s44, s35
	v_cndmask_b32_e64 v4, 0, 1, vcc
	v_lshlrev_b32_e32 v4, 1, v4
	v_cmp_ne_u32_e32 vcc, 63, v3
	v_add_lshl_u32 v51, v4, v2, 2
	v_mov_b32_e32 v4, 0
	v_addc_co_u32_e32 v2, vcc, 0, v2, vcc
	v_lshlrev_b32_e32 v52, 2, v2
	v_mad_i64_i32 v[2:3], s[34:35], s28, v24, 0
	v_lshl_add_u64 v[26:27], v[2:3], 4, s[26:27]
	v_mad_i64_i32 v[2:3], s[34:35], s28, v41, 0
	v_lshl_add_u64 v[28:29], v[2:3], 4, s[26:27]
	;; [unrolled: 2-line block ×3, first 2 shown]
	v_mad_i64_i32 v[2:3], s[34:35], s28, v1, 0
	v_cmp_ge_i32_e64 s[6:7], s14, v45
	v_cmp_ge_i32_e64 s[8:9], s14, v46
	v_cmp_eq_u32_e64 s[10:11], 0, v42
	v_lshlrev_b32_e32 v53, 4, v42
	v_and_b32_e32 v54, 48, v43
	v_cmp_eq_u32_e64 s[12:13], 0, v0
	v_add_u32_e32 v55, 16, v4
	v_add_u32_e32 v56, 32, v4
	v_lshl_add_u64 v[32:33], v[2:3], 4, s[26:27]
	v_add_u32_e32 v57, 48, v4
	s_lshl_b64 s[34:35], s[28:29], 4
	s_lshl_b64 s[36:37], s[22:23], 6
	;; [unrolled: 1-line block ×3, first 2 shown]
	v_mov_b32_e32 v2, 0
	v_mov_b64_e32 v[34:35], v[22:23]
	s_branch .LBB356_15
.LBB356_14:                             ;   in Loop: Header=BB356_15 Depth=1
	s_or_b64 exec, exec, s[40:41]
	s_add_i32 s3, s3, 4
	s_cmp_ge_i32 s3, s45
	v_lshl_add_u64 v[34:35], v[34:35], 0, s[36:37]
	s_cbranch_scc1 .LBB356_60
.LBB356_15:                             ; =>This Loop Header: Depth=1
                                        ;     Child Loop BB356_46 Depth 2
                                        ;     Child Loop BB356_48 Depth 2
                                        ; implicit-def: $vgpr18_vgpr19
                                        ; implicit-def: $vgpr20_vgpr21
                                        ; implicit-def: $vgpr14_vgpr15
                                        ; implicit-def: $vgpr16_vgpr17
                                        ; implicit-def: $vgpr10_vgpr11
                                        ; implicit-def: $vgpr12_vgpr13
                                        ; implicit-def: $vgpr36_vgpr37
                                        ; implicit-def: $vgpr8_vgpr9
	s_and_saveexec_b64 s[40:41], s[6:7]
	s_xor_b64 s[40:41], exec, s[40:41]
	s_cbranch_execnz .LBB356_42
; %bb.16:                               ;   in Loop: Header=BB356_15 Depth=1
	s_andn2_saveexec_b64 s[40:41], s[40:41]
	s_cbranch_execnz .LBB356_43
.LBB356_17:                             ;   in Loop: Header=BB356_15 Depth=1
	s_or_b64 exec, exec, s[40:41]
	s_and_saveexec_b64 s[40:41], s[0:1]
	s_cbranch_execz .LBB356_19
.LBB356_18:                             ;   in Loop: Header=BB356_15 Depth=1
	v_mov_b32_e32 v3, v2
	v_mov_b32_e32 v4, v2
	;; [unrolled: 1-line block ×3, first 2 shown]
	ds_write_b128 v53, v[2:5]
.LBB356_19:                             ;   in Loop: Header=BB356_15 Depth=1
	s_or_b64 exec, exec, s[40:41]
	ds_bpermute_b32 v4, v47, v36
	ds_bpermute_b32 v5, v47, v37
	;; [unrolled: 1-line block ×4, first 2 shown]
	s_waitcnt lgkmcnt(0)
	s_barrier
	v_add_f64 v[4:5], v[36:37], v[4:5]
	v_add_f64 v[6:7], v[8:9], v[6:7]
	ds_bpermute_b32 v8, v48, v4
	ds_bpermute_b32 v9, v48, v5
	;; [unrolled: 1-line block ×4, first 2 shown]
	s_waitcnt lgkmcnt(2)
	v_add_f64 v[4:5], v[4:5], v[8:9]
	ds_bpermute_b32 v8, v49, v4
	s_waitcnt lgkmcnt(1)
	v_add_f64 v[6:7], v[6:7], v[36:37]
	ds_bpermute_b32 v9, v49, v5
	ds_bpermute_b32 v36, v49, v6
	ds_bpermute_b32 v37, v49, v7
	s_waitcnt lgkmcnt(2)
	v_add_f64 v[4:5], v[4:5], v[8:9]
	ds_bpermute_b32 v8, v50, v4
	s_waitcnt lgkmcnt(1)
	v_add_f64 v[6:7], v[6:7], v[36:37]
	ds_bpermute_b32 v9, v50, v5
	ds_bpermute_b32 v36, v50, v6
	ds_bpermute_b32 v37, v50, v7
	;; [unrolled: 8-line block ×3, first 2 shown]
	s_waitcnt lgkmcnt(2)
	v_add_f64 v[4:5], v[4:5], v[8:9]
	s_waitcnt lgkmcnt(0)
	v_add_f64 v[8:9], v[6:7], v[36:37]
	ds_bpermute_b32 v6, v52, v4
	ds_bpermute_b32 v7, v52, v5
	;; [unrolled: 1-line block ×4, first 2 shown]
	s_and_saveexec_b64 s[40:41], s[10:11]
	s_cbranch_execz .LBB356_21
; %bb.20:                               ;   in Loop: Header=BB356_15 Depth=1
	s_waitcnt lgkmcnt(0)
	v_add_f64 v[8:9], v[8:9], v[36:37]
	v_add_f64 v[6:7], v[4:5], v[6:7]
	ds_write_b128 v54, v[6:9]
.LBB356_21:                             ;   in Loop: Header=BB356_15 Depth=1
	s_or_b64 exec, exec, s[40:41]
	v_mov_b64_e32 v[8:9], 0
	s_waitcnt lgkmcnt(2)
	v_mov_b64_e32 v[6:7], v[8:9]
	s_waitcnt lgkmcnt(0)
	s_barrier
	s_and_saveexec_b64 s[40:41], s[4:5]
	s_cbranch_execnz .LBB356_50
; %bb.22:                               ;   in Loop: Header=BB356_15 Depth=1
	s_or_b64 exec, exec, s[40:41]
	s_and_saveexec_b64 s[40:41], s[0:1]
	s_cbranch_execnz .LBB356_51
.LBB356_23:                             ;   in Loop: Header=BB356_15 Depth=1
	s_or_b64 exec, exec, s[40:41]
	s_and_saveexec_b64 s[40:41], s[0:1]
	s_cbranch_execz .LBB356_25
.LBB356_24:                             ;   in Loop: Header=BB356_15 Depth=1
	v_mov_b32_e32 v3, v2
	v_mov_b32_e32 v4, v2
	;; [unrolled: 1-line block ×3, first 2 shown]
	ds_write_b128 v53, v[2:5]
.LBB356_25:                             ;   in Loop: Header=BB356_15 Depth=1
	s_or_b64 exec, exec, s[40:41]
	ds_bpermute_b32 v4, v47, v10
	ds_bpermute_b32 v5, v47, v11
	;; [unrolled: 1-line block ×4, first 2 shown]
	s_waitcnt lgkmcnt(0)
	s_barrier
	v_add_f64 v[4:5], v[10:11], v[4:5]
	v_add_f64 v[10:11], v[12:13], v[36:37]
	ds_bpermute_b32 v12, v48, v4
	ds_bpermute_b32 v13, v48, v5
	;; [unrolled: 1-line block ×4, first 2 shown]
	s_waitcnt lgkmcnt(2)
	v_add_f64 v[4:5], v[4:5], v[12:13]
	ds_bpermute_b32 v12, v49, v4
	s_waitcnt lgkmcnt(1)
	v_add_f64 v[10:11], v[10:11], v[36:37]
	ds_bpermute_b32 v13, v49, v5
	ds_bpermute_b32 v36, v49, v10
	ds_bpermute_b32 v37, v49, v11
	s_waitcnt lgkmcnt(2)
	v_add_f64 v[4:5], v[4:5], v[12:13]
	ds_bpermute_b32 v12, v50, v4
	s_waitcnt lgkmcnt(1)
	v_add_f64 v[10:11], v[10:11], v[36:37]
	ds_bpermute_b32 v13, v50, v5
	ds_bpermute_b32 v36, v50, v10
	ds_bpermute_b32 v37, v50, v11
	;; [unrolled: 8-line block ×3, first 2 shown]
	s_waitcnt lgkmcnt(2)
	v_add_f64 v[4:5], v[4:5], v[12:13]
	s_waitcnt lgkmcnt(0)
	v_add_f64 v[12:13], v[10:11], v[36:37]
	ds_bpermute_b32 v10, v52, v4
	ds_bpermute_b32 v11, v52, v5
	;; [unrolled: 1-line block ×4, first 2 shown]
	s_and_saveexec_b64 s[40:41], s[10:11]
	s_cbranch_execz .LBB356_27
; %bb.26:                               ;   in Loop: Header=BB356_15 Depth=1
	s_waitcnt lgkmcnt(0)
	v_add_f64 v[12:13], v[12:13], v[36:37]
	v_add_f64 v[10:11], v[4:5], v[10:11]
	ds_write_b128 v54, v[10:13]
.LBB356_27:                             ;   in Loop: Header=BB356_15 Depth=1
	s_or_b64 exec, exec, s[40:41]
	v_mov_b64_e32 v[12:13], 0
	s_waitcnt lgkmcnt(2)
	v_mov_b64_e32 v[10:11], v[12:13]
	s_waitcnt lgkmcnt(0)
	s_barrier
	s_and_saveexec_b64 s[40:41], s[4:5]
	s_cbranch_execnz .LBB356_52
; %bb.28:                               ;   in Loop: Header=BB356_15 Depth=1
	s_or_b64 exec, exec, s[40:41]
	s_and_saveexec_b64 s[40:41], s[0:1]
	s_cbranch_execnz .LBB356_53
.LBB356_29:                             ;   in Loop: Header=BB356_15 Depth=1
	s_or_b64 exec, exec, s[40:41]
	s_and_saveexec_b64 s[40:41], s[0:1]
	s_cbranch_execz .LBB356_31
.LBB356_30:                             ;   in Loop: Header=BB356_15 Depth=1
	v_mov_b32_e32 v3, v2
	v_mov_b32_e32 v4, v2
	v_mov_b32_e32 v5, v2
	ds_write_b128 v53, v[2:5]
.LBB356_31:                             ;   in Loop: Header=BB356_15 Depth=1
	s_or_b64 exec, exec, s[40:41]
	ds_bpermute_b32 v4, v47, v14
	ds_bpermute_b32 v5, v47, v15
	;; [unrolled: 1-line block ×4, first 2 shown]
	s_waitcnt lgkmcnt(0)
	s_barrier
	v_add_f64 v[4:5], v[14:15], v[4:5]
	v_add_f64 v[14:15], v[16:17], v[36:37]
	ds_bpermute_b32 v16, v48, v4
	ds_bpermute_b32 v17, v48, v5
	;; [unrolled: 1-line block ×4, first 2 shown]
	s_waitcnt lgkmcnt(2)
	v_add_f64 v[4:5], v[4:5], v[16:17]
	ds_bpermute_b32 v16, v49, v4
	s_waitcnt lgkmcnt(1)
	v_add_f64 v[14:15], v[14:15], v[36:37]
	ds_bpermute_b32 v17, v49, v5
	ds_bpermute_b32 v36, v49, v14
	ds_bpermute_b32 v37, v49, v15
	s_waitcnt lgkmcnt(2)
	v_add_f64 v[4:5], v[4:5], v[16:17]
	ds_bpermute_b32 v16, v50, v4
	s_waitcnt lgkmcnt(1)
	v_add_f64 v[14:15], v[14:15], v[36:37]
	ds_bpermute_b32 v17, v50, v5
	ds_bpermute_b32 v36, v50, v14
	ds_bpermute_b32 v37, v50, v15
	;; [unrolled: 8-line block ×3, first 2 shown]
	s_waitcnt lgkmcnt(2)
	v_add_f64 v[4:5], v[4:5], v[16:17]
	s_waitcnt lgkmcnt(0)
	v_add_f64 v[16:17], v[14:15], v[36:37]
	ds_bpermute_b32 v14, v52, v4
	ds_bpermute_b32 v15, v52, v5
	;; [unrolled: 1-line block ×4, first 2 shown]
	s_and_saveexec_b64 s[40:41], s[10:11]
	s_cbranch_execz .LBB356_33
; %bb.32:                               ;   in Loop: Header=BB356_15 Depth=1
	s_waitcnt lgkmcnt(0)
	v_add_f64 v[16:17], v[16:17], v[36:37]
	v_add_f64 v[14:15], v[4:5], v[14:15]
	ds_write_b128 v54, v[14:17]
.LBB356_33:                             ;   in Loop: Header=BB356_15 Depth=1
	s_or_b64 exec, exec, s[40:41]
	v_mov_b64_e32 v[16:17], 0
	s_waitcnt lgkmcnt(2)
	v_mov_b64_e32 v[14:15], v[16:17]
	s_waitcnt lgkmcnt(0)
	s_barrier
	s_and_saveexec_b64 s[40:41], s[4:5]
	s_cbranch_execnz .LBB356_54
; %bb.34:                               ;   in Loop: Header=BB356_15 Depth=1
	s_or_b64 exec, exec, s[40:41]
	s_and_saveexec_b64 s[40:41], s[0:1]
	s_cbranch_execnz .LBB356_55
.LBB356_35:                             ;   in Loop: Header=BB356_15 Depth=1
	s_or_b64 exec, exec, s[40:41]
	s_and_saveexec_b64 s[40:41], s[0:1]
	s_cbranch_execz .LBB356_37
.LBB356_36:                             ;   in Loop: Header=BB356_15 Depth=1
	v_mov_b32_e32 v3, v2
	v_mov_b32_e32 v4, v2
	;; [unrolled: 1-line block ×3, first 2 shown]
	ds_write_b128 v53, v[2:5]
.LBB356_37:                             ;   in Loop: Header=BB356_15 Depth=1
	s_or_b64 exec, exec, s[40:41]
	ds_bpermute_b32 v4, v47, v18
	ds_bpermute_b32 v5, v47, v19
	;; [unrolled: 1-line block ×4, first 2 shown]
	s_waitcnt lgkmcnt(0)
	s_barrier
	v_add_f64 v[4:5], v[18:19], v[4:5]
	v_add_f64 v[18:19], v[20:21], v[36:37]
	ds_bpermute_b32 v20, v48, v4
	ds_bpermute_b32 v21, v48, v5
	;; [unrolled: 1-line block ×4, first 2 shown]
	s_waitcnt lgkmcnt(2)
	v_add_f64 v[4:5], v[4:5], v[20:21]
	ds_bpermute_b32 v20, v49, v4
	s_waitcnt lgkmcnt(1)
	v_add_f64 v[18:19], v[18:19], v[36:37]
	ds_bpermute_b32 v21, v49, v5
	ds_bpermute_b32 v36, v49, v18
	ds_bpermute_b32 v37, v49, v19
	s_waitcnt lgkmcnt(2)
	v_add_f64 v[4:5], v[4:5], v[20:21]
	ds_bpermute_b32 v20, v50, v4
	s_waitcnt lgkmcnt(1)
	v_add_f64 v[18:19], v[18:19], v[36:37]
	ds_bpermute_b32 v21, v50, v5
	ds_bpermute_b32 v36, v50, v18
	ds_bpermute_b32 v37, v50, v19
	;; [unrolled: 8-line block ×3, first 2 shown]
	s_waitcnt lgkmcnt(2)
	v_add_f64 v[4:5], v[4:5], v[20:21]
	s_waitcnt lgkmcnt(0)
	v_add_f64 v[20:21], v[18:19], v[36:37]
	ds_bpermute_b32 v18, v52, v4
	ds_bpermute_b32 v19, v52, v5
	;; [unrolled: 1-line block ×4, first 2 shown]
	s_and_saveexec_b64 s[40:41], s[10:11]
	s_cbranch_execz .LBB356_39
; %bb.38:                               ;   in Loop: Header=BB356_15 Depth=1
	s_waitcnt lgkmcnt(0)
	v_add_f64 v[20:21], v[20:21], v[36:37]
	v_add_f64 v[18:19], v[4:5], v[18:19]
	ds_write_b128 v54, v[18:21]
.LBB356_39:                             ;   in Loop: Header=BB356_15 Depth=1
	s_or_b64 exec, exec, s[40:41]
	v_mov_b64_e32 v[20:21], 0
	s_waitcnt lgkmcnt(2)
	v_mov_b64_e32 v[18:19], v[20:21]
	s_waitcnt lgkmcnt(0)
	s_barrier
	s_and_saveexec_b64 s[40:41], s[4:5]
	s_cbranch_execnz .LBB356_56
; %bb.40:                               ;   in Loop: Header=BB356_15 Depth=1
	s_or_b64 exec, exec, s[40:41]
	s_and_saveexec_b64 s[40:41], s[0:1]
	s_cbranch_execnz .LBB356_57
.LBB356_41:                             ;   in Loop: Header=BB356_15 Depth=1
	s_or_b64 exec, exec, s[40:41]
	s_and_saveexec_b64 s[40:41], s[12:13]
	s_cbranch_execz .LBB356_14
	s_branch .LBB356_58
.LBB356_42:                             ;   in Loop: Header=BB356_15 Depth=1
	flat_load_dwordx4 v[4:7], v[26:27]
	flat_load_dwordx4 v[8:11], v[28:29]
	s_mul_i32 s42, s3, s23
	s_mul_hi_u32 s43, s3, s22
	s_add_i32 s43, s43, s42
	s_mul_i32 s42, s3, s22
	s_waitcnt vmcnt(0) lgkmcnt(0)
	scratch_store_dwordx4 off, v[4:7], off
	scratch_store_dwordx4 v55, v[8:11], off
	flat_load_dwordx4 v[8:11], v[30:31]
	s_waitcnt vmcnt(0) lgkmcnt(0)
	scratch_store_dwordx4 v56, v[8:11], off
	flat_load_dwordx4 v[8:11], v[32:33]
	s_waitcnt vmcnt(0) lgkmcnt(0)
	scratch_store_dwordx4 v57, v[8:11], off
	s_nop 1
	v_lshl_add_u64 v[8:9], s[42:43], 4, v[22:23]
	flat_load_dwordx4 v[10:13], v[8:9]
	s_or_b32 s42, s3, 1
	s_mul_i32 s43, s42, s23
	s_mul_hi_u32 s48, s42, s22
	s_add_i32 s43, s48, s43
	s_mul_i32 s42, s42, s22
	s_waitcnt vmcnt(0) lgkmcnt(0)
	v_mul_f64 v[14:15], v[6:7], v[12:13]
	v_mul_f64 v[16:17], v[4:5], v[12:13]
	v_fma_f64 v[14:15], v[4:5], v[10:11], -v[14:15]
	v_fmac_f64_e32 v[16:17], v[6:7], v[10:11]
	v_lshl_add_u64 v[10:11], s[42:43], 4, v[22:23]
	flat_load_dwordx4 v[18:21], v[10:11]
	s_or_b32 s42, s3, 2
	v_add_f64 v[12:13], v[14:15], 0
	s_mul_i32 s43, s42, s23
	s_mul_hi_u32 s48, s42, s22
	s_add_i32 s43, s48, s43
	s_mul_i32 s42, s42, s22
	v_add_f64 v[16:17], v[16:17], 0
	s_waitcnt vmcnt(0) lgkmcnt(0)
	v_mul_f64 v[14:15], v[6:7], v[20:21]
	v_fma_f64 v[14:15], v[4:5], v[18:19], -v[14:15]
	v_mul_f64 v[36:37], v[4:5], v[20:21]
	v_add_f64 v[20:21], v[14:15], 0
	v_lshl_add_u64 v[14:15], s[42:43], 4, v[22:23]
	flat_load_dwordx4 v[58:61], v[14:15]
	s_or_b32 s42, s3, 3
	v_fmac_f64_e32 v[36:37], v[6:7], v[18:19]
	s_mul_i32 s43, s42, s23
	s_mul_hi_u32 s48, s42, s22
	s_add_i32 s43, s48, s43
	s_mul_i32 s42, s42, s22
	v_add_f64 v[36:37], v[36:37], 0
	s_waitcnt vmcnt(0) lgkmcnt(0)
	v_mul_f64 v[18:19], v[6:7], v[60:61]
	v_fma_f64 v[18:19], v[4:5], v[58:59], -v[18:19]
	v_mul_f64 v[38:39], v[4:5], v[60:61]
	v_add_f64 v[62:63], v[18:19], 0
	v_lshl_add_u64 v[18:19], s[42:43], 4, v[22:23]
	v_fmac_f64_e32 v[38:39], v[6:7], v[58:59]
	flat_load_dwordx4 v[58:61], v[18:19]
	v_add_f64 v[64:65], v[38:39], 0
	s_waitcnt vmcnt(0) lgkmcnt(0)
	v_mul_f64 v[38:39], v[6:7], v[60:61]
	v_fma_f64 v[38:39], v[4:5], v[58:59], -v[38:39]
	v_mul_f64 v[4:5], v[4:5], v[60:61]
	v_fmac_f64_e32 v[4:5], v[6:7], v[58:59]
	v_add_f64 v[68:69], v[4:5], 0
	scratch_load_dwordx4 v[4:7], off, off offset:16
	flat_load_dwordx4 v[58:61], v[8:9] offset:16
	v_add_f64 v[66:67], v[38:39], 0
	s_waitcnt vmcnt(0) lgkmcnt(0)
	v_mul_f64 v[38:39], v[6:7], v[60:61]
	v_mul_f64 v[60:61], v[4:5], v[60:61]
	v_fmac_f64_e32 v[60:61], v[6:7], v[58:59]
	v_fma_f64 v[38:39], v[4:5], v[58:59], -v[38:39]
	v_add_f64 v[16:17], v[16:17], v[60:61]
	flat_load_dwordx4 v[58:61], v[10:11] offset:16
	v_add_f64 v[12:13], v[12:13], v[38:39]
	s_waitcnt vmcnt(0) lgkmcnt(0)
	v_mul_f64 v[38:39], v[6:7], v[60:61]
	v_mul_f64 v[60:61], v[4:5], v[60:61]
	v_fma_f64 v[38:39], v[4:5], v[58:59], -v[38:39]
	v_fmac_f64_e32 v[60:61], v[6:7], v[58:59]
	v_add_f64 v[20:21], v[20:21], v[38:39]
	v_add_f64 v[58:59], v[36:37], v[60:61]
	flat_load_dwordx4 v[36:39], v[14:15] offset:16
	s_waitcnt vmcnt(0) lgkmcnt(0)
	v_mul_f64 v[60:61], v[6:7], v[38:39]
	v_mul_f64 v[38:39], v[4:5], v[38:39]
	v_fma_f64 v[60:61], v[4:5], v[36:37], -v[60:61]
	v_fmac_f64_e32 v[38:39], v[6:7], v[36:37]
	v_add_f64 v[60:61], v[62:63], v[60:61]
	v_add_f64 v[62:63], v[64:65], v[38:39]
	flat_load_dwordx4 v[36:39], v[18:19] offset:16
	s_waitcnt vmcnt(0) lgkmcnt(0)
	v_mul_f64 v[64:65], v[6:7], v[38:39]
	v_fma_f64 v[64:65], v[4:5], v[36:37], -v[64:65]
	v_mul_f64 v[4:5], v[4:5], v[38:39]
	v_fmac_f64_e32 v[4:5], v[6:7], v[36:37]
	v_add_f64 v[64:65], v[66:67], v[64:65]
	v_add_f64 v[66:67], v[68:69], v[4:5]
	scratch_load_dwordx4 v[4:7], off, off offset:32
	flat_load_dwordx4 v[36:39], v[8:9] offset:32
	s_waitcnt vmcnt(0) lgkmcnt(0)
	v_mul_f64 v[68:69], v[6:7], v[38:39]
	v_mul_f64 v[38:39], v[4:5], v[38:39]
	v_fmac_f64_e32 v[38:39], v[6:7], v[36:37]
	v_fma_f64 v[68:69], v[4:5], v[36:37], -v[68:69]
	v_add_f64 v[16:17], v[16:17], v[38:39]
	flat_load_dwordx4 v[36:39], v[10:11] offset:32
	v_add_f64 v[12:13], v[12:13], v[68:69]
	s_waitcnt vmcnt(0) lgkmcnt(0)
	v_mul_f64 v[68:69], v[6:7], v[38:39]
	v_mul_f64 v[38:39], v[4:5], v[38:39]
	v_fmac_f64_e32 v[38:39], v[6:7], v[36:37]
	v_fma_f64 v[68:69], v[4:5], v[36:37], -v[68:69]
	v_add_f64 v[70:71], v[58:59], v[38:39]
	flat_load_dwordx4 v[36:39], v[14:15] offset:32
	v_add_f64 v[68:69], v[20:21], v[68:69]
	;; [unrolled: 8-line block ×3, first 2 shown]
	s_waitcnt vmcnt(0) lgkmcnt(0)
	v_mul_f64 v[20:21], v[6:7], v[38:39]
	v_fma_f64 v[20:21], v[4:5], v[36:37], -v[20:21]
	v_mul_f64 v[4:5], v[4:5], v[38:39]
	v_fmac_f64_e32 v[4:5], v[6:7], v[36:37]
	v_add_f64 v[38:39], v[66:67], v[4:5]
	scratch_load_dwordx4 v[4:7], off, off offset:48
	flat_load_dwordx4 v[58:61], v[8:9] offset:48
	v_add_f64 v[20:21], v[64:65], v[20:21]
	s_waitcnt vmcnt(0) lgkmcnt(0)
	v_mul_f64 v[8:9], v[6:7], v[60:61]
	v_fma_f64 v[8:9], v[4:5], v[58:59], -v[8:9]
	v_add_f64 v[36:37], v[12:13], v[8:9]
	flat_load_dwordx4 v[10:13], v[10:11] offset:48
	v_mul_f64 v[60:61], v[4:5], v[60:61]
	v_fmac_f64_e32 v[60:61], v[6:7], v[58:59]
	v_add_f64 v[8:9], v[16:17], v[60:61]
	s_waitcnt vmcnt(0) lgkmcnt(0)
	v_mul_f64 v[16:17], v[6:7], v[12:13]
	v_fma_f64 v[16:17], v[4:5], v[10:11], -v[16:17]
	v_mul_f64 v[12:13], v[4:5], v[12:13]
	v_fmac_f64_e32 v[12:13], v[6:7], v[10:11]
	v_add_f64 v[10:11], v[68:69], v[16:17]
	flat_load_dwordx4 v[14:17], v[14:15] offset:48
	v_add_f64 v[12:13], v[70:71], v[12:13]
	s_waitcnt vmcnt(0) lgkmcnt(0)
	v_mul_f64 v[58:59], v[6:7], v[16:17]
	v_fma_f64 v[58:59], v[4:5], v[14:15], -v[58:59]
	v_mul_f64 v[16:17], v[4:5], v[16:17]
	v_fmac_f64_e32 v[16:17], v[6:7], v[14:15]
	v_add_f64 v[14:15], v[72:73], v[58:59]
	flat_load_dwordx4 v[58:61], v[18:19] offset:48
	v_add_f64 v[16:17], v[62:63], v[16:17]
	s_waitcnt vmcnt(0) lgkmcnt(0)
	v_mul_f64 v[18:19], v[6:7], v[60:61]
	v_fma_f64 v[18:19], v[4:5], v[58:59], -v[18:19]
	v_mul_f64 v[4:5], v[4:5], v[60:61]
	v_fmac_f64_e32 v[4:5], v[6:7], v[58:59]
	v_add_f64 v[18:19], v[20:21], v[18:19]
	v_add_f64 v[20:21], v[38:39], v[4:5]
	s_andn2_saveexec_b64 s[40:41], s[40:41]
	s_cbranch_execz .LBB356_17
.LBB356_43:                             ;   in Loop: Header=BB356_15 Depth=1
	s_waitcnt lgkmcnt(0)
	v_mov_b64_e32 v[18:19], 0
	v_mov_b64_e32 v[20:21], v[18:19]
	;; [unrolled: 1-line block ×8, first 2 shown]
	s_and_saveexec_b64 s[42:43], s[8:9]
	s_cbranch_execz .LBB356_49
; %bb.44:                               ;   in Loop: Header=BB356_15 Depth=1
	v_mov_b64_e32 v[18:19], 0
	s_andn2_b64 vcc, exec, s[30:31]
	v_mov_b64_e32 v[20:21], v[18:19]
	v_mov_b64_e32 v[14:15], v[18:19]
	;; [unrolled: 1-line block ×7, first 2 shown]
	s_cbranch_vccnz .LBB356_49
; %bb.45:                               ;   in Loop: Header=BB356_15 Depth=1
	v_mov_b32_e32 v3, 0
	v_mov_b64_e32 v[4:5], v[26:27]
	s_mov_b32 s48, s21
.LBB356_46:                             ;   Parent Loop BB356_15 Depth=1
                                        ; =>  This Inner Loop Header: Depth=2
	flat_load_dwordx4 v[6:9], v[4:5]
	s_add_i32 s48, s48, -1
	v_lshl_add_u64 v[4:5], v[4:5], 0, s[34:35]
	s_cmp_eq_u32 s48, 0
	s_waitcnt vmcnt(0) lgkmcnt(0)
	scratch_store_dwordx4 v3, v[6:9], off
	v_add_u32_e32 v3, 16, v3
	s_cbranch_scc0 .LBB356_46
; %bb.47:                               ;   in Loop: Header=BB356_15 Depth=1
	v_mov_b64_e32 v[8:9], 0
	v_mov_b32_e32 v3, 0
	v_mov_b64_e32 v[4:5], v[34:35]
	s_mov_b32 s48, s21
	v_mov_b64_e32 v[36:37], v[8:9]
	v_mov_b64_e32 v[12:13], v[8:9]
	;; [unrolled: 1-line block ×7, first 2 shown]
.LBB356_48:                             ;   Parent Loop BB356_15 Depth=1
                                        ; =>  This Inner Loop Header: Depth=2
	scratch_load_dwordx4 v[58:61], v3, off
	flat_load_dwordx4 v[62:65], v[4:5]
	s_add_i32 s48, s48, -1
	v_add_u32_e32 v3, 16, v3
	s_cmp_lg_u32 s48, 0
	s_waitcnt vmcnt(0) lgkmcnt(0)
	v_mul_f64 v[6:7], v[60:61], v[64:65]
	v_fma_f64 v[6:7], v[58:59], v[62:63], -v[6:7]
	v_mul_f64 v[38:39], v[58:59], v[64:65]
	v_add_f64 v[36:37], v[36:37], v[6:7]
	v_lshl_add_u64 v[6:7], v[4:5], 0, s[38:39]
	v_fmac_f64_e32 v[38:39], v[60:61], v[62:63]
	flat_load_dwordx4 v[62:65], v[6:7]
	v_add_f64 v[8:9], v[8:9], v[38:39]
	v_lshl_add_u64 v[6:7], v[6:7], 0, s[38:39]
	v_lshl_add_u64 v[4:5], v[4:5], 0, 16
	s_waitcnt vmcnt(0) lgkmcnt(0)
	v_mul_f64 v[38:39], v[60:61], v[64:65]
	v_mul_f64 v[64:65], v[58:59], v[64:65]
	v_fmac_f64_e32 v[64:65], v[60:61], v[62:63]
	v_fma_f64 v[38:39], v[58:59], v[62:63], -v[38:39]
	v_add_f64 v[12:13], v[12:13], v[64:65]
	flat_load_dwordx4 v[62:65], v[6:7]
	v_add_f64 v[10:11], v[10:11], v[38:39]
	v_lshl_add_u64 v[6:7], v[6:7], 0, s[38:39]
	s_waitcnt vmcnt(0) lgkmcnt(0)
	v_mul_f64 v[38:39], v[60:61], v[64:65]
	v_mul_f64 v[64:65], v[58:59], v[64:65]
	v_fmac_f64_e32 v[64:65], v[60:61], v[62:63]
	v_fma_f64 v[38:39], v[58:59], v[62:63], -v[38:39]
	v_add_f64 v[16:17], v[16:17], v[64:65]
	flat_load_dwordx4 v[62:65], v[6:7]
	v_add_f64 v[14:15], v[14:15], v[38:39]
	s_waitcnt vmcnt(0) lgkmcnt(0)
	v_mul_f64 v[6:7], v[60:61], v[64:65]
	v_mul_f64 v[38:39], v[58:59], v[64:65]
	v_fma_f64 v[6:7], v[58:59], v[62:63], -v[6:7]
	v_fmac_f64_e32 v[38:39], v[60:61], v[62:63]
	v_add_f64 v[18:19], v[18:19], v[6:7]
	v_add_f64 v[20:21], v[20:21], v[38:39]
	s_cbranch_scc1 .LBB356_48
.LBB356_49:                             ;   in Loop: Header=BB356_15 Depth=1
	s_or_b64 exec, exec, s[42:43]
	s_or_b64 exec, exec, s[40:41]
	s_and_saveexec_b64 s[40:41], s[0:1]
	s_cbranch_execnz .LBB356_18
	s_branch .LBB356_19
.LBB356_50:                             ;   in Loop: Header=BB356_15 Depth=1
	ds_read_b128 v[6:9], v53
	s_or_b64 exec, exec, s[40:41]
	s_and_saveexec_b64 s[40:41], s[0:1]
	s_cbranch_execz .LBB356_23
.LBB356_51:                             ;   in Loop: Header=BB356_15 Depth=1
	s_waitcnt lgkmcnt(0)
	ds_bpermute_b32 v4, v51, v6
	ds_bpermute_b32 v5, v51, v7
	;; [unrolled: 1-line block ×4, first 2 shown]
	s_waitcnt lgkmcnt(2)
	v_add_f64 v[4:5], v[6:7], v[4:5]
	ds_bpermute_b32 v6, v52, v4
	s_waitcnt lgkmcnt(1)
	v_add_f64 v[8:9], v[8:9], v[36:37]
	ds_bpermute_b32 v7, v52, v5
	ds_bpermute_b32 v36, v52, v8
	;; [unrolled: 1-line block ×3, first 2 shown]
	s_waitcnt lgkmcnt(2)
	v_add_f64 v[6:7], v[4:5], v[6:7]
	s_waitcnt lgkmcnt(0)
	v_add_f64 v[8:9], v[8:9], v[36:37]
	s_or_b64 exec, exec, s[40:41]
	s_and_saveexec_b64 s[40:41], s[0:1]
	s_cbranch_execnz .LBB356_24
	s_branch .LBB356_25
.LBB356_52:                             ;   in Loop: Header=BB356_15 Depth=1
	ds_read_b128 v[10:13], v53
	s_or_b64 exec, exec, s[40:41]
	s_and_saveexec_b64 s[40:41], s[0:1]
	s_cbranch_execz .LBB356_29
.LBB356_53:                             ;   in Loop: Header=BB356_15 Depth=1
	s_waitcnt lgkmcnt(0)
	ds_bpermute_b32 v4, v51, v10
	ds_bpermute_b32 v5, v51, v11
	;; [unrolled: 1-line block ×4, first 2 shown]
	s_waitcnt lgkmcnt(2)
	v_add_f64 v[4:5], v[10:11], v[4:5]
	ds_bpermute_b32 v10, v52, v4
	s_waitcnt lgkmcnt(1)
	v_add_f64 v[12:13], v[12:13], v[36:37]
	ds_bpermute_b32 v11, v52, v5
	ds_bpermute_b32 v36, v52, v12
	;; [unrolled: 1-line block ×3, first 2 shown]
	s_waitcnt lgkmcnt(2)
	v_add_f64 v[10:11], v[4:5], v[10:11]
	s_waitcnt lgkmcnt(0)
	v_add_f64 v[12:13], v[12:13], v[36:37]
	s_or_b64 exec, exec, s[40:41]
	s_and_saveexec_b64 s[40:41], s[0:1]
	s_cbranch_execnz .LBB356_30
	s_branch .LBB356_31
.LBB356_54:                             ;   in Loop: Header=BB356_15 Depth=1
	ds_read_b128 v[14:17], v53
	s_or_b64 exec, exec, s[40:41]
	s_and_saveexec_b64 s[40:41], s[0:1]
	s_cbranch_execz .LBB356_35
.LBB356_55:                             ;   in Loop: Header=BB356_15 Depth=1
	s_waitcnt lgkmcnt(0)
	ds_bpermute_b32 v4, v51, v14
	ds_bpermute_b32 v5, v51, v15
	;; [unrolled: 1-line block ×4, first 2 shown]
	s_waitcnt lgkmcnt(2)
	v_add_f64 v[4:5], v[14:15], v[4:5]
	ds_bpermute_b32 v14, v52, v4
	s_waitcnt lgkmcnt(1)
	v_add_f64 v[16:17], v[16:17], v[36:37]
	ds_bpermute_b32 v15, v52, v5
	ds_bpermute_b32 v36, v52, v16
	;; [unrolled: 1-line block ×3, first 2 shown]
	s_waitcnt lgkmcnt(2)
	v_add_f64 v[14:15], v[4:5], v[14:15]
	s_waitcnt lgkmcnt(0)
	v_add_f64 v[16:17], v[16:17], v[36:37]
	s_or_b64 exec, exec, s[40:41]
	s_and_saveexec_b64 s[40:41], s[0:1]
	s_cbranch_execnz .LBB356_36
	s_branch .LBB356_37
.LBB356_56:                             ;   in Loop: Header=BB356_15 Depth=1
	ds_read_b128 v[18:21], v53
	s_or_b64 exec, exec, s[40:41]
	s_and_saveexec_b64 s[40:41], s[0:1]
	s_cbranch_execz .LBB356_41
.LBB356_57:                             ;   in Loop: Header=BB356_15 Depth=1
	s_waitcnt lgkmcnt(0)
	ds_bpermute_b32 v4, v51, v18
	ds_bpermute_b32 v5, v51, v19
	;; [unrolled: 1-line block ×4, first 2 shown]
	s_waitcnt lgkmcnt(2)
	v_add_f64 v[4:5], v[18:19], v[4:5]
	ds_bpermute_b32 v18, v52, v4
	s_waitcnt lgkmcnt(1)
	v_add_f64 v[20:21], v[20:21], v[36:37]
	ds_bpermute_b32 v19, v52, v5
	ds_bpermute_b32 v36, v52, v20
	;; [unrolled: 1-line block ×3, first 2 shown]
	s_waitcnt lgkmcnt(2)
	v_add_f64 v[18:19], v[4:5], v[18:19]
	s_waitcnt lgkmcnt(0)
	v_add_f64 v[20:21], v[20:21], v[36:37]
	s_or_b64 exec, exec, s[40:41]
	s_and_saveexec_b64 s[40:41], s[12:13]
	s_cbranch_execz .LBB356_14
.LBB356_58:                             ;   in Loop: Header=BB356_15 Depth=1
	s_mul_hi_u32 s43, s3, s20
	s_mul_i32 s42, s3, s20
	s_lshl_b64 s[42:43], s[42:43], 4
	v_mul_f64 v[4:5], s[18:19], v[8:9]
	v_mul_f64 v[38:39], s[16:17], v[8:9]
	s_add_u32 s42, s46, s42
	v_fma_f64 v[36:37], s[16:17], v[6:7], -v[4:5]
	v_fmac_f64_e32 v[38:39], s[18:19], v[6:7]
	s_addc_u32 s43, s47, s43
	global_store_dwordx4 v2, v[36:39], s[42:43]
	s_or_b32 s42, s3, 1
	s_mul_hi_u32 s43, s42, s20
	s_mul_i32 s42, s42, s20
	s_lshl_b64 s[42:43], s[42:43], 4
	v_mul_f64 v[4:5], s[18:19], v[12:13]
	v_mul_f64 v[6:7], s[16:17], v[12:13]
	s_add_u32 s42, s46, s42
	v_fma_f64 v[4:5], s[16:17], v[10:11], -v[4:5]
	v_fmac_f64_e32 v[6:7], s[18:19], v[10:11]
	s_addc_u32 s43, s47, s43
	global_store_dwordx4 v2, v[4:7], s[42:43]
	s_or_b32 s42, s3, 2
	;; [unrolled: 11-line block ×3, first 2 shown]
	s_mul_hi_u32 s43, s42, s20
	s_mul_i32 s42, s42, s20
	s_lshl_b64 s[42:43], s[42:43], 4
	s_waitcnt lgkmcnt(0)
	v_mul_f64 v[4:5], s[18:19], v[20:21]
	v_mul_f64 v[6:7], s[16:17], v[20:21]
	s_add_u32 s42, s46, s42
	v_fma_f64 v[4:5], s[16:17], v[18:19], -v[4:5]
	v_fmac_f64_e32 v[6:7], s[18:19], v[18:19]
	s_addc_u32 s43, s47, s43
	global_store_dwordx4 v2, v[4:7], s[42:43]
	s_branch .LBB356_14
.LBB356_59:
	s_mov_b32 s3, 0
.LBB356_60:
	s_cmp_ge_i32 s3, s15
	s_cbranch_scc1 .LBB356_82
; %bb.61:
	v_mbcnt_hi_u32_b32 v2, -1, v44
	v_and_b32_e32 v3, 63, v2
	v_cmp_gt_u32_e64 s[4:5], 32, v3
	s_mov_b32 s13, 0
	s_cmp_gt_i32 s21, 0
	v_cndmask_b32_e64 v4, 0, 1, s[4:5]
	v_lshlrev_b32_e32 v4, 5, v4
	v_cmp_gt_u32_e64 s[4:5], 48, v3
	s_waitcnt lgkmcnt(0)
	v_add_lshl_u32 v21, v4, v2, 2
	s_mov_b32 s12, s2
	v_cndmask_b32_e64 v4, 0, 1, s[4:5]
	v_lshlrev_b32_e32 v4, 4, v4
	v_cmp_gt_u32_e64 s[4:5], 56, v3
	v_add_lshl_u32 v26, v4, v2, 2
	s_cselect_b64 s[30:31], -1, 0
	v_cndmask_b32_e64 v4, 0, 1, s[4:5]
	v_lshlrev_b32_e32 v4, 3, v4
	v_cmp_gt_u32_e64 s[4:5], 60, v3
	v_add_lshl_u32 v27, v4, v2, 2
	s_lshl_b64 s[12:13], s[12:13], 4
	v_cndmask_b32_e64 v4, 0, 1, s[4:5]
	v_lshlrev_b32_e32 v4, 2, v4
	v_cmp_gt_u32_e64 s[4:5], 62, v3
	v_add_lshl_u32 v28, v4, v2, 2
	s_add_u32 s2, s33, s12
	v_cndmask_b32_e64 v4, 0, 1, s[4:5]
	v_lshlrev_b32_e32 v4, 1, v4
	v_cmp_ne_u32_e64 s[4:5], 63, v3
	v_add_lshl_u32 v29, v4, v2, 2
	v_cmp_ge_i32_e32 vcc, s14, v45
	v_addc_co_u32_e64 v2, s[4:5], 0, v2, s[4:5]
	v_cmp_ge_i32_e64 s[10:11], s14, v46
	v_lshlrev_b32_e32 v30, 2, v2
	s_addc_u32 s14, s44, s13
	v_mad_i64_i32 v[2:3], s[12:13], s28, v24, 0
	v_lshl_add_u64 v[6:7], v[2:3], 4, s[26:27]
	v_mad_i64_i32 v[2:3], s[12:13], s28, v41, 0
	v_cmp_gt_u32_e64 s[0:1], 64, v0
	v_cmp_gt_u32_e64 s[6:7], 4, v0
	v_cmp_eq_u32_e64 s[8:9], 0, v0
	v_lshl_add_u64 v[8:9], v[2:3], 4, s[26:27]
	v_mad_i64_i32 v[2:3], s[12:13], s28, v40, 0
	v_mad_i64_i32 v[0:1], s[12:13], s28, v1, 0
	v_lshl_add_u64 v[10:11], v[2:3], 4, s[26:27]
	v_lshl_add_u64 v[12:13], v[0:1], 4, s[26:27]
	s_mul_i32 s26, s23, s3
	s_mul_hi_u32 s27, s22, s3
	s_add_i32 s27, s27, s26
	s_mul_i32 s26, s22, s3
	s_and_b64 s[10:11], s[30:31], s[10:11]
	s_lshl_b64 s[12:13], s[28:29], 4
	s_lshl_b64 s[26:27], s[26:27], 4
	s_add_u32 s24, s24, s26
	v_mov_b32_e32 v4, 0
	s_addc_u32 s25, s25, s27
	v_lshlrev_b32_e32 v20, 4, v42
	v_cmp_eq_u32_e64 s[4:5], 0, v42
	v_and_b32_e32 v31, 48, v43
	v_add_u32_e32 v32, 16, v4
	v_add_u32_e32 v33, 32, v4
	;; [unrolled: 1-line block ×3, first 2 shown]
	v_lshl_add_u64 v[14:15], v[24:25], 4, s[24:25]
	s_lshl_b64 s[24:25], s[22:23], 4
	v_mov_b32_e32 v0, 0
	s_branch .LBB356_63
.LBB356_62:                             ;   in Loop: Header=BB356_63 Depth=1
	s_or_b64 exec, exec, s[26:27]
	s_add_i32 s3, s3, 1
	s_cmp_lt_i32 s3, s15
	v_lshl_add_u64 v[14:15], v[14:15], 0, s[24:25]
	s_cbranch_scc0 .LBB356_82
.LBB356_63:                             ; =>This Loop Header: Depth=1
                                        ;     Child Loop BB356_75 Depth 2
                                        ;     Child Loop BB356_77 Depth 2
                                        ; implicit-def: $vgpr4_vgpr5
                                        ; implicit-def: $vgpr16_vgpr17
	s_and_saveexec_b64 s[26:27], vcc
	s_xor_b64 s[26:27], exec, s[26:27]
	s_cbranch_execnz .LBB356_72
; %bb.64:                               ;   in Loop: Header=BB356_63 Depth=1
	s_andn2_saveexec_b64 s[26:27], s[26:27]
	s_cbranch_execnz .LBB356_73
.LBB356_65:                             ;   in Loop: Header=BB356_63 Depth=1
	s_or_b64 exec, exec, s[26:27]
	s_and_saveexec_b64 s[26:27], s[0:1]
	s_cbranch_execz .LBB356_67
.LBB356_66:                             ;   in Loop: Header=BB356_63 Depth=1
	v_mov_b32_e32 v1, v0
	s_waitcnt lgkmcnt(0)
	v_mov_b32_e32 v2, v0
	v_mov_b32_e32 v3, v0
	ds_write_b128 v20, v[0:3]
.LBB356_67:                             ;   in Loop: Header=BB356_63 Depth=1
	s_or_b64 exec, exec, s[26:27]
	s_waitcnt lgkmcnt(0)
	ds_bpermute_b32 v2, v21, v4
	ds_bpermute_b32 v3, v21, v5
	;; [unrolled: 1-line block ×4, first 2 shown]
	s_waitcnt lgkmcnt(0)
	s_barrier
	v_add_f64 v[2:3], v[4:5], v[2:3]
	v_add_f64 v[4:5], v[16:17], v[18:19]
	ds_bpermute_b32 v16, v26, v2
	ds_bpermute_b32 v17, v26, v3
	;; [unrolled: 1-line block ×4, first 2 shown]
	s_waitcnt lgkmcnt(2)
	v_add_f64 v[2:3], v[2:3], v[16:17]
	ds_bpermute_b32 v16, v27, v2
	s_waitcnt lgkmcnt(1)
	v_add_f64 v[4:5], v[4:5], v[18:19]
	ds_bpermute_b32 v17, v27, v3
	ds_bpermute_b32 v18, v27, v4
	ds_bpermute_b32 v19, v27, v5
	s_waitcnt lgkmcnt(2)
	v_add_f64 v[2:3], v[2:3], v[16:17]
	ds_bpermute_b32 v16, v28, v2
	s_waitcnt lgkmcnt(1)
	v_add_f64 v[4:5], v[4:5], v[18:19]
	ds_bpermute_b32 v17, v28, v3
	ds_bpermute_b32 v18, v28, v4
	ds_bpermute_b32 v19, v28, v5
	;; [unrolled: 8-line block ×3, first 2 shown]
	s_waitcnt lgkmcnt(2)
	v_add_f64 v[2:3], v[2:3], v[16:17]
	s_waitcnt lgkmcnt(0)
	v_add_f64 v[16:17], v[4:5], v[18:19]
	ds_bpermute_b32 v4, v30, v2
	ds_bpermute_b32 v5, v30, v3
	;; [unrolled: 1-line block ×4, first 2 shown]
	s_and_saveexec_b64 s[26:27], s[4:5]
	s_cbranch_execz .LBB356_69
; %bb.68:                               ;   in Loop: Header=BB356_63 Depth=1
	s_waitcnt lgkmcnt(0)
	v_add_f64 v[18:19], v[16:17], v[18:19]
	v_add_f64 v[16:17], v[2:3], v[4:5]
	ds_write_b128 v31, v[16:19]
.LBB356_69:                             ;   in Loop: Header=BB356_63 Depth=1
	s_or_b64 exec, exec, s[26:27]
	s_waitcnt lgkmcnt(2)
	v_mov_b64_e32 v[4:5], 0
	v_mov_b64_e32 v[2:3], v[4:5]
	s_waitcnt lgkmcnt(0)
	s_barrier
	s_and_saveexec_b64 s[26:27], s[6:7]
	s_cbranch_execnz .LBB356_79
; %bb.70:                               ;   in Loop: Header=BB356_63 Depth=1
	s_or_b64 exec, exec, s[26:27]
	s_and_saveexec_b64 s[26:27], s[0:1]
	s_cbranch_execnz .LBB356_80
.LBB356_71:                             ;   in Loop: Header=BB356_63 Depth=1
	s_or_b64 exec, exec, s[26:27]
	s_and_saveexec_b64 s[26:27], s[8:9]
	s_cbranch_execz .LBB356_62
	s_branch .LBB356_81
.LBB356_72:                             ;   in Loop: Header=BB356_63 Depth=1
	s_waitcnt lgkmcnt(0)
	flat_load_dwordx4 v[2:5], v[6:7]
	flat_load_dwordx4 v[16:19], v[8:9]
	;; [unrolled: 1-line block ×4, first 2 shown]
	s_mul_i32 s29, s3, s23
	s_mul_hi_u32 s30, s3, s22
	s_mul_i32 s28, s3, s22
	s_add_i32 s29, s30, s29
	v_lshl_add_u64 v[24:25], s[28:29], 4, v[22:23]
	s_waitcnt vmcnt(0) lgkmcnt(0)
	scratch_store_dwordx4 off, v[2:5], off
	scratch_store_dwordx4 v32, v[16:19], off
	scratch_store_dwordx4 v33, v[36:39], off
	;; [unrolled: 1-line block ×3, first 2 shown]
	flat_load_dwordx4 v[16:19], v[24:25]
	s_nop 0
	flat_load_dwordx4 v[36:39], v[24:25] offset:16
	scratch_load_dwordx4 v[40:43], off, off offset:16
	scratch_load_dwordx4 v[44:47], off, off offset:32
	flat_load_dwordx4 v[48:51], v[24:25] offset:32
	flat_load_dwordx4 v[52:55], v[24:25] offset:48
                                        ; kill: killed $vgpr24_vgpr25
	scratch_load_dwordx4 v[56:59], off, off offset:48
	s_waitcnt vmcnt(0) lgkmcnt(0)
	v_mul_f64 v[24:25], v[18:19], v[4:5]
	v_mul_f64 v[4:5], v[16:17], v[4:5]
	;; [unrolled: 1-line block ×4, first 2 shown]
	v_fma_f64 v[16:17], v[16:17], v[2:3], -v[24:25]
	v_fmac_f64_e32 v[4:5], v[18:19], v[2:3]
	v_mul_f64 v[62:63], v[50:51], v[46:47]
	v_mul_f64 v[46:47], v[48:49], v[46:47]
	v_fma_f64 v[2:3], v[36:37], v[40:41], -v[60:61]
	v_fmac_f64_e32 v[42:43], v[38:39], v[40:41]
	v_add_f64 v[16:17], v[16:17], 0
	v_add_f64 v[4:5], v[4:5], 0
	v_mul_f64 v[64:65], v[54:55], v[58:59]
	v_mul_f64 v[58:59], v[52:53], v[58:59]
	v_fma_f64 v[18:19], v[48:49], v[44:45], -v[62:63]
	v_fmac_f64_e32 v[46:47], v[50:51], v[44:45]
	v_add_f64 v[2:3], v[16:17], v[2:3]
	v_add_f64 v[4:5], v[4:5], v[42:43]
	v_fma_f64 v[24:25], v[52:53], v[56:57], -v[64:65]
	v_fmac_f64_e32 v[58:59], v[54:55], v[56:57]
	v_add_f64 v[2:3], v[2:3], v[18:19]
	v_add_f64 v[16:17], v[4:5], v[46:47]
	;; [unrolled: 1-line block ×4, first 2 shown]
	s_andn2_saveexec_b64 s[26:27], s[26:27]
	s_cbranch_execz .LBB356_65
.LBB356_73:                             ;   in Loop: Header=BB356_63 Depth=1
	s_waitcnt lgkmcnt(0)
	v_mov_b64_e32 v[4:5], 0
	v_mov_b64_e32 v[16:17], v[4:5]
	s_and_saveexec_b64 s[28:29], s[10:11]
	s_cbranch_execz .LBB356_78
; %bb.74:                               ;   in Loop: Header=BB356_63 Depth=1
	v_mov_b32_e32 v1, 0
	v_mov_b64_e32 v[2:3], v[6:7]
	s_mov_b32 s30, s21
.LBB356_75:                             ;   Parent Loop BB356_63 Depth=1
                                        ; =>  This Inner Loop Header: Depth=2
	flat_load_dwordx4 v[16:19], v[2:3]
	s_add_i32 s30, s30, -1
	v_lshl_add_u64 v[2:3], v[2:3], 0, s[12:13]
	s_cmp_eq_u32 s30, 0
	s_waitcnt vmcnt(0) lgkmcnt(0)
	scratch_store_dwordx4 v1, v[16:19], off
	v_add_u32_e32 v1, 16, v1
	s_cbranch_scc0 .LBB356_75
; %bb.76:                               ;   in Loop: Header=BB356_63 Depth=1
	v_mov_b64_e32 v[4:5], 0
	v_mov_b32_e32 v1, 0
	v_mov_b64_e32 v[2:3], v[14:15]
	s_mov_b32 s30, s21
	v_mov_b64_e32 v[16:17], v[4:5]
.LBB356_77:                             ;   Parent Loop BB356_63 Depth=1
                                        ; =>  This Inner Loop Header: Depth=2
	flat_load_dwordx4 v[36:39], v[2:3]
	scratch_load_dwordx4 v[40:43], v1, off
	s_add_i32 s30, s30, -1
	v_add_u32_e32 v1, 16, v1
	v_lshl_add_u64 v[2:3], v[2:3], 0, 16
	s_cmp_lg_u32 s30, 0
	s_waitcnt vmcnt(0) lgkmcnt(0)
	v_mul_f64 v[18:19], v[38:39], v[42:43]
	v_mul_f64 v[24:25], v[36:37], v[42:43]
	v_fma_f64 v[18:19], v[36:37], v[40:41], -v[18:19]
	v_fmac_f64_e32 v[24:25], v[38:39], v[40:41]
	v_add_f64 v[4:5], v[4:5], v[18:19]
	v_add_f64 v[16:17], v[16:17], v[24:25]
	s_cbranch_scc1 .LBB356_77
.LBB356_78:                             ;   in Loop: Header=BB356_63 Depth=1
	s_or_b64 exec, exec, s[28:29]
	s_or_b64 exec, exec, s[26:27]
	s_and_saveexec_b64 s[26:27], s[0:1]
	s_cbranch_execnz .LBB356_66
	s_branch .LBB356_67
.LBB356_79:                             ;   in Loop: Header=BB356_63 Depth=1
	ds_read_b128 v[2:5], v20
	s_or_b64 exec, exec, s[26:27]
	s_and_saveexec_b64 s[26:27], s[0:1]
	s_cbranch_execz .LBB356_71
.LBB356_80:                             ;   in Loop: Header=BB356_63 Depth=1
	s_waitcnt lgkmcnt(0)
	ds_bpermute_b32 v16, v29, v2
	ds_bpermute_b32 v17, v29, v3
	;; [unrolled: 1-line block ×4, first 2 shown]
	s_waitcnt lgkmcnt(2)
	v_add_f64 v[2:3], v[2:3], v[16:17]
	ds_bpermute_b32 v16, v30, v2
	s_waitcnt lgkmcnt(1)
	v_add_f64 v[4:5], v[4:5], v[18:19]
	ds_bpermute_b32 v17, v30, v3
	ds_bpermute_b32 v18, v30, v4
	;; [unrolled: 1-line block ×3, first 2 shown]
	s_waitcnt lgkmcnt(2)
	v_add_f64 v[2:3], v[2:3], v[16:17]
	s_waitcnt lgkmcnt(0)
	v_add_f64 v[4:5], v[4:5], v[18:19]
	s_or_b64 exec, exec, s[26:27]
	s_and_saveexec_b64 s[26:27], s[8:9]
	s_cbranch_execz .LBB356_62
.LBB356_81:                             ;   in Loop: Header=BB356_63 Depth=1
	s_mul_hi_u32 s29, s3, s20
	s_mul_i32 s28, s3, s20
	s_lshl_b64 s[28:29], s[28:29], 4
	s_waitcnt lgkmcnt(0)
	v_mul_f64 v[16:17], s[18:19], v[4:5]
	v_mul_f64 v[18:19], s[16:17], v[4:5]
	s_add_u32 s28, s2, s28
	v_fma_f64 v[16:17], s[16:17], v[2:3], -v[16:17]
	v_fmac_f64_e32 v[18:19], s[18:19], v[2:3]
	s_addc_u32 s29, s14, s29
	global_store_dwordx4 v0, v[16:19], s[28:29]
	s_branch .LBB356_62
.LBB356_82:
	s_endpgm
	.section	.rodata,"a",@progbits
	.p2align	6, 0x0
	.amdhsa_kernel _ZL23rocblas_gemvt_sn_kernelILb0ELi256ELi4ElPK19rocblas_complex_numIdES1_S1_EviiT4_lPKT3_lilS7_lilPT5_i
		.amdhsa_group_segment_fixed_size 1024
		.amdhsa_private_segment_fixed_size 80
		.amdhsa_kernarg_size 368
		.amdhsa_user_sgpr_count 2
		.amdhsa_user_sgpr_dispatch_ptr 0
		.amdhsa_user_sgpr_queue_ptr 0
		.amdhsa_user_sgpr_kernarg_segment_ptr 1
		.amdhsa_user_sgpr_dispatch_id 0
		.amdhsa_user_sgpr_kernarg_preload_length 0
		.amdhsa_user_sgpr_kernarg_preload_offset 0
		.amdhsa_user_sgpr_private_segment_size 0
		.amdhsa_uses_dynamic_stack 0
		.amdhsa_enable_private_segment 1
		.amdhsa_system_sgpr_workgroup_id_x 1
		.amdhsa_system_sgpr_workgroup_id_y 0
		.amdhsa_system_sgpr_workgroup_id_z 1
		.amdhsa_system_sgpr_workgroup_info 0
		.amdhsa_system_vgpr_workitem_id 0
		.amdhsa_next_free_vgpr 74
		.amdhsa_next_free_sgpr 49
		.amdhsa_accum_offset 76
		.amdhsa_reserve_vcc 1
		.amdhsa_float_round_mode_32 0
		.amdhsa_float_round_mode_16_64 0
		.amdhsa_float_denorm_mode_32 3
		.amdhsa_float_denorm_mode_16_64 3
		.amdhsa_dx10_clamp 1
		.amdhsa_ieee_mode 1
		.amdhsa_fp16_overflow 0
		.amdhsa_tg_split 0
		.amdhsa_exception_fp_ieee_invalid_op 0
		.amdhsa_exception_fp_denorm_src 0
		.amdhsa_exception_fp_ieee_div_zero 0
		.amdhsa_exception_fp_ieee_overflow 0
		.amdhsa_exception_fp_ieee_underflow 0
		.amdhsa_exception_fp_ieee_inexact 0
		.amdhsa_exception_int_div_zero 0
	.end_amdhsa_kernel
	.section	.text._ZL23rocblas_gemvt_sn_kernelILb0ELi256ELi4ElPK19rocblas_complex_numIdES1_S1_EviiT4_lPKT3_lilS7_lilPT5_i,"axG",@progbits,_ZL23rocblas_gemvt_sn_kernelILb0ELi256ELi4ElPK19rocblas_complex_numIdES1_S1_EviiT4_lPKT3_lilS7_lilPT5_i,comdat
.Lfunc_end356:
	.size	_ZL23rocblas_gemvt_sn_kernelILb0ELi256ELi4ElPK19rocblas_complex_numIdES1_S1_EviiT4_lPKT3_lilS7_lilPT5_i, .Lfunc_end356-_ZL23rocblas_gemvt_sn_kernelILb0ELi256ELi4ElPK19rocblas_complex_numIdES1_S1_EviiT4_lPKT3_lilS7_lilPT5_i
                                        ; -- End function
	.section	.AMDGPU.csdata,"",@progbits
; Kernel info:
; codeLenInByte = 6760
; NumSgprs: 55
; NumVgprs: 74
; NumAgprs: 0
; TotalNumVgprs: 74
; ScratchSize: 80
; MemoryBound: 0
; FloatMode: 240
; IeeeMode: 1
; LDSByteSize: 1024 bytes/workgroup (compile time only)
; SGPRBlocks: 6
; VGPRBlocks: 9
; NumSGPRsForWavesPerEU: 55
; NumVGPRsForWavesPerEU: 74
; AccumOffset: 76
; Occupancy: 6
; WaveLimiterHint : 0
; COMPUTE_PGM_RSRC2:SCRATCH_EN: 1
; COMPUTE_PGM_RSRC2:USER_SGPR: 2
; COMPUTE_PGM_RSRC2:TRAP_HANDLER: 0
; COMPUTE_PGM_RSRC2:TGID_X_EN: 1
; COMPUTE_PGM_RSRC2:TGID_Y_EN: 0
; COMPUTE_PGM_RSRC2:TGID_Z_EN: 1
; COMPUTE_PGM_RSRC2:TIDIG_COMP_CNT: 0
; COMPUTE_PGM_RSRC3_GFX90A:ACCUM_OFFSET: 18
; COMPUTE_PGM_RSRC3_GFX90A:TG_SPLIT: 0
	.section	.text._ZL23rocblas_gemvt_sn_reduceILi256ELi8E19rocblas_complex_numIdES1_KPS1_EviT2_lPT3_lilPT1_i,"axG",@progbits,_ZL23rocblas_gemvt_sn_reduceILi256ELi8E19rocblas_complex_numIdES1_KPS1_EviT2_lPT3_lilPT1_i,comdat
	.globl	_ZL23rocblas_gemvt_sn_reduceILi256ELi8E19rocblas_complex_numIdES1_KPS1_EviT2_lPT3_lilPT1_i ; -- Begin function _ZL23rocblas_gemvt_sn_reduceILi256ELi8E19rocblas_complex_numIdES1_KPS1_EviT2_lPT3_lilPT1_i
	.p2align	8
	.type	_ZL23rocblas_gemvt_sn_reduceILi256ELi8E19rocblas_complex_numIdES1_KPS1_EviT2_lPT3_lilPT1_i,@function
_ZL23rocblas_gemvt_sn_reduceILi256ELi8E19rocblas_complex_numIdES1_KPS1_EviT2_lPT3_lilPT1_i: ; @_ZL23rocblas_gemvt_sn_reduceILi256ELi8E19rocblas_complex_numIdES1_KPS1_EviT2_lPT3_lilPT1_i
; %bb.0:
	s_load_dword s2, s[0:1], 0x0
	s_load_dwordx4 s[8:11], s[0:1], 0x20
	s_mov_b32 s5, 0
	s_lshl_b64 s[6:7], s[4:5], 3
	v_lshlrev_b32_e32 v1, 3, v0
	s_waitcnt lgkmcnt(0)
	s_ashr_i32 s12, s2, 31
	s_add_u32 s6, s8, s6
	s_load_dwordx2 s[16:17], s[0:1], 0x40
	s_load_dword s8, s[0:1], 0x54
	s_addc_u32 s7, s9, s7
	s_add_u32 s14, s0, 0x50
	s_addc_u32 s15, s1, 0
	s_load_dwordx2 s[6:7], s[6:7], 0x0
	s_waitcnt lgkmcnt(0)
	s_mul_i32 s4, s8, s4
	s_add_i32 s4, s4, s3
	s_mul_i32 s8, s4, s12
	s_mul_hi_u32 s9, s4, s2
	s_add_i32 s9, s9, s8
	s_mul_i32 s8, s4, s2
	s_lshr_b32 s4, s12, 29
	s_add_i32 s4, s2, s4
	s_and_b32 s18, s4, -8
	v_mov_b64_e32 v[2:3], 0
	v_cmp_gt_i32_e32 vcc, s18, v1
	v_mov_b64_e32 v[4:5], v[2:3]
	s_and_saveexec_b64 s[12:13], vcc
	s_cbranch_execz .LBB357_4
; %bb.1:
	s_load_dword s4, s[14:15], 0xc
	s_lshl_b64 s[14:15], s[8:9], 4
	v_lshlrev_b32_e32 v2, 7, v0
	v_mov_b32_e32 v3, 0
	s_waitcnt lgkmcnt(0)
	s_and_b32 s4, s4, 0xffff
	s_lshl_b32 s19, s4, 3
	s_add_u32 s14, s16, s14
	s_addc_u32 s15, s17, s15
	v_lshl_add_u64 v[2:3], s[14:15], 0, v[2:3]
	s_mov_b64 s[14:15], 0x78
	v_lshl_add_u64 v[6:7], v[2:3], 0, s[14:15]
	v_mov_b64_e32 v[2:3], 0
	s_lshl_b32 s4, s4, 7
	s_mov_b64 s[14:15], 0
	v_mov_b64_e32 v[4:5], v[2:3]
.LBB357_2:                              ; =>This Inner Loop Header: Depth=1
	global_load_dwordx4 v[8:11], v[6:7], off offset:-120
	global_load_dwordx4 v[12:15], v[6:7], off offset:-104
	;; [unrolled: 1-line block ×8, first 2 shown]
	v_add_u32_e32 v1, s19, v1
	v_cmp_le_i32_e32 vcc, s18, v1
	v_lshl_add_u64 v[6:7], v[6:7], 0, s[4:5]
	s_or_b64 s[14:15], vcc, s[14:15]
	s_waitcnt vmcnt(7)
	v_add_f64 v[4:5], v[4:5], v[8:9]
	v_add_f64 v[2:3], v[2:3], v[10:11]
	s_waitcnt vmcnt(6)
	v_add_f64 v[4:5], v[4:5], v[12:13]
	v_add_f64 v[2:3], v[2:3], v[14:15]
	;; [unrolled: 3-line block ×8, first 2 shown]
	s_andn2_b64 exec, exec, s[14:15]
	s_cbranch_execnz .LBB357_2
; %bb.3:
	s_or_b64 exec, exec, s[14:15]
.LBB357_4:
	s_or_b64 exec, exec, s[12:13]
	s_load_dwordx4 s[12:15], s[0:1], 0x8
	s_sub_i32 s4, s2, s18
	v_cmp_gt_u32_e32 vcc, s4, v0
	s_and_saveexec_b64 s[4:5], vcc
	s_cbranch_execz .LBB357_6
; %bb.5:
	s_lshl_b64 s[8:9], s[8:9], 4
	s_add_u32 s8, s16, s8
	s_addc_u32 s9, s17, s9
	v_xad_u32 v6, v0, -1, s2
	v_mov_b32_e32 v7, 0
	v_lshl_add_u64 v[6:7], v[6:7], 4, s[8:9]
	global_load_dwordx4 v[6:9], v[6:7], off
	s_waitcnt vmcnt(0)
	v_add_f64 v[4:5], v[4:5], v[6:7]
	v_add_f64 v[2:3], v[2:3], v[8:9]
.LBB357_6:
	s_or_b64 exec, exec, s[4:5]
	v_and_b32_e32 v10, 63, v0
	v_cmp_gt_u32_e32 vcc, 64, v0
	v_lshlrev_b32_e32 v1, 4, v10
	s_and_saveexec_b64 s[4:5], vcc
	s_cbranch_execz .LBB357_8
; %bb.7:
	v_mov_b32_e32 v6, 0
	v_mov_b32_e32 v7, v6
	;; [unrolled: 1-line block ×4, first 2 shown]
	ds_write_b128 v1, v[6:9]
.LBB357_8:
	s_or_b64 exec, exec, s[4:5]
	v_mbcnt_lo_u32_b32 v6, -1, 0
	v_mbcnt_hi_u32_b32 v12, -1, v6
	v_and_b32_e32 v13, 63, v12
	v_cmp_gt_u32_e64 s[4:5], 32, v13
	s_waitcnt lgkmcnt(0)
	s_barrier
	v_cndmask_b32_e64 v6, 0, 1, s[4:5]
	v_lshlrev_b32_e32 v6, 5, v6
	v_add_lshl_u32 v9, v6, v12, 2
	ds_bpermute_b32 v6, v9, v4
	ds_bpermute_b32 v7, v9, v5
	;; [unrolled: 1-line block ×4, first 2 shown]
	v_cmp_gt_u32_e64 s[4:5], 48, v13
	s_waitcnt lgkmcnt(0)
	v_add_f64 v[4:5], v[4:5], v[6:7]
	v_cndmask_b32_e64 v6, 0, 1, s[4:5]
	v_lshlrev_b32_e32 v6, 4, v6
	v_add_f64 v[2:3], v[2:3], v[8:9]
	v_add_lshl_u32 v9, v6, v12, 2
	ds_bpermute_b32 v6, v9, v4
	ds_bpermute_b32 v7, v9, v5
	ds_bpermute_b32 v8, v9, v2
	ds_bpermute_b32 v9, v9, v3
	v_cmp_gt_u32_e64 s[4:5], 56, v13
	s_waitcnt lgkmcnt(2)
	v_add_f64 v[4:5], v[4:5], v[6:7]
	v_cndmask_b32_e64 v6, 0, 1, s[4:5]
	v_lshlrev_b32_e32 v6, 3, v6
	s_waitcnt lgkmcnt(0)
	v_add_f64 v[2:3], v[2:3], v[8:9]
	v_add_lshl_u32 v9, v6, v12, 2
	ds_bpermute_b32 v6, v9, v4
	ds_bpermute_b32 v7, v9, v5
	ds_bpermute_b32 v8, v9, v2
	ds_bpermute_b32 v9, v9, v3
	v_cmp_gt_u32_e64 s[4:5], 60, v13
	s_waitcnt lgkmcnt(2)
	v_add_f64 v[4:5], v[4:5], v[6:7]
	v_cndmask_b32_e64 v6, 0, 1, s[4:5]
	v_lshlrev_b32_e32 v6, 2, v6
	s_waitcnt lgkmcnt(0)
	v_add_f64 v[2:3], v[2:3], v[8:9]
	v_add_lshl_u32 v9, v6, v12, 2
	ds_bpermute_b32 v6, v9, v4
	ds_bpermute_b32 v7, v9, v5
	;; [unrolled: 1-line block ×4, first 2 shown]
	v_cmp_gt_u32_e64 s[4:5], 62, v13
	s_waitcnt lgkmcnt(2)
	v_add_f64 v[4:5], v[4:5], v[6:7]
	s_waitcnt lgkmcnt(0)
	v_add_f64 v[6:7], v[2:3], v[8:9]
	v_cndmask_b32_e64 v2, 0, 1, s[4:5]
	v_lshlrev_b32_e32 v2, 1, v2
	v_add_lshl_u32 v11, v2, v12, 2
	ds_bpermute_b32 v2, v11, v4
	ds_bpermute_b32 v3, v11, v5
	;; [unrolled: 1-line block ×4, first 2 shown]
	v_cmp_ne_u32_e64 s[4:5], 63, v13
	s_waitcnt lgkmcnt(2)
	v_add_f64 v[2:3], v[4:5], v[2:3]
	v_addc_co_u32_e64 v4, s[4:5], 0, v12, s[4:5]
	s_waitcnt lgkmcnt(0)
	v_add_f64 v[6:7], v[6:7], v[8:9]
	v_lshlrev_b32_e32 v12, 2, v4
	ds_bpermute_b32 v4, v12, v2
	ds_bpermute_b32 v5, v12, v3
	;; [unrolled: 1-line block ×4, first 2 shown]
	v_cmp_eq_u32_e64 s[4:5], 0, v10
	s_and_saveexec_b64 s[8:9], s[4:5]
	s_cbranch_execz .LBB357_10
; %bb.9:
	v_lshrrev_b32_e32 v10, 2, v0
	v_and_b32_e32 v10, 48, v10
	s_waitcnt lgkmcnt(0)
	v_add_f64 v[6:7], v[6:7], v[8:9]
	v_add_f64 v[4:5], v[2:3], v[4:5]
	ds_write_b128 v10, v[4:7]
.LBB357_10:
	s_or_b64 exec, exec, s[8:9]
	s_waitcnt lgkmcnt(2)
	v_mov_b64_e32 v[4:5], 0
	v_cmp_gt_u32_e64 s[4:5], 4, v0
	v_mov_b64_e32 v[2:3], v[4:5]
	s_waitcnt lgkmcnt(0)
	s_barrier
	s_and_saveexec_b64 s[8:9], s[4:5]
	s_cbranch_execnz .LBB357_14
; %bb.11:
	s_or_b64 exec, exec, s[8:9]
	s_and_saveexec_b64 s[4:5], vcc
	s_cbranch_execnz .LBB357_15
.LBB357_12:
	s_or_b64 exec, exec, s[4:5]
	v_cmp_eq_u32_e32 vcc, 0, v0
	s_and_saveexec_b64 s[4:5], vcc
	s_cbranch_execnz .LBB357_16
.LBB357_13:
	s_endpgm
.LBB357_14:
	ds_read_b128 v[2:5], v1
	s_or_b64 exec, exec, s[8:9]
	s_and_saveexec_b64 s[4:5], vcc
	s_cbranch_execz .LBB357_12
.LBB357_15:
	s_waitcnt lgkmcnt(0)
	ds_bpermute_b32 v6, v11, v2
	ds_bpermute_b32 v7, v11, v3
	;; [unrolled: 1-line block ×4, first 2 shown]
	s_waitcnt lgkmcnt(2)
	v_add_f64 v[2:3], v[2:3], v[6:7]
	ds_bpermute_b32 v6, v12, v2
	s_waitcnt lgkmcnt(1)
	v_add_f64 v[4:5], v[4:5], v[8:9]
	ds_bpermute_b32 v7, v12, v3
	ds_bpermute_b32 v8, v12, v4
	;; [unrolled: 1-line block ×3, first 2 shown]
	s_waitcnt lgkmcnt(2)
	v_add_f64 v[2:3], v[2:3], v[6:7]
	s_waitcnt lgkmcnt(0)
	v_add_f64 v[4:5], v[4:5], v[8:9]
	s_or_b64 exec, exec, s[4:5]
	v_cmp_eq_u32_e32 vcc, 0, v0
	s_and_saveexec_b64 s[4:5], vcc
	s_cbranch_execz .LBB357_13
.LBB357_16:
	s_load_dword s5, s[0:1], 0x30
	s_lshl_b64 s[0:1], s[10:11], 4
	v_cmp_neq_f64_e64 s[8:9], s[12:13], 0
	v_cmp_neq_f64_e64 s[10:11], s[14:15], 0
	s_waitcnt lgkmcnt(0)
	s_ashr_i32 s16, s5, 31
	s_add_u32 s2, s6, s0
	s_mul_hi_u32 s17, s5, s3
	s_addc_u32 s4, s7, s1
	s_mul_i32 s16, s16, s3
	s_or_b64 s[6:7], s[8:9], s[10:11]
	s_add_i32 s1, s17, s16
	s_andn2_b64 vcc, exec, s[6:7]
	s_mul_i32 s0, s5, s3
	s_cbranch_vccnz .LBB357_18
; %bb.17:
	s_lshl_b64 s[6:7], s[0:1], 4
	s_add_u32 s6, s2, s6
	s_addc_u32 s7, s4, s7
	s_load_dwordx4 s[8:11], s[6:7], 0x0
	s_waitcnt lgkmcnt(0)
	v_mov_b64_e32 v[0:1], s[10:11]
	v_mov_b64_e32 v[6:7], s[8:9]
	v_mul_f64 v[8:9], s[14:15], v[0:1]
	v_mul_f64 v[0:1], s[12:13], v[0:1]
	v_fma_f64 v[8:9], s[12:13], v[6:7], -v[8:9]
	v_fmac_f64_e32 v[0:1], s[14:15], v[6:7]
	v_add_f64 v[2:3], v[2:3], v[8:9]
	v_add_f64 v[4:5], v[4:5], v[0:1]
.LBB357_18:
	s_lshl_b64 s[0:1], s[0:1], 4
	s_add_u32 s0, s2, s0
	s_addc_u32 s1, s4, s1
	v_mov_b32_e32 v0, 0
	global_store_dwordx4 v0, v[2:5], s[0:1]
	s_endpgm
	.section	.rodata,"a",@progbits
	.p2align	6, 0x0
	.amdhsa_kernel _ZL23rocblas_gemvt_sn_reduceILi256ELi8E19rocblas_complex_numIdES1_KPS1_EviT2_lPT3_lilPT1_i
		.amdhsa_group_segment_fixed_size 1024
		.amdhsa_private_segment_fixed_size 0
		.amdhsa_kernarg_size 336
		.amdhsa_user_sgpr_count 2
		.amdhsa_user_sgpr_dispatch_ptr 0
		.amdhsa_user_sgpr_queue_ptr 0
		.amdhsa_user_sgpr_kernarg_segment_ptr 1
		.amdhsa_user_sgpr_dispatch_id 0
		.amdhsa_user_sgpr_kernarg_preload_length 0
		.amdhsa_user_sgpr_kernarg_preload_offset 0
		.amdhsa_user_sgpr_private_segment_size 0
		.amdhsa_uses_dynamic_stack 0
		.amdhsa_enable_private_segment 0
		.amdhsa_system_sgpr_workgroup_id_x 1
		.amdhsa_system_sgpr_workgroup_id_y 1
		.amdhsa_system_sgpr_workgroup_id_z 1
		.amdhsa_system_sgpr_workgroup_info 0
		.amdhsa_system_vgpr_workitem_id 0
		.amdhsa_next_free_vgpr 40
		.amdhsa_next_free_sgpr 20
		.amdhsa_accum_offset 40
		.amdhsa_reserve_vcc 1
		.amdhsa_float_round_mode_32 0
		.amdhsa_float_round_mode_16_64 0
		.amdhsa_float_denorm_mode_32 3
		.amdhsa_float_denorm_mode_16_64 3
		.amdhsa_dx10_clamp 1
		.amdhsa_ieee_mode 1
		.amdhsa_fp16_overflow 0
		.amdhsa_tg_split 0
		.amdhsa_exception_fp_ieee_invalid_op 0
		.amdhsa_exception_fp_denorm_src 0
		.amdhsa_exception_fp_ieee_div_zero 0
		.amdhsa_exception_fp_ieee_overflow 0
		.amdhsa_exception_fp_ieee_underflow 0
		.amdhsa_exception_fp_ieee_inexact 0
		.amdhsa_exception_int_div_zero 0
	.end_amdhsa_kernel
	.section	.text._ZL23rocblas_gemvt_sn_reduceILi256ELi8E19rocblas_complex_numIdES1_KPS1_EviT2_lPT3_lilPT1_i,"axG",@progbits,_ZL23rocblas_gemvt_sn_reduceILi256ELi8E19rocblas_complex_numIdES1_KPS1_EviT2_lPT3_lilPT1_i,comdat
.Lfunc_end357:
	.size	_ZL23rocblas_gemvt_sn_reduceILi256ELi8E19rocblas_complex_numIdES1_KPS1_EviT2_lPT3_lilPT1_i, .Lfunc_end357-_ZL23rocblas_gemvt_sn_reduceILi256ELi8E19rocblas_complex_numIdES1_KPS1_EviT2_lPT3_lilPT1_i
                                        ; -- End function
	.section	.AMDGPU.csdata,"",@progbits
; Kernel info:
; codeLenInByte = 1568
; NumSgprs: 26
; NumVgprs: 40
; NumAgprs: 0
; TotalNumVgprs: 40
; ScratchSize: 0
; MemoryBound: 1
; FloatMode: 240
; IeeeMode: 1
; LDSByteSize: 1024 bytes/workgroup (compile time only)
; SGPRBlocks: 3
; VGPRBlocks: 4
; NumSGPRsForWavesPerEU: 26
; NumVGPRsForWavesPerEU: 40
; AccumOffset: 40
; Occupancy: 8
; WaveLimiterHint : 1
; COMPUTE_PGM_RSRC2:SCRATCH_EN: 0
; COMPUTE_PGM_RSRC2:USER_SGPR: 2
; COMPUTE_PGM_RSRC2:TRAP_HANDLER: 0
; COMPUTE_PGM_RSRC2:TGID_X_EN: 1
; COMPUTE_PGM_RSRC2:TGID_Y_EN: 1
; COMPUTE_PGM_RSRC2:TGID_Z_EN: 1
; COMPUTE_PGM_RSRC2:TIDIG_COMP_CNT: 0
; COMPUTE_PGM_RSRC3_GFX90A:ACCUM_OFFSET: 9
; COMPUTE_PGM_RSRC3_GFX90A:TG_SPLIT: 0
	.section	.text._ZL32rocblas_gemvt_warp_reduce_kernelILb0ELi256EiPK19rocblas_complex_numIdES3_KPS1_EviiT3_lPKT2_lT1_lS9_lSA_lS6_lPT4_lSA_li,"axG",@progbits,_ZL32rocblas_gemvt_warp_reduce_kernelILb0ELi256EiPK19rocblas_complex_numIdES3_KPS1_EviiT3_lPKT2_lT1_lS9_lSA_lS6_lPT4_lSA_li,comdat
	.globl	_ZL32rocblas_gemvt_warp_reduce_kernelILb0ELi256EiPK19rocblas_complex_numIdES3_KPS1_EviiT3_lPKT2_lT1_lS9_lSA_lS6_lPT4_lSA_li ; -- Begin function _ZL32rocblas_gemvt_warp_reduce_kernelILb0ELi256EiPK19rocblas_complex_numIdES3_KPS1_EviiT3_lPKT2_lT1_lS9_lSA_lS6_lPT4_lSA_li
	.p2align	8
	.type	_ZL32rocblas_gemvt_warp_reduce_kernelILb0ELi256EiPK19rocblas_complex_numIdES3_KPS1_EviiT3_lPKT2_lT1_lS9_lSA_lS6_lPT4_lSA_li,@function
_ZL32rocblas_gemvt_warp_reduce_kernelILb0ELi256EiPK19rocblas_complex_numIdES3_KPS1_EviiT3_lPKT2_lT1_lS9_lSA_lS6_lPT4_lSA_li: ; @_ZL32rocblas_gemvt_warp_reduce_kernelILb0ELi256EiPK19rocblas_complex_numIdES3_KPS1_EviiT3_lPKT2_lT1_lS9_lSA_lS6_lPT4_lSA_li
; %bb.0:
	s_load_dwordx8 s[12:19], s[0:1], 0x8
	s_load_dwordx8 s[4:11], s[0:1], 0x58
	s_mov_b32 s26, s3
	s_mov_b32 s27, 0
	s_waitcnt lgkmcnt(0)
	s_mul_i32 s3, s3, s15
	s_mul_hi_u32 s15, s26, s14
	s_add_i32 s15, s15, s3
	s_mul_i32 s14, s26, s14
	s_lshl_b64 s[14:15], s[14:15], 4
	s_add_u32 s12, s12, s14
	s_mul_i32 s3, s26, s7
	s_mul_hi_u32 s7, s26, s6
	s_addc_u32 s13, s13, s15
	s_add_i32 s7, s7, s3
	s_mul_i32 s6, s26, s6
	s_load_dwordx4 s[20:23], s[12:13], 0x0
	s_lshl_b64 s[6:7], s[6:7], 4
	s_add_u32 s4, s4, s6
	s_addc_u32 s5, s5, s7
	s_load_dwordx4 s[12:15], s[4:5], 0x0
	s_waitcnt lgkmcnt(0)
	v_cmp_neq_f64_e64 s[4:5], s[20:21], 0
	v_cmp_neq_f64_e64 s[24:25], s[22:23], 0
	s_or_b64 s[4:5], s[4:5], s[24:25]
	s_mov_b64 s[6:7], 0
	s_mov_b64 s[24:25], -1
	s_and_b64 vcc, exec, s[4:5]
	s_cbranch_vccnz .LBB358_3
; %bb.1:
	v_cmp_neq_f64_e64 s[6:7], s[12:13], 1.0
	v_cmp_neq_f64_e64 s[28:29], s[14:15], 0
	s_mov_b64 s[24:25], 0
	s_or_b64 s[6:7], s[6:7], s[28:29]
	s_cbranch_execz .LBB358_4
.LBB358_2:
	s_andn2_b64 vcc, exec, s[6:7]
	s_cbranch_vccz .LBB358_5
	s_branch .LBB358_35
.LBB358_3:
	s_andn2_b64 vcc, exec, s[24:25]
	s_cbranch_vccnz .LBB358_2
.LBB358_4:
	s_lshl_b64 s[6:7], s[26:27], 3
	s_add_u32 s6, s16, s6
	s_addc_u32 s7, s17, s7
	s_load_dwordx2 s[6:7], s[6:7], 0x0
	s_lshl_b64 s[16:17], s[18:19], 4
	s_waitcnt lgkmcnt(0)
	s_add_u32 s24, s6, s16
	s_addc_u32 s25, s7, s17
.LBB358_5:
	s_xor_b64 s[18:19], s[4:5], -1
	s_mov_b64 s[6:7], 0
	s_andn2_b64 vcc, exec, s[4:5]
	s_mov_b64 s[16:17], 0
	s_cbranch_vccnz .LBB358_7
; %bb.6:
	s_load_dwordx4 s[28:31], s[0:1], 0x38
	s_lshl_b64 s[4:5], s[26:27], 3
	s_waitcnt lgkmcnt(0)
	s_add_u32 s4, s28, s4
	s_addc_u32 s5, s29, s5
	s_load_dwordx2 s[4:5], s[4:5], 0x0
	s_lshl_b64 s[16:17], s[30:31], 4
	s_waitcnt lgkmcnt(0)
	s_add_u32 s16, s4, s16
	s_addc_u32 s17, s5, s17
.LBB358_7:
	s_lshl_b64 s[4:5], s[26:27], 3
	s_add_u32 s4, s8, s4
	s_addc_u32 s5, s9, s5
	s_load_dwordx2 s[8:9], s[4:5], 0x0
	s_load_dword s27, s[0:1], 0x78
	s_lshl_b64 s[4:5], s[10:11], 4
	s_waitcnt lgkmcnt(0)
	s_add_u32 s3, s8, s4
	s_addc_u32 s26, s9, s5
	s_andn2_b64 vcc, exec, s[18:19]
	v_cmp_eq_u32_e64 s[4:5], 0, v0
	s_cbranch_vccnz .LBB358_14
; %bb.8:
	s_mov_b64 s[10:11], 0
                                        ; implicit-def: $vgpr4_vgpr5
                                        ; implicit-def: $sgpr8_sgpr9
	s_and_saveexec_b64 s[18:19], s[4:5]
	s_cbranch_execz .LBB358_15
; %bb.9:
	v_cmp_neq_f64_e64 s[4:5], s[12:13], 0
	v_cmp_neq_f64_e64 s[6:7], s[14:15], 0
	v_mov_b64_e32 v[4:5], 0
	s_mul_i32 s8, s2, s27
	s_or_b64 s[4:5], s[4:5], s[6:7]
	s_ashr_i32 s9, s8, 31
	s_andn2_b64 vcc, exec, s[4:5]
	v_mov_b64_e32 v[2:3], v[4:5]
	s_cbranch_vccnz .LBB358_11
; %bb.10:
	s_lshl_b64 s[4:5], s[8:9], 4
	s_add_u32 s4, s3, s4
	s_addc_u32 s5, s26, s5
	s_load_dwordx4 s[4:7], s[4:5], 0x0
	s_waitcnt lgkmcnt(0)
	v_mov_b64_e32 v[2:3], s[6:7]
	v_mov_b64_e32 v[6:7], s[4:5]
	v_mul_f64 v[8:9], s[14:15], v[2:3]
	v_mul_f64 v[4:5], s[12:13], v[2:3]
	v_fma_f64 v[2:3], s[12:13], v[6:7], -v[8:9]
	v_fmac_f64_e32 v[4:5], s[14:15], v[6:7]
.LBB358_11:
	s_mov_b64 s[6:7], exec
	s_or_b64 exec, exec, s[18:19]
	s_and_b64 vcc, exec, s[10:11]
	s_cbranch_vccnz .LBB358_16
.LBB358_12:
	s_and_saveexec_b64 s[0:1], s[6:7]
	s_cbranch_execz .LBB358_35
.LBB358_13:
	s_lshl_b64 s[0:1], s[8:9], 4
	s_add_u32 s0, s3, s0
	s_addc_u32 s1, s26, s1
	v_mov_b32_e32 v0, 0
	global_store_dwordx4 v0, v[2:5], s[0:1]
	s_endpgm
.LBB358_14:
                                        ; implicit-def: $vgpr4_vgpr5
                                        ; implicit-def: $sgpr8_sgpr9
	s_cbranch_execnz .LBB358_16
	s_branch .LBB358_12
.LBB358_15:
	s_or_b64 exec, exec, s[18:19]
	s_and_b64 vcc, exec, s[10:11]
	s_cbranch_vccz .LBB358_12
.LBB358_16:
	s_load_dword s19, s[0:1], 0x0
	s_load_dword s4, s[0:1], 0x28
	s_load_dword s18, s[0:1], 0x48
	v_mov_b32_e32 v3, 0
	s_waitcnt lgkmcnt(0)
	v_cmp_gt_i32_e32 vcc, s19, v0
	s_mul_i32 s0, s2, s4
	s_ashr_i32 s1, s0, 31
	s_lshl_b64 s[0:1], s[0:1], 4
	v_cndmask_b32_e32 v1, 0, v0, vcc
	s_add_u32 s0, s0, s24
	v_lshlrev_b32_e32 v2, 4, v1
	s_addc_u32 s1, s1, s25
	v_lshl_add_u64 v[6:7], s[0:1], 0, v[2:3]
	s_ashr_i32 s0, s19, 31
	s_lshr_b32 s0, s0, 24
	s_add_i32 s0, s19, s0
	s_and_b32 s0, s0, 0xffffff00
	v_mov_b64_e32 v[2:3], 0
	v_cmp_gt_i32_e32 vcc, s0, v0
	v_mov_b64_e32 v[4:5], v[2:3]
	s_and_saveexec_b64 s[4:5], vcc
	s_cbranch_execz .LBB358_20
; %bb.17:
	v_mov_b64_e32 v[2:3], 0
	v_mul_lo_u32 v8, v0, s18
	s_lshl_b32 s1, s18, 8
	s_mov_b64 s[8:9], 0
	s_mov_b64 s[10:11], 0x1000
	v_mov_b64_e32 v[10:11], v[6:7]
	v_mov_b32_e32 v1, v0
	v_mov_b64_e32 v[4:5], v[2:3]
.LBB358_18:                             ; =>This Inner Loop Header: Depth=1
	v_ashrrev_i32_e32 v9, 31, v8
	v_lshl_add_u64 v[16:17], v[8:9], 4, s[16:17]
	flat_load_dwordx4 v[12:15], v[10:11]
	v_add_u32_e32 v1, 0x100, v1
	flat_load_dwordx4 v[16:19], v[16:17]
	v_cmp_le_i32_e32 vcc, s0, v1
	v_lshl_add_u64 v[10:11], v[10:11], 0, s[10:11]
	v_add_u32_e32 v8, s1, v8
	s_or_b64 s[8:9], vcc, s[8:9]
	s_waitcnt vmcnt(0) lgkmcnt(0)
	v_mul_f64 v[20:21], v[14:15], v[18:19]
	v_mul_f64 v[18:19], v[12:13], v[18:19]
	v_fma_f64 v[12:13], v[12:13], v[16:17], -v[20:21]
	v_fmac_f64_e32 v[18:19], v[14:15], v[16:17]
	v_add_f64 v[4:5], v[4:5], v[12:13]
	v_add_f64 v[2:3], v[2:3], v[18:19]
	s_andn2_b64 exec, exec, s[8:9]
	s_cbranch_execnz .LBB358_18
; %bb.19:
	s_or_b64 exec, exec, s[8:9]
.LBB358_20:
	s_or_b64 exec, exec, s[4:5]
	v_add_u32_e32 v1, s0, v0
	v_cmp_gt_i32_e32 vcc, s19, v1
	s_and_saveexec_b64 s[4:5], vcc
	s_cbranch_execz .LBB358_22
; %bb.21:
	v_mul_lo_u32 v10, v1, s18
	s_ashr_i32 s1, s0, 31
	v_ashrrev_i32_e32 v11, 31, v10
	v_lshl_add_u64 v[6:7], s[0:1], 4, v[6:7]
	v_lshl_add_u64 v[10:11], v[10:11], 4, s[16:17]
	flat_load_dwordx4 v[6:9], v[6:7]
	s_nop 0
	flat_load_dwordx4 v[10:13], v[10:11]
	s_waitcnt vmcnt(0) lgkmcnt(0)
	v_mul_f64 v[14:15], v[8:9], v[12:13]
	v_mul_f64 v[12:13], v[6:7], v[12:13]
	v_fma_f64 v[6:7], v[6:7], v[10:11], -v[14:15]
	v_fmac_f64_e32 v[12:13], v[8:9], v[10:11]
	v_add_f64 v[4:5], v[4:5], v[6:7]
	v_add_f64 v[2:3], v[2:3], v[12:13]
.LBB358_22:
	s_or_b64 exec, exec, s[4:5]
	v_and_b32_e32 v10, 63, v0
	v_cmp_gt_u32_e32 vcc, 64, v0
	v_lshlrev_b32_e32 v1, 4, v10
	s_and_saveexec_b64 s[0:1], vcc
	s_cbranch_execz .LBB358_24
; %bb.23:
	v_mov_b32_e32 v6, 0
	v_mov_b32_e32 v7, v6
	;; [unrolled: 1-line block ×4, first 2 shown]
	ds_write_b128 v1, v[6:9]
.LBB358_24:
	s_or_b64 exec, exec, s[0:1]
	v_mbcnt_lo_u32_b32 v6, -1, 0
	v_mbcnt_hi_u32_b32 v12, -1, v6
	v_and_b32_e32 v13, 63, v12
	v_cmp_gt_u32_e64 s[0:1], 32, v13
	s_waitcnt lgkmcnt(0)
	s_barrier
	v_cndmask_b32_e64 v6, 0, 1, s[0:1]
	v_lshlrev_b32_e32 v6, 5, v6
	v_add_lshl_u32 v9, v6, v12, 2
	ds_bpermute_b32 v6, v9, v4
	ds_bpermute_b32 v7, v9, v5
	;; [unrolled: 1-line block ×4, first 2 shown]
	v_cmp_gt_u32_e64 s[0:1], 48, v13
	s_waitcnt lgkmcnt(0)
	v_add_f64 v[4:5], v[4:5], v[6:7]
	v_cndmask_b32_e64 v6, 0, 1, s[0:1]
	v_lshlrev_b32_e32 v6, 4, v6
	v_add_f64 v[2:3], v[2:3], v[8:9]
	v_add_lshl_u32 v9, v6, v12, 2
	ds_bpermute_b32 v6, v9, v4
	ds_bpermute_b32 v7, v9, v5
	;; [unrolled: 1-line block ×4, first 2 shown]
	v_cmp_gt_u32_e64 s[0:1], 56, v13
	s_waitcnt lgkmcnt(2)
	v_add_f64 v[4:5], v[4:5], v[6:7]
	v_cndmask_b32_e64 v6, 0, 1, s[0:1]
	v_lshlrev_b32_e32 v6, 3, v6
	s_waitcnt lgkmcnt(0)
	v_add_f64 v[2:3], v[2:3], v[8:9]
	v_add_lshl_u32 v9, v6, v12, 2
	ds_bpermute_b32 v6, v9, v4
	ds_bpermute_b32 v7, v9, v5
	;; [unrolled: 1-line block ×4, first 2 shown]
	v_cmp_gt_u32_e64 s[0:1], 60, v13
	s_waitcnt lgkmcnt(2)
	v_add_f64 v[4:5], v[4:5], v[6:7]
	v_cndmask_b32_e64 v6, 0, 1, s[0:1]
	v_lshlrev_b32_e32 v6, 2, v6
	s_waitcnt lgkmcnt(0)
	v_add_f64 v[2:3], v[2:3], v[8:9]
	v_add_lshl_u32 v9, v6, v12, 2
	ds_bpermute_b32 v6, v9, v4
	ds_bpermute_b32 v7, v9, v5
	;; [unrolled: 1-line block ×4, first 2 shown]
	v_cmp_gt_u32_e64 s[0:1], 62, v13
	s_waitcnt lgkmcnt(2)
	v_add_f64 v[4:5], v[4:5], v[6:7]
	s_waitcnt lgkmcnt(0)
	v_add_f64 v[6:7], v[2:3], v[8:9]
	v_cndmask_b32_e64 v2, 0, 1, s[0:1]
	v_lshlrev_b32_e32 v2, 1, v2
	v_add_lshl_u32 v11, v2, v12, 2
	ds_bpermute_b32 v2, v11, v4
	ds_bpermute_b32 v3, v11, v5
	;; [unrolled: 1-line block ×4, first 2 shown]
	v_cmp_ne_u32_e64 s[0:1], 63, v13
	s_waitcnt lgkmcnt(2)
	v_add_f64 v[2:3], v[4:5], v[2:3]
	v_addc_co_u32_e64 v4, s[0:1], 0, v12, s[0:1]
	s_waitcnt lgkmcnt(0)
	v_add_f64 v[6:7], v[6:7], v[8:9]
	v_lshlrev_b32_e32 v12, 2, v4
	ds_bpermute_b32 v4, v12, v2
	ds_bpermute_b32 v5, v12, v3
	;; [unrolled: 1-line block ×4, first 2 shown]
	v_cmp_eq_u32_e64 s[0:1], 0, v10
	s_and_saveexec_b64 s[4:5], s[0:1]
	s_cbranch_execz .LBB358_26
; %bb.25:
	v_lshrrev_b32_e32 v10, 2, v0
	v_and_b32_e32 v10, 48, v10
	s_waitcnt lgkmcnt(0)
	v_add_f64 v[6:7], v[6:7], v[8:9]
	v_add_f64 v[4:5], v[2:3], v[4:5]
	ds_write_b128 v10, v[4:7]
.LBB358_26:
	s_or_b64 exec, exec, s[4:5]
	s_waitcnt lgkmcnt(0)
	v_mov_b64_e32 v[8:9], 0
	v_cmp_gt_u32_e64 s[0:1], 4, v0
	v_mov_b64_e32 v[6:7], v[8:9]
	s_barrier
	s_and_saveexec_b64 s[4:5], s[0:1]
	s_cbranch_execz .LBB358_28
; %bb.27:
	ds_read_b128 v[6:9], v1
	s_or_b64 exec, exec, s[4:5]
	s_and_saveexec_b64 s[0:1], vcc
	s_cbranch_execz .LBB358_30
	s_branch .LBB358_29
.LBB358_28:
	s_or_b64 exec, exec, s[4:5]
	s_and_saveexec_b64 s[0:1], vcc
	s_cbranch_execz .LBB358_30
.LBB358_29:
	s_waitcnt lgkmcnt(0)
	ds_bpermute_b32 v2, v11, v6
	ds_bpermute_b32 v3, v11, v7
	;; [unrolled: 1-line block ×4, first 2 shown]
	s_waitcnt lgkmcnt(2)
	v_add_f64 v[2:3], v[6:7], v[2:3]
	ds_bpermute_b32 v6, v12, v2
	s_waitcnt lgkmcnt(1)
	v_add_f64 v[4:5], v[8:9], v[4:5]
	ds_bpermute_b32 v7, v12, v3
	ds_bpermute_b32 v8, v12, v4
	;; [unrolled: 1-line block ×3, first 2 shown]
	s_waitcnt lgkmcnt(2)
	v_add_f64 v[6:7], v[2:3], v[6:7]
	s_waitcnt lgkmcnt(0)
	v_add_f64 v[8:9], v[4:5], v[8:9]
.LBB358_30:
	s_or_b64 exec, exec, s[0:1]
	v_cmp_eq_u32_e32 vcc, 0, v0
                                        ; implicit-def: $vgpr4_vgpr5
                                        ; implicit-def: $sgpr8_sgpr9
	s_and_saveexec_b64 s[0:1], vcc
	s_cbranch_execz .LBB358_34
; %bb.31:
	v_cmp_neq_f64_e64 s[4:5], s[12:13], 0
	v_cmp_neq_f64_e64 s[10:11], s[14:15], 0
	s_waitcnt lgkmcnt(0)
	v_mul_f64 v[0:1], s[22:23], v[8:9]
	v_mul_f64 v[4:5], s[20:21], v[8:9]
	s_mul_i32 s8, s2, s27
	s_or_b64 s[4:5], s[4:5], s[10:11]
	v_fma_f64 v[2:3], s[20:21], v[6:7], -v[0:1]
	v_fmac_f64_e32 v[4:5], s[22:23], v[6:7]
	s_andn2_b64 vcc, exec, s[4:5]
	s_ashr_i32 s9, s8, 31
	s_cbranch_vccnz .LBB358_33
; %bb.32:
	s_lshl_b64 s[4:5], s[8:9], 4
	s_add_u32 s4, s3, s4
	s_addc_u32 s5, s26, s5
	s_load_dwordx4 s[16:19], s[4:5], 0x0
	s_waitcnt lgkmcnt(0)
	v_mov_b64_e32 v[0:1], s[18:19]
	v_mov_b64_e32 v[6:7], s[16:17]
	v_mul_f64 v[8:9], s[14:15], v[0:1]
	v_mul_f64 v[0:1], s[12:13], v[0:1]
	v_fma_f64 v[8:9], s[12:13], v[6:7], -v[8:9]
	v_fmac_f64_e32 v[0:1], s[14:15], v[6:7]
	v_add_f64 v[2:3], v[2:3], v[8:9]
	v_add_f64 v[4:5], v[4:5], v[0:1]
.LBB358_33:
	s_or_b64 s[6:7], s[6:7], exec
.LBB358_34:
	s_or_b64 exec, exec, s[0:1]
	s_and_saveexec_b64 s[0:1], s[6:7]
	s_cbranch_execnz .LBB358_13
.LBB358_35:
	s_endpgm
	.section	.rodata,"a",@progbits
	.p2align	6, 0x0
	.amdhsa_kernel _ZL32rocblas_gemvt_warp_reduce_kernelILb0ELi256EiPK19rocblas_complex_numIdES3_KPS1_EviiT3_lPKT2_lT1_lS9_lSA_lS6_lPT4_lSA_li
		.amdhsa_group_segment_fixed_size 1024
		.amdhsa_private_segment_fixed_size 0
		.amdhsa_kernarg_size 140
		.amdhsa_user_sgpr_count 2
		.amdhsa_user_sgpr_dispatch_ptr 0
		.amdhsa_user_sgpr_queue_ptr 0
		.amdhsa_user_sgpr_kernarg_segment_ptr 1
		.amdhsa_user_sgpr_dispatch_id 0
		.amdhsa_user_sgpr_kernarg_preload_length 0
		.amdhsa_user_sgpr_kernarg_preload_offset 0
		.amdhsa_user_sgpr_private_segment_size 0
		.amdhsa_uses_dynamic_stack 0
		.amdhsa_enable_private_segment 0
		.amdhsa_system_sgpr_workgroup_id_x 1
		.amdhsa_system_sgpr_workgroup_id_y 0
		.amdhsa_system_sgpr_workgroup_id_z 1
		.amdhsa_system_sgpr_workgroup_info 0
		.amdhsa_system_vgpr_workitem_id 0
		.amdhsa_next_free_vgpr 22
		.amdhsa_next_free_sgpr 32
		.amdhsa_accum_offset 24
		.amdhsa_reserve_vcc 1
		.amdhsa_float_round_mode_32 0
		.amdhsa_float_round_mode_16_64 0
		.amdhsa_float_denorm_mode_32 3
		.amdhsa_float_denorm_mode_16_64 3
		.amdhsa_dx10_clamp 1
		.amdhsa_ieee_mode 1
		.amdhsa_fp16_overflow 0
		.amdhsa_tg_split 0
		.amdhsa_exception_fp_ieee_invalid_op 0
		.amdhsa_exception_fp_denorm_src 0
		.amdhsa_exception_fp_ieee_div_zero 0
		.amdhsa_exception_fp_ieee_overflow 0
		.amdhsa_exception_fp_ieee_underflow 0
		.amdhsa_exception_fp_ieee_inexact 0
		.amdhsa_exception_int_div_zero 0
	.end_amdhsa_kernel
	.section	.text._ZL32rocblas_gemvt_warp_reduce_kernelILb0ELi256EiPK19rocblas_complex_numIdES3_KPS1_EviiT3_lPKT2_lT1_lS9_lSA_lS6_lPT4_lSA_li,"axG",@progbits,_ZL32rocblas_gemvt_warp_reduce_kernelILb0ELi256EiPK19rocblas_complex_numIdES3_KPS1_EviiT3_lPKT2_lT1_lS9_lSA_lS6_lPT4_lSA_li,comdat
.Lfunc_end358:
	.size	_ZL32rocblas_gemvt_warp_reduce_kernelILb0ELi256EiPK19rocblas_complex_numIdES3_KPS1_EviiT3_lPKT2_lT1_lS9_lSA_lS6_lPT4_lSA_li, .Lfunc_end358-_ZL32rocblas_gemvt_warp_reduce_kernelILb0ELi256EiPK19rocblas_complex_numIdES3_KPS1_EviiT3_lPKT2_lT1_lS9_lSA_lS6_lPT4_lSA_li
                                        ; -- End function
	.section	.AMDGPU.csdata,"",@progbits
; Kernel info:
; codeLenInByte = 1896
; NumSgprs: 38
; NumVgprs: 22
; NumAgprs: 0
; TotalNumVgprs: 22
; ScratchSize: 0
; MemoryBound: 0
; FloatMode: 240
; IeeeMode: 1
; LDSByteSize: 1024 bytes/workgroup (compile time only)
; SGPRBlocks: 4
; VGPRBlocks: 2
; NumSGPRsForWavesPerEU: 38
; NumVGPRsForWavesPerEU: 22
; AccumOffset: 24
; Occupancy: 8
; WaveLimiterHint : 1
; COMPUTE_PGM_RSRC2:SCRATCH_EN: 0
; COMPUTE_PGM_RSRC2:USER_SGPR: 2
; COMPUTE_PGM_RSRC2:TRAP_HANDLER: 0
; COMPUTE_PGM_RSRC2:TGID_X_EN: 1
; COMPUTE_PGM_RSRC2:TGID_Y_EN: 0
; COMPUTE_PGM_RSRC2:TGID_Z_EN: 1
; COMPUTE_PGM_RSRC2:TIDIG_COMP_CNT: 0
; COMPUTE_PGM_RSRC3_GFX90A:ACCUM_OFFSET: 5
; COMPUTE_PGM_RSRC3_GFX90A:TG_SPLIT: 0
	.section	.text._ZL32rocblas_gemvt_warp_reduce_kernelILb0ELi256ElPK19rocblas_complex_numIdES3_KPS1_EviiT3_lPKT2_lT1_lS9_lSA_lS6_lPT4_lSA_li,"axG",@progbits,_ZL32rocblas_gemvt_warp_reduce_kernelILb0ELi256ElPK19rocblas_complex_numIdES3_KPS1_EviiT3_lPKT2_lT1_lS9_lSA_lS6_lPT4_lSA_li,comdat
	.globl	_ZL32rocblas_gemvt_warp_reduce_kernelILb0ELi256ElPK19rocblas_complex_numIdES3_KPS1_EviiT3_lPKT2_lT1_lS9_lSA_lS6_lPT4_lSA_li ; -- Begin function _ZL32rocblas_gemvt_warp_reduce_kernelILb0ELi256ElPK19rocblas_complex_numIdES3_KPS1_EviiT3_lPKT2_lT1_lS9_lSA_lS6_lPT4_lSA_li
	.p2align	8
	.type	_ZL32rocblas_gemvt_warp_reduce_kernelILb0ELi256ElPK19rocblas_complex_numIdES3_KPS1_EviiT3_lPKT2_lT1_lS9_lSA_lS6_lPT4_lSA_li,@function
_ZL32rocblas_gemvt_warp_reduce_kernelILb0ELi256ElPK19rocblas_complex_numIdES3_KPS1_EviiT3_lPKT2_lT1_lS9_lSA_lS6_lPT4_lSA_li: ; @_ZL32rocblas_gemvt_warp_reduce_kernelILb0ELi256ElPK19rocblas_complex_numIdES3_KPS1_EviiT3_lPKT2_lT1_lS9_lSA_lS6_lPT4_lSA_li
; %bb.0:
	s_load_dwordx8 s[12:19], s[0:1], 0x8
	s_load_dwordx2 s[28:29], s[0:1], 0x28
	s_load_dwordx8 s[4:11], s[0:1], 0x58
	s_mov_b32 s34, s3
	s_mov_b32 s35, 0
	s_waitcnt lgkmcnt(0)
	s_mul_i32 s3, s3, s15
	s_mul_hi_u32 s15, s34, s14
	s_add_i32 s15, s15, s3
	s_mul_i32 s14, s34, s14
	s_lshl_b64 s[14:15], s[14:15], 4
	s_add_u32 s12, s12, s14
	s_mul_i32 s3, s34, s7
	s_mul_hi_u32 s7, s34, s6
	s_addc_u32 s13, s13, s15
	s_add_i32 s7, s7, s3
	s_mul_i32 s6, s34, s6
	s_load_dwordx4 s[20:23], s[12:13], 0x0
	s_lshl_b64 s[6:7], s[6:7], 4
	s_add_u32 s4, s4, s6
	s_addc_u32 s5, s5, s7
	s_load_dwordx4 s[12:15], s[4:5], 0x0
	s_waitcnt lgkmcnt(0)
	v_cmp_neq_f64_e64 s[6:7], s[20:21], 0
	v_cmp_neq_f64_e64 s[24:25], s[22:23], 0
	s_or_b64 s[26:27], s[6:7], s[24:25]
	s_mov_b64 s[4:5], 0
	s_mov_b64 s[30:31], -1
	s_and_b64 vcc, exec, s[26:27]
	s_cbranch_vccnz .LBB359_3
; %bb.1:
	v_cmp_neq_f64_e64 s[4:5], s[12:13], 1.0
	v_cmp_neq_f64_e64 s[6:7], s[14:15], 0
	s_mov_b64 s[30:31], 0
	s_or_b64 s[4:5], s[4:5], s[6:7]
	s_cbranch_execz .LBB359_4
.LBB359_2:
	s_andn2_b64 vcc, exec, s[4:5]
	s_cbranch_vccz .LBB359_5
	s_branch .LBB359_35
.LBB359_3:
	s_andn2_b64 vcc, exec, s[30:31]
	s_cbranch_vccnz .LBB359_2
.LBB359_4:
	s_lshl_b64 s[4:5], s[34:35], 3
	s_add_u32 s4, s16, s4
	s_addc_u32 s5, s17, s5
	s_load_dwordx2 s[4:5], s[4:5], 0x0
	s_lshl_b64 s[6:7], s[18:19], 4
	s_waitcnt lgkmcnt(0)
	s_add_u32 s30, s4, s6
	s_addc_u32 s31, s5, s7
.LBB359_5:
	s_load_dwordx2 s[18:19], s[0:1], 0x78
	s_load_dwordx4 s[4:7], s[0:1], 0x38
	s_load_dwordx2 s[24:25], s[0:1], 0x48
	s_xor_b64 s[36:37], s[26:27], -1
	s_mov_b64 s[16:17], 0
	s_andn2_b64 vcc, exec, s[26:27]
	s_mov_b64 s[26:27], 0
	s_cbranch_vccnz .LBB359_7
; %bb.6:
	s_lshl_b64 s[26:27], s[34:35], 3
	s_waitcnt lgkmcnt(0)
	s_add_u32 s4, s4, s26
	s_addc_u32 s5, s5, s27
	s_load_dwordx2 s[4:5], s[4:5], 0x0
	s_lshl_b64 s[6:7], s[6:7], 4
	s_waitcnt lgkmcnt(0)
	s_add_u32 s26, s4, s6
	s_addc_u32 s27, s5, s7
.LBB359_7:
	s_waitcnt lgkmcnt(0)
	s_lshl_b64 s[4:5], s[34:35], 3
	s_add_u32 s4, s8, s4
	s_addc_u32 s5, s9, s5
	s_load_dwordx2 s[4:5], s[4:5], 0x0
	s_lshl_b64 s[6:7], s[10:11], 4
	s_waitcnt lgkmcnt(0)
	s_add_u32 s3, s4, s6
	s_addc_u32 s33, s5, s7
	s_andn2_b64 vcc, exec, s[36:37]
	v_cmp_eq_u32_e64 s[4:5], 0, v0
	s_cbranch_vccnz .LBB359_14
; %bb.8:
	s_mov_b64 s[8:9], 0
                                        ; implicit-def: $vgpr4_vgpr5
                                        ; implicit-def: $sgpr6_sgpr7
	s_and_saveexec_b64 s[10:11], s[4:5]
	s_cbranch_execz .LBB359_15
; %bb.9:
	v_cmp_neq_f64_e64 s[4:5], s[12:13], 0
	v_cmp_neq_f64_e64 s[16:17], s[14:15], 0
	s_ashr_i32 s6, s2, 31
	s_mul_i32 s7, s2, s19
	s_mul_hi_u32 s34, s2, s18
	v_mov_b64_e32 v[4:5], 0
	s_add_i32 s7, s34, s7
	s_mul_i32 s6, s6, s18
	s_or_b64 s[4:5], s[4:5], s[16:17]
	s_add_i32 s7, s7, s6
	s_mul_i32 s6, s2, s18
	s_andn2_b64 vcc, exec, s[4:5]
	v_mov_b64_e32 v[2:3], v[4:5]
	s_cbranch_vccnz .LBB359_11
; %bb.10:
	s_lshl_b64 s[4:5], s[6:7], 4
	s_add_u32 s4, s3, s4
	s_addc_u32 s5, s33, s5
	s_load_dwordx4 s[36:39], s[4:5], 0x0
	s_waitcnt lgkmcnt(0)
	v_mov_b64_e32 v[2:3], s[38:39]
	v_mov_b64_e32 v[6:7], s[36:37]
	v_mul_f64 v[8:9], s[14:15], v[2:3]
	v_mul_f64 v[4:5], s[12:13], v[2:3]
	v_fma_f64 v[2:3], s[12:13], v[6:7], -v[8:9]
	v_fmac_f64_e32 v[4:5], s[14:15], v[6:7]
.LBB359_11:
	s_mov_b64 s[16:17], exec
	s_or_b64 exec, exec, s[10:11]
	s_and_b64 vcc, exec, s[8:9]
	s_cbranch_vccnz .LBB359_16
.LBB359_12:
	s_and_saveexec_b64 s[0:1], s[16:17]
	s_cbranch_execz .LBB359_35
.LBB359_13:
	s_lshl_b64 s[0:1], s[6:7], 4
	s_add_u32 s0, s3, s0
	s_addc_u32 s1, s33, s1
	v_mov_b32_e32 v0, 0
	global_store_dwordx4 v0, v[2:5], s[0:1]
	s_endpgm
.LBB359_14:
                                        ; implicit-def: $vgpr4_vgpr5
                                        ; implicit-def: $sgpr6_sgpr7
	s_cbranch_execnz .LBB359_16
	s_branch .LBB359_12
.LBB359_15:
	s_or_b64 exec, exec, s[10:11]
	s_and_b64 vcc, exec, s[8:9]
	s_cbranch_vccz .LBB359_12
.LBB359_16:
	s_load_dword s1, s[0:1], 0x0
	s_ashr_i32 s34, s2, 31
	s_mul_i32 s0, s2, s29
	s_mul_hi_u32 s4, s2, s28
	s_add_i32 s0, s4, s0
	s_mul_i32 s4, s34, s28
	s_add_i32 s5, s0, s4
	s_mul_i32 s4, s2, s28
	s_lshl_b64 s[4:5], s[4:5], 4
	s_add_u32 s4, s4, s30
	s_waitcnt lgkmcnt(0)
	v_cmp_gt_i32_e32 vcc, s1, v0
	s_addc_u32 s5, s5, s31
	s_ashr_i32 s0, s1, 31
	v_cndmask_b32_e32 v1, 0, v0, vcc
	s_lshr_b32 s0, s0, 24
	v_mov_b32_e32 v3, 0
	v_lshlrev_b32_e32 v2, 4, v1
	s_add_i32 s0, s1, s0
	v_lshl_add_u64 v[6:7], s[4:5], 0, v[2:3]
	s_and_b32 s0, s0, 0xffffff00
	v_mov_b64_e32 v[2:3], 0
	v_cmp_gt_i32_e32 vcc, s0, v0
	v_mov_b64_e32 v[4:5], v[2:3]
	s_and_saveexec_b64 s[4:5], vcc
	s_cbranch_execz .LBB359_20
; %bb.17:
	v_mad_u64_u32 v[2:3], s[6:7], s24, v0, 0
	v_mov_b32_e32 v4, v3
	v_mad_u64_u32 v[4:5], s[6:7], s25, v0, v[4:5]
	v_mov_b32_e32 v3, v4
	v_lshl_add_u64 v[8:9], v[2:3], 4, s[26:27]
	v_mov_b64_e32 v[2:3], 0
	s_lshl_b64 s[8:9], s[24:25], 12
	s_mov_b64 s[6:7], 0
	s_mov_b64 s[10:11], 0x1000
	v_mov_b64_e32 v[10:11], v[6:7]
	v_mov_b32_e32 v1, v0
	v_mov_b64_e32 v[4:5], v[2:3]
.LBB359_18:                             ; =>This Inner Loop Header: Depth=1
	flat_load_dwordx4 v[12:15], v[10:11]
	flat_load_dwordx4 v[16:19], v[8:9]
	v_add_u32_e32 v1, 0x100, v1
	v_cmp_le_i32_e32 vcc, s0, v1
	v_lshl_add_u64 v[10:11], v[10:11], 0, s[10:11]
	v_lshl_add_u64 v[8:9], v[8:9], 0, s[8:9]
	s_or_b64 s[6:7], vcc, s[6:7]
	s_waitcnt vmcnt(0) lgkmcnt(0)
	v_mul_f64 v[20:21], v[14:15], v[18:19]
	v_mul_f64 v[18:19], v[12:13], v[18:19]
	v_fma_f64 v[12:13], v[12:13], v[16:17], -v[20:21]
	v_fmac_f64_e32 v[18:19], v[14:15], v[16:17]
	v_add_f64 v[4:5], v[4:5], v[12:13]
	v_add_f64 v[2:3], v[2:3], v[18:19]
	s_andn2_b64 exec, exec, s[6:7]
	s_cbranch_execnz .LBB359_18
; %bb.19:
	s_or_b64 exec, exec, s[6:7]
.LBB359_20:
	s_or_b64 exec, exec, s[4:5]
	v_add_u32_e32 v1, s0, v0
	v_cmp_gt_i32_e32 vcc, s1, v1
	s_and_saveexec_b64 s[4:5], vcc
	s_cbranch_execz .LBB359_22
; %bb.21:
	s_ashr_i32 s1, s0, 31
	v_ashrrev_i32_e32 v10, 31, v1
	v_lshl_add_u64 v[6:7], s[0:1], 4, v[6:7]
	v_mul_lo_u32 v12, v1, s25
	v_mul_lo_u32 v13, v10, s24
	v_mad_u64_u32 v[10:11], s[0:1], v1, s24, 0
	v_add3_u32 v11, v11, v12, v13
	v_lshl_add_u64 v[10:11], v[10:11], 4, s[26:27]
	flat_load_dwordx4 v[6:9], v[6:7]
	s_nop 0
	flat_load_dwordx4 v[10:13], v[10:11]
	s_waitcnt vmcnt(0) lgkmcnt(0)
	v_mul_f64 v[14:15], v[8:9], v[12:13]
	v_mul_f64 v[12:13], v[6:7], v[12:13]
	v_fma_f64 v[6:7], v[6:7], v[10:11], -v[14:15]
	v_fmac_f64_e32 v[12:13], v[8:9], v[10:11]
	v_add_f64 v[4:5], v[4:5], v[6:7]
	v_add_f64 v[2:3], v[2:3], v[12:13]
.LBB359_22:
	s_or_b64 exec, exec, s[4:5]
	v_and_b32_e32 v10, 63, v0
	v_cmp_gt_u32_e32 vcc, 64, v0
	v_lshlrev_b32_e32 v1, 4, v10
	s_and_saveexec_b64 s[0:1], vcc
	s_cbranch_execz .LBB359_24
; %bb.23:
	v_mov_b32_e32 v6, 0
	v_mov_b32_e32 v7, v6
	;; [unrolled: 1-line block ×4, first 2 shown]
	ds_write_b128 v1, v[6:9]
.LBB359_24:
	s_or_b64 exec, exec, s[0:1]
	v_mbcnt_lo_u32_b32 v6, -1, 0
	v_mbcnt_hi_u32_b32 v12, -1, v6
	v_and_b32_e32 v13, 63, v12
	v_cmp_gt_u32_e64 s[0:1], 32, v13
	s_waitcnt lgkmcnt(0)
	s_barrier
	v_cndmask_b32_e64 v6, 0, 1, s[0:1]
	v_lshlrev_b32_e32 v6, 5, v6
	v_add_lshl_u32 v9, v6, v12, 2
	ds_bpermute_b32 v6, v9, v4
	ds_bpermute_b32 v7, v9, v5
	ds_bpermute_b32 v8, v9, v2
	ds_bpermute_b32 v9, v9, v3
	v_cmp_gt_u32_e64 s[0:1], 48, v13
	s_waitcnt lgkmcnt(0)
	v_add_f64 v[4:5], v[4:5], v[6:7]
	v_cndmask_b32_e64 v6, 0, 1, s[0:1]
	v_lshlrev_b32_e32 v6, 4, v6
	v_add_f64 v[2:3], v[2:3], v[8:9]
	v_add_lshl_u32 v9, v6, v12, 2
	ds_bpermute_b32 v6, v9, v4
	ds_bpermute_b32 v7, v9, v5
	;; [unrolled: 1-line block ×4, first 2 shown]
	v_cmp_gt_u32_e64 s[0:1], 56, v13
	s_waitcnt lgkmcnt(2)
	v_add_f64 v[4:5], v[4:5], v[6:7]
	v_cndmask_b32_e64 v6, 0, 1, s[0:1]
	v_lshlrev_b32_e32 v6, 3, v6
	s_waitcnt lgkmcnt(0)
	v_add_f64 v[2:3], v[2:3], v[8:9]
	v_add_lshl_u32 v9, v6, v12, 2
	ds_bpermute_b32 v6, v9, v4
	ds_bpermute_b32 v7, v9, v5
	ds_bpermute_b32 v8, v9, v2
	ds_bpermute_b32 v9, v9, v3
	v_cmp_gt_u32_e64 s[0:1], 60, v13
	s_waitcnt lgkmcnt(2)
	v_add_f64 v[4:5], v[4:5], v[6:7]
	v_cndmask_b32_e64 v6, 0, 1, s[0:1]
	v_lshlrev_b32_e32 v6, 2, v6
	s_waitcnt lgkmcnt(0)
	v_add_f64 v[2:3], v[2:3], v[8:9]
	v_add_lshl_u32 v9, v6, v12, 2
	ds_bpermute_b32 v6, v9, v4
	ds_bpermute_b32 v7, v9, v5
	;; [unrolled: 1-line block ×4, first 2 shown]
	v_cmp_gt_u32_e64 s[0:1], 62, v13
	s_waitcnt lgkmcnt(2)
	v_add_f64 v[4:5], v[4:5], v[6:7]
	s_waitcnt lgkmcnt(0)
	v_add_f64 v[6:7], v[2:3], v[8:9]
	v_cndmask_b32_e64 v2, 0, 1, s[0:1]
	v_lshlrev_b32_e32 v2, 1, v2
	v_add_lshl_u32 v11, v2, v12, 2
	ds_bpermute_b32 v2, v11, v4
	ds_bpermute_b32 v3, v11, v5
	;; [unrolled: 1-line block ×4, first 2 shown]
	v_cmp_ne_u32_e64 s[0:1], 63, v13
	s_waitcnt lgkmcnt(2)
	v_add_f64 v[2:3], v[4:5], v[2:3]
	v_addc_co_u32_e64 v4, s[0:1], 0, v12, s[0:1]
	s_waitcnt lgkmcnt(0)
	v_add_f64 v[6:7], v[6:7], v[8:9]
	v_lshlrev_b32_e32 v12, 2, v4
	ds_bpermute_b32 v4, v12, v2
	ds_bpermute_b32 v5, v12, v3
	;; [unrolled: 1-line block ×4, first 2 shown]
	v_cmp_eq_u32_e64 s[0:1], 0, v10
	s_and_saveexec_b64 s[4:5], s[0:1]
	s_cbranch_execz .LBB359_26
; %bb.25:
	v_lshrrev_b32_e32 v10, 2, v0
	v_and_b32_e32 v10, 48, v10
	s_waitcnt lgkmcnt(0)
	v_add_f64 v[6:7], v[6:7], v[8:9]
	v_add_f64 v[4:5], v[2:3], v[4:5]
	ds_write_b128 v10, v[4:7]
.LBB359_26:
	s_or_b64 exec, exec, s[4:5]
	s_waitcnt lgkmcnt(0)
	v_mov_b64_e32 v[8:9], 0
	v_cmp_gt_u32_e64 s[0:1], 4, v0
	v_mov_b64_e32 v[6:7], v[8:9]
	s_barrier
	s_and_saveexec_b64 s[4:5], s[0:1]
	s_cbranch_execz .LBB359_28
; %bb.27:
	ds_read_b128 v[6:9], v1
	s_or_b64 exec, exec, s[4:5]
	s_and_saveexec_b64 s[0:1], vcc
	s_cbranch_execz .LBB359_30
	s_branch .LBB359_29
.LBB359_28:
	s_or_b64 exec, exec, s[4:5]
	s_and_saveexec_b64 s[0:1], vcc
	s_cbranch_execz .LBB359_30
.LBB359_29:
	s_waitcnt lgkmcnt(0)
	ds_bpermute_b32 v2, v11, v6
	ds_bpermute_b32 v3, v11, v7
	;; [unrolled: 1-line block ×4, first 2 shown]
	s_waitcnt lgkmcnt(2)
	v_add_f64 v[2:3], v[6:7], v[2:3]
	ds_bpermute_b32 v6, v12, v2
	s_waitcnt lgkmcnt(1)
	v_add_f64 v[4:5], v[8:9], v[4:5]
	ds_bpermute_b32 v7, v12, v3
	ds_bpermute_b32 v8, v12, v4
	;; [unrolled: 1-line block ×3, first 2 shown]
	s_waitcnt lgkmcnt(2)
	v_add_f64 v[6:7], v[2:3], v[6:7]
	s_waitcnt lgkmcnt(0)
	v_add_f64 v[8:9], v[4:5], v[8:9]
.LBB359_30:
	s_or_b64 exec, exec, s[0:1]
	v_cmp_eq_u32_e32 vcc, 0, v0
                                        ; implicit-def: $vgpr4_vgpr5
                                        ; implicit-def: $sgpr6_sgpr7
	s_and_saveexec_b64 s[0:1], vcc
	s_cbranch_execz .LBB359_34
; %bb.31:
	v_cmp_neq_f64_e64 s[4:5], s[12:13], 0
	v_cmp_neq_f64_e64 s[8:9], s[14:15], 0
	s_mul_i32 s6, s2, s19
	s_mul_hi_u32 s7, s2, s18
	s_waitcnt lgkmcnt(0)
	v_mul_f64 v[0:1], s[22:23], v[8:9]
	v_mul_f64 v[4:5], s[20:21], v[8:9]
	s_add_i32 s6, s7, s6
	s_mul_i32 s7, s34, s18
	s_or_b64 s[4:5], s[4:5], s[8:9]
	v_fma_f64 v[2:3], s[20:21], v[6:7], -v[0:1]
	v_fmac_f64_e32 v[4:5], s[22:23], v[6:7]
	s_add_i32 s7, s6, s7
	s_andn2_b64 vcc, exec, s[4:5]
	s_mul_i32 s6, s2, s18
	s_cbranch_vccnz .LBB359_33
; %bb.32:
	s_lshl_b64 s[4:5], s[6:7], 4
	s_add_u32 s4, s3, s4
	s_addc_u32 s5, s33, s5
	s_load_dwordx4 s[8:11], s[4:5], 0x0
	s_waitcnt lgkmcnt(0)
	v_mov_b64_e32 v[0:1], s[10:11]
	v_mov_b64_e32 v[6:7], s[8:9]
	v_mul_f64 v[8:9], s[14:15], v[0:1]
	v_mul_f64 v[0:1], s[12:13], v[0:1]
	v_fma_f64 v[8:9], s[12:13], v[6:7], -v[8:9]
	v_fmac_f64_e32 v[0:1], s[14:15], v[6:7]
	v_add_f64 v[2:3], v[2:3], v[8:9]
	v_add_f64 v[4:5], v[4:5], v[0:1]
.LBB359_33:
	s_or_b64 s[16:17], s[16:17], exec
.LBB359_34:
	s_or_b64 exec, exec, s[0:1]
	s_and_saveexec_b64 s[0:1], s[16:17]
	s_cbranch_execnz .LBB359_13
.LBB359_35:
	s_endpgm
	.section	.rodata,"a",@progbits
	.p2align	6, 0x0
	.amdhsa_kernel _ZL32rocblas_gemvt_warp_reduce_kernelILb0ELi256ElPK19rocblas_complex_numIdES3_KPS1_EviiT3_lPKT2_lT1_lS9_lSA_lS6_lPT4_lSA_li
		.amdhsa_group_segment_fixed_size 1024
		.amdhsa_private_segment_fixed_size 0
		.amdhsa_kernarg_size 140
		.amdhsa_user_sgpr_count 2
		.amdhsa_user_sgpr_dispatch_ptr 0
		.amdhsa_user_sgpr_queue_ptr 0
		.amdhsa_user_sgpr_kernarg_segment_ptr 1
		.amdhsa_user_sgpr_dispatch_id 0
		.amdhsa_user_sgpr_kernarg_preload_length 0
		.amdhsa_user_sgpr_kernarg_preload_offset 0
		.amdhsa_user_sgpr_private_segment_size 0
		.amdhsa_uses_dynamic_stack 0
		.amdhsa_enable_private_segment 0
		.amdhsa_system_sgpr_workgroup_id_x 1
		.amdhsa_system_sgpr_workgroup_id_y 0
		.amdhsa_system_sgpr_workgroup_id_z 1
		.amdhsa_system_sgpr_workgroup_info 0
		.amdhsa_system_vgpr_workitem_id 0
		.amdhsa_next_free_vgpr 22
		.amdhsa_next_free_sgpr 40
		.amdhsa_accum_offset 24
		.amdhsa_reserve_vcc 1
		.amdhsa_float_round_mode_32 0
		.amdhsa_float_round_mode_16_64 0
		.amdhsa_float_denorm_mode_32 3
		.amdhsa_float_denorm_mode_16_64 3
		.amdhsa_dx10_clamp 1
		.amdhsa_ieee_mode 1
		.amdhsa_fp16_overflow 0
		.amdhsa_tg_split 0
		.amdhsa_exception_fp_ieee_invalid_op 0
		.amdhsa_exception_fp_denorm_src 0
		.amdhsa_exception_fp_ieee_div_zero 0
		.amdhsa_exception_fp_ieee_overflow 0
		.amdhsa_exception_fp_ieee_underflow 0
		.amdhsa_exception_fp_ieee_inexact 0
		.amdhsa_exception_int_div_zero 0
	.end_amdhsa_kernel
	.section	.text._ZL32rocblas_gemvt_warp_reduce_kernelILb0ELi256ElPK19rocblas_complex_numIdES3_KPS1_EviiT3_lPKT2_lT1_lS9_lSA_lS6_lPT4_lSA_li,"axG",@progbits,_ZL32rocblas_gemvt_warp_reduce_kernelILb0ELi256ElPK19rocblas_complex_numIdES3_KPS1_EviiT3_lPKT2_lT1_lS9_lSA_lS6_lPT4_lSA_li,comdat
.Lfunc_end359:
	.size	_ZL32rocblas_gemvt_warp_reduce_kernelILb0ELi256ElPK19rocblas_complex_numIdES3_KPS1_EviiT3_lPKT2_lT1_lS9_lSA_lS6_lPT4_lSA_li, .Lfunc_end359-_ZL32rocblas_gemvt_warp_reduce_kernelILb0ELi256ElPK19rocblas_complex_numIdES3_KPS1_EviiT3_lPKT2_lT1_lS9_lSA_lS6_lPT4_lSA_li
                                        ; -- End function
	.section	.AMDGPU.csdata,"",@progbits
; Kernel info:
; codeLenInByte = 1996
; NumSgprs: 46
; NumVgprs: 22
; NumAgprs: 0
; TotalNumVgprs: 22
; ScratchSize: 0
; MemoryBound: 0
; FloatMode: 240
; IeeeMode: 1
; LDSByteSize: 1024 bytes/workgroup (compile time only)
; SGPRBlocks: 5
; VGPRBlocks: 2
; NumSGPRsForWavesPerEU: 46
; NumVGPRsForWavesPerEU: 22
; AccumOffset: 24
; Occupancy: 8
; WaveLimiterHint : 1
; COMPUTE_PGM_RSRC2:SCRATCH_EN: 0
; COMPUTE_PGM_RSRC2:USER_SGPR: 2
; COMPUTE_PGM_RSRC2:TRAP_HANDLER: 0
; COMPUTE_PGM_RSRC2:TGID_X_EN: 1
; COMPUTE_PGM_RSRC2:TGID_Y_EN: 0
; COMPUTE_PGM_RSRC2:TGID_Z_EN: 1
; COMPUTE_PGM_RSRC2:TIDIG_COMP_CNT: 0
; COMPUTE_PGM_RSRC3_GFX90A:ACCUM_OFFSET: 5
; COMPUTE_PGM_RSRC3_GFX90A:TG_SPLIT: 0
	.section	.text._ZL32rocblas_gemvt_warp_reduce_kernelILb0ELi256EiPK19rocblas_complex_numIdES1_KPS1_EviiT3_lPKT2_lT1_lS9_lSA_lS6_lPT4_lSA_li,"axG",@progbits,_ZL32rocblas_gemvt_warp_reduce_kernelILb0ELi256EiPK19rocblas_complex_numIdES1_KPS1_EviiT3_lPKT2_lT1_lS9_lSA_lS6_lPT4_lSA_li,comdat
	.globl	_ZL32rocblas_gemvt_warp_reduce_kernelILb0ELi256EiPK19rocblas_complex_numIdES1_KPS1_EviiT3_lPKT2_lT1_lS9_lSA_lS6_lPT4_lSA_li ; -- Begin function _ZL32rocblas_gemvt_warp_reduce_kernelILb0ELi256EiPK19rocblas_complex_numIdES1_KPS1_EviiT3_lPKT2_lT1_lS9_lSA_lS6_lPT4_lSA_li
	.p2align	8
	.type	_ZL32rocblas_gemvt_warp_reduce_kernelILb0ELi256EiPK19rocblas_complex_numIdES1_KPS1_EviiT3_lPKT2_lT1_lS9_lSA_lS6_lPT4_lSA_li,@function
_ZL32rocblas_gemvt_warp_reduce_kernelILb0ELi256EiPK19rocblas_complex_numIdES1_KPS1_EviiT3_lPKT2_lT1_lS9_lSA_lS6_lPT4_lSA_li: ; @_ZL32rocblas_gemvt_warp_reduce_kernelILb0ELi256EiPK19rocblas_complex_numIdES1_KPS1_EviiT3_lPKT2_lT1_lS9_lSA_lS6_lPT4_lSA_li
; %bb.0:
	s_load_dwordx4 s[12:15], s[0:1], 0x8
	s_load_dwordx4 s[8:11], s[0:1], 0x60
	s_mov_b32 s4, s3
	s_mov_b64 s[6:7], 0
	s_mov_b64 s[20:21], -1
	s_waitcnt lgkmcnt(0)
	v_cmp_neq_f64_e64 s[16:17], s[12:13], 0
	v_cmp_neq_f64_e64 s[18:19], s[14:15], 0
	s_or_b64 s[16:17], s[16:17], s[18:19]
	s_and_b64 vcc, exec, s[16:17]
	s_cbranch_vccnz .LBB360_3
; %bb.1:
	v_cmp_eq_f64_e64 s[6:7], s[8:9], 1.0
	v_cmp_eq_f64_e64 s[18:19], s[10:11], 0
	s_and_b64 s[6:7], s[6:7], s[18:19]
	s_andn2_b64 vcc, exec, s[6:7]
	s_mov_b64 s[20:21], 0
	s_cbranch_vccz .LBB360_13
; %bb.2:
	s_mov_b32 s5, 0
	s_mov_b64 s[6:7], -1
	s_mov_b64 s[18:19], 0
	s_and_b64 vcc, exec, s[20:21]
	s_cbranch_vccnz .LBB360_4
	s_branch .LBB360_5
.LBB360_3:
                                        ; implicit-def: $sgpr18_sgpr19
	s_and_b64 vcc, exec, s[20:21]
	s_cbranch_vccz .LBB360_5
.LBB360_4:
	s_load_dwordx4 s[20:23], s[0:1], 0x20
	s_mov_b32 s5, 0
	s_lshl_b64 s[6:7], s[4:5], 3
	s_waitcnt lgkmcnt(0)
	s_add_u32 s6, s20, s6
	s_addc_u32 s7, s21, s7
	s_load_dwordx2 s[6:7], s[6:7], 0x0
	s_lshl_b64 s[18:19], s[22:23], 4
	s_waitcnt lgkmcnt(0)
	s_add_u32 s18, s6, s18
	s_addc_u32 s19, s7, s19
	s_mov_b64 s[6:7], -1
.LBB360_5:
	s_andn2_b64 vcc, exec, s[6:7]
	s_cbranch_vccnz .LBB360_37
; %bb.6:
	s_xor_b64 s[20:21], s[16:17], -1
	s_mov_b64 s[6:7], 0
	s_andn2_b64 vcc, exec, s[16:17]
	s_mov_b64 s[16:17], 0
	s_cbranch_vccnz .LBB360_8
; %bb.7:
	s_load_dwordx4 s[24:27], s[0:1], 0x40
	s_lshl_b64 s[16:17], s[4:5], 3
	s_waitcnt lgkmcnt(0)
	s_add_u32 s16, s24, s16
	s_addc_u32 s17, s25, s17
	s_load_dwordx2 s[16:17], s[16:17], 0x0
	s_lshl_b64 s[22:23], s[26:27], 4
	s_waitcnt lgkmcnt(0)
	s_add_u32 s16, s16, s22
	s_addc_u32 s17, s17, s23
.LBB360_8:
	s_load_dwordx4 s[28:31], s[0:1], 0x78
	s_load_dword s27, s[0:1], 0x88
	s_lshl_b64 s[4:5], s[4:5], 3
	s_waitcnt lgkmcnt(0)
	s_add_u32 s4, s28, s4
	s_addc_u32 s5, s29, s5
	s_load_dwordx2 s[4:5], s[4:5], 0x0
	s_lshl_b64 s[22:23], s[30:31], 4
	s_waitcnt lgkmcnt(0)
	s_add_u32 s3, s4, s22
	s_addc_u32 s26, s5, s23
	s_andn2_b64 vcc, exec, s[20:21]
	v_cmp_eq_u32_e64 s[4:5], 0, v0
	s_cbranch_vccnz .LBB360_14
; %bb.9:
	s_mov_b64 s[22:23], 0
                                        ; implicit-def: $vgpr4_vgpr5
                                        ; implicit-def: $sgpr20_sgpr21
	s_and_saveexec_b64 s[24:25], s[4:5]
	s_cbranch_execz .LBB360_15
; %bb.10:
	v_cmp_neq_f64_e64 s[4:5], s[8:9], 0
	v_cmp_neq_f64_e64 s[6:7], s[10:11], 0
	v_mov_b64_e32 v[4:5], 0
	s_mul_i32 s20, s2, s27
	s_or_b64 s[4:5], s[4:5], s[6:7]
	s_ashr_i32 s21, s20, 31
	s_andn2_b64 vcc, exec, s[4:5]
	v_mov_b64_e32 v[2:3], v[4:5]
	s_cbranch_vccnz .LBB360_12
; %bb.11:
	s_lshl_b64 s[4:5], s[20:21], 4
	s_add_u32 s4, s3, s4
	s_addc_u32 s5, s26, s5
	s_load_dwordx4 s[4:7], s[4:5], 0x0
	s_waitcnt lgkmcnt(0)
	v_mov_b64_e32 v[2:3], s[6:7]
	v_mov_b64_e32 v[6:7], s[4:5]
	v_mul_f64 v[8:9], s[10:11], v[2:3]
	v_mul_f64 v[4:5], s[8:9], v[2:3]
	v_fma_f64 v[2:3], s[8:9], v[6:7], -v[8:9]
	v_fmac_f64_e32 v[4:5], s[10:11], v[6:7]
.LBB360_12:
	s_mov_b64 s[6:7], exec
	s_or_b64 exec, exec, s[24:25]
	s_and_b64 vcc, exec, s[22:23]
	s_cbranch_vccnz .LBB360_16
	s_branch .LBB360_35
.LBB360_13:
                                        ; implicit-def: $sgpr18_sgpr19
	s_mov_b64 s[6:7], 0
	s_and_b64 vcc, exec, s[20:21]
	s_cbranch_vccnz .LBB360_4
	s_branch .LBB360_5
.LBB360_14:
                                        ; implicit-def: $vgpr4_vgpr5
                                        ; implicit-def: $sgpr20_sgpr21
	s_cbranch_execnz .LBB360_16
	s_branch .LBB360_35
.LBB360_15:
	s_or_b64 exec, exec, s[24:25]
	s_and_b64 vcc, exec, s[22:23]
	s_cbranch_vccz .LBB360_35
.LBB360_16:
	s_load_dword s23, s[0:1], 0x0
	s_load_dword s4, s[0:1], 0x30
	s_load_dword s22, s[0:1], 0x50
	v_mov_b32_e32 v3, 0
	s_waitcnt lgkmcnt(0)
	v_cmp_gt_i32_e32 vcc, s23, v0
	s_mul_i32 s0, s2, s4
	s_ashr_i32 s1, s0, 31
	s_lshl_b64 s[0:1], s[0:1], 4
	v_cndmask_b32_e32 v1, 0, v0, vcc
	s_add_u32 s0, s0, s18
	v_lshlrev_b32_e32 v2, 4, v1
	s_addc_u32 s1, s1, s19
	v_lshl_add_u64 v[6:7], s[0:1], 0, v[2:3]
	s_ashr_i32 s0, s23, 31
	s_lshr_b32 s0, s0, 24
	s_add_i32 s0, s23, s0
	s_and_b32 s0, s0, 0xffffff00
	v_mov_b64_e32 v[2:3], 0
	v_cmp_gt_i32_e32 vcc, s0, v0
	v_mov_b64_e32 v[4:5], v[2:3]
	s_and_saveexec_b64 s[4:5], vcc
	s_cbranch_execz .LBB360_20
; %bb.17:
	v_mov_b64_e32 v[2:3], 0
	v_mul_lo_u32 v8, v0, s22
	s_lshl_b32 s1, s22, 8
	s_mov_b64 s[18:19], 0
	s_mov_b64 s[20:21], 0x1000
	v_mov_b64_e32 v[10:11], v[6:7]
	v_mov_b32_e32 v1, v0
	v_mov_b64_e32 v[4:5], v[2:3]
.LBB360_18:                             ; =>This Inner Loop Header: Depth=1
	v_ashrrev_i32_e32 v9, 31, v8
	v_lshl_add_u64 v[16:17], v[8:9], 4, s[16:17]
	flat_load_dwordx4 v[12:15], v[10:11]
	v_add_u32_e32 v1, 0x100, v1
	flat_load_dwordx4 v[16:19], v[16:17]
	v_cmp_le_i32_e32 vcc, s0, v1
	v_lshl_add_u64 v[10:11], v[10:11], 0, s[20:21]
	v_add_u32_e32 v8, s1, v8
	s_or_b64 s[18:19], vcc, s[18:19]
	s_waitcnt vmcnt(0) lgkmcnt(0)
	v_mul_f64 v[20:21], v[14:15], v[18:19]
	v_mul_f64 v[18:19], v[12:13], v[18:19]
	v_fma_f64 v[12:13], v[12:13], v[16:17], -v[20:21]
	v_fmac_f64_e32 v[18:19], v[14:15], v[16:17]
	v_add_f64 v[4:5], v[4:5], v[12:13]
	v_add_f64 v[2:3], v[2:3], v[18:19]
	s_andn2_b64 exec, exec, s[18:19]
	s_cbranch_execnz .LBB360_18
; %bb.19:
	s_or_b64 exec, exec, s[18:19]
.LBB360_20:
	s_or_b64 exec, exec, s[4:5]
	v_add_u32_e32 v1, s0, v0
	v_cmp_gt_i32_e32 vcc, s23, v1
	s_and_saveexec_b64 s[4:5], vcc
	s_cbranch_execz .LBB360_22
; %bb.21:
	v_mul_lo_u32 v10, v1, s22
	s_ashr_i32 s1, s0, 31
	v_ashrrev_i32_e32 v11, 31, v10
	v_lshl_add_u64 v[6:7], s[0:1], 4, v[6:7]
	v_lshl_add_u64 v[10:11], v[10:11], 4, s[16:17]
	flat_load_dwordx4 v[6:9], v[6:7]
	s_nop 0
	flat_load_dwordx4 v[10:13], v[10:11]
	s_waitcnt vmcnt(0) lgkmcnt(0)
	v_mul_f64 v[14:15], v[8:9], v[12:13]
	v_mul_f64 v[12:13], v[6:7], v[12:13]
	v_fma_f64 v[6:7], v[6:7], v[10:11], -v[14:15]
	v_fmac_f64_e32 v[12:13], v[8:9], v[10:11]
	v_add_f64 v[4:5], v[4:5], v[6:7]
	v_add_f64 v[2:3], v[2:3], v[12:13]
.LBB360_22:
	s_or_b64 exec, exec, s[4:5]
	v_and_b32_e32 v10, 63, v0
	v_cmp_gt_u32_e32 vcc, 64, v0
	v_lshlrev_b32_e32 v1, 4, v10
	s_and_saveexec_b64 s[0:1], vcc
	s_cbranch_execz .LBB360_24
; %bb.23:
	v_mov_b32_e32 v6, 0
	v_mov_b32_e32 v7, v6
	;; [unrolled: 1-line block ×4, first 2 shown]
	ds_write_b128 v1, v[6:9]
.LBB360_24:
	s_or_b64 exec, exec, s[0:1]
	v_mbcnt_lo_u32_b32 v6, -1, 0
	v_mbcnt_hi_u32_b32 v12, -1, v6
	v_and_b32_e32 v13, 63, v12
	v_cmp_gt_u32_e64 s[0:1], 32, v13
	s_waitcnt lgkmcnt(0)
	s_barrier
	v_cndmask_b32_e64 v6, 0, 1, s[0:1]
	v_lshlrev_b32_e32 v6, 5, v6
	v_add_lshl_u32 v9, v6, v12, 2
	ds_bpermute_b32 v6, v9, v4
	ds_bpermute_b32 v7, v9, v5
	;; [unrolled: 1-line block ×4, first 2 shown]
	v_cmp_gt_u32_e64 s[0:1], 48, v13
	s_waitcnt lgkmcnt(0)
	v_add_f64 v[4:5], v[4:5], v[6:7]
	v_cndmask_b32_e64 v6, 0, 1, s[0:1]
	v_lshlrev_b32_e32 v6, 4, v6
	v_add_f64 v[2:3], v[2:3], v[8:9]
	v_add_lshl_u32 v9, v6, v12, 2
	ds_bpermute_b32 v6, v9, v4
	ds_bpermute_b32 v7, v9, v5
	;; [unrolled: 1-line block ×4, first 2 shown]
	v_cmp_gt_u32_e64 s[0:1], 56, v13
	s_waitcnt lgkmcnt(2)
	v_add_f64 v[4:5], v[4:5], v[6:7]
	v_cndmask_b32_e64 v6, 0, 1, s[0:1]
	v_lshlrev_b32_e32 v6, 3, v6
	s_waitcnt lgkmcnt(0)
	v_add_f64 v[2:3], v[2:3], v[8:9]
	v_add_lshl_u32 v9, v6, v12, 2
	ds_bpermute_b32 v6, v9, v4
	ds_bpermute_b32 v7, v9, v5
	;; [unrolled: 1-line block ×4, first 2 shown]
	v_cmp_gt_u32_e64 s[0:1], 60, v13
	s_waitcnt lgkmcnt(2)
	v_add_f64 v[4:5], v[4:5], v[6:7]
	v_cndmask_b32_e64 v6, 0, 1, s[0:1]
	v_lshlrev_b32_e32 v6, 2, v6
	s_waitcnt lgkmcnt(0)
	v_add_f64 v[2:3], v[2:3], v[8:9]
	v_add_lshl_u32 v9, v6, v12, 2
	ds_bpermute_b32 v6, v9, v4
	ds_bpermute_b32 v7, v9, v5
	;; [unrolled: 1-line block ×4, first 2 shown]
	v_cmp_gt_u32_e64 s[0:1], 62, v13
	s_waitcnt lgkmcnt(2)
	v_add_f64 v[4:5], v[4:5], v[6:7]
	s_waitcnt lgkmcnt(0)
	v_add_f64 v[6:7], v[2:3], v[8:9]
	v_cndmask_b32_e64 v2, 0, 1, s[0:1]
	v_lshlrev_b32_e32 v2, 1, v2
	v_add_lshl_u32 v11, v2, v12, 2
	ds_bpermute_b32 v2, v11, v4
	ds_bpermute_b32 v3, v11, v5
	;; [unrolled: 1-line block ×4, first 2 shown]
	v_cmp_ne_u32_e64 s[0:1], 63, v13
	s_waitcnt lgkmcnt(2)
	v_add_f64 v[2:3], v[4:5], v[2:3]
	v_addc_co_u32_e64 v4, s[0:1], 0, v12, s[0:1]
	s_waitcnt lgkmcnt(0)
	v_add_f64 v[6:7], v[6:7], v[8:9]
	v_lshlrev_b32_e32 v12, 2, v4
	ds_bpermute_b32 v4, v12, v2
	ds_bpermute_b32 v5, v12, v3
	;; [unrolled: 1-line block ×4, first 2 shown]
	v_cmp_eq_u32_e64 s[0:1], 0, v10
	s_and_saveexec_b64 s[4:5], s[0:1]
	s_cbranch_execz .LBB360_26
; %bb.25:
	v_lshrrev_b32_e32 v10, 2, v0
	v_and_b32_e32 v10, 48, v10
	s_waitcnt lgkmcnt(0)
	v_add_f64 v[6:7], v[6:7], v[8:9]
	v_add_f64 v[4:5], v[2:3], v[4:5]
	ds_write_b128 v10, v[4:7]
.LBB360_26:
	s_or_b64 exec, exec, s[4:5]
	s_waitcnt lgkmcnt(0)
	v_mov_b64_e32 v[8:9], 0
	v_cmp_gt_u32_e64 s[0:1], 4, v0
	v_mov_b64_e32 v[6:7], v[8:9]
	s_barrier
	s_and_saveexec_b64 s[4:5], s[0:1]
	s_cbranch_execz .LBB360_28
; %bb.27:
	ds_read_b128 v[6:9], v1
	s_or_b64 exec, exec, s[4:5]
	s_and_saveexec_b64 s[0:1], vcc
	s_cbranch_execz .LBB360_30
	s_branch .LBB360_29
.LBB360_28:
	s_or_b64 exec, exec, s[4:5]
	s_and_saveexec_b64 s[0:1], vcc
	s_cbranch_execz .LBB360_30
.LBB360_29:
	s_waitcnt lgkmcnt(0)
	ds_bpermute_b32 v2, v11, v6
	ds_bpermute_b32 v3, v11, v7
	;; [unrolled: 1-line block ×4, first 2 shown]
	s_waitcnt lgkmcnt(2)
	v_add_f64 v[2:3], v[6:7], v[2:3]
	ds_bpermute_b32 v6, v12, v2
	s_waitcnt lgkmcnt(1)
	v_add_f64 v[4:5], v[8:9], v[4:5]
	ds_bpermute_b32 v7, v12, v3
	ds_bpermute_b32 v8, v12, v4
	;; [unrolled: 1-line block ×3, first 2 shown]
	s_waitcnt lgkmcnt(2)
	v_add_f64 v[6:7], v[2:3], v[6:7]
	s_waitcnt lgkmcnt(0)
	v_add_f64 v[8:9], v[4:5], v[8:9]
.LBB360_30:
	s_or_b64 exec, exec, s[0:1]
	v_cmp_eq_u32_e32 vcc, 0, v0
                                        ; implicit-def: $vgpr4_vgpr5
                                        ; implicit-def: $sgpr20_sgpr21
	s_and_saveexec_b64 s[0:1], vcc
	s_cbranch_execz .LBB360_34
; %bb.31:
	v_cmp_neq_f64_e64 s[4:5], s[8:9], 0
	v_cmp_neq_f64_e64 s[16:17], s[10:11], 0
	s_waitcnt lgkmcnt(0)
	v_mul_f64 v[0:1], s[14:15], v[8:9]
	v_mul_f64 v[4:5], s[12:13], v[8:9]
	s_mul_i32 s20, s2, s27
	s_or_b64 s[4:5], s[4:5], s[16:17]
	v_fma_f64 v[2:3], s[12:13], v[6:7], -v[0:1]
	v_fmac_f64_e32 v[4:5], s[14:15], v[6:7]
	s_andn2_b64 vcc, exec, s[4:5]
	s_ashr_i32 s21, s20, 31
	s_cbranch_vccnz .LBB360_33
; %bb.32:
	s_lshl_b64 s[4:5], s[20:21], 4
	s_add_u32 s4, s3, s4
	s_addc_u32 s5, s26, s5
	s_load_dwordx4 s[12:15], s[4:5], 0x0
	s_waitcnt lgkmcnt(0)
	v_mov_b64_e32 v[0:1], s[14:15]
	v_mov_b64_e32 v[6:7], s[12:13]
	v_mul_f64 v[8:9], s[10:11], v[0:1]
	v_mul_f64 v[0:1], s[8:9], v[0:1]
	v_fma_f64 v[8:9], s[8:9], v[6:7], -v[8:9]
	v_fmac_f64_e32 v[0:1], s[10:11], v[6:7]
	v_add_f64 v[2:3], v[2:3], v[8:9]
	v_add_f64 v[4:5], v[4:5], v[0:1]
.LBB360_33:
	s_or_b64 s[6:7], s[6:7], exec
.LBB360_34:
	s_or_b64 exec, exec, s[0:1]
.LBB360_35:
	s_and_saveexec_b64 s[0:1], s[6:7]
	s_cbranch_execz .LBB360_37
; %bb.36:
	s_lshl_b64 s[0:1], s[20:21], 4
	s_add_u32 s0, s3, s0
	s_addc_u32 s1, s26, s1
	v_mov_b32_e32 v0, 0
	global_store_dwordx4 v0, v[2:5], s[0:1]
.LBB360_37:
	s_endpgm
	.section	.rodata,"a",@progbits
	.p2align	6, 0x0
	.amdhsa_kernel _ZL32rocblas_gemvt_warp_reduce_kernelILb0ELi256EiPK19rocblas_complex_numIdES1_KPS1_EviiT3_lPKT2_lT1_lS9_lSA_lS6_lPT4_lSA_li
		.amdhsa_group_segment_fixed_size 1024
		.amdhsa_private_segment_fixed_size 0
		.amdhsa_kernarg_size 156
		.amdhsa_user_sgpr_count 2
		.amdhsa_user_sgpr_dispatch_ptr 0
		.amdhsa_user_sgpr_queue_ptr 0
		.amdhsa_user_sgpr_kernarg_segment_ptr 1
		.amdhsa_user_sgpr_dispatch_id 0
		.amdhsa_user_sgpr_kernarg_preload_length 0
		.amdhsa_user_sgpr_kernarg_preload_offset 0
		.amdhsa_user_sgpr_private_segment_size 0
		.amdhsa_uses_dynamic_stack 0
		.amdhsa_enable_private_segment 0
		.amdhsa_system_sgpr_workgroup_id_x 1
		.amdhsa_system_sgpr_workgroup_id_y 0
		.amdhsa_system_sgpr_workgroup_id_z 1
		.amdhsa_system_sgpr_workgroup_info 0
		.amdhsa_system_vgpr_workitem_id 0
		.amdhsa_next_free_vgpr 22
		.amdhsa_next_free_sgpr 32
		.amdhsa_accum_offset 24
		.amdhsa_reserve_vcc 1
		.amdhsa_float_round_mode_32 0
		.amdhsa_float_round_mode_16_64 0
		.amdhsa_float_denorm_mode_32 3
		.amdhsa_float_denorm_mode_16_64 3
		.amdhsa_dx10_clamp 1
		.amdhsa_ieee_mode 1
		.amdhsa_fp16_overflow 0
		.amdhsa_tg_split 0
		.amdhsa_exception_fp_ieee_invalid_op 0
		.amdhsa_exception_fp_denorm_src 0
		.amdhsa_exception_fp_ieee_div_zero 0
		.amdhsa_exception_fp_ieee_overflow 0
		.amdhsa_exception_fp_ieee_underflow 0
		.amdhsa_exception_fp_ieee_inexact 0
		.amdhsa_exception_int_div_zero 0
	.end_amdhsa_kernel
	.section	.text._ZL32rocblas_gemvt_warp_reduce_kernelILb0ELi256EiPK19rocblas_complex_numIdES1_KPS1_EviiT3_lPKT2_lT1_lS9_lSA_lS6_lPT4_lSA_li,"axG",@progbits,_ZL32rocblas_gemvt_warp_reduce_kernelILb0ELi256EiPK19rocblas_complex_numIdES1_KPS1_EviiT3_lPKT2_lT1_lS9_lSA_lS6_lPT4_lSA_li,comdat
.Lfunc_end360:
	.size	_ZL32rocblas_gemvt_warp_reduce_kernelILb0ELi256EiPK19rocblas_complex_numIdES1_KPS1_EviiT3_lPKT2_lT1_lS9_lSA_lS6_lPT4_lSA_li, .Lfunc_end360-_ZL32rocblas_gemvt_warp_reduce_kernelILb0ELi256EiPK19rocblas_complex_numIdES1_KPS1_EviiT3_lPKT2_lT1_lS9_lSA_lS6_lPT4_lSA_li
                                        ; -- End function
	.section	.AMDGPU.csdata,"",@progbits
; Kernel info:
; codeLenInByte = 1880
; NumSgprs: 38
; NumVgprs: 22
; NumAgprs: 0
; TotalNumVgprs: 22
; ScratchSize: 0
; MemoryBound: 0
; FloatMode: 240
; IeeeMode: 1
; LDSByteSize: 1024 bytes/workgroup (compile time only)
; SGPRBlocks: 4
; VGPRBlocks: 2
; NumSGPRsForWavesPerEU: 38
; NumVGPRsForWavesPerEU: 22
; AccumOffset: 24
; Occupancy: 8
; WaveLimiterHint : 1
; COMPUTE_PGM_RSRC2:SCRATCH_EN: 0
; COMPUTE_PGM_RSRC2:USER_SGPR: 2
; COMPUTE_PGM_RSRC2:TRAP_HANDLER: 0
; COMPUTE_PGM_RSRC2:TGID_X_EN: 1
; COMPUTE_PGM_RSRC2:TGID_Y_EN: 0
; COMPUTE_PGM_RSRC2:TGID_Z_EN: 1
; COMPUTE_PGM_RSRC2:TIDIG_COMP_CNT: 0
; COMPUTE_PGM_RSRC3_GFX90A:ACCUM_OFFSET: 5
; COMPUTE_PGM_RSRC3_GFX90A:TG_SPLIT: 0
	.section	.text._ZL32rocblas_gemvt_warp_reduce_kernelILb0ELi256ElPK19rocblas_complex_numIdES1_KPS1_EviiT3_lPKT2_lT1_lS9_lSA_lS6_lPT4_lSA_li,"axG",@progbits,_ZL32rocblas_gemvt_warp_reduce_kernelILb0ELi256ElPK19rocblas_complex_numIdES1_KPS1_EviiT3_lPKT2_lT1_lS9_lSA_lS6_lPT4_lSA_li,comdat
	.globl	_ZL32rocblas_gemvt_warp_reduce_kernelILb0ELi256ElPK19rocblas_complex_numIdES1_KPS1_EviiT3_lPKT2_lT1_lS9_lSA_lS6_lPT4_lSA_li ; -- Begin function _ZL32rocblas_gemvt_warp_reduce_kernelILb0ELi256ElPK19rocblas_complex_numIdES1_KPS1_EviiT3_lPKT2_lT1_lS9_lSA_lS6_lPT4_lSA_li
	.p2align	8
	.type	_ZL32rocblas_gemvt_warp_reduce_kernelILb0ELi256ElPK19rocblas_complex_numIdES1_KPS1_EviiT3_lPKT2_lT1_lS9_lSA_lS6_lPT4_lSA_li,@function
_ZL32rocblas_gemvt_warp_reduce_kernelILb0ELi256ElPK19rocblas_complex_numIdES1_KPS1_EviiT3_lPKT2_lT1_lS9_lSA_lS6_lPT4_lSA_li: ; @_ZL32rocblas_gemvt_warp_reduce_kernelILb0ELi256ElPK19rocblas_complex_numIdES1_KPS1_EviiT3_lPKT2_lT1_lS9_lSA_lS6_lPT4_lSA_li
; %bb.0:
	s_load_dwordx4 s[12:15], s[0:1], 0x8
	s_load_dwordx4 s[4:7], s[0:1], 0x20
	s_load_dwordx2 s[22:23], s[0:1], 0x30
	s_load_dwordx4 s[8:11], s[0:1], 0x60
	s_mov_b32 s26, s3
	s_waitcnt lgkmcnt(0)
	v_cmp_neq_f64_e64 s[18:19], s[12:13], 0
	v_cmp_neq_f64_e64 s[20:21], s[14:15], 0
	s_or_b64 s[20:21], s[18:19], s[20:21]
	s_mov_b64 s[16:17], 0
	s_mov_b64 s[18:19], -1
	s_and_b64 vcc, exec, s[20:21]
	s_cbranch_vccnz .LBB361_3
; %bb.1:
	v_cmp_eq_f64_e64 s[16:17], s[8:9], 1.0
	v_cmp_eq_f64_e64 s[18:19], s[10:11], 0
	s_and_b64 s[16:17], s[16:17], s[18:19]
	s_andn2_b64 vcc, exec, s[16:17]
	s_mov_b64 s[18:19], 0
	s_cbranch_vccz .LBB361_13
; %bb.2:
	s_mov_b32 s27, 0
	s_mov_b64 s[16:17], -1
	s_mov_b64 s[24:25], 0
	s_and_b64 vcc, exec, s[18:19]
	s_cbranch_vccnz .LBB361_4
	s_branch .LBB361_5
.LBB361_3:
                                        ; implicit-def: $sgpr24_sgpr25
	s_and_b64 vcc, exec, s[18:19]
	s_cbranch_vccz .LBB361_5
.LBB361_4:
	s_mov_b32 s27, 0
	s_lshl_b64 s[16:17], s[26:27], 3
	s_add_u32 s4, s4, s16
	s_addc_u32 s5, s5, s17
	s_load_dwordx2 s[4:5], s[4:5], 0x0
	s_lshl_b64 s[6:7], s[6:7], 4
	s_mov_b64 s[16:17], -1
	s_waitcnt lgkmcnt(0)
	s_add_u32 s24, s4, s6
	s_addc_u32 s25, s5, s7
.LBB361_5:
	s_andn2_b64 vcc, exec, s[16:17]
	s_cbranch_vccnz .LBB361_37
; %bb.6:
	s_load_dwordx4 s[4:7], s[0:1], 0x40
	s_load_dwordx2 s[18:19], s[0:1], 0x50
	s_xor_b64 s[28:29], s[20:21], -1
	s_mov_b64 s[16:17], 0
	s_andn2_b64 vcc, exec, s[20:21]
	s_mov_b64 s[20:21], 0
	s_cbranch_vccnz .LBB361_8
; %bb.7:
	s_lshl_b64 s[20:21], s[26:27], 3
	s_waitcnt lgkmcnt(0)
	s_add_u32 s4, s4, s20
	s_addc_u32 s5, s5, s21
	s_load_dwordx2 s[4:5], s[4:5], 0x0
	s_lshl_b64 s[6:7], s[6:7], 4
	s_waitcnt lgkmcnt(0)
	s_add_u32 s20, s4, s6
	s_addc_u32 s21, s5, s7
.LBB361_8:
	s_load_dwordx4 s[36:39], s[0:1], 0x78
	s_waitcnt lgkmcnt(0)
	s_load_dwordx2 s[6:7], s[0:1], 0x88
	s_lshl_b64 s[4:5], s[26:27], 3
	s_add_u32 s4, s36, s4
	s_addc_u32 s5, s37, s5
	s_load_dwordx2 s[4:5], s[4:5], 0x0
	s_lshl_b64 s[26:27], s[38:39], 4
	s_waitcnt lgkmcnt(0)
	s_add_u32 s3, s4, s26
	s_addc_u32 s33, s5, s27
	s_andn2_b64 vcc, exec, s[28:29]
	v_cmp_eq_u32_e64 s[4:5], 0, v0
	s_cbranch_vccnz .LBB361_14
; %bb.9:
	s_mov_b64 s[28:29], 0
                                        ; implicit-def: $vgpr4_vgpr5
                                        ; implicit-def: $sgpr26_sgpr27
	s_and_saveexec_b64 s[30:31], s[4:5]
	s_cbranch_execz .LBB361_15
; %bb.10:
	v_cmp_neq_f64_e64 s[4:5], s[8:9], 0
	v_cmp_neq_f64_e64 s[16:17], s[10:11], 0
	s_ashr_i32 s26, s2, 31
	s_mul_i32 s27, s2, s7
	s_mul_hi_u32 s34, s2, s6
	v_mov_b64_e32 v[4:5], 0
	s_add_i32 s27, s34, s27
	s_mul_i32 s26, s26, s6
	s_or_b64 s[4:5], s[4:5], s[16:17]
	s_add_i32 s27, s27, s26
	s_mul_i32 s26, s2, s6
	s_andn2_b64 vcc, exec, s[4:5]
	v_mov_b64_e32 v[2:3], v[4:5]
	s_cbranch_vccnz .LBB361_12
; %bb.11:
	s_lshl_b64 s[4:5], s[26:27], 4
	s_add_u32 s4, s3, s4
	s_addc_u32 s5, s33, s5
	s_load_dwordx4 s[36:39], s[4:5], 0x0
	s_waitcnt lgkmcnt(0)
	v_mov_b64_e32 v[2:3], s[38:39]
	v_mov_b64_e32 v[6:7], s[36:37]
	v_mul_f64 v[8:9], s[10:11], v[2:3]
	v_mul_f64 v[4:5], s[8:9], v[2:3]
	v_fma_f64 v[2:3], s[8:9], v[6:7], -v[8:9]
	v_fmac_f64_e32 v[4:5], s[10:11], v[6:7]
.LBB361_12:
	s_mov_b64 s[16:17], exec
	s_or_b64 exec, exec, s[30:31]
	s_and_b64 vcc, exec, s[28:29]
	s_cbranch_vccnz .LBB361_16
	s_branch .LBB361_35
.LBB361_13:
                                        ; implicit-def: $sgpr24_sgpr25
	s_mov_b64 s[16:17], 0
	s_and_b64 vcc, exec, s[18:19]
	s_cbranch_vccnz .LBB361_4
	s_branch .LBB361_5
.LBB361_14:
                                        ; implicit-def: $vgpr4_vgpr5
                                        ; implicit-def: $sgpr26_sgpr27
	s_cbranch_execnz .LBB361_16
	s_branch .LBB361_35
.LBB361_15:
	s_or_b64 exec, exec, s[30:31]
	s_and_b64 vcc, exec, s[28:29]
	s_cbranch_vccz .LBB361_35
.LBB361_16:
	s_load_dword s1, s[0:1], 0x0
	s_ashr_i32 s28, s2, 31
	s_mul_i32 s0, s2, s23
	s_mul_hi_u32 s4, s2, s22
	s_add_i32 s0, s4, s0
	s_mul_i32 s4, s28, s22
	s_add_i32 s5, s0, s4
	s_mul_i32 s4, s2, s22
	s_lshl_b64 s[4:5], s[4:5], 4
	s_add_u32 s4, s4, s24
	s_waitcnt lgkmcnt(0)
	v_cmp_gt_i32_e32 vcc, s1, v0
	s_addc_u32 s5, s5, s25
	s_ashr_i32 s0, s1, 31
	v_cndmask_b32_e32 v1, 0, v0, vcc
	s_lshr_b32 s0, s0, 24
	v_mov_b32_e32 v3, 0
	v_lshlrev_b32_e32 v2, 4, v1
	s_add_i32 s0, s1, s0
	v_lshl_add_u64 v[6:7], s[4:5], 0, v[2:3]
	s_and_b32 s0, s0, 0xffffff00
	v_mov_b64_e32 v[2:3], 0
	v_cmp_gt_i32_e32 vcc, s0, v0
	v_mov_b64_e32 v[4:5], v[2:3]
	s_and_saveexec_b64 s[4:5], vcc
	s_cbranch_execz .LBB361_20
; %bb.17:
	v_mad_u64_u32 v[2:3], s[22:23], s18, v0, 0
	v_mov_b32_e32 v4, v3
	v_mad_u64_u32 v[4:5], s[22:23], s19, v0, v[4:5]
	v_mov_b32_e32 v3, v4
	v_lshl_add_u64 v[8:9], v[2:3], 4, s[20:21]
	v_mov_b64_e32 v[2:3], 0
	s_lshl_b64 s[24:25], s[18:19], 12
	s_mov_b64 s[22:23], 0
	s_mov_b64 s[26:27], 0x1000
	v_mov_b64_e32 v[10:11], v[6:7]
	v_mov_b32_e32 v1, v0
	v_mov_b64_e32 v[4:5], v[2:3]
.LBB361_18:                             ; =>This Inner Loop Header: Depth=1
	flat_load_dwordx4 v[12:15], v[10:11]
	flat_load_dwordx4 v[16:19], v[8:9]
	v_add_u32_e32 v1, 0x100, v1
	v_cmp_le_i32_e32 vcc, s0, v1
	v_lshl_add_u64 v[10:11], v[10:11], 0, s[26:27]
	v_lshl_add_u64 v[8:9], v[8:9], 0, s[24:25]
	s_or_b64 s[22:23], vcc, s[22:23]
	s_waitcnt vmcnt(0) lgkmcnt(0)
	v_mul_f64 v[20:21], v[14:15], v[18:19]
	v_mul_f64 v[18:19], v[12:13], v[18:19]
	v_fma_f64 v[12:13], v[12:13], v[16:17], -v[20:21]
	v_fmac_f64_e32 v[18:19], v[14:15], v[16:17]
	v_add_f64 v[4:5], v[4:5], v[12:13]
	v_add_f64 v[2:3], v[2:3], v[18:19]
	s_andn2_b64 exec, exec, s[22:23]
	s_cbranch_execnz .LBB361_18
; %bb.19:
	s_or_b64 exec, exec, s[22:23]
.LBB361_20:
	s_or_b64 exec, exec, s[4:5]
	v_add_u32_e32 v1, s0, v0
	v_cmp_gt_i32_e32 vcc, s1, v1
	s_and_saveexec_b64 s[4:5], vcc
	s_cbranch_execz .LBB361_22
; %bb.21:
	s_ashr_i32 s1, s0, 31
	v_ashrrev_i32_e32 v10, 31, v1
	v_lshl_add_u64 v[6:7], s[0:1], 4, v[6:7]
	v_mul_lo_u32 v12, v1, s19
	v_mul_lo_u32 v13, v10, s18
	v_mad_u64_u32 v[10:11], s[0:1], v1, s18, 0
	v_add3_u32 v11, v11, v12, v13
	v_lshl_add_u64 v[10:11], v[10:11], 4, s[20:21]
	flat_load_dwordx4 v[6:9], v[6:7]
	s_nop 0
	flat_load_dwordx4 v[10:13], v[10:11]
	s_waitcnt vmcnt(0) lgkmcnt(0)
	v_mul_f64 v[14:15], v[8:9], v[12:13]
	v_mul_f64 v[12:13], v[6:7], v[12:13]
	v_fma_f64 v[6:7], v[6:7], v[10:11], -v[14:15]
	v_fmac_f64_e32 v[12:13], v[8:9], v[10:11]
	v_add_f64 v[4:5], v[4:5], v[6:7]
	v_add_f64 v[2:3], v[2:3], v[12:13]
.LBB361_22:
	s_or_b64 exec, exec, s[4:5]
	v_and_b32_e32 v10, 63, v0
	v_cmp_gt_u32_e32 vcc, 64, v0
	v_lshlrev_b32_e32 v1, 4, v10
	s_and_saveexec_b64 s[0:1], vcc
	s_cbranch_execz .LBB361_24
; %bb.23:
	v_mov_b32_e32 v6, 0
	v_mov_b32_e32 v7, v6
	;; [unrolled: 1-line block ×4, first 2 shown]
	ds_write_b128 v1, v[6:9]
.LBB361_24:
	s_or_b64 exec, exec, s[0:1]
	v_mbcnt_lo_u32_b32 v6, -1, 0
	v_mbcnt_hi_u32_b32 v12, -1, v6
	v_and_b32_e32 v13, 63, v12
	v_cmp_gt_u32_e64 s[0:1], 32, v13
	s_waitcnt lgkmcnt(0)
	s_barrier
	v_cndmask_b32_e64 v6, 0, 1, s[0:1]
	v_lshlrev_b32_e32 v6, 5, v6
	v_add_lshl_u32 v9, v6, v12, 2
	ds_bpermute_b32 v6, v9, v4
	ds_bpermute_b32 v7, v9, v5
	;; [unrolled: 1-line block ×4, first 2 shown]
	v_cmp_gt_u32_e64 s[0:1], 48, v13
	s_waitcnt lgkmcnt(0)
	v_add_f64 v[4:5], v[4:5], v[6:7]
	v_cndmask_b32_e64 v6, 0, 1, s[0:1]
	v_lshlrev_b32_e32 v6, 4, v6
	v_add_f64 v[2:3], v[2:3], v[8:9]
	v_add_lshl_u32 v9, v6, v12, 2
	ds_bpermute_b32 v6, v9, v4
	ds_bpermute_b32 v7, v9, v5
	;; [unrolled: 1-line block ×4, first 2 shown]
	v_cmp_gt_u32_e64 s[0:1], 56, v13
	s_waitcnt lgkmcnt(2)
	v_add_f64 v[4:5], v[4:5], v[6:7]
	v_cndmask_b32_e64 v6, 0, 1, s[0:1]
	v_lshlrev_b32_e32 v6, 3, v6
	s_waitcnt lgkmcnt(0)
	v_add_f64 v[2:3], v[2:3], v[8:9]
	v_add_lshl_u32 v9, v6, v12, 2
	ds_bpermute_b32 v6, v9, v4
	ds_bpermute_b32 v7, v9, v5
	;; [unrolled: 1-line block ×4, first 2 shown]
	v_cmp_gt_u32_e64 s[0:1], 60, v13
	s_waitcnt lgkmcnt(2)
	v_add_f64 v[4:5], v[4:5], v[6:7]
	v_cndmask_b32_e64 v6, 0, 1, s[0:1]
	v_lshlrev_b32_e32 v6, 2, v6
	s_waitcnt lgkmcnt(0)
	v_add_f64 v[2:3], v[2:3], v[8:9]
	v_add_lshl_u32 v9, v6, v12, 2
	ds_bpermute_b32 v6, v9, v4
	ds_bpermute_b32 v7, v9, v5
	;; [unrolled: 1-line block ×4, first 2 shown]
	v_cmp_gt_u32_e64 s[0:1], 62, v13
	s_waitcnt lgkmcnt(2)
	v_add_f64 v[4:5], v[4:5], v[6:7]
	s_waitcnt lgkmcnt(0)
	v_add_f64 v[6:7], v[2:3], v[8:9]
	v_cndmask_b32_e64 v2, 0, 1, s[0:1]
	v_lshlrev_b32_e32 v2, 1, v2
	v_add_lshl_u32 v11, v2, v12, 2
	ds_bpermute_b32 v2, v11, v4
	ds_bpermute_b32 v3, v11, v5
	;; [unrolled: 1-line block ×4, first 2 shown]
	v_cmp_ne_u32_e64 s[0:1], 63, v13
	s_waitcnt lgkmcnt(2)
	v_add_f64 v[2:3], v[4:5], v[2:3]
	v_addc_co_u32_e64 v4, s[0:1], 0, v12, s[0:1]
	s_waitcnt lgkmcnt(0)
	v_add_f64 v[6:7], v[6:7], v[8:9]
	v_lshlrev_b32_e32 v12, 2, v4
	ds_bpermute_b32 v4, v12, v2
	ds_bpermute_b32 v5, v12, v3
	;; [unrolled: 1-line block ×4, first 2 shown]
	v_cmp_eq_u32_e64 s[0:1], 0, v10
	s_and_saveexec_b64 s[4:5], s[0:1]
	s_cbranch_execz .LBB361_26
; %bb.25:
	v_lshrrev_b32_e32 v10, 2, v0
	v_and_b32_e32 v10, 48, v10
	s_waitcnt lgkmcnt(0)
	v_add_f64 v[6:7], v[6:7], v[8:9]
	v_add_f64 v[4:5], v[2:3], v[4:5]
	ds_write_b128 v10, v[4:7]
.LBB361_26:
	s_or_b64 exec, exec, s[4:5]
	s_waitcnt lgkmcnt(0)
	v_mov_b64_e32 v[8:9], 0
	v_cmp_gt_u32_e64 s[0:1], 4, v0
	v_mov_b64_e32 v[6:7], v[8:9]
	s_barrier
	s_and_saveexec_b64 s[4:5], s[0:1]
	s_cbranch_execz .LBB361_28
; %bb.27:
	ds_read_b128 v[6:9], v1
	s_or_b64 exec, exec, s[4:5]
	s_and_saveexec_b64 s[0:1], vcc
	s_cbranch_execz .LBB361_30
	s_branch .LBB361_29
.LBB361_28:
	s_or_b64 exec, exec, s[4:5]
	s_and_saveexec_b64 s[0:1], vcc
	s_cbranch_execz .LBB361_30
.LBB361_29:
	s_waitcnt lgkmcnt(0)
	ds_bpermute_b32 v2, v11, v6
	ds_bpermute_b32 v3, v11, v7
	;; [unrolled: 1-line block ×4, first 2 shown]
	s_waitcnt lgkmcnt(2)
	v_add_f64 v[2:3], v[6:7], v[2:3]
	ds_bpermute_b32 v6, v12, v2
	s_waitcnt lgkmcnt(1)
	v_add_f64 v[4:5], v[8:9], v[4:5]
	ds_bpermute_b32 v7, v12, v3
	ds_bpermute_b32 v8, v12, v4
	;; [unrolled: 1-line block ×3, first 2 shown]
	s_waitcnt lgkmcnt(2)
	v_add_f64 v[6:7], v[2:3], v[6:7]
	s_waitcnt lgkmcnt(0)
	v_add_f64 v[8:9], v[4:5], v[8:9]
.LBB361_30:
	s_or_b64 exec, exec, s[0:1]
	v_cmp_eq_u32_e32 vcc, 0, v0
                                        ; implicit-def: $vgpr4_vgpr5
                                        ; implicit-def: $sgpr26_sgpr27
	s_and_saveexec_b64 s[0:1], vcc
	s_cbranch_execz .LBB361_34
; %bb.31:
	s_waitcnt lgkmcnt(0)
	v_mul_f64 v[0:1], s[14:15], v[8:9]
	v_cmp_neq_f64_e64 s[4:5], s[8:9], 0
	v_cmp_neq_f64_e64 s[18:19], s[10:11], 0
	v_fma_f64 v[2:3], s[12:13], v[6:7], -v[0:1]
	v_mul_f64 v[4:5], s[12:13], v[8:9]
	s_mul_i32 s7, s2, s7
	s_mul_hi_u32 s12, s2, s6
	s_add_i32 s7, s12, s7
	s_mul_i32 s12, s28, s6
	s_or_b64 s[4:5], s[4:5], s[18:19]
	v_fmac_f64_e32 v[4:5], s[14:15], v[6:7]
	s_add_i32 s27, s7, s12
	s_andn2_b64 vcc, exec, s[4:5]
	s_mul_i32 s26, s2, s6
	s_cbranch_vccnz .LBB361_33
; %bb.32:
	s_lshl_b64 s[4:5], s[26:27], 4
	s_add_u32 s4, s3, s4
	s_addc_u32 s5, s33, s5
	s_load_dwordx4 s[4:7], s[4:5], 0x0
	s_waitcnt lgkmcnt(0)
	v_mov_b64_e32 v[0:1], s[6:7]
	v_mov_b64_e32 v[6:7], s[4:5]
	v_mul_f64 v[8:9], s[10:11], v[0:1]
	v_mul_f64 v[0:1], s[8:9], v[0:1]
	v_fma_f64 v[8:9], s[8:9], v[6:7], -v[8:9]
	v_fmac_f64_e32 v[0:1], s[10:11], v[6:7]
	v_add_f64 v[2:3], v[2:3], v[8:9]
	v_add_f64 v[4:5], v[4:5], v[0:1]
.LBB361_33:
	s_or_b64 s[16:17], s[16:17], exec
.LBB361_34:
	s_or_b64 exec, exec, s[0:1]
.LBB361_35:
	s_and_saveexec_b64 s[0:1], s[16:17]
	s_cbranch_execz .LBB361_37
; %bb.36:
	s_lshl_b64 s[0:1], s[26:27], 4
	s_add_u32 s0, s3, s0
	s_addc_u32 s1, s33, s1
	v_mov_b32_e32 v0, 0
	global_store_dwordx4 v0, v[2:5], s[0:1]
.LBB361_37:
	s_endpgm
	.section	.rodata,"a",@progbits
	.p2align	6, 0x0
	.amdhsa_kernel _ZL32rocblas_gemvt_warp_reduce_kernelILb0ELi256ElPK19rocblas_complex_numIdES1_KPS1_EviiT3_lPKT2_lT1_lS9_lSA_lS6_lPT4_lSA_li
		.amdhsa_group_segment_fixed_size 1024
		.amdhsa_private_segment_fixed_size 0
		.amdhsa_kernarg_size 156
		.amdhsa_user_sgpr_count 2
		.amdhsa_user_sgpr_dispatch_ptr 0
		.amdhsa_user_sgpr_queue_ptr 0
		.amdhsa_user_sgpr_kernarg_segment_ptr 1
		.amdhsa_user_sgpr_dispatch_id 0
		.amdhsa_user_sgpr_kernarg_preload_length 0
		.amdhsa_user_sgpr_kernarg_preload_offset 0
		.amdhsa_user_sgpr_private_segment_size 0
		.amdhsa_uses_dynamic_stack 0
		.amdhsa_enable_private_segment 0
		.amdhsa_system_sgpr_workgroup_id_x 1
		.amdhsa_system_sgpr_workgroup_id_y 0
		.amdhsa_system_sgpr_workgroup_id_z 1
		.amdhsa_system_sgpr_workgroup_info 0
		.amdhsa_system_vgpr_workitem_id 0
		.amdhsa_next_free_vgpr 22
		.amdhsa_next_free_sgpr 40
		.amdhsa_accum_offset 24
		.amdhsa_reserve_vcc 1
		.amdhsa_float_round_mode_32 0
		.amdhsa_float_round_mode_16_64 0
		.amdhsa_float_denorm_mode_32 3
		.amdhsa_float_denorm_mode_16_64 3
		.amdhsa_dx10_clamp 1
		.amdhsa_ieee_mode 1
		.amdhsa_fp16_overflow 0
		.amdhsa_tg_split 0
		.amdhsa_exception_fp_ieee_invalid_op 0
		.amdhsa_exception_fp_denorm_src 0
		.amdhsa_exception_fp_ieee_div_zero 0
		.amdhsa_exception_fp_ieee_overflow 0
		.amdhsa_exception_fp_ieee_underflow 0
		.amdhsa_exception_fp_ieee_inexact 0
		.amdhsa_exception_int_div_zero 0
	.end_amdhsa_kernel
	.section	.text._ZL32rocblas_gemvt_warp_reduce_kernelILb0ELi256ElPK19rocblas_complex_numIdES1_KPS1_EviiT3_lPKT2_lT1_lS9_lSA_lS6_lPT4_lSA_li,"axG",@progbits,_ZL32rocblas_gemvt_warp_reduce_kernelILb0ELi256ElPK19rocblas_complex_numIdES1_KPS1_EviiT3_lPKT2_lT1_lS9_lSA_lS6_lPT4_lSA_li,comdat
.Lfunc_end361:
	.size	_ZL32rocblas_gemvt_warp_reduce_kernelILb0ELi256ElPK19rocblas_complex_numIdES1_KPS1_EviiT3_lPKT2_lT1_lS9_lSA_lS6_lPT4_lSA_li, .Lfunc_end361-_ZL32rocblas_gemvt_warp_reduce_kernelILb0ELi256ElPK19rocblas_complex_numIdES1_KPS1_EviiT3_lPKT2_lT1_lS9_lSA_lS6_lPT4_lSA_li
                                        ; -- End function
	.section	.AMDGPU.csdata,"",@progbits
; Kernel info:
; codeLenInByte = 1972
; NumSgprs: 46
; NumVgprs: 22
; NumAgprs: 0
; TotalNumVgprs: 22
; ScratchSize: 0
; MemoryBound: 0
; FloatMode: 240
; IeeeMode: 1
; LDSByteSize: 1024 bytes/workgroup (compile time only)
; SGPRBlocks: 5
; VGPRBlocks: 2
; NumSGPRsForWavesPerEU: 46
; NumVGPRsForWavesPerEU: 22
; AccumOffset: 24
; Occupancy: 8
; WaveLimiterHint : 1
; COMPUTE_PGM_RSRC2:SCRATCH_EN: 0
; COMPUTE_PGM_RSRC2:USER_SGPR: 2
; COMPUTE_PGM_RSRC2:TRAP_HANDLER: 0
; COMPUTE_PGM_RSRC2:TGID_X_EN: 1
; COMPUTE_PGM_RSRC2:TGID_Y_EN: 0
; COMPUTE_PGM_RSRC2:TGID_Z_EN: 1
; COMPUTE_PGM_RSRC2:TIDIG_COMP_CNT: 0
; COMPUTE_PGM_RSRC3_GFX90A:ACCUM_OFFSET: 5
; COMPUTE_PGM_RSRC3_GFX90A:TG_SPLIT: 0
	.section	.text._ZL20rocblas_gemvt_kernelILb0ELi256EPK19rocblas_complex_numIdES3_KPS1_EviiT2_lPKT1_lilS9_lilS6_lPT3_lili,"axG",@progbits,_ZL20rocblas_gemvt_kernelILb0ELi256EPK19rocblas_complex_numIdES3_KPS1_EviiT2_lPKT1_lilS9_lilS6_lPT3_lili,comdat
	.globl	_ZL20rocblas_gemvt_kernelILb0ELi256EPK19rocblas_complex_numIdES3_KPS1_EviiT2_lPKT1_lilS9_lilS6_lPT3_lili ; -- Begin function _ZL20rocblas_gemvt_kernelILb0ELi256EPK19rocblas_complex_numIdES3_KPS1_EviiT2_lPKT1_lilS9_lilS6_lPT3_lili
	.p2align	8
	.type	_ZL20rocblas_gemvt_kernelILb0ELi256EPK19rocblas_complex_numIdES3_KPS1_EviiT2_lPKT1_lilS9_lilS6_lPT3_lili,@function
_ZL20rocblas_gemvt_kernelILb0ELi256EPK19rocblas_complex_numIdES3_KPS1_EviiT2_lPKT1_lilS9_lilS6_lPT3_lili: ; @_ZL20rocblas_gemvt_kernelILb0ELi256EPK19rocblas_complex_numIdES3_KPS1_EviiT2_lPKT1_lilS9_lilS6_lPT3_lili
; %bb.0:
	s_load_dwordx8 s[12:19], s[0:1], 0x8
	s_load_dwordx8 s[4:11], s[0:1], 0x58
	s_mov_b32 s26, s3
	s_mov_b32 s27, 0
	s_waitcnt lgkmcnt(0)
	s_mul_i32 s3, s3, s15
	s_mul_hi_u32 s15, s26, s14
	s_add_i32 s15, s15, s3
	s_mul_i32 s14, s26, s14
	s_lshl_b64 s[14:15], s[14:15], 4
	s_add_u32 s12, s12, s14
	s_mul_i32 s3, s26, s7
	s_mul_hi_u32 s7, s26, s6
	s_addc_u32 s13, s13, s15
	s_add_i32 s7, s7, s3
	s_mul_i32 s6, s26, s6
	s_load_dwordx4 s[20:23], s[12:13], 0x0
	s_lshl_b64 s[6:7], s[6:7], 4
	s_add_u32 s4, s4, s6
	s_addc_u32 s5, s5, s7
	s_load_dwordx4 s[12:15], s[4:5], 0x0
	s_waitcnt lgkmcnt(0)
	v_cmp_neq_f64_e64 s[4:5], s[20:21], 0
	v_cmp_neq_f64_e64 s[24:25], s[22:23], 0
	s_or_b64 s[4:5], s[4:5], s[24:25]
	s_mov_b64 s[6:7], 0
	s_mov_b64 s[24:25], -1
	s_and_b64 vcc, exec, s[4:5]
	s_cbranch_vccz .LBB362_4
; %bb.1:
	s_andn2_b64 vcc, exec, s[24:25]
	s_cbranch_vccz .LBB362_5
.LBB362_2:
	s_andn2_b64 vcc, exec, s[6:7]
	s_cbranch_vccz .LBB362_6
.LBB362_3:
	s_endpgm
.LBB362_4:
	v_cmp_neq_f64_e64 s[6:7], s[12:13], 1.0
	v_cmp_neq_f64_e64 s[28:29], s[14:15], 0
	s_mov_b64 s[24:25], 0
	s_or_b64 s[6:7], s[6:7], s[28:29]
	s_cbranch_execnz .LBB362_2
.LBB362_5:
	s_lshl_b64 s[6:7], s[26:27], 3
	s_add_u32 s6, s16, s6
	s_addc_u32 s7, s17, s7
	s_load_dwordx2 s[6:7], s[6:7], 0x0
	s_lshl_b64 s[16:17], s[18:19], 4
	s_waitcnt lgkmcnt(0)
	s_add_u32 s24, s6, s16
	s_addc_u32 s25, s7, s17
.LBB362_6:
	s_xor_b64 s[18:19], s[4:5], -1
	s_mov_b64 s[6:7], 0
	s_andn2_b64 vcc, exec, s[4:5]
	s_mov_b64 s[16:17], 0
	s_cbranch_vccnz .LBB362_8
; %bb.7:
	s_load_dwordx4 s[28:31], s[0:1], 0x38
	s_lshl_b64 s[4:5], s[26:27], 3
	s_waitcnt lgkmcnt(0)
	s_add_u32 s4, s28, s4
	s_addc_u32 s5, s29, s5
	s_load_dwordx2 s[4:5], s[4:5], 0x0
	s_lshl_b64 s[16:17], s[30:31], 4
	s_waitcnt lgkmcnt(0)
	s_add_u32 s16, s4, s16
	s_addc_u32 s17, s5, s17
.LBB362_8:
	s_lshl_b64 s[4:5], s[26:27], 3
	s_add_u32 s4, s8, s4
	s_addc_u32 s5, s9, s5
	s_load_dwordx2 s[8:9], s[4:5], 0x0
	s_load_dword s27, s[0:1], 0x78
	s_lshl_b64 s[4:5], s[10:11], 4
	s_waitcnt lgkmcnt(0)
	s_add_u32 s3, s8, s4
	s_addc_u32 s26, s9, s5
	s_andn2_b64 vcc, exec, s[18:19]
	v_cmp_eq_u32_e64 s[4:5], 0, v0
	s_cbranch_vccnz .LBB362_13
; %bb.9:
	s_mov_b64 s[10:11], 0
                                        ; implicit-def: $vgpr4_vgpr5
                                        ; implicit-def: $sgpr8_sgpr9
	s_and_saveexec_b64 s[18:19], s[4:5]
	s_cbranch_execz .LBB362_14
; %bb.10:
	v_cmp_neq_f64_e64 s[4:5], s[12:13], 0
	v_cmp_neq_f64_e64 s[6:7], s[14:15], 0
	v_mov_b64_e32 v[4:5], 0
	s_or_b64 s[4:5], s[4:5], s[6:7]
	s_mul_hi_i32 s9, s27, s2
	s_mul_i32 s8, s27, s2
	s_andn2_b64 vcc, exec, s[4:5]
	v_mov_b64_e32 v[2:3], v[4:5]
	s_cbranch_vccnz .LBB362_12
; %bb.11:
	s_lshl_b64 s[4:5], s[8:9], 4
	s_add_u32 s4, s3, s4
	s_addc_u32 s5, s26, s5
	s_load_dwordx4 s[4:7], s[4:5], 0x0
	s_waitcnt lgkmcnt(0)
	v_mov_b64_e32 v[2:3], s[6:7]
	v_mov_b64_e32 v[6:7], s[4:5]
	v_mul_f64 v[8:9], s[14:15], v[2:3]
	v_mul_f64 v[4:5], s[12:13], v[2:3]
	v_fma_f64 v[2:3], s[12:13], v[6:7], -v[8:9]
	v_fmac_f64_e32 v[4:5], s[14:15], v[6:7]
.LBB362_12:
	s_mov_b64 s[6:7], exec
	s_or_b64 exec, exec, s[18:19]
	s_and_b64 vcc, exec, s[10:11]
	s_cbranch_vccnz .LBB362_15
	s_branch .LBB362_41
.LBB362_13:
                                        ; implicit-def: $vgpr4_vgpr5
                                        ; implicit-def: $sgpr8_sgpr9
	s_cbranch_execnz .LBB362_15
	s_branch .LBB362_41
.LBB362_14:
	s_or_b64 exec, exec, s[18:19]
	s_and_b64 vcc, exec, s[10:11]
	s_cbranch_vccz .LBB362_41
.LBB362_15:
	s_load_dword s18, s[0:1], 0x0
	s_load_dword s5, s[0:1], 0x28
	;; [unrolled: 1-line block ×3, first 2 shown]
	v_mov_b32_e32 v3, 0
	v_mov_b64_e32 v[4:5], 0
	s_waitcnt lgkmcnt(0)
	v_cmp_gt_i32_e32 vcc, s18, v0
	s_mul_hi_i32 s9, s5, s2
	s_mul_i32 s8, s5, s2
	s_lshl_b64 s[8:9], s[8:9], 4
	s_add_u32 s8, s8, s24
	s_addc_u32 s9, s9, s25
	s_ashr_i32 s0, s18, 31
	s_lshr_b32 s0, s0, 24
	v_cndmask_b32_e32 v1, 0, v0, vcc
	s_add_i32 s0, s18, s0
	v_lshlrev_b32_e32 v2, 4, v1
	s_and_b32 s0, s0, 0xffffff00
	s_mov_b32 s1, 0
	v_lshl_add_u64 v[6:7], s[8:9], 0, v[2:3]
	s_cmpk_lt_i32 s18, 0x100
	v_mov_b64_e32 v[2:3], v[4:5]
	s_cbranch_scc1 .LBB362_18
; %bb.16:
	s_ashr_i32 s5, s4, 31
	v_mad_i64_i32 v[2:3], s[8:9], s4, v0, 0
	v_mov_b64_e32 v[4:5], 0
	v_lshl_add_u64 v[8:9], v[2:3], 4, s[16:17]
	s_lshl_b64 s[8:9], s[4:5], 12
	s_mov_b64 s[10:11], 0x1000
	v_mov_b64_e32 v[10:11], v[6:7]
	v_mov_b64_e32 v[2:3], v[4:5]
.LBB362_17:                             ; =>This Inner Loop Header: Depth=1
	flat_load_dwordx4 v[12:15], v[10:11]
	flat_load_dwordx4 v[16:19], v[8:9]
	s_addk_i32 s1, 0x100
	v_lshl_add_u64 v[8:9], v[8:9], 0, s[8:9]
	v_lshl_add_u64 v[10:11], v[10:11], 0, s[10:11]
	s_cmp_ge_i32 s1, s0
	s_waitcnt vmcnt(0) lgkmcnt(0)
	v_mul_f64 v[20:21], v[14:15], v[18:19]
	v_mul_f64 v[18:19], v[12:13], v[18:19]
	v_fma_f64 v[12:13], v[12:13], v[16:17], -v[20:21]
	v_fmac_f64_e32 v[18:19], v[14:15], v[16:17]
	v_add_f64 v[2:3], v[2:3], v[12:13]
	v_add_f64 v[4:5], v[4:5], v[18:19]
	s_cbranch_scc0 .LBB362_17
.LBB362_18:
	v_add_u32_e32 v1, s0, v0
	v_cmp_gt_i32_e32 vcc, s18, v1
	s_and_saveexec_b64 s[8:9], vcc
	s_cbranch_execz .LBB362_20
; %bb.19:
	s_ashr_i32 s1, s0, 31
	v_lshl_add_u64 v[6:7], s[0:1], 4, v[6:7]
	v_mad_i64_i32 v[10:11], s[0:1], s4, v1, 0
	v_lshl_add_u64 v[10:11], v[10:11], 4, s[16:17]
	flat_load_dwordx4 v[6:9], v[6:7]
	s_nop 0
	flat_load_dwordx4 v[10:13], v[10:11]
	s_waitcnt vmcnt(0) lgkmcnt(0)
	v_mul_f64 v[14:15], v[8:9], v[12:13]
	v_mul_f64 v[12:13], v[6:7], v[12:13]
	v_fma_f64 v[6:7], v[6:7], v[10:11], -v[14:15]
	v_fmac_f64_e32 v[12:13], v[8:9], v[10:11]
	v_add_f64 v[2:3], v[2:3], v[6:7]
	v_add_f64 v[4:5], v[4:5], v[12:13]
.LBB362_20:
	s_or_b64 exec, exec, s[8:9]
	s_movk_i32 s0, 0x80
	v_lshlrev_b32_e32 v1, 4, v0
	v_cmp_gt_u32_e32 vcc, s0, v0
	ds_write_b128 v1, v[2:5]
	s_waitcnt lgkmcnt(0)
	s_barrier
	s_and_saveexec_b64 s[0:1], vcc
	s_cbranch_execz .LBB362_22
; %bb.21:
	ds_read_b128 v[2:5], v1 offset:2048
	ds_read_b128 v[6:9], v1
	s_waitcnt lgkmcnt(0)
	v_add_f64 v[2:3], v[2:3], v[6:7]
	v_add_f64 v[4:5], v[4:5], v[8:9]
	ds_write_b128 v1, v[2:5]
.LBB362_22:
	s_or_b64 exec, exec, s[0:1]
	v_cmp_gt_u32_e32 vcc, 64, v0
	s_waitcnt lgkmcnt(0)
	s_barrier
	s_and_saveexec_b64 s[0:1], vcc
	s_cbranch_execz .LBB362_24
; %bb.23:
	ds_read_b128 v[2:5], v1 offset:1024
	ds_read_b128 v[6:9], v1
	s_waitcnt lgkmcnt(0)
	v_add_f64 v[2:3], v[2:3], v[6:7]
	v_add_f64 v[4:5], v[4:5], v[8:9]
	ds_write_b128 v1, v[2:5]
.LBB362_24:
	s_or_b64 exec, exec, s[0:1]
	v_cmp_gt_u32_e32 vcc, 32, v0
	;; [unrolled: 14-line block ×6, first 2 shown]
	s_waitcnt lgkmcnt(0)
	s_barrier
	s_and_saveexec_b64 s[0:1], vcc
	s_cbranch_execz .LBB362_34
; %bb.33:
	ds_read_b128 v[2:5], v1
	ds_read_b128 v[6:9], v1 offset:32
	s_waitcnt lgkmcnt(0)
	v_add_f64 v[2:3], v[6:7], v[2:3]
	v_add_f64 v[4:5], v[8:9], v[4:5]
	ds_write_b128 v1, v[2:5]
.LBB362_34:
	s_or_b64 exec, exec, s[0:1]
	v_cmp_eq_u32_e32 vcc, 0, v0
	s_waitcnt lgkmcnt(0)
	s_barrier
	s_and_saveexec_b64 s[0:1], vcc
	s_cbranch_execz .LBB362_36
; %bb.35:
	v_mov_b32_e32 v8, 0
	ds_read_b128 v[0:3], v8
	ds_read_b128 v[4:7], v8 offset:16
	s_waitcnt lgkmcnt(0)
	v_add_f64 v[0:1], v[4:5], v[0:1]
	v_add_f64 v[2:3], v[6:7], v[2:3]
	ds_write_b128 v8, v[0:3]
.LBB362_36:
	s_or_b64 exec, exec, s[0:1]
	s_waitcnt lgkmcnt(0)
	s_barrier
	s_waitcnt lgkmcnt(0)
                                        ; implicit-def: $vgpr4_vgpr5
                                        ; implicit-def: $sgpr8_sgpr9
	s_and_saveexec_b64 s[0:1], vcc
	s_cbranch_execz .LBB362_40
; %bb.37:
	v_mov_b32_e32 v0, 0
	ds_read_b128 v[0:3], v0
	v_cmp_neq_f64_e64 s[4:5], s[12:13], 0
	v_cmp_neq_f64_e64 s[10:11], s[14:15], 0
	s_or_b64 s[4:5], s[4:5], s[10:11]
	s_mul_hi_i32 s9, s27, s2
	s_waitcnt lgkmcnt(0)
	v_mul_f64 v[6:7], s[22:23], v[2:3]
	v_mul_f64 v[4:5], s[20:21], v[2:3]
	v_fma_f64 v[2:3], s[20:21], v[0:1], -v[6:7]
	v_fmac_f64_e32 v[4:5], s[22:23], v[0:1]
	s_andn2_b64 vcc, exec, s[4:5]
	s_mul_i32 s8, s27, s2
	s_cbranch_vccnz .LBB362_39
; %bb.38:
	s_lshl_b64 s[4:5], s[8:9], 4
	s_add_u32 s4, s3, s4
	s_addc_u32 s5, s26, s5
	s_load_dwordx4 s[16:19], s[4:5], 0x0
	s_waitcnt lgkmcnt(0)
	v_mov_b64_e32 v[0:1], s[18:19]
	v_mov_b64_e32 v[6:7], s[16:17]
	v_mul_f64 v[8:9], s[14:15], v[0:1]
	v_mul_f64 v[0:1], s[12:13], v[0:1]
	v_fma_f64 v[8:9], s[12:13], v[6:7], -v[8:9]
	v_fmac_f64_e32 v[0:1], s[14:15], v[6:7]
	v_add_f64 v[2:3], v[2:3], v[8:9]
	v_add_f64 v[4:5], v[4:5], v[0:1]
.LBB362_39:
	s_or_b64 s[6:7], s[6:7], exec
.LBB362_40:
	s_or_b64 exec, exec, s[0:1]
.LBB362_41:
	s_and_saveexec_b64 s[0:1], s[6:7]
	s_cbranch_execz .LBB362_3
; %bb.42:
	s_lshl_b64 s[0:1], s[8:9], 4
	s_add_u32 s0, s3, s0
	s_addc_u32 s1, s26, s1
	v_mov_b32_e32 v0, 0
	global_store_dwordx4 v0, v[2:5], s[0:1]
	s_endpgm
	.section	.rodata,"a",@progbits
	.p2align	6, 0x0
	.amdhsa_kernel _ZL20rocblas_gemvt_kernelILb0ELi256EPK19rocblas_complex_numIdES3_KPS1_EviiT2_lPKT1_lilS9_lilS6_lPT3_lili
		.amdhsa_group_segment_fixed_size 4096
		.amdhsa_private_segment_fixed_size 0
		.amdhsa_kernarg_size 140
		.amdhsa_user_sgpr_count 2
		.amdhsa_user_sgpr_dispatch_ptr 0
		.amdhsa_user_sgpr_queue_ptr 0
		.amdhsa_user_sgpr_kernarg_segment_ptr 1
		.amdhsa_user_sgpr_dispatch_id 0
		.amdhsa_user_sgpr_kernarg_preload_length 0
		.amdhsa_user_sgpr_kernarg_preload_offset 0
		.amdhsa_user_sgpr_private_segment_size 0
		.amdhsa_uses_dynamic_stack 0
		.amdhsa_enable_private_segment 0
		.amdhsa_system_sgpr_workgroup_id_x 1
		.amdhsa_system_sgpr_workgroup_id_y 0
		.amdhsa_system_sgpr_workgroup_id_z 1
		.amdhsa_system_sgpr_workgroup_info 0
		.amdhsa_system_vgpr_workitem_id 0
		.amdhsa_next_free_vgpr 22
		.amdhsa_next_free_sgpr 32
		.amdhsa_accum_offset 24
		.amdhsa_reserve_vcc 1
		.amdhsa_float_round_mode_32 0
		.amdhsa_float_round_mode_16_64 0
		.amdhsa_float_denorm_mode_32 3
		.amdhsa_float_denorm_mode_16_64 3
		.amdhsa_dx10_clamp 1
		.amdhsa_ieee_mode 1
		.amdhsa_fp16_overflow 0
		.amdhsa_tg_split 0
		.amdhsa_exception_fp_ieee_invalid_op 0
		.amdhsa_exception_fp_denorm_src 0
		.amdhsa_exception_fp_ieee_div_zero 0
		.amdhsa_exception_fp_ieee_overflow 0
		.amdhsa_exception_fp_ieee_underflow 0
		.amdhsa_exception_fp_ieee_inexact 0
		.amdhsa_exception_int_div_zero 0
	.end_amdhsa_kernel
	.section	.text._ZL20rocblas_gemvt_kernelILb0ELi256EPK19rocblas_complex_numIdES3_KPS1_EviiT2_lPKT1_lilS9_lilS6_lPT3_lili,"axG",@progbits,_ZL20rocblas_gemvt_kernelILb0ELi256EPK19rocblas_complex_numIdES3_KPS1_EviiT2_lPKT1_lilS9_lilS6_lPT3_lili,comdat
.Lfunc_end362:
	.size	_ZL20rocblas_gemvt_kernelILb0ELi256EPK19rocblas_complex_numIdES3_KPS1_EviiT2_lPKT1_lilS9_lilS6_lPT3_lili, .Lfunc_end362-_ZL20rocblas_gemvt_kernelILb0ELi256EPK19rocblas_complex_numIdES3_KPS1_EviiT2_lPKT1_lilS9_lilS6_lPT3_lili
                                        ; -- End function
	.section	.AMDGPU.csdata,"",@progbits
; Kernel info:
; codeLenInByte = 1656
; NumSgprs: 38
; NumVgprs: 22
; NumAgprs: 0
; TotalNumVgprs: 22
; ScratchSize: 0
; MemoryBound: 0
; FloatMode: 240
; IeeeMode: 1
; LDSByteSize: 4096 bytes/workgroup (compile time only)
; SGPRBlocks: 4
; VGPRBlocks: 2
; NumSGPRsForWavesPerEU: 38
; NumVGPRsForWavesPerEU: 22
; AccumOffset: 24
; Occupancy: 8
; WaveLimiterHint : 1
; COMPUTE_PGM_RSRC2:SCRATCH_EN: 0
; COMPUTE_PGM_RSRC2:USER_SGPR: 2
; COMPUTE_PGM_RSRC2:TRAP_HANDLER: 0
; COMPUTE_PGM_RSRC2:TGID_X_EN: 1
; COMPUTE_PGM_RSRC2:TGID_Y_EN: 0
; COMPUTE_PGM_RSRC2:TGID_Z_EN: 1
; COMPUTE_PGM_RSRC2:TIDIG_COMP_CNT: 0
; COMPUTE_PGM_RSRC3_GFX90A:ACCUM_OFFSET: 5
; COMPUTE_PGM_RSRC3_GFX90A:TG_SPLIT: 0
	.section	.text._ZL20rocblas_gemvt_kernelILb0ELi256EPK19rocblas_complex_numIdES1_KPS1_EviiT2_lPKT1_lilS9_lilS6_lPT3_lili,"axG",@progbits,_ZL20rocblas_gemvt_kernelILb0ELi256EPK19rocblas_complex_numIdES1_KPS1_EviiT2_lPKT1_lilS9_lilS6_lPT3_lili,comdat
	.globl	_ZL20rocblas_gemvt_kernelILb0ELi256EPK19rocblas_complex_numIdES1_KPS1_EviiT2_lPKT1_lilS9_lilS6_lPT3_lili ; -- Begin function _ZL20rocblas_gemvt_kernelILb0ELi256EPK19rocblas_complex_numIdES1_KPS1_EviiT2_lPKT1_lilS9_lilS6_lPT3_lili
	.p2align	8
	.type	_ZL20rocblas_gemvt_kernelILb0ELi256EPK19rocblas_complex_numIdES1_KPS1_EviiT2_lPKT1_lilS9_lilS6_lPT3_lili,@function
_ZL20rocblas_gemvt_kernelILb0ELi256EPK19rocblas_complex_numIdES1_KPS1_EviiT2_lPKT1_lilS9_lilS6_lPT3_lili: ; @_ZL20rocblas_gemvt_kernelILb0ELi256EPK19rocblas_complex_numIdES1_KPS1_EviiT2_lPKT1_lilS9_lilS6_lPT3_lili
; %bb.0:
	s_load_dwordx4 s[12:15], s[0:1], 0x8
	s_load_dwordx4 s[8:11], s[0:1], 0x60
	s_mov_b32 s4, s3
	s_mov_b64 s[6:7], 0
	s_mov_b64 s[20:21], -1
	s_waitcnt lgkmcnt(0)
	v_cmp_neq_f64_e64 s[16:17], s[12:13], 0
	v_cmp_neq_f64_e64 s[18:19], s[14:15], 0
	s_or_b64 s[16:17], s[16:17], s[18:19]
	s_and_b64 vcc, exec, s[16:17]
	s_cbranch_vccnz .LBB363_3
; %bb.1:
	v_cmp_eq_f64_e64 s[6:7], s[8:9], 1.0
	v_cmp_eq_f64_e64 s[18:19], s[10:11], 0
	s_and_b64 s[6:7], s[6:7], s[18:19]
	s_andn2_b64 vcc, exec, s[6:7]
	s_mov_b64 s[20:21], 0
	s_cbranch_vccz .LBB363_13
; %bb.2:
	s_mov_b32 s5, 0
	s_mov_b64 s[6:7], -1
	s_mov_b64 s[18:19], 0
	s_and_b64 vcc, exec, s[20:21]
	s_cbranch_vccnz .LBB363_4
	s_branch .LBB363_5
.LBB363_3:
                                        ; implicit-def: $sgpr18_sgpr19
	s_and_b64 vcc, exec, s[20:21]
	s_cbranch_vccz .LBB363_5
.LBB363_4:
	s_load_dwordx4 s[20:23], s[0:1], 0x20
	s_mov_b32 s5, 0
	s_lshl_b64 s[6:7], s[4:5], 3
	s_waitcnt lgkmcnt(0)
	s_add_u32 s6, s20, s6
	s_addc_u32 s7, s21, s7
	s_load_dwordx2 s[6:7], s[6:7], 0x0
	s_lshl_b64 s[18:19], s[22:23], 4
	s_waitcnt lgkmcnt(0)
	s_add_u32 s18, s6, s18
	s_addc_u32 s19, s7, s19
	s_mov_b64 s[6:7], -1
.LBB363_5:
	s_andn2_b64 vcc, exec, s[6:7]
	s_cbranch_vccnz .LBB363_44
; %bb.6:
	s_xor_b64 s[20:21], s[16:17], -1
	s_mov_b64 s[6:7], 0
	s_andn2_b64 vcc, exec, s[16:17]
	s_mov_b64 s[16:17], 0
	s_cbranch_vccnz .LBB363_8
; %bb.7:
	s_load_dwordx4 s[24:27], s[0:1], 0x40
	s_lshl_b64 s[16:17], s[4:5], 3
	s_waitcnt lgkmcnt(0)
	s_add_u32 s16, s24, s16
	s_addc_u32 s17, s25, s17
	s_load_dwordx2 s[16:17], s[16:17], 0x0
	s_lshl_b64 s[22:23], s[26:27], 4
	s_waitcnt lgkmcnt(0)
	s_add_u32 s16, s16, s22
	s_addc_u32 s17, s17, s23
.LBB363_8:
	s_load_dwordx4 s[28:31], s[0:1], 0x78
	s_load_dword s27, s[0:1], 0x88
	s_lshl_b64 s[4:5], s[4:5], 3
	s_waitcnt lgkmcnt(0)
	s_add_u32 s4, s28, s4
	s_addc_u32 s5, s29, s5
	s_load_dwordx2 s[4:5], s[4:5], 0x0
	s_lshl_b64 s[22:23], s[30:31], 4
	s_waitcnt lgkmcnt(0)
	s_add_u32 s3, s4, s22
	s_addc_u32 s26, s5, s23
	s_andn2_b64 vcc, exec, s[20:21]
	v_cmp_eq_u32_e64 s[4:5], 0, v0
	s_cbranch_vccnz .LBB363_14
; %bb.9:
	s_mov_b64 s[22:23], 0
                                        ; implicit-def: $vgpr4_vgpr5
                                        ; implicit-def: $sgpr20_sgpr21
	s_and_saveexec_b64 s[24:25], s[4:5]
	s_cbranch_execz .LBB363_15
; %bb.10:
	v_cmp_neq_f64_e64 s[4:5], s[8:9], 0
	v_cmp_neq_f64_e64 s[6:7], s[10:11], 0
	v_mov_b64_e32 v[4:5], 0
	s_or_b64 s[4:5], s[4:5], s[6:7]
	s_mul_hi_i32 s21, s27, s2
	s_mul_i32 s20, s27, s2
	s_andn2_b64 vcc, exec, s[4:5]
	v_mov_b64_e32 v[2:3], v[4:5]
	s_cbranch_vccnz .LBB363_12
; %bb.11:
	s_lshl_b64 s[4:5], s[20:21], 4
	s_add_u32 s4, s3, s4
	s_addc_u32 s5, s26, s5
	s_load_dwordx4 s[4:7], s[4:5], 0x0
	s_waitcnt lgkmcnt(0)
	v_mov_b64_e32 v[2:3], s[6:7]
	v_mov_b64_e32 v[6:7], s[4:5]
	v_mul_f64 v[8:9], s[10:11], v[2:3]
	v_mul_f64 v[4:5], s[8:9], v[2:3]
	v_fma_f64 v[2:3], s[8:9], v[6:7], -v[8:9]
	v_fmac_f64_e32 v[4:5], s[10:11], v[6:7]
.LBB363_12:
	s_mov_b64 s[6:7], exec
	s_or_b64 exec, exec, s[24:25]
	s_and_b64 vcc, exec, s[22:23]
	s_cbranch_vccnz .LBB363_16
	s_branch .LBB363_42
.LBB363_13:
                                        ; implicit-def: $sgpr18_sgpr19
	s_mov_b64 s[6:7], 0
	s_and_b64 vcc, exec, s[20:21]
	s_cbranch_vccnz .LBB363_4
	s_branch .LBB363_5
.LBB363_14:
                                        ; implicit-def: $vgpr4_vgpr5
                                        ; implicit-def: $sgpr20_sgpr21
	s_cbranch_execnz .LBB363_16
	s_branch .LBB363_42
.LBB363_15:
	s_or_b64 exec, exec, s[24:25]
	s_and_b64 vcc, exec, s[22:23]
	s_cbranch_vccz .LBB363_42
.LBB363_16:
	s_load_dword s22, s[0:1], 0x0
	s_load_dword s5, s[0:1], 0x30
	;; [unrolled: 1-line block ×3, first 2 shown]
	v_mov_b32_e32 v3, 0
	v_mov_b64_e32 v[4:5], 0
	s_waitcnt lgkmcnt(0)
	v_cmp_gt_i32_e32 vcc, s22, v0
	s_mul_hi_i32 s21, s5, s2
	s_mul_i32 s20, s5, s2
	s_lshl_b64 s[20:21], s[20:21], 4
	s_add_u32 s18, s20, s18
	s_addc_u32 s19, s21, s19
	s_ashr_i32 s0, s22, 31
	s_lshr_b32 s0, s0, 24
	v_cndmask_b32_e32 v1, 0, v0, vcc
	s_add_i32 s0, s22, s0
	v_lshlrev_b32_e32 v2, 4, v1
	s_and_b32 s0, s0, 0xffffff00
	s_mov_b32 s1, 0
	v_lshl_add_u64 v[6:7], s[18:19], 0, v[2:3]
	s_cmpk_lt_i32 s22, 0x100
	v_mov_b64_e32 v[2:3], v[4:5]
	s_cbranch_scc1 .LBB363_19
; %bb.17:
	s_ashr_i32 s5, s4, 31
	v_mad_i64_i32 v[2:3], s[18:19], s4, v0, 0
	v_mov_b64_e32 v[4:5], 0
	v_lshl_add_u64 v[8:9], v[2:3], 4, s[16:17]
	s_lshl_b64 s[18:19], s[4:5], 12
	s_mov_b64 s[20:21], 0x1000
	v_mov_b64_e32 v[10:11], v[6:7]
	v_mov_b64_e32 v[2:3], v[4:5]
.LBB363_18:                             ; =>This Inner Loop Header: Depth=1
	flat_load_dwordx4 v[12:15], v[10:11]
	flat_load_dwordx4 v[16:19], v[8:9]
	s_addk_i32 s1, 0x100
	v_lshl_add_u64 v[8:9], v[8:9], 0, s[18:19]
	v_lshl_add_u64 v[10:11], v[10:11], 0, s[20:21]
	s_cmp_ge_i32 s1, s0
	s_waitcnt vmcnt(0) lgkmcnt(0)
	v_mul_f64 v[20:21], v[14:15], v[18:19]
	v_mul_f64 v[18:19], v[12:13], v[18:19]
	v_fma_f64 v[12:13], v[12:13], v[16:17], -v[20:21]
	v_fmac_f64_e32 v[18:19], v[14:15], v[16:17]
	v_add_f64 v[2:3], v[2:3], v[12:13]
	v_add_f64 v[4:5], v[4:5], v[18:19]
	s_cbranch_scc0 .LBB363_18
.LBB363_19:
	v_add_u32_e32 v1, s0, v0
	v_cmp_gt_i32_e32 vcc, s22, v1
	s_and_saveexec_b64 s[18:19], vcc
	s_cbranch_execz .LBB363_21
; %bb.20:
	s_ashr_i32 s1, s0, 31
	v_lshl_add_u64 v[6:7], s[0:1], 4, v[6:7]
	v_mad_i64_i32 v[10:11], s[0:1], s4, v1, 0
	v_lshl_add_u64 v[10:11], v[10:11], 4, s[16:17]
	flat_load_dwordx4 v[6:9], v[6:7]
	s_nop 0
	flat_load_dwordx4 v[10:13], v[10:11]
	s_waitcnt vmcnt(0) lgkmcnt(0)
	v_mul_f64 v[14:15], v[8:9], v[12:13]
	v_mul_f64 v[12:13], v[6:7], v[12:13]
	v_fma_f64 v[6:7], v[6:7], v[10:11], -v[14:15]
	v_fmac_f64_e32 v[12:13], v[8:9], v[10:11]
	v_add_f64 v[2:3], v[2:3], v[6:7]
	v_add_f64 v[4:5], v[4:5], v[12:13]
.LBB363_21:
	s_or_b64 exec, exec, s[18:19]
	s_movk_i32 s0, 0x80
	v_lshlrev_b32_e32 v1, 4, v0
	v_cmp_gt_u32_e32 vcc, s0, v0
	ds_write_b128 v1, v[2:5]
	s_waitcnt lgkmcnt(0)
	s_barrier
	s_and_saveexec_b64 s[0:1], vcc
	s_cbranch_execz .LBB363_23
; %bb.22:
	ds_read_b128 v[2:5], v1 offset:2048
	ds_read_b128 v[6:9], v1
	s_waitcnt lgkmcnt(0)
	v_add_f64 v[2:3], v[2:3], v[6:7]
	v_add_f64 v[4:5], v[4:5], v[8:9]
	ds_write_b128 v1, v[2:5]
.LBB363_23:
	s_or_b64 exec, exec, s[0:1]
	v_cmp_gt_u32_e32 vcc, 64, v0
	s_waitcnt lgkmcnt(0)
	s_barrier
	s_and_saveexec_b64 s[0:1], vcc
	s_cbranch_execz .LBB363_25
; %bb.24:
	ds_read_b128 v[2:5], v1 offset:1024
	ds_read_b128 v[6:9], v1
	s_waitcnt lgkmcnt(0)
	v_add_f64 v[2:3], v[2:3], v[6:7]
	v_add_f64 v[4:5], v[4:5], v[8:9]
	ds_write_b128 v1, v[2:5]
.LBB363_25:
	s_or_b64 exec, exec, s[0:1]
	v_cmp_gt_u32_e32 vcc, 32, v0
	;; [unrolled: 14-line block ×6, first 2 shown]
	s_waitcnt lgkmcnt(0)
	s_barrier
	s_and_saveexec_b64 s[0:1], vcc
	s_cbranch_execz .LBB363_35
; %bb.34:
	ds_read_b128 v[2:5], v1
	ds_read_b128 v[6:9], v1 offset:32
	s_waitcnt lgkmcnt(0)
	v_add_f64 v[2:3], v[6:7], v[2:3]
	v_add_f64 v[4:5], v[8:9], v[4:5]
	ds_write_b128 v1, v[2:5]
.LBB363_35:
	s_or_b64 exec, exec, s[0:1]
	v_cmp_eq_u32_e32 vcc, 0, v0
	s_waitcnt lgkmcnt(0)
	s_barrier
	s_and_saveexec_b64 s[0:1], vcc
	s_cbranch_execz .LBB363_37
; %bb.36:
	v_mov_b32_e32 v8, 0
	ds_read_b128 v[0:3], v8
	ds_read_b128 v[4:7], v8 offset:16
	s_waitcnt lgkmcnt(0)
	v_add_f64 v[0:1], v[4:5], v[0:1]
	v_add_f64 v[2:3], v[6:7], v[2:3]
	ds_write_b128 v8, v[0:3]
.LBB363_37:
	s_or_b64 exec, exec, s[0:1]
	s_waitcnt lgkmcnt(0)
	s_barrier
	s_waitcnt lgkmcnt(0)
                                        ; implicit-def: $vgpr4_vgpr5
                                        ; implicit-def: $sgpr20_sgpr21
	s_and_saveexec_b64 s[0:1], vcc
	s_cbranch_execz .LBB363_41
; %bb.38:
	v_mov_b32_e32 v0, 0
	ds_read_b128 v[0:3], v0
	v_cmp_neq_f64_e64 s[4:5], s[8:9], 0
	v_cmp_neq_f64_e64 s[16:17], s[10:11], 0
	s_or_b64 s[4:5], s[4:5], s[16:17]
	s_mul_hi_i32 s21, s27, s2
	s_waitcnt lgkmcnt(0)
	v_mul_f64 v[6:7], s[14:15], v[2:3]
	v_mul_f64 v[4:5], s[12:13], v[2:3]
	v_fma_f64 v[2:3], s[12:13], v[0:1], -v[6:7]
	v_fmac_f64_e32 v[4:5], s[14:15], v[0:1]
	s_andn2_b64 vcc, exec, s[4:5]
	s_mul_i32 s20, s27, s2
	s_cbranch_vccnz .LBB363_40
; %bb.39:
	s_lshl_b64 s[4:5], s[20:21], 4
	s_add_u32 s4, s3, s4
	s_addc_u32 s5, s26, s5
	s_load_dwordx4 s[12:15], s[4:5], 0x0
	s_waitcnt lgkmcnt(0)
	v_mov_b64_e32 v[0:1], s[14:15]
	v_mov_b64_e32 v[6:7], s[12:13]
	v_mul_f64 v[8:9], s[10:11], v[0:1]
	v_mul_f64 v[0:1], s[8:9], v[0:1]
	v_fma_f64 v[8:9], s[8:9], v[6:7], -v[8:9]
	v_fmac_f64_e32 v[0:1], s[10:11], v[6:7]
	v_add_f64 v[2:3], v[2:3], v[8:9]
	v_add_f64 v[4:5], v[4:5], v[0:1]
.LBB363_40:
	s_or_b64 s[6:7], s[6:7], exec
.LBB363_41:
	s_or_b64 exec, exec, s[0:1]
.LBB363_42:
	s_and_saveexec_b64 s[0:1], s[6:7]
	s_cbranch_execz .LBB363_44
; %bb.43:
	s_lshl_b64 s[0:1], s[20:21], 4
	s_add_u32 s0, s3, s0
	s_addc_u32 s1, s26, s1
	v_mov_b32_e32 v0, 0
	global_store_dwordx4 v0, v[2:5], s[0:1]
.LBB363_44:
	s_endpgm
	.section	.rodata,"a",@progbits
	.p2align	6, 0x0
	.amdhsa_kernel _ZL20rocblas_gemvt_kernelILb0ELi256EPK19rocblas_complex_numIdES1_KPS1_EviiT2_lPKT1_lilS9_lilS6_lPT3_lili
		.amdhsa_group_segment_fixed_size 4096
		.amdhsa_private_segment_fixed_size 0
		.amdhsa_kernarg_size 156
		.amdhsa_user_sgpr_count 2
		.amdhsa_user_sgpr_dispatch_ptr 0
		.amdhsa_user_sgpr_queue_ptr 0
		.amdhsa_user_sgpr_kernarg_segment_ptr 1
		.amdhsa_user_sgpr_dispatch_id 0
		.amdhsa_user_sgpr_kernarg_preload_length 0
		.amdhsa_user_sgpr_kernarg_preload_offset 0
		.amdhsa_user_sgpr_private_segment_size 0
		.amdhsa_uses_dynamic_stack 0
		.amdhsa_enable_private_segment 0
		.amdhsa_system_sgpr_workgroup_id_x 1
		.amdhsa_system_sgpr_workgroup_id_y 0
		.amdhsa_system_sgpr_workgroup_id_z 1
		.amdhsa_system_sgpr_workgroup_info 0
		.amdhsa_system_vgpr_workitem_id 0
		.amdhsa_next_free_vgpr 22
		.amdhsa_next_free_sgpr 32
		.amdhsa_accum_offset 24
		.amdhsa_reserve_vcc 1
		.amdhsa_float_round_mode_32 0
		.amdhsa_float_round_mode_16_64 0
		.amdhsa_float_denorm_mode_32 3
		.amdhsa_float_denorm_mode_16_64 3
		.amdhsa_dx10_clamp 1
		.amdhsa_ieee_mode 1
		.amdhsa_fp16_overflow 0
		.amdhsa_tg_split 0
		.amdhsa_exception_fp_ieee_invalid_op 0
		.amdhsa_exception_fp_denorm_src 0
		.amdhsa_exception_fp_ieee_div_zero 0
		.amdhsa_exception_fp_ieee_overflow 0
		.amdhsa_exception_fp_ieee_underflow 0
		.amdhsa_exception_fp_ieee_inexact 0
		.amdhsa_exception_int_div_zero 0
	.end_amdhsa_kernel
	.section	.text._ZL20rocblas_gemvt_kernelILb0ELi256EPK19rocblas_complex_numIdES1_KPS1_EviiT2_lPKT1_lilS9_lilS6_lPT3_lili,"axG",@progbits,_ZL20rocblas_gemvt_kernelILb0ELi256EPK19rocblas_complex_numIdES1_KPS1_EviiT2_lPKT1_lilS9_lilS6_lPT3_lili,comdat
.Lfunc_end363:
	.size	_ZL20rocblas_gemvt_kernelILb0ELi256EPK19rocblas_complex_numIdES1_KPS1_EviiT2_lPKT1_lilS9_lilS6_lPT3_lili, .Lfunc_end363-_ZL20rocblas_gemvt_kernelILb0ELi256EPK19rocblas_complex_numIdES1_KPS1_EviiT2_lPKT1_lilS9_lilS6_lPT3_lili
                                        ; -- End function
	.section	.AMDGPU.csdata,"",@progbits
; Kernel info:
; codeLenInByte = 1648
; NumSgprs: 38
; NumVgprs: 22
; NumAgprs: 0
; TotalNumVgprs: 22
; ScratchSize: 0
; MemoryBound: 0
; FloatMode: 240
; IeeeMode: 1
; LDSByteSize: 4096 bytes/workgroup (compile time only)
; SGPRBlocks: 4
; VGPRBlocks: 2
; NumSGPRsForWavesPerEU: 38
; NumVGPRsForWavesPerEU: 22
; AccumOffset: 24
; Occupancy: 8
; WaveLimiterHint : 1
; COMPUTE_PGM_RSRC2:SCRATCH_EN: 0
; COMPUTE_PGM_RSRC2:USER_SGPR: 2
; COMPUTE_PGM_RSRC2:TRAP_HANDLER: 0
; COMPUTE_PGM_RSRC2:TGID_X_EN: 1
; COMPUTE_PGM_RSRC2:TGID_Y_EN: 0
; COMPUTE_PGM_RSRC2:TGID_Z_EN: 1
; COMPUTE_PGM_RSRC2:TIDIG_COMP_CNT: 0
; COMPUTE_PGM_RSRC3_GFX90A:ACCUM_OFFSET: 5
; COMPUTE_PGM_RSRC3_GFX90A:TG_SPLIT: 0
	.section	.text._ZL32rocblas_gemvt_warp_reduce_kernelILb0ELi1024EiPK19rocblas_complex_numIdES3_KPS1_EviiT3_lPKT2_lT1_lS9_lSA_lS6_lPT4_lSA_li,"axG",@progbits,_ZL32rocblas_gemvt_warp_reduce_kernelILb0ELi1024EiPK19rocblas_complex_numIdES3_KPS1_EviiT3_lPKT2_lT1_lS9_lSA_lS6_lPT4_lSA_li,comdat
	.globl	_ZL32rocblas_gemvt_warp_reduce_kernelILb0ELi1024EiPK19rocblas_complex_numIdES3_KPS1_EviiT3_lPKT2_lT1_lS9_lSA_lS6_lPT4_lSA_li ; -- Begin function _ZL32rocblas_gemvt_warp_reduce_kernelILb0ELi1024EiPK19rocblas_complex_numIdES3_KPS1_EviiT3_lPKT2_lT1_lS9_lSA_lS6_lPT4_lSA_li
	.p2align	8
	.type	_ZL32rocblas_gemvt_warp_reduce_kernelILb0ELi1024EiPK19rocblas_complex_numIdES3_KPS1_EviiT3_lPKT2_lT1_lS9_lSA_lS6_lPT4_lSA_li,@function
_ZL32rocblas_gemvt_warp_reduce_kernelILb0ELi1024EiPK19rocblas_complex_numIdES3_KPS1_EviiT3_lPKT2_lT1_lS9_lSA_lS6_lPT4_lSA_li: ; @_ZL32rocblas_gemvt_warp_reduce_kernelILb0ELi1024EiPK19rocblas_complex_numIdES3_KPS1_EviiT3_lPKT2_lT1_lS9_lSA_lS6_lPT4_lSA_li
; %bb.0:
	s_load_dwordx8 s[12:19], s[0:1], 0x8
	s_load_dwordx8 s[4:11], s[0:1], 0x58
	s_mov_b32 s26, s3
	s_mov_b32 s27, 0
	s_waitcnt lgkmcnt(0)
	s_mul_i32 s3, s3, s15
	s_mul_hi_u32 s15, s26, s14
	s_add_i32 s15, s15, s3
	s_mul_i32 s14, s26, s14
	s_lshl_b64 s[14:15], s[14:15], 4
	s_add_u32 s12, s12, s14
	s_mul_i32 s3, s26, s7
	s_mul_hi_u32 s7, s26, s6
	s_addc_u32 s13, s13, s15
	s_add_i32 s7, s7, s3
	s_mul_i32 s6, s26, s6
	s_load_dwordx4 s[20:23], s[12:13], 0x0
	s_lshl_b64 s[6:7], s[6:7], 4
	s_add_u32 s4, s4, s6
	s_addc_u32 s5, s5, s7
	s_load_dwordx4 s[12:15], s[4:5], 0x0
	s_waitcnt lgkmcnt(0)
	v_cmp_neq_f64_e64 s[4:5], s[20:21], 0
	v_cmp_neq_f64_e64 s[24:25], s[22:23], 0
	s_or_b64 s[4:5], s[4:5], s[24:25]
	s_mov_b64 s[6:7], 0
	s_mov_b64 s[24:25], -1
	s_and_b64 vcc, exec, s[4:5]
	s_cbranch_vccnz .LBB364_3
; %bb.1:
	v_cmp_neq_f64_e64 s[6:7], s[12:13], 1.0
	v_cmp_neq_f64_e64 s[28:29], s[14:15], 0
	s_mov_b64 s[24:25], 0
	s_or_b64 s[6:7], s[6:7], s[28:29]
	s_cbranch_execz .LBB364_4
.LBB364_2:
	s_andn2_b64 vcc, exec, s[6:7]
	s_cbranch_vccz .LBB364_5
	s_branch .LBB364_35
.LBB364_3:
	s_andn2_b64 vcc, exec, s[24:25]
	s_cbranch_vccnz .LBB364_2
.LBB364_4:
	s_lshl_b64 s[6:7], s[26:27], 3
	s_add_u32 s6, s16, s6
	s_addc_u32 s7, s17, s7
	s_load_dwordx2 s[6:7], s[6:7], 0x0
	s_lshl_b64 s[16:17], s[18:19], 4
	s_waitcnt lgkmcnt(0)
	s_add_u32 s24, s6, s16
	s_addc_u32 s25, s7, s17
.LBB364_5:
	s_xor_b64 s[18:19], s[4:5], -1
	s_mov_b64 s[6:7], 0
	s_andn2_b64 vcc, exec, s[4:5]
	s_mov_b64 s[16:17], 0
	s_cbranch_vccnz .LBB364_7
; %bb.6:
	s_load_dwordx4 s[28:31], s[0:1], 0x38
	s_lshl_b64 s[4:5], s[26:27], 3
	s_waitcnt lgkmcnt(0)
	s_add_u32 s4, s28, s4
	s_addc_u32 s5, s29, s5
	s_load_dwordx2 s[4:5], s[4:5], 0x0
	s_lshl_b64 s[16:17], s[30:31], 4
	s_waitcnt lgkmcnt(0)
	s_add_u32 s16, s4, s16
	s_addc_u32 s17, s5, s17
.LBB364_7:
	s_lshl_b64 s[4:5], s[26:27], 3
	s_add_u32 s4, s8, s4
	s_addc_u32 s5, s9, s5
	s_load_dwordx2 s[8:9], s[4:5], 0x0
	s_load_dword s27, s[0:1], 0x78
	s_lshl_b64 s[4:5], s[10:11], 4
	s_waitcnt lgkmcnt(0)
	s_add_u32 s3, s8, s4
	s_addc_u32 s26, s9, s5
	s_andn2_b64 vcc, exec, s[18:19]
	v_cmp_eq_u32_e64 s[4:5], 0, v0
	s_cbranch_vccnz .LBB364_14
; %bb.8:
	s_mov_b64 s[10:11], 0
                                        ; implicit-def: $vgpr4_vgpr5
                                        ; implicit-def: $sgpr8_sgpr9
	s_and_saveexec_b64 s[18:19], s[4:5]
	s_cbranch_execz .LBB364_15
; %bb.9:
	v_cmp_neq_f64_e64 s[4:5], s[12:13], 0
	v_cmp_neq_f64_e64 s[6:7], s[14:15], 0
	v_mov_b64_e32 v[4:5], 0
	s_mul_i32 s8, s2, s27
	s_or_b64 s[4:5], s[4:5], s[6:7]
	s_ashr_i32 s9, s8, 31
	s_andn2_b64 vcc, exec, s[4:5]
	v_mov_b64_e32 v[2:3], v[4:5]
	s_cbranch_vccnz .LBB364_11
; %bb.10:
	s_lshl_b64 s[4:5], s[8:9], 4
	s_add_u32 s4, s3, s4
	s_addc_u32 s5, s26, s5
	s_load_dwordx4 s[4:7], s[4:5], 0x0
	s_waitcnt lgkmcnt(0)
	v_mov_b64_e32 v[2:3], s[6:7]
	v_mov_b64_e32 v[6:7], s[4:5]
	v_mul_f64 v[8:9], s[14:15], v[2:3]
	v_mul_f64 v[4:5], s[12:13], v[2:3]
	v_fma_f64 v[2:3], s[12:13], v[6:7], -v[8:9]
	v_fmac_f64_e32 v[4:5], s[14:15], v[6:7]
.LBB364_11:
	s_mov_b64 s[6:7], exec
	s_or_b64 exec, exec, s[18:19]
	s_and_b64 vcc, exec, s[10:11]
	s_cbranch_vccnz .LBB364_16
.LBB364_12:
	s_and_saveexec_b64 s[0:1], s[6:7]
	s_cbranch_execz .LBB364_35
.LBB364_13:
	s_lshl_b64 s[0:1], s[8:9], 4
	s_add_u32 s0, s3, s0
	s_addc_u32 s1, s26, s1
	v_mov_b32_e32 v0, 0
	global_store_dwordx4 v0, v[2:5], s[0:1]
	s_endpgm
.LBB364_14:
                                        ; implicit-def: $vgpr4_vgpr5
                                        ; implicit-def: $sgpr8_sgpr9
	s_cbranch_execnz .LBB364_16
	s_branch .LBB364_12
.LBB364_15:
	s_or_b64 exec, exec, s[18:19]
	s_and_b64 vcc, exec, s[10:11]
	s_cbranch_vccz .LBB364_12
.LBB364_16:
	s_load_dword s19, s[0:1], 0x0
	s_load_dword s4, s[0:1], 0x28
	;; [unrolled: 1-line block ×3, first 2 shown]
	v_mov_b32_e32 v3, 0
	s_waitcnt lgkmcnt(0)
	v_cmp_gt_i32_e32 vcc, s19, v0
	s_mul_i32 s0, s2, s4
	s_ashr_i32 s1, s0, 31
	s_lshl_b64 s[0:1], s[0:1], 4
	v_cndmask_b32_e32 v1, 0, v0, vcc
	s_add_u32 s0, s0, s24
	v_lshlrev_b32_e32 v2, 4, v1
	s_addc_u32 s1, s1, s25
	v_lshl_add_u64 v[6:7], s[0:1], 0, v[2:3]
	s_ashr_i32 s0, s19, 31
	s_lshr_b32 s0, s0, 22
	s_add_i32 s0, s19, s0
	s_and_b32 s0, s0, 0xfffffc00
	v_mov_b64_e32 v[2:3], 0
	v_cmp_gt_i32_e32 vcc, s0, v0
	v_mov_b64_e32 v[4:5], v[2:3]
	s_and_saveexec_b64 s[4:5], vcc
	s_cbranch_execz .LBB364_20
; %bb.17:
	v_mov_b64_e32 v[2:3], 0
	v_mul_lo_u32 v8, v0, s18
	s_lshl_b32 s1, s18, 10
	s_mov_b64 s[8:9], 0
	s_mov_b64 s[10:11], 0x4000
	v_mov_b64_e32 v[10:11], v[6:7]
	v_mov_b32_e32 v1, v0
	v_mov_b64_e32 v[4:5], v[2:3]
.LBB364_18:                             ; =>This Inner Loop Header: Depth=1
	v_ashrrev_i32_e32 v9, 31, v8
	v_lshl_add_u64 v[16:17], v[8:9], 4, s[16:17]
	flat_load_dwordx4 v[12:15], v[10:11]
	v_add_u32_e32 v1, 0x400, v1
	flat_load_dwordx4 v[16:19], v[16:17]
	v_cmp_le_i32_e32 vcc, s0, v1
	v_lshl_add_u64 v[10:11], v[10:11], 0, s[10:11]
	v_add_u32_e32 v8, s1, v8
	s_or_b64 s[8:9], vcc, s[8:9]
	s_waitcnt vmcnt(0) lgkmcnt(0)
	v_mul_f64 v[20:21], v[14:15], v[18:19]
	v_mul_f64 v[18:19], v[12:13], v[18:19]
	v_fma_f64 v[12:13], v[12:13], v[16:17], -v[20:21]
	v_fmac_f64_e32 v[18:19], v[14:15], v[16:17]
	v_add_f64 v[4:5], v[4:5], v[12:13]
	v_add_f64 v[2:3], v[2:3], v[18:19]
	s_andn2_b64 exec, exec, s[8:9]
	s_cbranch_execnz .LBB364_18
; %bb.19:
	s_or_b64 exec, exec, s[8:9]
.LBB364_20:
	s_or_b64 exec, exec, s[4:5]
	v_or_b32_e32 v1, s0, v0
	v_cmp_gt_i32_e32 vcc, s19, v1
	s_and_saveexec_b64 s[4:5], vcc
	s_cbranch_execz .LBB364_22
; %bb.21:
	v_mul_lo_u32 v10, v1, s18
	s_ashr_i32 s1, s0, 31
	v_ashrrev_i32_e32 v11, 31, v10
	v_lshl_add_u64 v[6:7], s[0:1], 4, v[6:7]
	v_lshl_add_u64 v[10:11], v[10:11], 4, s[16:17]
	flat_load_dwordx4 v[6:9], v[6:7]
	s_nop 0
	flat_load_dwordx4 v[10:13], v[10:11]
	s_waitcnt vmcnt(0) lgkmcnt(0)
	v_mul_f64 v[14:15], v[8:9], v[12:13]
	v_mul_f64 v[12:13], v[6:7], v[12:13]
	v_fma_f64 v[6:7], v[6:7], v[10:11], -v[14:15]
	v_fmac_f64_e32 v[12:13], v[8:9], v[10:11]
	v_add_f64 v[4:5], v[4:5], v[6:7]
	v_add_f64 v[2:3], v[2:3], v[12:13]
.LBB364_22:
	s_or_b64 exec, exec, s[4:5]
	v_and_b32_e32 v13, 63, v0
	v_cmp_gt_u32_e32 vcc, 64, v0
	v_lshlrev_b32_e32 v1, 4, v13
	s_and_saveexec_b64 s[0:1], vcc
	s_cbranch_execz .LBB364_24
; %bb.23:
	v_mov_b32_e32 v6, 0
	v_mov_b32_e32 v7, v6
	;; [unrolled: 1-line block ×4, first 2 shown]
	ds_write_b128 v1, v[6:9]
.LBB364_24:
	s_or_b64 exec, exec, s[0:1]
	v_mbcnt_lo_u32_b32 v6, -1, 0
	v_mbcnt_hi_u32_b32 v14, -1, v6
	v_and_b32_e32 v15, 63, v14
	v_cmp_gt_u32_e64 s[0:1], 32, v15
	s_waitcnt lgkmcnt(0)
	s_barrier
	v_cndmask_b32_e64 v6, 0, 1, s[0:1]
	v_lshlrev_b32_e32 v6, 5, v6
	v_add_lshl_u32 v9, v6, v14, 2
	ds_bpermute_b32 v6, v9, v4
	ds_bpermute_b32 v7, v9, v5
	;; [unrolled: 1-line block ×4, first 2 shown]
	v_cmp_gt_u32_e64 s[0:1], 48, v15
	s_waitcnt lgkmcnt(0)
	v_add_f64 v[4:5], v[4:5], v[6:7]
	v_cndmask_b32_e64 v6, 0, 1, s[0:1]
	v_lshlrev_b32_e32 v6, 4, v6
	v_add_f64 v[2:3], v[2:3], v[8:9]
	v_add_lshl_u32 v9, v6, v14, 2
	ds_bpermute_b32 v6, v9, v4
	ds_bpermute_b32 v7, v9, v5
	;; [unrolled: 1-line block ×4, first 2 shown]
	v_cmp_gt_u32_e64 s[0:1], 56, v15
	s_waitcnt lgkmcnt(2)
	v_add_f64 v[4:5], v[4:5], v[6:7]
	v_cndmask_b32_e64 v6, 0, 1, s[0:1]
	v_lshlrev_b32_e32 v6, 3, v6
	v_add_lshl_u32 v10, v6, v14, 2
	ds_bpermute_b32 v6, v10, v4
	ds_bpermute_b32 v7, v10, v5
	s_waitcnt lgkmcnt(2)
	v_add_f64 v[2:3], v[2:3], v[8:9]
	ds_bpermute_b32 v8, v10, v2
	ds_bpermute_b32 v9, v10, v3
	v_cmp_gt_u32_e64 s[0:1], 60, v15
	s_waitcnt lgkmcnt(2)
	v_add_f64 v[4:5], v[4:5], v[6:7]
	s_waitcnt lgkmcnt(0)
	v_add_f64 v[2:3], v[2:3], v[8:9]
	v_cndmask_b32_e64 v6, 0, 1, s[0:1]
	v_lshlrev_b32_e32 v6, 2, v6
	v_add_lshl_u32 v11, v6, v14, 2
	ds_bpermute_b32 v6, v11, v4
	ds_bpermute_b32 v7, v11, v5
	;; [unrolled: 1-line block ×4, first 2 shown]
	v_cmp_gt_u32_e64 s[0:1], 62, v15
	s_waitcnt lgkmcnt(2)
	v_add_f64 v[4:5], v[4:5], v[6:7]
	s_waitcnt lgkmcnt(0)
	v_add_f64 v[6:7], v[2:3], v[8:9]
	v_cndmask_b32_e64 v2, 0, 1, s[0:1]
	v_lshlrev_b32_e32 v2, 1, v2
	v_add_lshl_u32 v12, v2, v14, 2
	ds_bpermute_b32 v2, v12, v4
	ds_bpermute_b32 v3, v12, v5
	;; [unrolled: 1-line block ×4, first 2 shown]
	v_cmp_ne_u32_e64 s[0:1], 63, v15
	s_waitcnt lgkmcnt(2)
	v_add_f64 v[2:3], v[4:5], v[2:3]
	v_addc_co_u32_e64 v4, s[0:1], 0, v14, s[0:1]
	s_waitcnt lgkmcnt(0)
	v_add_f64 v[6:7], v[6:7], v[8:9]
	v_lshlrev_b32_e32 v14, 2, v4
	ds_bpermute_b32 v4, v14, v2
	ds_bpermute_b32 v5, v14, v3
	;; [unrolled: 1-line block ×4, first 2 shown]
	v_cmp_eq_u32_e64 s[0:1], 0, v13
	s_and_saveexec_b64 s[4:5], s[0:1]
	s_cbranch_execz .LBB364_26
; %bb.25:
	v_lshrrev_b32_e32 v13, 2, v0
	v_and_b32_e32 v13, 0xf0, v13
	s_waitcnt lgkmcnt(0)
	v_add_f64 v[6:7], v[6:7], v[8:9]
	v_add_f64 v[4:5], v[2:3], v[4:5]
	ds_write_b128 v13, v[4:7]
.LBB364_26:
	s_or_b64 exec, exec, s[4:5]
	s_waitcnt lgkmcnt(0)
	v_mov_b64_e32 v[8:9], 0
	v_cmp_gt_u32_e64 s[0:1], 16, v0
	v_mov_b64_e32 v[6:7], v[8:9]
	s_barrier
	s_and_saveexec_b64 s[4:5], s[0:1]
	s_cbranch_execz .LBB364_28
; %bb.27:
	ds_read_b128 v[6:9], v1
	s_or_b64 exec, exec, s[4:5]
	s_and_saveexec_b64 s[0:1], vcc
	s_cbranch_execz .LBB364_30
	s_branch .LBB364_29
.LBB364_28:
	s_or_b64 exec, exec, s[4:5]
	s_and_saveexec_b64 s[0:1], vcc
	s_cbranch_execz .LBB364_30
.LBB364_29:
	s_waitcnt lgkmcnt(0)
	ds_bpermute_b32 v2, v10, v6
	ds_bpermute_b32 v3, v10, v7
	;; [unrolled: 1-line block ×4, first 2 shown]
	s_waitcnt lgkmcnt(2)
	v_add_f64 v[2:3], v[6:7], v[2:3]
	ds_bpermute_b32 v6, v11, v2
	s_waitcnt lgkmcnt(1)
	v_add_f64 v[4:5], v[8:9], v[4:5]
	ds_bpermute_b32 v7, v11, v3
	ds_bpermute_b32 v8, v11, v4
	ds_bpermute_b32 v9, v11, v5
	s_waitcnt lgkmcnt(2)
	v_add_f64 v[2:3], v[2:3], v[6:7]
	ds_bpermute_b32 v6, v12, v2
	s_waitcnt lgkmcnt(1)
	v_add_f64 v[4:5], v[4:5], v[8:9]
	ds_bpermute_b32 v7, v12, v3
	ds_bpermute_b32 v8, v12, v4
	ds_bpermute_b32 v9, v12, v5
	;; [unrolled: 8-line block ×3, first 2 shown]
	s_waitcnt lgkmcnt(2)
	v_add_f64 v[6:7], v[2:3], v[6:7]
	s_waitcnt lgkmcnt(0)
	v_add_f64 v[8:9], v[4:5], v[8:9]
.LBB364_30:
	s_or_b64 exec, exec, s[0:1]
	v_cmp_eq_u32_e32 vcc, 0, v0
                                        ; implicit-def: $vgpr4_vgpr5
                                        ; implicit-def: $sgpr8_sgpr9
	s_and_saveexec_b64 s[0:1], vcc
	s_cbranch_execz .LBB364_34
; %bb.31:
	v_cmp_neq_f64_e64 s[4:5], s[12:13], 0
	v_cmp_neq_f64_e64 s[10:11], s[14:15], 0
	s_waitcnt lgkmcnt(0)
	v_mul_f64 v[0:1], s[22:23], v[8:9]
	v_mul_f64 v[4:5], s[20:21], v[8:9]
	s_mul_i32 s8, s2, s27
	s_or_b64 s[4:5], s[4:5], s[10:11]
	v_fma_f64 v[2:3], s[20:21], v[6:7], -v[0:1]
	v_fmac_f64_e32 v[4:5], s[22:23], v[6:7]
	s_andn2_b64 vcc, exec, s[4:5]
	s_ashr_i32 s9, s8, 31
	s_cbranch_vccnz .LBB364_33
; %bb.32:
	s_lshl_b64 s[4:5], s[8:9], 4
	s_add_u32 s4, s3, s4
	s_addc_u32 s5, s26, s5
	s_load_dwordx4 s[16:19], s[4:5], 0x0
	s_waitcnt lgkmcnt(0)
	v_mov_b64_e32 v[0:1], s[18:19]
	v_mov_b64_e32 v[6:7], s[16:17]
	v_mul_f64 v[8:9], s[14:15], v[0:1]
	v_mul_f64 v[0:1], s[12:13], v[0:1]
	v_fma_f64 v[8:9], s[12:13], v[6:7], -v[8:9]
	v_fmac_f64_e32 v[0:1], s[14:15], v[6:7]
	v_add_f64 v[2:3], v[2:3], v[8:9]
	v_add_f64 v[4:5], v[4:5], v[0:1]
.LBB364_33:
	s_or_b64 s[6:7], s[6:7], exec
.LBB364_34:
	s_or_b64 exec, exec, s[0:1]
	s_and_saveexec_b64 s[0:1], s[6:7]
	s_cbranch_execnz .LBB364_13
.LBB364_35:
	s_endpgm
	.section	.rodata,"a",@progbits
	.p2align	6, 0x0
	.amdhsa_kernel _ZL32rocblas_gemvt_warp_reduce_kernelILb0ELi1024EiPK19rocblas_complex_numIdES3_KPS1_EviiT3_lPKT2_lT1_lS9_lSA_lS6_lPT4_lSA_li
		.amdhsa_group_segment_fixed_size 1024
		.amdhsa_private_segment_fixed_size 0
		.amdhsa_kernarg_size 140
		.amdhsa_user_sgpr_count 2
		.amdhsa_user_sgpr_dispatch_ptr 0
		.amdhsa_user_sgpr_queue_ptr 0
		.amdhsa_user_sgpr_kernarg_segment_ptr 1
		.amdhsa_user_sgpr_dispatch_id 0
		.amdhsa_user_sgpr_kernarg_preload_length 0
		.amdhsa_user_sgpr_kernarg_preload_offset 0
		.amdhsa_user_sgpr_private_segment_size 0
		.amdhsa_uses_dynamic_stack 0
		.amdhsa_enable_private_segment 0
		.amdhsa_system_sgpr_workgroup_id_x 1
		.amdhsa_system_sgpr_workgroup_id_y 0
		.amdhsa_system_sgpr_workgroup_id_z 1
		.amdhsa_system_sgpr_workgroup_info 0
		.amdhsa_system_vgpr_workitem_id 0
		.amdhsa_next_free_vgpr 22
		.amdhsa_next_free_sgpr 32
		.amdhsa_accum_offset 24
		.amdhsa_reserve_vcc 1
		.amdhsa_float_round_mode_32 0
		.amdhsa_float_round_mode_16_64 0
		.amdhsa_float_denorm_mode_32 3
		.amdhsa_float_denorm_mode_16_64 3
		.amdhsa_dx10_clamp 1
		.amdhsa_ieee_mode 1
		.amdhsa_fp16_overflow 0
		.amdhsa_tg_split 0
		.amdhsa_exception_fp_ieee_invalid_op 0
		.amdhsa_exception_fp_denorm_src 0
		.amdhsa_exception_fp_ieee_div_zero 0
		.amdhsa_exception_fp_ieee_overflow 0
		.amdhsa_exception_fp_ieee_underflow 0
		.amdhsa_exception_fp_ieee_inexact 0
		.amdhsa_exception_int_div_zero 0
	.end_amdhsa_kernel
	.section	.text._ZL32rocblas_gemvt_warp_reduce_kernelILb0ELi1024EiPK19rocblas_complex_numIdES3_KPS1_EviiT3_lPKT2_lT1_lS9_lSA_lS6_lPT4_lSA_li,"axG",@progbits,_ZL32rocblas_gemvt_warp_reduce_kernelILb0ELi1024EiPK19rocblas_complex_numIdES3_KPS1_EviiT3_lPKT2_lT1_lS9_lSA_lS6_lPT4_lSA_li,comdat
.Lfunc_end364:
	.size	_ZL32rocblas_gemvt_warp_reduce_kernelILb0ELi1024EiPK19rocblas_complex_numIdES3_KPS1_EviiT3_lPKT2_lT1_lS9_lSA_lS6_lPT4_lSA_li, .Lfunc_end364-_ZL32rocblas_gemvt_warp_reduce_kernelILb0ELi1024EiPK19rocblas_complex_numIdES3_KPS1_EviiT3_lPKT2_lT1_lS9_lSA_lS6_lPT4_lSA_li
                                        ; -- End function
	.section	.AMDGPU.csdata,"",@progbits
; Kernel info:
; codeLenInByte = 2012
; NumSgprs: 38
; NumVgprs: 22
; NumAgprs: 0
; TotalNumVgprs: 22
; ScratchSize: 0
; MemoryBound: 0
; FloatMode: 240
; IeeeMode: 1
; LDSByteSize: 1024 bytes/workgroup (compile time only)
; SGPRBlocks: 4
; VGPRBlocks: 2
; NumSGPRsForWavesPerEU: 38
; NumVGPRsForWavesPerEU: 22
; AccumOffset: 24
; Occupancy: 8
; WaveLimiterHint : 1
; COMPUTE_PGM_RSRC2:SCRATCH_EN: 0
; COMPUTE_PGM_RSRC2:USER_SGPR: 2
; COMPUTE_PGM_RSRC2:TRAP_HANDLER: 0
; COMPUTE_PGM_RSRC2:TGID_X_EN: 1
; COMPUTE_PGM_RSRC2:TGID_Y_EN: 0
; COMPUTE_PGM_RSRC2:TGID_Z_EN: 1
; COMPUTE_PGM_RSRC2:TIDIG_COMP_CNT: 0
; COMPUTE_PGM_RSRC3_GFX90A:ACCUM_OFFSET: 5
; COMPUTE_PGM_RSRC3_GFX90A:TG_SPLIT: 0
	.section	.text._ZL32rocblas_gemvt_warp_reduce_kernelILb0ELi1024ElPK19rocblas_complex_numIdES3_KPS1_EviiT3_lPKT2_lT1_lS9_lSA_lS6_lPT4_lSA_li,"axG",@progbits,_ZL32rocblas_gemvt_warp_reduce_kernelILb0ELi1024ElPK19rocblas_complex_numIdES3_KPS1_EviiT3_lPKT2_lT1_lS9_lSA_lS6_lPT4_lSA_li,comdat
	.globl	_ZL32rocblas_gemvt_warp_reduce_kernelILb0ELi1024ElPK19rocblas_complex_numIdES3_KPS1_EviiT3_lPKT2_lT1_lS9_lSA_lS6_lPT4_lSA_li ; -- Begin function _ZL32rocblas_gemvt_warp_reduce_kernelILb0ELi1024ElPK19rocblas_complex_numIdES3_KPS1_EviiT3_lPKT2_lT1_lS9_lSA_lS6_lPT4_lSA_li
	.p2align	8
	.type	_ZL32rocblas_gemvt_warp_reduce_kernelILb0ELi1024ElPK19rocblas_complex_numIdES3_KPS1_EviiT3_lPKT2_lT1_lS9_lSA_lS6_lPT4_lSA_li,@function
_ZL32rocblas_gemvt_warp_reduce_kernelILb0ELi1024ElPK19rocblas_complex_numIdES3_KPS1_EviiT3_lPKT2_lT1_lS9_lSA_lS6_lPT4_lSA_li: ; @_ZL32rocblas_gemvt_warp_reduce_kernelILb0ELi1024ElPK19rocblas_complex_numIdES3_KPS1_EviiT3_lPKT2_lT1_lS9_lSA_lS6_lPT4_lSA_li
; %bb.0:
	s_load_dwordx8 s[12:19], s[0:1], 0x8
	s_load_dwordx2 s[28:29], s[0:1], 0x28
	s_load_dwordx8 s[4:11], s[0:1], 0x58
	s_mov_b32 s34, s3
	s_mov_b32 s35, 0
	s_waitcnt lgkmcnt(0)
	s_mul_i32 s3, s3, s15
	s_mul_hi_u32 s15, s34, s14
	s_add_i32 s15, s15, s3
	s_mul_i32 s14, s34, s14
	s_lshl_b64 s[14:15], s[14:15], 4
	s_add_u32 s12, s12, s14
	s_mul_i32 s3, s34, s7
	s_mul_hi_u32 s7, s34, s6
	s_addc_u32 s13, s13, s15
	s_add_i32 s7, s7, s3
	s_mul_i32 s6, s34, s6
	s_load_dwordx4 s[20:23], s[12:13], 0x0
	s_lshl_b64 s[6:7], s[6:7], 4
	s_add_u32 s4, s4, s6
	s_addc_u32 s5, s5, s7
	s_load_dwordx4 s[12:15], s[4:5], 0x0
	s_waitcnt lgkmcnt(0)
	v_cmp_neq_f64_e64 s[6:7], s[20:21], 0
	v_cmp_neq_f64_e64 s[24:25], s[22:23], 0
	s_or_b64 s[26:27], s[6:7], s[24:25]
	s_mov_b64 s[4:5], 0
	s_mov_b64 s[30:31], -1
	s_and_b64 vcc, exec, s[26:27]
	s_cbranch_vccnz .LBB365_3
; %bb.1:
	v_cmp_neq_f64_e64 s[4:5], s[12:13], 1.0
	v_cmp_neq_f64_e64 s[6:7], s[14:15], 0
	s_mov_b64 s[30:31], 0
	s_or_b64 s[4:5], s[4:5], s[6:7]
	s_cbranch_execz .LBB365_4
.LBB365_2:
	s_andn2_b64 vcc, exec, s[4:5]
	s_cbranch_vccz .LBB365_5
	s_branch .LBB365_35
.LBB365_3:
	s_andn2_b64 vcc, exec, s[30:31]
	s_cbranch_vccnz .LBB365_2
.LBB365_4:
	s_lshl_b64 s[4:5], s[34:35], 3
	s_add_u32 s4, s16, s4
	s_addc_u32 s5, s17, s5
	s_load_dwordx2 s[4:5], s[4:5], 0x0
	s_lshl_b64 s[6:7], s[18:19], 4
	s_waitcnt lgkmcnt(0)
	s_add_u32 s30, s4, s6
	s_addc_u32 s31, s5, s7
.LBB365_5:
	s_load_dwordx2 s[18:19], s[0:1], 0x78
	s_load_dwordx4 s[4:7], s[0:1], 0x38
	s_load_dwordx2 s[24:25], s[0:1], 0x48
	s_xor_b64 s[36:37], s[26:27], -1
	s_mov_b64 s[16:17], 0
	s_andn2_b64 vcc, exec, s[26:27]
	s_mov_b64 s[26:27], 0
	s_cbranch_vccnz .LBB365_7
; %bb.6:
	s_lshl_b64 s[26:27], s[34:35], 3
	s_waitcnt lgkmcnt(0)
	s_add_u32 s4, s4, s26
	s_addc_u32 s5, s5, s27
	s_load_dwordx2 s[4:5], s[4:5], 0x0
	s_lshl_b64 s[6:7], s[6:7], 4
	s_waitcnt lgkmcnt(0)
	s_add_u32 s26, s4, s6
	s_addc_u32 s27, s5, s7
.LBB365_7:
	s_waitcnt lgkmcnt(0)
	s_lshl_b64 s[4:5], s[34:35], 3
	s_add_u32 s4, s8, s4
	s_addc_u32 s5, s9, s5
	s_load_dwordx2 s[4:5], s[4:5], 0x0
	s_lshl_b64 s[6:7], s[10:11], 4
	s_waitcnt lgkmcnt(0)
	s_add_u32 s3, s4, s6
	s_addc_u32 s33, s5, s7
	s_andn2_b64 vcc, exec, s[36:37]
	v_cmp_eq_u32_e64 s[4:5], 0, v0
	s_cbranch_vccnz .LBB365_14
; %bb.8:
	s_mov_b64 s[8:9], 0
                                        ; implicit-def: $vgpr4_vgpr5
                                        ; implicit-def: $sgpr6_sgpr7
	s_and_saveexec_b64 s[10:11], s[4:5]
	s_cbranch_execz .LBB365_15
; %bb.9:
	v_cmp_neq_f64_e64 s[4:5], s[12:13], 0
	v_cmp_neq_f64_e64 s[16:17], s[14:15], 0
	s_ashr_i32 s6, s2, 31
	s_mul_i32 s7, s2, s19
	s_mul_hi_u32 s34, s2, s18
	v_mov_b64_e32 v[4:5], 0
	s_add_i32 s7, s34, s7
	s_mul_i32 s6, s6, s18
	s_or_b64 s[4:5], s[4:5], s[16:17]
	s_add_i32 s7, s7, s6
	s_mul_i32 s6, s2, s18
	s_andn2_b64 vcc, exec, s[4:5]
	v_mov_b64_e32 v[2:3], v[4:5]
	s_cbranch_vccnz .LBB365_11
; %bb.10:
	s_lshl_b64 s[4:5], s[6:7], 4
	s_add_u32 s4, s3, s4
	s_addc_u32 s5, s33, s5
	s_load_dwordx4 s[36:39], s[4:5], 0x0
	s_waitcnt lgkmcnt(0)
	v_mov_b64_e32 v[2:3], s[38:39]
	v_mov_b64_e32 v[6:7], s[36:37]
	v_mul_f64 v[8:9], s[14:15], v[2:3]
	v_mul_f64 v[4:5], s[12:13], v[2:3]
	v_fma_f64 v[2:3], s[12:13], v[6:7], -v[8:9]
	v_fmac_f64_e32 v[4:5], s[14:15], v[6:7]
.LBB365_11:
	s_mov_b64 s[16:17], exec
	s_or_b64 exec, exec, s[10:11]
	s_and_b64 vcc, exec, s[8:9]
	s_cbranch_vccnz .LBB365_16
.LBB365_12:
	s_and_saveexec_b64 s[0:1], s[16:17]
	s_cbranch_execz .LBB365_35
.LBB365_13:
	s_lshl_b64 s[0:1], s[6:7], 4
	s_add_u32 s0, s3, s0
	s_addc_u32 s1, s33, s1
	v_mov_b32_e32 v0, 0
	global_store_dwordx4 v0, v[2:5], s[0:1]
	s_endpgm
.LBB365_14:
                                        ; implicit-def: $vgpr4_vgpr5
                                        ; implicit-def: $sgpr6_sgpr7
	s_cbranch_execnz .LBB365_16
	s_branch .LBB365_12
.LBB365_15:
	s_or_b64 exec, exec, s[10:11]
	s_and_b64 vcc, exec, s[8:9]
	s_cbranch_vccz .LBB365_12
.LBB365_16:
	s_load_dword s1, s[0:1], 0x0
	s_ashr_i32 s34, s2, 31
	s_mul_i32 s0, s2, s29
	s_mul_hi_u32 s4, s2, s28
	s_add_i32 s0, s4, s0
	s_mul_i32 s4, s34, s28
	s_add_i32 s5, s0, s4
	s_mul_i32 s4, s2, s28
	s_lshl_b64 s[4:5], s[4:5], 4
	s_add_u32 s4, s4, s30
	s_waitcnt lgkmcnt(0)
	v_cmp_gt_i32_e32 vcc, s1, v0
	s_addc_u32 s5, s5, s31
	s_ashr_i32 s0, s1, 31
	v_cndmask_b32_e32 v1, 0, v0, vcc
	s_lshr_b32 s0, s0, 22
	v_mov_b32_e32 v3, 0
	v_lshlrev_b32_e32 v2, 4, v1
	s_add_i32 s0, s1, s0
	v_lshl_add_u64 v[6:7], s[4:5], 0, v[2:3]
	s_and_b32 s0, s0, 0xfffffc00
	v_mov_b64_e32 v[2:3], 0
	v_cmp_gt_i32_e32 vcc, s0, v0
	v_mov_b64_e32 v[4:5], v[2:3]
	s_and_saveexec_b64 s[4:5], vcc
	s_cbranch_execz .LBB365_20
; %bb.17:
	v_mad_u64_u32 v[2:3], s[6:7], s24, v0, 0
	v_mov_b32_e32 v4, v3
	v_mad_u64_u32 v[4:5], s[6:7], s25, v0, v[4:5]
	v_mov_b32_e32 v3, v4
	v_lshl_add_u64 v[8:9], v[2:3], 4, s[26:27]
	v_mov_b64_e32 v[2:3], 0
	s_lshl_b64 s[8:9], s[24:25], 14
	s_mov_b64 s[6:7], 0
	s_mov_b64 s[10:11], 0x4000
	v_mov_b64_e32 v[10:11], v[6:7]
	v_mov_b32_e32 v1, v0
	v_mov_b64_e32 v[4:5], v[2:3]
.LBB365_18:                             ; =>This Inner Loop Header: Depth=1
	flat_load_dwordx4 v[12:15], v[10:11]
	flat_load_dwordx4 v[16:19], v[8:9]
	v_add_u32_e32 v1, 0x400, v1
	v_cmp_le_i32_e32 vcc, s0, v1
	v_lshl_add_u64 v[10:11], v[10:11], 0, s[10:11]
	v_lshl_add_u64 v[8:9], v[8:9], 0, s[8:9]
	s_or_b64 s[6:7], vcc, s[6:7]
	s_waitcnt vmcnt(0) lgkmcnt(0)
	v_mul_f64 v[20:21], v[14:15], v[18:19]
	v_mul_f64 v[18:19], v[12:13], v[18:19]
	v_fma_f64 v[12:13], v[12:13], v[16:17], -v[20:21]
	v_fmac_f64_e32 v[18:19], v[14:15], v[16:17]
	v_add_f64 v[4:5], v[4:5], v[12:13]
	v_add_f64 v[2:3], v[2:3], v[18:19]
	s_andn2_b64 exec, exec, s[6:7]
	s_cbranch_execnz .LBB365_18
; %bb.19:
	s_or_b64 exec, exec, s[6:7]
.LBB365_20:
	s_or_b64 exec, exec, s[4:5]
	v_or_b32_e32 v1, s0, v0
	v_cmp_gt_i32_e32 vcc, s1, v1
	s_and_saveexec_b64 s[4:5], vcc
	s_cbranch_execz .LBB365_22
; %bb.21:
	s_ashr_i32 s1, s0, 31
	v_ashrrev_i32_e32 v10, 31, v1
	v_lshl_add_u64 v[6:7], s[0:1], 4, v[6:7]
	v_mul_lo_u32 v12, v1, s25
	v_mul_lo_u32 v13, v10, s24
	v_mad_u64_u32 v[10:11], s[0:1], v1, s24, 0
	v_add3_u32 v11, v11, v12, v13
	v_lshl_add_u64 v[10:11], v[10:11], 4, s[26:27]
	flat_load_dwordx4 v[6:9], v[6:7]
	s_nop 0
	flat_load_dwordx4 v[10:13], v[10:11]
	s_waitcnt vmcnt(0) lgkmcnt(0)
	v_mul_f64 v[14:15], v[8:9], v[12:13]
	v_mul_f64 v[12:13], v[6:7], v[12:13]
	v_fma_f64 v[6:7], v[6:7], v[10:11], -v[14:15]
	v_fmac_f64_e32 v[12:13], v[8:9], v[10:11]
	v_add_f64 v[4:5], v[4:5], v[6:7]
	v_add_f64 v[2:3], v[2:3], v[12:13]
.LBB365_22:
	s_or_b64 exec, exec, s[4:5]
	v_and_b32_e32 v13, 63, v0
	v_cmp_gt_u32_e32 vcc, 64, v0
	v_lshlrev_b32_e32 v1, 4, v13
	s_and_saveexec_b64 s[0:1], vcc
	s_cbranch_execz .LBB365_24
; %bb.23:
	v_mov_b32_e32 v6, 0
	v_mov_b32_e32 v7, v6
	;; [unrolled: 1-line block ×4, first 2 shown]
	ds_write_b128 v1, v[6:9]
.LBB365_24:
	s_or_b64 exec, exec, s[0:1]
	v_mbcnt_lo_u32_b32 v6, -1, 0
	v_mbcnt_hi_u32_b32 v14, -1, v6
	v_and_b32_e32 v15, 63, v14
	v_cmp_gt_u32_e64 s[0:1], 32, v15
	s_waitcnt lgkmcnt(0)
	s_barrier
	v_cndmask_b32_e64 v6, 0, 1, s[0:1]
	v_lshlrev_b32_e32 v6, 5, v6
	v_add_lshl_u32 v9, v6, v14, 2
	ds_bpermute_b32 v6, v9, v4
	ds_bpermute_b32 v7, v9, v5
	ds_bpermute_b32 v8, v9, v2
	ds_bpermute_b32 v9, v9, v3
	v_cmp_gt_u32_e64 s[0:1], 48, v15
	s_waitcnt lgkmcnt(0)
	v_add_f64 v[4:5], v[4:5], v[6:7]
	v_cndmask_b32_e64 v6, 0, 1, s[0:1]
	v_lshlrev_b32_e32 v6, 4, v6
	v_add_f64 v[2:3], v[2:3], v[8:9]
	v_add_lshl_u32 v9, v6, v14, 2
	ds_bpermute_b32 v6, v9, v4
	ds_bpermute_b32 v7, v9, v5
	ds_bpermute_b32 v8, v9, v2
	ds_bpermute_b32 v9, v9, v3
	v_cmp_gt_u32_e64 s[0:1], 56, v15
	s_waitcnt lgkmcnt(2)
	v_add_f64 v[4:5], v[4:5], v[6:7]
	v_cndmask_b32_e64 v6, 0, 1, s[0:1]
	v_lshlrev_b32_e32 v6, 3, v6
	v_add_lshl_u32 v10, v6, v14, 2
	ds_bpermute_b32 v6, v10, v4
	ds_bpermute_b32 v7, v10, v5
	s_waitcnt lgkmcnt(2)
	v_add_f64 v[2:3], v[2:3], v[8:9]
	ds_bpermute_b32 v8, v10, v2
	ds_bpermute_b32 v9, v10, v3
	v_cmp_gt_u32_e64 s[0:1], 60, v15
	s_waitcnt lgkmcnt(2)
	v_add_f64 v[4:5], v[4:5], v[6:7]
	s_waitcnt lgkmcnt(0)
	v_add_f64 v[2:3], v[2:3], v[8:9]
	v_cndmask_b32_e64 v6, 0, 1, s[0:1]
	v_lshlrev_b32_e32 v6, 2, v6
	v_add_lshl_u32 v11, v6, v14, 2
	ds_bpermute_b32 v6, v11, v4
	ds_bpermute_b32 v7, v11, v5
	;; [unrolled: 1-line block ×4, first 2 shown]
	v_cmp_gt_u32_e64 s[0:1], 62, v15
	s_waitcnt lgkmcnt(2)
	v_add_f64 v[4:5], v[4:5], v[6:7]
	s_waitcnt lgkmcnt(0)
	v_add_f64 v[6:7], v[2:3], v[8:9]
	v_cndmask_b32_e64 v2, 0, 1, s[0:1]
	v_lshlrev_b32_e32 v2, 1, v2
	v_add_lshl_u32 v12, v2, v14, 2
	ds_bpermute_b32 v2, v12, v4
	ds_bpermute_b32 v3, v12, v5
	ds_bpermute_b32 v8, v12, v6
	ds_bpermute_b32 v9, v12, v7
	v_cmp_ne_u32_e64 s[0:1], 63, v15
	s_waitcnt lgkmcnt(2)
	v_add_f64 v[2:3], v[4:5], v[2:3]
	v_addc_co_u32_e64 v4, s[0:1], 0, v14, s[0:1]
	s_waitcnt lgkmcnt(0)
	v_add_f64 v[6:7], v[6:7], v[8:9]
	v_lshlrev_b32_e32 v14, 2, v4
	ds_bpermute_b32 v4, v14, v2
	ds_bpermute_b32 v5, v14, v3
	;; [unrolled: 1-line block ×4, first 2 shown]
	v_cmp_eq_u32_e64 s[0:1], 0, v13
	s_and_saveexec_b64 s[4:5], s[0:1]
	s_cbranch_execz .LBB365_26
; %bb.25:
	v_lshrrev_b32_e32 v13, 2, v0
	v_and_b32_e32 v13, 0xf0, v13
	s_waitcnt lgkmcnt(0)
	v_add_f64 v[6:7], v[6:7], v[8:9]
	v_add_f64 v[4:5], v[2:3], v[4:5]
	ds_write_b128 v13, v[4:7]
.LBB365_26:
	s_or_b64 exec, exec, s[4:5]
	s_waitcnt lgkmcnt(0)
	v_mov_b64_e32 v[8:9], 0
	v_cmp_gt_u32_e64 s[0:1], 16, v0
	v_mov_b64_e32 v[6:7], v[8:9]
	s_barrier
	s_and_saveexec_b64 s[4:5], s[0:1]
	s_cbranch_execz .LBB365_28
; %bb.27:
	ds_read_b128 v[6:9], v1
	s_or_b64 exec, exec, s[4:5]
	s_and_saveexec_b64 s[0:1], vcc
	s_cbranch_execz .LBB365_30
	s_branch .LBB365_29
.LBB365_28:
	s_or_b64 exec, exec, s[4:5]
	s_and_saveexec_b64 s[0:1], vcc
	s_cbranch_execz .LBB365_30
.LBB365_29:
	s_waitcnt lgkmcnt(0)
	ds_bpermute_b32 v2, v10, v6
	ds_bpermute_b32 v3, v10, v7
	;; [unrolled: 1-line block ×4, first 2 shown]
	s_waitcnt lgkmcnt(2)
	v_add_f64 v[2:3], v[6:7], v[2:3]
	ds_bpermute_b32 v6, v11, v2
	s_waitcnt lgkmcnt(1)
	v_add_f64 v[4:5], v[8:9], v[4:5]
	ds_bpermute_b32 v7, v11, v3
	ds_bpermute_b32 v8, v11, v4
	ds_bpermute_b32 v9, v11, v5
	s_waitcnt lgkmcnt(2)
	v_add_f64 v[2:3], v[2:3], v[6:7]
	ds_bpermute_b32 v6, v12, v2
	s_waitcnt lgkmcnt(1)
	v_add_f64 v[4:5], v[4:5], v[8:9]
	ds_bpermute_b32 v7, v12, v3
	ds_bpermute_b32 v8, v12, v4
	ds_bpermute_b32 v9, v12, v5
	;; [unrolled: 8-line block ×3, first 2 shown]
	s_waitcnt lgkmcnt(2)
	v_add_f64 v[6:7], v[2:3], v[6:7]
	s_waitcnt lgkmcnt(0)
	v_add_f64 v[8:9], v[4:5], v[8:9]
.LBB365_30:
	s_or_b64 exec, exec, s[0:1]
	v_cmp_eq_u32_e32 vcc, 0, v0
                                        ; implicit-def: $vgpr4_vgpr5
                                        ; implicit-def: $sgpr6_sgpr7
	s_and_saveexec_b64 s[0:1], vcc
	s_cbranch_execz .LBB365_34
; %bb.31:
	v_cmp_neq_f64_e64 s[4:5], s[12:13], 0
	v_cmp_neq_f64_e64 s[8:9], s[14:15], 0
	s_mul_i32 s6, s2, s19
	s_mul_hi_u32 s7, s2, s18
	s_waitcnt lgkmcnt(0)
	v_mul_f64 v[0:1], s[22:23], v[8:9]
	v_mul_f64 v[4:5], s[20:21], v[8:9]
	s_add_i32 s6, s7, s6
	s_mul_i32 s7, s34, s18
	s_or_b64 s[4:5], s[4:5], s[8:9]
	v_fma_f64 v[2:3], s[20:21], v[6:7], -v[0:1]
	v_fmac_f64_e32 v[4:5], s[22:23], v[6:7]
	s_add_i32 s7, s6, s7
	s_andn2_b64 vcc, exec, s[4:5]
	s_mul_i32 s6, s2, s18
	s_cbranch_vccnz .LBB365_33
; %bb.32:
	s_lshl_b64 s[4:5], s[6:7], 4
	s_add_u32 s4, s3, s4
	s_addc_u32 s5, s33, s5
	s_load_dwordx4 s[8:11], s[4:5], 0x0
	s_waitcnt lgkmcnt(0)
	v_mov_b64_e32 v[0:1], s[10:11]
	v_mov_b64_e32 v[6:7], s[8:9]
	v_mul_f64 v[8:9], s[14:15], v[0:1]
	v_mul_f64 v[0:1], s[12:13], v[0:1]
	v_fma_f64 v[8:9], s[12:13], v[6:7], -v[8:9]
	v_fmac_f64_e32 v[0:1], s[14:15], v[6:7]
	v_add_f64 v[2:3], v[2:3], v[8:9]
	v_add_f64 v[4:5], v[4:5], v[0:1]
.LBB365_33:
	s_or_b64 s[16:17], s[16:17], exec
.LBB365_34:
	s_or_b64 exec, exec, s[0:1]
	s_and_saveexec_b64 s[0:1], s[16:17]
	s_cbranch_execnz .LBB365_13
.LBB365_35:
	s_endpgm
	.section	.rodata,"a",@progbits
	.p2align	6, 0x0
	.amdhsa_kernel _ZL32rocblas_gemvt_warp_reduce_kernelILb0ELi1024ElPK19rocblas_complex_numIdES3_KPS1_EviiT3_lPKT2_lT1_lS9_lSA_lS6_lPT4_lSA_li
		.amdhsa_group_segment_fixed_size 1024
		.amdhsa_private_segment_fixed_size 0
		.amdhsa_kernarg_size 140
		.amdhsa_user_sgpr_count 2
		.amdhsa_user_sgpr_dispatch_ptr 0
		.amdhsa_user_sgpr_queue_ptr 0
		.amdhsa_user_sgpr_kernarg_segment_ptr 1
		.amdhsa_user_sgpr_dispatch_id 0
		.amdhsa_user_sgpr_kernarg_preload_length 0
		.amdhsa_user_sgpr_kernarg_preload_offset 0
		.amdhsa_user_sgpr_private_segment_size 0
		.amdhsa_uses_dynamic_stack 0
		.amdhsa_enable_private_segment 0
		.amdhsa_system_sgpr_workgroup_id_x 1
		.amdhsa_system_sgpr_workgroup_id_y 0
		.amdhsa_system_sgpr_workgroup_id_z 1
		.amdhsa_system_sgpr_workgroup_info 0
		.amdhsa_system_vgpr_workitem_id 0
		.amdhsa_next_free_vgpr 22
		.amdhsa_next_free_sgpr 40
		.amdhsa_accum_offset 24
		.amdhsa_reserve_vcc 1
		.amdhsa_float_round_mode_32 0
		.amdhsa_float_round_mode_16_64 0
		.amdhsa_float_denorm_mode_32 3
		.amdhsa_float_denorm_mode_16_64 3
		.amdhsa_dx10_clamp 1
		.amdhsa_ieee_mode 1
		.amdhsa_fp16_overflow 0
		.amdhsa_tg_split 0
		.amdhsa_exception_fp_ieee_invalid_op 0
		.amdhsa_exception_fp_denorm_src 0
		.amdhsa_exception_fp_ieee_div_zero 0
		.amdhsa_exception_fp_ieee_overflow 0
		.amdhsa_exception_fp_ieee_underflow 0
		.amdhsa_exception_fp_ieee_inexact 0
		.amdhsa_exception_int_div_zero 0
	.end_amdhsa_kernel
	.section	.text._ZL32rocblas_gemvt_warp_reduce_kernelILb0ELi1024ElPK19rocblas_complex_numIdES3_KPS1_EviiT3_lPKT2_lT1_lS9_lSA_lS6_lPT4_lSA_li,"axG",@progbits,_ZL32rocblas_gemvt_warp_reduce_kernelILb0ELi1024ElPK19rocblas_complex_numIdES3_KPS1_EviiT3_lPKT2_lT1_lS9_lSA_lS6_lPT4_lSA_li,comdat
.Lfunc_end365:
	.size	_ZL32rocblas_gemvt_warp_reduce_kernelILb0ELi1024ElPK19rocblas_complex_numIdES3_KPS1_EviiT3_lPKT2_lT1_lS9_lSA_lS6_lPT4_lSA_li, .Lfunc_end365-_ZL32rocblas_gemvt_warp_reduce_kernelILb0ELi1024ElPK19rocblas_complex_numIdES3_KPS1_EviiT3_lPKT2_lT1_lS9_lSA_lS6_lPT4_lSA_li
                                        ; -- End function
	.section	.AMDGPU.csdata,"",@progbits
; Kernel info:
; codeLenInByte = 2112
; NumSgprs: 46
; NumVgprs: 22
; NumAgprs: 0
; TotalNumVgprs: 22
; ScratchSize: 0
; MemoryBound: 0
; FloatMode: 240
; IeeeMode: 1
; LDSByteSize: 1024 bytes/workgroup (compile time only)
; SGPRBlocks: 5
; VGPRBlocks: 2
; NumSGPRsForWavesPerEU: 46
; NumVGPRsForWavesPerEU: 22
; AccumOffset: 24
; Occupancy: 8
; WaveLimiterHint : 1
; COMPUTE_PGM_RSRC2:SCRATCH_EN: 0
; COMPUTE_PGM_RSRC2:USER_SGPR: 2
; COMPUTE_PGM_RSRC2:TRAP_HANDLER: 0
; COMPUTE_PGM_RSRC2:TGID_X_EN: 1
; COMPUTE_PGM_RSRC2:TGID_Y_EN: 0
; COMPUTE_PGM_RSRC2:TGID_Z_EN: 1
; COMPUTE_PGM_RSRC2:TIDIG_COMP_CNT: 0
; COMPUTE_PGM_RSRC3_GFX90A:ACCUM_OFFSET: 5
; COMPUTE_PGM_RSRC3_GFX90A:TG_SPLIT: 0
	.section	.text._ZL32rocblas_gemvt_warp_reduce_kernelILb0ELi1024EiPK19rocblas_complex_numIdES1_KPS1_EviiT3_lPKT2_lT1_lS9_lSA_lS6_lPT4_lSA_li,"axG",@progbits,_ZL32rocblas_gemvt_warp_reduce_kernelILb0ELi1024EiPK19rocblas_complex_numIdES1_KPS1_EviiT3_lPKT2_lT1_lS9_lSA_lS6_lPT4_lSA_li,comdat
	.globl	_ZL32rocblas_gemvt_warp_reduce_kernelILb0ELi1024EiPK19rocblas_complex_numIdES1_KPS1_EviiT3_lPKT2_lT1_lS9_lSA_lS6_lPT4_lSA_li ; -- Begin function _ZL32rocblas_gemvt_warp_reduce_kernelILb0ELi1024EiPK19rocblas_complex_numIdES1_KPS1_EviiT3_lPKT2_lT1_lS9_lSA_lS6_lPT4_lSA_li
	.p2align	8
	.type	_ZL32rocblas_gemvt_warp_reduce_kernelILb0ELi1024EiPK19rocblas_complex_numIdES1_KPS1_EviiT3_lPKT2_lT1_lS9_lSA_lS6_lPT4_lSA_li,@function
_ZL32rocblas_gemvt_warp_reduce_kernelILb0ELi1024EiPK19rocblas_complex_numIdES1_KPS1_EviiT3_lPKT2_lT1_lS9_lSA_lS6_lPT4_lSA_li: ; @_ZL32rocblas_gemvt_warp_reduce_kernelILb0ELi1024EiPK19rocblas_complex_numIdES1_KPS1_EviiT3_lPKT2_lT1_lS9_lSA_lS6_lPT4_lSA_li
; %bb.0:
	s_load_dwordx4 s[12:15], s[0:1], 0x8
	s_load_dwordx4 s[8:11], s[0:1], 0x60
	s_mov_b32 s4, s3
	s_mov_b64 s[6:7], 0
	s_mov_b64 s[20:21], -1
	s_waitcnt lgkmcnt(0)
	v_cmp_neq_f64_e64 s[16:17], s[12:13], 0
	v_cmp_neq_f64_e64 s[18:19], s[14:15], 0
	s_or_b64 s[16:17], s[16:17], s[18:19]
	s_and_b64 vcc, exec, s[16:17]
	s_cbranch_vccnz .LBB366_3
; %bb.1:
	v_cmp_eq_f64_e64 s[6:7], s[8:9], 1.0
	v_cmp_eq_f64_e64 s[18:19], s[10:11], 0
	s_and_b64 s[6:7], s[6:7], s[18:19]
	s_andn2_b64 vcc, exec, s[6:7]
	s_mov_b64 s[20:21], 0
	s_cbranch_vccz .LBB366_13
; %bb.2:
	s_mov_b32 s5, 0
	s_mov_b64 s[6:7], -1
	s_mov_b64 s[18:19], 0
	s_and_b64 vcc, exec, s[20:21]
	s_cbranch_vccnz .LBB366_4
	s_branch .LBB366_5
.LBB366_3:
                                        ; implicit-def: $sgpr18_sgpr19
	s_and_b64 vcc, exec, s[20:21]
	s_cbranch_vccz .LBB366_5
.LBB366_4:
	s_load_dwordx4 s[20:23], s[0:1], 0x20
	s_mov_b32 s5, 0
	s_lshl_b64 s[6:7], s[4:5], 3
	s_waitcnt lgkmcnt(0)
	s_add_u32 s6, s20, s6
	s_addc_u32 s7, s21, s7
	s_load_dwordx2 s[6:7], s[6:7], 0x0
	s_lshl_b64 s[18:19], s[22:23], 4
	s_waitcnt lgkmcnt(0)
	s_add_u32 s18, s6, s18
	s_addc_u32 s19, s7, s19
	s_mov_b64 s[6:7], -1
.LBB366_5:
	s_andn2_b64 vcc, exec, s[6:7]
	s_cbranch_vccnz .LBB366_37
; %bb.6:
	s_xor_b64 s[20:21], s[16:17], -1
	s_mov_b64 s[6:7], 0
	s_andn2_b64 vcc, exec, s[16:17]
	s_mov_b64 s[16:17], 0
	s_cbranch_vccnz .LBB366_8
; %bb.7:
	s_load_dwordx4 s[24:27], s[0:1], 0x40
	s_lshl_b64 s[16:17], s[4:5], 3
	s_waitcnt lgkmcnt(0)
	s_add_u32 s16, s24, s16
	s_addc_u32 s17, s25, s17
	s_load_dwordx2 s[16:17], s[16:17], 0x0
	s_lshl_b64 s[22:23], s[26:27], 4
	s_waitcnt lgkmcnt(0)
	s_add_u32 s16, s16, s22
	s_addc_u32 s17, s17, s23
.LBB366_8:
	s_load_dwordx4 s[28:31], s[0:1], 0x78
	s_load_dword s27, s[0:1], 0x88
	s_lshl_b64 s[4:5], s[4:5], 3
	s_waitcnt lgkmcnt(0)
	s_add_u32 s4, s28, s4
	s_addc_u32 s5, s29, s5
	s_load_dwordx2 s[4:5], s[4:5], 0x0
	s_lshl_b64 s[22:23], s[30:31], 4
	s_waitcnt lgkmcnt(0)
	s_add_u32 s3, s4, s22
	s_addc_u32 s26, s5, s23
	s_andn2_b64 vcc, exec, s[20:21]
	v_cmp_eq_u32_e64 s[4:5], 0, v0
	s_cbranch_vccnz .LBB366_14
; %bb.9:
	s_mov_b64 s[22:23], 0
                                        ; implicit-def: $vgpr4_vgpr5
                                        ; implicit-def: $sgpr20_sgpr21
	s_and_saveexec_b64 s[24:25], s[4:5]
	s_cbranch_execz .LBB366_15
; %bb.10:
	v_cmp_neq_f64_e64 s[4:5], s[8:9], 0
	v_cmp_neq_f64_e64 s[6:7], s[10:11], 0
	v_mov_b64_e32 v[4:5], 0
	s_mul_i32 s20, s2, s27
	s_or_b64 s[4:5], s[4:5], s[6:7]
	s_ashr_i32 s21, s20, 31
	s_andn2_b64 vcc, exec, s[4:5]
	v_mov_b64_e32 v[2:3], v[4:5]
	s_cbranch_vccnz .LBB366_12
; %bb.11:
	s_lshl_b64 s[4:5], s[20:21], 4
	s_add_u32 s4, s3, s4
	s_addc_u32 s5, s26, s5
	s_load_dwordx4 s[4:7], s[4:5], 0x0
	s_waitcnt lgkmcnt(0)
	v_mov_b64_e32 v[2:3], s[6:7]
	v_mov_b64_e32 v[6:7], s[4:5]
	v_mul_f64 v[8:9], s[10:11], v[2:3]
	v_mul_f64 v[4:5], s[8:9], v[2:3]
	v_fma_f64 v[2:3], s[8:9], v[6:7], -v[8:9]
	v_fmac_f64_e32 v[4:5], s[10:11], v[6:7]
.LBB366_12:
	s_mov_b64 s[6:7], exec
	s_or_b64 exec, exec, s[24:25]
	s_and_b64 vcc, exec, s[22:23]
	s_cbranch_vccnz .LBB366_16
	s_branch .LBB366_35
.LBB366_13:
                                        ; implicit-def: $sgpr18_sgpr19
	s_mov_b64 s[6:7], 0
	s_and_b64 vcc, exec, s[20:21]
	s_cbranch_vccnz .LBB366_4
	s_branch .LBB366_5
.LBB366_14:
                                        ; implicit-def: $vgpr4_vgpr5
                                        ; implicit-def: $sgpr20_sgpr21
	s_cbranch_execnz .LBB366_16
	s_branch .LBB366_35
.LBB366_15:
	s_or_b64 exec, exec, s[24:25]
	s_and_b64 vcc, exec, s[22:23]
	s_cbranch_vccz .LBB366_35
.LBB366_16:
	s_load_dword s23, s[0:1], 0x0
	s_load_dword s4, s[0:1], 0x30
	;; [unrolled: 1-line block ×3, first 2 shown]
	v_mov_b32_e32 v3, 0
	s_waitcnt lgkmcnt(0)
	v_cmp_gt_i32_e32 vcc, s23, v0
	s_mul_i32 s0, s2, s4
	s_ashr_i32 s1, s0, 31
	s_lshl_b64 s[0:1], s[0:1], 4
	v_cndmask_b32_e32 v1, 0, v0, vcc
	s_add_u32 s0, s0, s18
	v_lshlrev_b32_e32 v2, 4, v1
	s_addc_u32 s1, s1, s19
	v_lshl_add_u64 v[6:7], s[0:1], 0, v[2:3]
	s_ashr_i32 s0, s23, 31
	s_lshr_b32 s0, s0, 22
	s_add_i32 s0, s23, s0
	s_and_b32 s0, s0, 0xfffffc00
	v_mov_b64_e32 v[2:3], 0
	v_cmp_gt_i32_e32 vcc, s0, v0
	v_mov_b64_e32 v[4:5], v[2:3]
	s_and_saveexec_b64 s[4:5], vcc
	s_cbranch_execz .LBB366_20
; %bb.17:
	v_mov_b64_e32 v[2:3], 0
	v_mul_lo_u32 v8, v0, s22
	s_lshl_b32 s1, s22, 10
	s_mov_b64 s[18:19], 0
	s_mov_b64 s[20:21], 0x4000
	v_mov_b64_e32 v[10:11], v[6:7]
	v_mov_b32_e32 v1, v0
	v_mov_b64_e32 v[4:5], v[2:3]
.LBB366_18:                             ; =>This Inner Loop Header: Depth=1
	v_ashrrev_i32_e32 v9, 31, v8
	v_lshl_add_u64 v[16:17], v[8:9], 4, s[16:17]
	flat_load_dwordx4 v[12:15], v[10:11]
	v_add_u32_e32 v1, 0x400, v1
	flat_load_dwordx4 v[16:19], v[16:17]
	v_cmp_le_i32_e32 vcc, s0, v1
	v_lshl_add_u64 v[10:11], v[10:11], 0, s[20:21]
	v_add_u32_e32 v8, s1, v8
	s_or_b64 s[18:19], vcc, s[18:19]
	s_waitcnt vmcnt(0) lgkmcnt(0)
	v_mul_f64 v[20:21], v[14:15], v[18:19]
	v_mul_f64 v[18:19], v[12:13], v[18:19]
	v_fma_f64 v[12:13], v[12:13], v[16:17], -v[20:21]
	v_fmac_f64_e32 v[18:19], v[14:15], v[16:17]
	v_add_f64 v[4:5], v[4:5], v[12:13]
	v_add_f64 v[2:3], v[2:3], v[18:19]
	s_andn2_b64 exec, exec, s[18:19]
	s_cbranch_execnz .LBB366_18
; %bb.19:
	s_or_b64 exec, exec, s[18:19]
.LBB366_20:
	s_or_b64 exec, exec, s[4:5]
	v_or_b32_e32 v1, s0, v0
	v_cmp_gt_i32_e32 vcc, s23, v1
	s_and_saveexec_b64 s[4:5], vcc
	s_cbranch_execz .LBB366_22
; %bb.21:
	v_mul_lo_u32 v10, v1, s22
	s_ashr_i32 s1, s0, 31
	v_ashrrev_i32_e32 v11, 31, v10
	v_lshl_add_u64 v[6:7], s[0:1], 4, v[6:7]
	v_lshl_add_u64 v[10:11], v[10:11], 4, s[16:17]
	flat_load_dwordx4 v[6:9], v[6:7]
	s_nop 0
	flat_load_dwordx4 v[10:13], v[10:11]
	s_waitcnt vmcnt(0) lgkmcnt(0)
	v_mul_f64 v[14:15], v[8:9], v[12:13]
	v_mul_f64 v[12:13], v[6:7], v[12:13]
	v_fma_f64 v[6:7], v[6:7], v[10:11], -v[14:15]
	v_fmac_f64_e32 v[12:13], v[8:9], v[10:11]
	v_add_f64 v[4:5], v[4:5], v[6:7]
	v_add_f64 v[2:3], v[2:3], v[12:13]
.LBB366_22:
	s_or_b64 exec, exec, s[4:5]
	v_and_b32_e32 v13, 63, v0
	v_cmp_gt_u32_e32 vcc, 64, v0
	v_lshlrev_b32_e32 v1, 4, v13
	s_and_saveexec_b64 s[0:1], vcc
	s_cbranch_execz .LBB366_24
; %bb.23:
	v_mov_b32_e32 v6, 0
	v_mov_b32_e32 v7, v6
	;; [unrolled: 1-line block ×4, first 2 shown]
	ds_write_b128 v1, v[6:9]
.LBB366_24:
	s_or_b64 exec, exec, s[0:1]
	v_mbcnt_lo_u32_b32 v6, -1, 0
	v_mbcnt_hi_u32_b32 v14, -1, v6
	v_and_b32_e32 v15, 63, v14
	v_cmp_gt_u32_e64 s[0:1], 32, v15
	s_waitcnt lgkmcnt(0)
	s_barrier
	v_cndmask_b32_e64 v6, 0, 1, s[0:1]
	v_lshlrev_b32_e32 v6, 5, v6
	v_add_lshl_u32 v9, v6, v14, 2
	ds_bpermute_b32 v6, v9, v4
	ds_bpermute_b32 v7, v9, v5
	;; [unrolled: 1-line block ×4, first 2 shown]
	v_cmp_gt_u32_e64 s[0:1], 48, v15
	s_waitcnt lgkmcnt(0)
	v_add_f64 v[4:5], v[4:5], v[6:7]
	v_cndmask_b32_e64 v6, 0, 1, s[0:1]
	v_lshlrev_b32_e32 v6, 4, v6
	v_add_f64 v[2:3], v[2:3], v[8:9]
	v_add_lshl_u32 v9, v6, v14, 2
	ds_bpermute_b32 v6, v9, v4
	ds_bpermute_b32 v7, v9, v5
	;; [unrolled: 1-line block ×4, first 2 shown]
	v_cmp_gt_u32_e64 s[0:1], 56, v15
	s_waitcnt lgkmcnt(2)
	v_add_f64 v[4:5], v[4:5], v[6:7]
	v_cndmask_b32_e64 v6, 0, 1, s[0:1]
	v_lshlrev_b32_e32 v6, 3, v6
	v_add_lshl_u32 v10, v6, v14, 2
	ds_bpermute_b32 v6, v10, v4
	ds_bpermute_b32 v7, v10, v5
	s_waitcnt lgkmcnt(2)
	v_add_f64 v[2:3], v[2:3], v[8:9]
	ds_bpermute_b32 v8, v10, v2
	ds_bpermute_b32 v9, v10, v3
	v_cmp_gt_u32_e64 s[0:1], 60, v15
	s_waitcnt lgkmcnt(2)
	v_add_f64 v[4:5], v[4:5], v[6:7]
	s_waitcnt lgkmcnt(0)
	v_add_f64 v[2:3], v[2:3], v[8:9]
	v_cndmask_b32_e64 v6, 0, 1, s[0:1]
	v_lshlrev_b32_e32 v6, 2, v6
	v_add_lshl_u32 v11, v6, v14, 2
	ds_bpermute_b32 v6, v11, v4
	ds_bpermute_b32 v7, v11, v5
	;; [unrolled: 1-line block ×4, first 2 shown]
	v_cmp_gt_u32_e64 s[0:1], 62, v15
	s_waitcnt lgkmcnt(2)
	v_add_f64 v[4:5], v[4:5], v[6:7]
	s_waitcnt lgkmcnt(0)
	v_add_f64 v[6:7], v[2:3], v[8:9]
	v_cndmask_b32_e64 v2, 0, 1, s[0:1]
	v_lshlrev_b32_e32 v2, 1, v2
	v_add_lshl_u32 v12, v2, v14, 2
	ds_bpermute_b32 v2, v12, v4
	ds_bpermute_b32 v3, v12, v5
	;; [unrolled: 1-line block ×4, first 2 shown]
	v_cmp_ne_u32_e64 s[0:1], 63, v15
	s_waitcnt lgkmcnt(2)
	v_add_f64 v[2:3], v[4:5], v[2:3]
	v_addc_co_u32_e64 v4, s[0:1], 0, v14, s[0:1]
	s_waitcnt lgkmcnt(0)
	v_add_f64 v[6:7], v[6:7], v[8:9]
	v_lshlrev_b32_e32 v14, 2, v4
	ds_bpermute_b32 v4, v14, v2
	ds_bpermute_b32 v5, v14, v3
	;; [unrolled: 1-line block ×4, first 2 shown]
	v_cmp_eq_u32_e64 s[0:1], 0, v13
	s_and_saveexec_b64 s[4:5], s[0:1]
	s_cbranch_execz .LBB366_26
; %bb.25:
	v_lshrrev_b32_e32 v13, 2, v0
	v_and_b32_e32 v13, 0xf0, v13
	s_waitcnt lgkmcnt(0)
	v_add_f64 v[6:7], v[6:7], v[8:9]
	v_add_f64 v[4:5], v[2:3], v[4:5]
	ds_write_b128 v13, v[4:7]
.LBB366_26:
	s_or_b64 exec, exec, s[4:5]
	s_waitcnt lgkmcnt(0)
	v_mov_b64_e32 v[8:9], 0
	v_cmp_gt_u32_e64 s[0:1], 16, v0
	v_mov_b64_e32 v[6:7], v[8:9]
	s_barrier
	s_and_saveexec_b64 s[4:5], s[0:1]
	s_cbranch_execz .LBB366_28
; %bb.27:
	ds_read_b128 v[6:9], v1
	s_or_b64 exec, exec, s[4:5]
	s_and_saveexec_b64 s[0:1], vcc
	s_cbranch_execz .LBB366_30
	s_branch .LBB366_29
.LBB366_28:
	s_or_b64 exec, exec, s[4:5]
	s_and_saveexec_b64 s[0:1], vcc
	s_cbranch_execz .LBB366_30
.LBB366_29:
	s_waitcnt lgkmcnt(0)
	ds_bpermute_b32 v2, v10, v6
	ds_bpermute_b32 v3, v10, v7
	;; [unrolled: 1-line block ×4, first 2 shown]
	s_waitcnt lgkmcnt(2)
	v_add_f64 v[2:3], v[6:7], v[2:3]
	ds_bpermute_b32 v6, v11, v2
	s_waitcnt lgkmcnt(1)
	v_add_f64 v[4:5], v[8:9], v[4:5]
	ds_bpermute_b32 v7, v11, v3
	ds_bpermute_b32 v8, v11, v4
	ds_bpermute_b32 v9, v11, v5
	s_waitcnt lgkmcnt(2)
	v_add_f64 v[2:3], v[2:3], v[6:7]
	ds_bpermute_b32 v6, v12, v2
	s_waitcnt lgkmcnt(1)
	v_add_f64 v[4:5], v[4:5], v[8:9]
	ds_bpermute_b32 v7, v12, v3
	ds_bpermute_b32 v8, v12, v4
	ds_bpermute_b32 v9, v12, v5
	;; [unrolled: 8-line block ×3, first 2 shown]
	s_waitcnt lgkmcnt(2)
	v_add_f64 v[6:7], v[2:3], v[6:7]
	s_waitcnt lgkmcnt(0)
	v_add_f64 v[8:9], v[4:5], v[8:9]
.LBB366_30:
	s_or_b64 exec, exec, s[0:1]
	v_cmp_eq_u32_e32 vcc, 0, v0
                                        ; implicit-def: $vgpr4_vgpr5
                                        ; implicit-def: $sgpr20_sgpr21
	s_and_saveexec_b64 s[0:1], vcc
	s_cbranch_execz .LBB366_34
; %bb.31:
	v_cmp_neq_f64_e64 s[4:5], s[8:9], 0
	v_cmp_neq_f64_e64 s[16:17], s[10:11], 0
	s_waitcnt lgkmcnt(0)
	v_mul_f64 v[0:1], s[14:15], v[8:9]
	v_mul_f64 v[4:5], s[12:13], v[8:9]
	s_mul_i32 s20, s2, s27
	s_or_b64 s[4:5], s[4:5], s[16:17]
	v_fma_f64 v[2:3], s[12:13], v[6:7], -v[0:1]
	v_fmac_f64_e32 v[4:5], s[14:15], v[6:7]
	s_andn2_b64 vcc, exec, s[4:5]
	s_ashr_i32 s21, s20, 31
	s_cbranch_vccnz .LBB366_33
; %bb.32:
	s_lshl_b64 s[4:5], s[20:21], 4
	s_add_u32 s4, s3, s4
	s_addc_u32 s5, s26, s5
	s_load_dwordx4 s[12:15], s[4:5], 0x0
	s_waitcnt lgkmcnt(0)
	v_mov_b64_e32 v[0:1], s[14:15]
	v_mov_b64_e32 v[6:7], s[12:13]
	v_mul_f64 v[8:9], s[10:11], v[0:1]
	v_mul_f64 v[0:1], s[8:9], v[0:1]
	v_fma_f64 v[8:9], s[8:9], v[6:7], -v[8:9]
	v_fmac_f64_e32 v[0:1], s[10:11], v[6:7]
	v_add_f64 v[2:3], v[2:3], v[8:9]
	v_add_f64 v[4:5], v[4:5], v[0:1]
.LBB366_33:
	s_or_b64 s[6:7], s[6:7], exec
.LBB366_34:
	s_or_b64 exec, exec, s[0:1]
.LBB366_35:
	s_and_saveexec_b64 s[0:1], s[6:7]
	s_cbranch_execz .LBB366_37
; %bb.36:
	s_lshl_b64 s[0:1], s[20:21], 4
	s_add_u32 s0, s3, s0
	s_addc_u32 s1, s26, s1
	v_mov_b32_e32 v0, 0
	global_store_dwordx4 v0, v[2:5], s[0:1]
.LBB366_37:
	s_endpgm
	.section	.rodata,"a",@progbits
	.p2align	6, 0x0
	.amdhsa_kernel _ZL32rocblas_gemvt_warp_reduce_kernelILb0ELi1024EiPK19rocblas_complex_numIdES1_KPS1_EviiT3_lPKT2_lT1_lS9_lSA_lS6_lPT4_lSA_li
		.amdhsa_group_segment_fixed_size 1024
		.amdhsa_private_segment_fixed_size 0
		.amdhsa_kernarg_size 156
		.amdhsa_user_sgpr_count 2
		.amdhsa_user_sgpr_dispatch_ptr 0
		.amdhsa_user_sgpr_queue_ptr 0
		.amdhsa_user_sgpr_kernarg_segment_ptr 1
		.amdhsa_user_sgpr_dispatch_id 0
		.amdhsa_user_sgpr_kernarg_preload_length 0
		.amdhsa_user_sgpr_kernarg_preload_offset 0
		.amdhsa_user_sgpr_private_segment_size 0
		.amdhsa_uses_dynamic_stack 0
		.amdhsa_enable_private_segment 0
		.amdhsa_system_sgpr_workgroup_id_x 1
		.amdhsa_system_sgpr_workgroup_id_y 0
		.amdhsa_system_sgpr_workgroup_id_z 1
		.amdhsa_system_sgpr_workgroup_info 0
		.amdhsa_system_vgpr_workitem_id 0
		.amdhsa_next_free_vgpr 22
		.amdhsa_next_free_sgpr 32
		.amdhsa_accum_offset 24
		.amdhsa_reserve_vcc 1
		.amdhsa_float_round_mode_32 0
		.amdhsa_float_round_mode_16_64 0
		.amdhsa_float_denorm_mode_32 3
		.amdhsa_float_denorm_mode_16_64 3
		.amdhsa_dx10_clamp 1
		.amdhsa_ieee_mode 1
		.amdhsa_fp16_overflow 0
		.amdhsa_tg_split 0
		.amdhsa_exception_fp_ieee_invalid_op 0
		.amdhsa_exception_fp_denorm_src 0
		.amdhsa_exception_fp_ieee_div_zero 0
		.amdhsa_exception_fp_ieee_overflow 0
		.amdhsa_exception_fp_ieee_underflow 0
		.amdhsa_exception_fp_ieee_inexact 0
		.amdhsa_exception_int_div_zero 0
	.end_amdhsa_kernel
	.section	.text._ZL32rocblas_gemvt_warp_reduce_kernelILb0ELi1024EiPK19rocblas_complex_numIdES1_KPS1_EviiT3_lPKT2_lT1_lS9_lSA_lS6_lPT4_lSA_li,"axG",@progbits,_ZL32rocblas_gemvt_warp_reduce_kernelILb0ELi1024EiPK19rocblas_complex_numIdES1_KPS1_EviiT3_lPKT2_lT1_lS9_lSA_lS6_lPT4_lSA_li,comdat
.Lfunc_end366:
	.size	_ZL32rocblas_gemvt_warp_reduce_kernelILb0ELi1024EiPK19rocblas_complex_numIdES1_KPS1_EviiT3_lPKT2_lT1_lS9_lSA_lS6_lPT4_lSA_li, .Lfunc_end366-_ZL32rocblas_gemvt_warp_reduce_kernelILb0ELi1024EiPK19rocblas_complex_numIdES1_KPS1_EviiT3_lPKT2_lT1_lS9_lSA_lS6_lPT4_lSA_li
                                        ; -- End function
	.section	.AMDGPU.csdata,"",@progbits
; Kernel info:
; codeLenInByte = 1996
; NumSgprs: 38
; NumVgprs: 22
; NumAgprs: 0
; TotalNumVgprs: 22
; ScratchSize: 0
; MemoryBound: 0
; FloatMode: 240
; IeeeMode: 1
; LDSByteSize: 1024 bytes/workgroup (compile time only)
; SGPRBlocks: 4
; VGPRBlocks: 2
; NumSGPRsForWavesPerEU: 38
; NumVGPRsForWavesPerEU: 22
; AccumOffset: 24
; Occupancy: 8
; WaveLimiterHint : 1
; COMPUTE_PGM_RSRC2:SCRATCH_EN: 0
; COMPUTE_PGM_RSRC2:USER_SGPR: 2
; COMPUTE_PGM_RSRC2:TRAP_HANDLER: 0
; COMPUTE_PGM_RSRC2:TGID_X_EN: 1
; COMPUTE_PGM_RSRC2:TGID_Y_EN: 0
; COMPUTE_PGM_RSRC2:TGID_Z_EN: 1
; COMPUTE_PGM_RSRC2:TIDIG_COMP_CNT: 0
; COMPUTE_PGM_RSRC3_GFX90A:ACCUM_OFFSET: 5
; COMPUTE_PGM_RSRC3_GFX90A:TG_SPLIT: 0
	.section	.text._ZL32rocblas_gemvt_warp_reduce_kernelILb0ELi1024ElPK19rocblas_complex_numIdES1_KPS1_EviiT3_lPKT2_lT1_lS9_lSA_lS6_lPT4_lSA_li,"axG",@progbits,_ZL32rocblas_gemvt_warp_reduce_kernelILb0ELi1024ElPK19rocblas_complex_numIdES1_KPS1_EviiT3_lPKT2_lT1_lS9_lSA_lS6_lPT4_lSA_li,comdat
	.globl	_ZL32rocblas_gemvt_warp_reduce_kernelILb0ELi1024ElPK19rocblas_complex_numIdES1_KPS1_EviiT3_lPKT2_lT1_lS9_lSA_lS6_lPT4_lSA_li ; -- Begin function _ZL32rocblas_gemvt_warp_reduce_kernelILb0ELi1024ElPK19rocblas_complex_numIdES1_KPS1_EviiT3_lPKT2_lT1_lS9_lSA_lS6_lPT4_lSA_li
	.p2align	8
	.type	_ZL32rocblas_gemvt_warp_reduce_kernelILb0ELi1024ElPK19rocblas_complex_numIdES1_KPS1_EviiT3_lPKT2_lT1_lS9_lSA_lS6_lPT4_lSA_li,@function
_ZL32rocblas_gemvt_warp_reduce_kernelILb0ELi1024ElPK19rocblas_complex_numIdES1_KPS1_EviiT3_lPKT2_lT1_lS9_lSA_lS6_lPT4_lSA_li: ; @_ZL32rocblas_gemvt_warp_reduce_kernelILb0ELi1024ElPK19rocblas_complex_numIdES1_KPS1_EviiT3_lPKT2_lT1_lS9_lSA_lS6_lPT4_lSA_li
; %bb.0:
	s_load_dwordx4 s[12:15], s[0:1], 0x8
	s_load_dwordx4 s[4:7], s[0:1], 0x20
	s_load_dwordx2 s[22:23], s[0:1], 0x30
	s_load_dwordx4 s[8:11], s[0:1], 0x60
	s_mov_b32 s26, s3
	s_waitcnt lgkmcnt(0)
	v_cmp_neq_f64_e64 s[18:19], s[12:13], 0
	v_cmp_neq_f64_e64 s[20:21], s[14:15], 0
	s_or_b64 s[20:21], s[18:19], s[20:21]
	s_mov_b64 s[16:17], 0
	s_mov_b64 s[18:19], -1
	s_and_b64 vcc, exec, s[20:21]
	s_cbranch_vccnz .LBB367_3
; %bb.1:
	v_cmp_eq_f64_e64 s[16:17], s[8:9], 1.0
	v_cmp_eq_f64_e64 s[18:19], s[10:11], 0
	s_and_b64 s[16:17], s[16:17], s[18:19]
	s_andn2_b64 vcc, exec, s[16:17]
	s_mov_b64 s[18:19], 0
	s_cbranch_vccz .LBB367_13
; %bb.2:
	s_mov_b32 s27, 0
	s_mov_b64 s[16:17], -1
	s_mov_b64 s[24:25], 0
	s_and_b64 vcc, exec, s[18:19]
	s_cbranch_vccnz .LBB367_4
	s_branch .LBB367_5
.LBB367_3:
                                        ; implicit-def: $sgpr24_sgpr25
	s_and_b64 vcc, exec, s[18:19]
	s_cbranch_vccz .LBB367_5
.LBB367_4:
	s_mov_b32 s27, 0
	s_lshl_b64 s[16:17], s[26:27], 3
	s_add_u32 s4, s4, s16
	s_addc_u32 s5, s5, s17
	s_load_dwordx2 s[4:5], s[4:5], 0x0
	s_lshl_b64 s[6:7], s[6:7], 4
	s_mov_b64 s[16:17], -1
	s_waitcnt lgkmcnt(0)
	s_add_u32 s24, s4, s6
	s_addc_u32 s25, s5, s7
.LBB367_5:
	s_andn2_b64 vcc, exec, s[16:17]
	s_cbranch_vccnz .LBB367_37
; %bb.6:
	s_load_dwordx4 s[4:7], s[0:1], 0x40
	s_load_dwordx2 s[18:19], s[0:1], 0x50
	s_xor_b64 s[28:29], s[20:21], -1
	s_mov_b64 s[16:17], 0
	s_andn2_b64 vcc, exec, s[20:21]
	s_mov_b64 s[20:21], 0
	s_cbranch_vccnz .LBB367_8
; %bb.7:
	s_lshl_b64 s[20:21], s[26:27], 3
	s_waitcnt lgkmcnt(0)
	s_add_u32 s4, s4, s20
	s_addc_u32 s5, s5, s21
	s_load_dwordx2 s[4:5], s[4:5], 0x0
	s_lshl_b64 s[6:7], s[6:7], 4
	s_waitcnt lgkmcnt(0)
	s_add_u32 s20, s4, s6
	s_addc_u32 s21, s5, s7
.LBB367_8:
	s_load_dwordx4 s[36:39], s[0:1], 0x78
	s_waitcnt lgkmcnt(0)
	s_load_dwordx2 s[6:7], s[0:1], 0x88
	s_lshl_b64 s[4:5], s[26:27], 3
	s_add_u32 s4, s36, s4
	s_addc_u32 s5, s37, s5
	s_load_dwordx2 s[4:5], s[4:5], 0x0
	s_lshl_b64 s[26:27], s[38:39], 4
	s_waitcnt lgkmcnt(0)
	s_add_u32 s3, s4, s26
	s_addc_u32 s33, s5, s27
	s_andn2_b64 vcc, exec, s[28:29]
	v_cmp_eq_u32_e64 s[4:5], 0, v0
	s_cbranch_vccnz .LBB367_14
; %bb.9:
	s_mov_b64 s[28:29], 0
                                        ; implicit-def: $vgpr4_vgpr5
                                        ; implicit-def: $sgpr26_sgpr27
	s_and_saveexec_b64 s[30:31], s[4:5]
	s_cbranch_execz .LBB367_15
; %bb.10:
	v_cmp_neq_f64_e64 s[4:5], s[8:9], 0
	v_cmp_neq_f64_e64 s[16:17], s[10:11], 0
	s_ashr_i32 s26, s2, 31
	s_mul_i32 s27, s2, s7
	s_mul_hi_u32 s34, s2, s6
	v_mov_b64_e32 v[4:5], 0
	s_add_i32 s27, s34, s27
	s_mul_i32 s26, s26, s6
	s_or_b64 s[4:5], s[4:5], s[16:17]
	s_add_i32 s27, s27, s26
	s_mul_i32 s26, s2, s6
	s_andn2_b64 vcc, exec, s[4:5]
	v_mov_b64_e32 v[2:3], v[4:5]
	s_cbranch_vccnz .LBB367_12
; %bb.11:
	s_lshl_b64 s[4:5], s[26:27], 4
	s_add_u32 s4, s3, s4
	s_addc_u32 s5, s33, s5
	s_load_dwordx4 s[36:39], s[4:5], 0x0
	s_waitcnt lgkmcnt(0)
	v_mov_b64_e32 v[2:3], s[38:39]
	v_mov_b64_e32 v[6:7], s[36:37]
	v_mul_f64 v[8:9], s[10:11], v[2:3]
	v_mul_f64 v[4:5], s[8:9], v[2:3]
	v_fma_f64 v[2:3], s[8:9], v[6:7], -v[8:9]
	v_fmac_f64_e32 v[4:5], s[10:11], v[6:7]
.LBB367_12:
	s_mov_b64 s[16:17], exec
	s_or_b64 exec, exec, s[30:31]
	s_and_b64 vcc, exec, s[28:29]
	s_cbranch_vccnz .LBB367_16
	s_branch .LBB367_35
.LBB367_13:
                                        ; implicit-def: $sgpr24_sgpr25
	s_mov_b64 s[16:17], 0
	s_and_b64 vcc, exec, s[18:19]
	s_cbranch_vccnz .LBB367_4
	s_branch .LBB367_5
.LBB367_14:
                                        ; implicit-def: $vgpr4_vgpr5
                                        ; implicit-def: $sgpr26_sgpr27
	s_cbranch_execnz .LBB367_16
	s_branch .LBB367_35
.LBB367_15:
	s_or_b64 exec, exec, s[30:31]
	s_and_b64 vcc, exec, s[28:29]
	s_cbranch_vccz .LBB367_35
.LBB367_16:
	s_load_dword s1, s[0:1], 0x0
	s_ashr_i32 s28, s2, 31
	s_mul_i32 s0, s2, s23
	s_mul_hi_u32 s4, s2, s22
	s_add_i32 s0, s4, s0
	s_mul_i32 s4, s28, s22
	s_add_i32 s5, s0, s4
	s_mul_i32 s4, s2, s22
	s_lshl_b64 s[4:5], s[4:5], 4
	s_add_u32 s4, s4, s24
	s_waitcnt lgkmcnt(0)
	v_cmp_gt_i32_e32 vcc, s1, v0
	s_addc_u32 s5, s5, s25
	s_ashr_i32 s0, s1, 31
	v_cndmask_b32_e32 v1, 0, v0, vcc
	s_lshr_b32 s0, s0, 22
	v_mov_b32_e32 v3, 0
	v_lshlrev_b32_e32 v2, 4, v1
	s_add_i32 s0, s1, s0
	v_lshl_add_u64 v[6:7], s[4:5], 0, v[2:3]
	s_and_b32 s0, s0, 0xfffffc00
	v_mov_b64_e32 v[2:3], 0
	v_cmp_gt_i32_e32 vcc, s0, v0
	v_mov_b64_e32 v[4:5], v[2:3]
	s_and_saveexec_b64 s[4:5], vcc
	s_cbranch_execz .LBB367_20
; %bb.17:
	v_mad_u64_u32 v[2:3], s[22:23], s18, v0, 0
	v_mov_b32_e32 v4, v3
	v_mad_u64_u32 v[4:5], s[22:23], s19, v0, v[4:5]
	v_mov_b32_e32 v3, v4
	v_lshl_add_u64 v[8:9], v[2:3], 4, s[20:21]
	v_mov_b64_e32 v[2:3], 0
	s_lshl_b64 s[24:25], s[18:19], 14
	s_mov_b64 s[22:23], 0
	s_mov_b64 s[26:27], 0x4000
	v_mov_b64_e32 v[10:11], v[6:7]
	v_mov_b32_e32 v1, v0
	v_mov_b64_e32 v[4:5], v[2:3]
.LBB367_18:                             ; =>This Inner Loop Header: Depth=1
	flat_load_dwordx4 v[12:15], v[10:11]
	flat_load_dwordx4 v[16:19], v[8:9]
	v_add_u32_e32 v1, 0x400, v1
	v_cmp_le_i32_e32 vcc, s0, v1
	v_lshl_add_u64 v[10:11], v[10:11], 0, s[26:27]
	v_lshl_add_u64 v[8:9], v[8:9], 0, s[24:25]
	s_or_b64 s[22:23], vcc, s[22:23]
	s_waitcnt vmcnt(0) lgkmcnt(0)
	v_mul_f64 v[20:21], v[14:15], v[18:19]
	v_mul_f64 v[18:19], v[12:13], v[18:19]
	v_fma_f64 v[12:13], v[12:13], v[16:17], -v[20:21]
	v_fmac_f64_e32 v[18:19], v[14:15], v[16:17]
	v_add_f64 v[4:5], v[4:5], v[12:13]
	v_add_f64 v[2:3], v[2:3], v[18:19]
	s_andn2_b64 exec, exec, s[22:23]
	s_cbranch_execnz .LBB367_18
; %bb.19:
	s_or_b64 exec, exec, s[22:23]
.LBB367_20:
	s_or_b64 exec, exec, s[4:5]
	v_or_b32_e32 v1, s0, v0
	v_cmp_gt_i32_e32 vcc, s1, v1
	s_and_saveexec_b64 s[4:5], vcc
	s_cbranch_execz .LBB367_22
; %bb.21:
	s_ashr_i32 s1, s0, 31
	v_ashrrev_i32_e32 v10, 31, v1
	v_lshl_add_u64 v[6:7], s[0:1], 4, v[6:7]
	v_mul_lo_u32 v12, v1, s19
	v_mul_lo_u32 v13, v10, s18
	v_mad_u64_u32 v[10:11], s[0:1], v1, s18, 0
	v_add3_u32 v11, v11, v12, v13
	v_lshl_add_u64 v[10:11], v[10:11], 4, s[20:21]
	flat_load_dwordx4 v[6:9], v[6:7]
	s_nop 0
	flat_load_dwordx4 v[10:13], v[10:11]
	s_waitcnt vmcnt(0) lgkmcnt(0)
	v_mul_f64 v[14:15], v[8:9], v[12:13]
	v_mul_f64 v[12:13], v[6:7], v[12:13]
	v_fma_f64 v[6:7], v[6:7], v[10:11], -v[14:15]
	v_fmac_f64_e32 v[12:13], v[8:9], v[10:11]
	v_add_f64 v[4:5], v[4:5], v[6:7]
	v_add_f64 v[2:3], v[2:3], v[12:13]
.LBB367_22:
	s_or_b64 exec, exec, s[4:5]
	v_and_b32_e32 v13, 63, v0
	v_cmp_gt_u32_e32 vcc, 64, v0
	v_lshlrev_b32_e32 v1, 4, v13
	s_and_saveexec_b64 s[0:1], vcc
	s_cbranch_execz .LBB367_24
; %bb.23:
	v_mov_b32_e32 v6, 0
	v_mov_b32_e32 v7, v6
	;; [unrolled: 1-line block ×4, first 2 shown]
	ds_write_b128 v1, v[6:9]
.LBB367_24:
	s_or_b64 exec, exec, s[0:1]
	v_mbcnt_lo_u32_b32 v6, -1, 0
	v_mbcnt_hi_u32_b32 v14, -1, v6
	v_and_b32_e32 v15, 63, v14
	v_cmp_gt_u32_e64 s[0:1], 32, v15
	s_waitcnt lgkmcnt(0)
	s_barrier
	v_cndmask_b32_e64 v6, 0, 1, s[0:1]
	v_lshlrev_b32_e32 v6, 5, v6
	v_add_lshl_u32 v9, v6, v14, 2
	ds_bpermute_b32 v6, v9, v4
	ds_bpermute_b32 v7, v9, v5
	;; [unrolled: 1-line block ×4, first 2 shown]
	v_cmp_gt_u32_e64 s[0:1], 48, v15
	s_waitcnt lgkmcnt(0)
	v_add_f64 v[4:5], v[4:5], v[6:7]
	v_cndmask_b32_e64 v6, 0, 1, s[0:1]
	v_lshlrev_b32_e32 v6, 4, v6
	v_add_f64 v[2:3], v[2:3], v[8:9]
	v_add_lshl_u32 v9, v6, v14, 2
	ds_bpermute_b32 v6, v9, v4
	ds_bpermute_b32 v7, v9, v5
	;; [unrolled: 1-line block ×4, first 2 shown]
	v_cmp_gt_u32_e64 s[0:1], 56, v15
	s_waitcnt lgkmcnt(2)
	v_add_f64 v[4:5], v[4:5], v[6:7]
	v_cndmask_b32_e64 v6, 0, 1, s[0:1]
	v_lshlrev_b32_e32 v6, 3, v6
	v_add_lshl_u32 v10, v6, v14, 2
	ds_bpermute_b32 v6, v10, v4
	ds_bpermute_b32 v7, v10, v5
	s_waitcnt lgkmcnt(2)
	v_add_f64 v[2:3], v[2:3], v[8:9]
	ds_bpermute_b32 v8, v10, v2
	ds_bpermute_b32 v9, v10, v3
	v_cmp_gt_u32_e64 s[0:1], 60, v15
	s_waitcnt lgkmcnt(2)
	v_add_f64 v[4:5], v[4:5], v[6:7]
	s_waitcnt lgkmcnt(0)
	v_add_f64 v[2:3], v[2:3], v[8:9]
	v_cndmask_b32_e64 v6, 0, 1, s[0:1]
	v_lshlrev_b32_e32 v6, 2, v6
	v_add_lshl_u32 v11, v6, v14, 2
	ds_bpermute_b32 v6, v11, v4
	ds_bpermute_b32 v7, v11, v5
	;; [unrolled: 1-line block ×4, first 2 shown]
	v_cmp_gt_u32_e64 s[0:1], 62, v15
	s_waitcnt lgkmcnt(2)
	v_add_f64 v[4:5], v[4:5], v[6:7]
	s_waitcnt lgkmcnt(0)
	v_add_f64 v[6:7], v[2:3], v[8:9]
	v_cndmask_b32_e64 v2, 0, 1, s[0:1]
	v_lshlrev_b32_e32 v2, 1, v2
	v_add_lshl_u32 v12, v2, v14, 2
	ds_bpermute_b32 v2, v12, v4
	ds_bpermute_b32 v3, v12, v5
	;; [unrolled: 1-line block ×4, first 2 shown]
	v_cmp_ne_u32_e64 s[0:1], 63, v15
	s_waitcnt lgkmcnt(2)
	v_add_f64 v[2:3], v[4:5], v[2:3]
	v_addc_co_u32_e64 v4, s[0:1], 0, v14, s[0:1]
	s_waitcnt lgkmcnt(0)
	v_add_f64 v[6:7], v[6:7], v[8:9]
	v_lshlrev_b32_e32 v14, 2, v4
	ds_bpermute_b32 v4, v14, v2
	ds_bpermute_b32 v5, v14, v3
	;; [unrolled: 1-line block ×4, first 2 shown]
	v_cmp_eq_u32_e64 s[0:1], 0, v13
	s_and_saveexec_b64 s[4:5], s[0:1]
	s_cbranch_execz .LBB367_26
; %bb.25:
	v_lshrrev_b32_e32 v13, 2, v0
	v_and_b32_e32 v13, 0xf0, v13
	s_waitcnt lgkmcnt(0)
	v_add_f64 v[6:7], v[6:7], v[8:9]
	v_add_f64 v[4:5], v[2:3], v[4:5]
	ds_write_b128 v13, v[4:7]
.LBB367_26:
	s_or_b64 exec, exec, s[4:5]
	s_waitcnt lgkmcnt(0)
	v_mov_b64_e32 v[8:9], 0
	v_cmp_gt_u32_e64 s[0:1], 16, v0
	v_mov_b64_e32 v[6:7], v[8:9]
	s_barrier
	s_and_saveexec_b64 s[4:5], s[0:1]
	s_cbranch_execz .LBB367_28
; %bb.27:
	ds_read_b128 v[6:9], v1
	s_or_b64 exec, exec, s[4:5]
	s_and_saveexec_b64 s[0:1], vcc
	s_cbranch_execz .LBB367_30
	s_branch .LBB367_29
.LBB367_28:
	s_or_b64 exec, exec, s[4:5]
	s_and_saveexec_b64 s[0:1], vcc
	s_cbranch_execz .LBB367_30
.LBB367_29:
	s_waitcnt lgkmcnt(0)
	ds_bpermute_b32 v2, v10, v6
	ds_bpermute_b32 v3, v10, v7
	;; [unrolled: 1-line block ×4, first 2 shown]
	s_waitcnt lgkmcnt(2)
	v_add_f64 v[2:3], v[6:7], v[2:3]
	ds_bpermute_b32 v6, v11, v2
	s_waitcnt lgkmcnt(1)
	v_add_f64 v[4:5], v[8:9], v[4:5]
	ds_bpermute_b32 v7, v11, v3
	ds_bpermute_b32 v8, v11, v4
	ds_bpermute_b32 v9, v11, v5
	s_waitcnt lgkmcnt(2)
	v_add_f64 v[2:3], v[2:3], v[6:7]
	ds_bpermute_b32 v6, v12, v2
	s_waitcnt lgkmcnt(1)
	v_add_f64 v[4:5], v[4:5], v[8:9]
	ds_bpermute_b32 v7, v12, v3
	ds_bpermute_b32 v8, v12, v4
	ds_bpermute_b32 v9, v12, v5
	;; [unrolled: 8-line block ×3, first 2 shown]
	s_waitcnt lgkmcnt(2)
	v_add_f64 v[6:7], v[2:3], v[6:7]
	s_waitcnt lgkmcnt(0)
	v_add_f64 v[8:9], v[4:5], v[8:9]
.LBB367_30:
	s_or_b64 exec, exec, s[0:1]
	v_cmp_eq_u32_e32 vcc, 0, v0
                                        ; implicit-def: $vgpr4_vgpr5
                                        ; implicit-def: $sgpr26_sgpr27
	s_and_saveexec_b64 s[0:1], vcc
	s_cbranch_execz .LBB367_34
; %bb.31:
	s_waitcnt lgkmcnt(0)
	v_mul_f64 v[0:1], s[14:15], v[8:9]
	v_cmp_neq_f64_e64 s[4:5], s[8:9], 0
	v_cmp_neq_f64_e64 s[18:19], s[10:11], 0
	v_fma_f64 v[2:3], s[12:13], v[6:7], -v[0:1]
	v_mul_f64 v[4:5], s[12:13], v[8:9]
	s_mul_i32 s7, s2, s7
	s_mul_hi_u32 s12, s2, s6
	s_add_i32 s7, s12, s7
	s_mul_i32 s12, s28, s6
	s_or_b64 s[4:5], s[4:5], s[18:19]
	v_fmac_f64_e32 v[4:5], s[14:15], v[6:7]
	s_add_i32 s27, s7, s12
	s_andn2_b64 vcc, exec, s[4:5]
	s_mul_i32 s26, s2, s6
	s_cbranch_vccnz .LBB367_33
; %bb.32:
	s_lshl_b64 s[4:5], s[26:27], 4
	s_add_u32 s4, s3, s4
	s_addc_u32 s5, s33, s5
	s_load_dwordx4 s[4:7], s[4:5], 0x0
	s_waitcnt lgkmcnt(0)
	v_mov_b64_e32 v[0:1], s[6:7]
	v_mov_b64_e32 v[6:7], s[4:5]
	v_mul_f64 v[8:9], s[10:11], v[0:1]
	v_mul_f64 v[0:1], s[8:9], v[0:1]
	v_fma_f64 v[8:9], s[8:9], v[6:7], -v[8:9]
	v_fmac_f64_e32 v[0:1], s[10:11], v[6:7]
	v_add_f64 v[2:3], v[2:3], v[8:9]
	v_add_f64 v[4:5], v[4:5], v[0:1]
.LBB367_33:
	s_or_b64 s[16:17], s[16:17], exec
.LBB367_34:
	s_or_b64 exec, exec, s[0:1]
.LBB367_35:
	s_and_saveexec_b64 s[0:1], s[16:17]
	s_cbranch_execz .LBB367_37
; %bb.36:
	s_lshl_b64 s[0:1], s[26:27], 4
	s_add_u32 s0, s3, s0
	s_addc_u32 s1, s33, s1
	v_mov_b32_e32 v0, 0
	global_store_dwordx4 v0, v[2:5], s[0:1]
.LBB367_37:
	s_endpgm
	.section	.rodata,"a",@progbits
	.p2align	6, 0x0
	.amdhsa_kernel _ZL32rocblas_gemvt_warp_reduce_kernelILb0ELi1024ElPK19rocblas_complex_numIdES1_KPS1_EviiT3_lPKT2_lT1_lS9_lSA_lS6_lPT4_lSA_li
		.amdhsa_group_segment_fixed_size 1024
		.amdhsa_private_segment_fixed_size 0
		.amdhsa_kernarg_size 156
		.amdhsa_user_sgpr_count 2
		.amdhsa_user_sgpr_dispatch_ptr 0
		.amdhsa_user_sgpr_queue_ptr 0
		.amdhsa_user_sgpr_kernarg_segment_ptr 1
		.amdhsa_user_sgpr_dispatch_id 0
		.amdhsa_user_sgpr_kernarg_preload_length 0
		.amdhsa_user_sgpr_kernarg_preload_offset 0
		.amdhsa_user_sgpr_private_segment_size 0
		.amdhsa_uses_dynamic_stack 0
		.amdhsa_enable_private_segment 0
		.amdhsa_system_sgpr_workgroup_id_x 1
		.amdhsa_system_sgpr_workgroup_id_y 0
		.amdhsa_system_sgpr_workgroup_id_z 1
		.amdhsa_system_sgpr_workgroup_info 0
		.amdhsa_system_vgpr_workitem_id 0
		.amdhsa_next_free_vgpr 22
		.amdhsa_next_free_sgpr 40
		.amdhsa_accum_offset 24
		.amdhsa_reserve_vcc 1
		.amdhsa_float_round_mode_32 0
		.amdhsa_float_round_mode_16_64 0
		.amdhsa_float_denorm_mode_32 3
		.amdhsa_float_denorm_mode_16_64 3
		.amdhsa_dx10_clamp 1
		.amdhsa_ieee_mode 1
		.amdhsa_fp16_overflow 0
		.amdhsa_tg_split 0
		.amdhsa_exception_fp_ieee_invalid_op 0
		.amdhsa_exception_fp_denorm_src 0
		.amdhsa_exception_fp_ieee_div_zero 0
		.amdhsa_exception_fp_ieee_overflow 0
		.amdhsa_exception_fp_ieee_underflow 0
		.amdhsa_exception_fp_ieee_inexact 0
		.amdhsa_exception_int_div_zero 0
	.end_amdhsa_kernel
	.section	.text._ZL32rocblas_gemvt_warp_reduce_kernelILb0ELi1024ElPK19rocblas_complex_numIdES1_KPS1_EviiT3_lPKT2_lT1_lS9_lSA_lS6_lPT4_lSA_li,"axG",@progbits,_ZL32rocblas_gemvt_warp_reduce_kernelILb0ELi1024ElPK19rocblas_complex_numIdES1_KPS1_EviiT3_lPKT2_lT1_lS9_lSA_lS6_lPT4_lSA_li,comdat
.Lfunc_end367:
	.size	_ZL32rocblas_gemvt_warp_reduce_kernelILb0ELi1024ElPK19rocblas_complex_numIdES1_KPS1_EviiT3_lPKT2_lT1_lS9_lSA_lS6_lPT4_lSA_li, .Lfunc_end367-_ZL32rocblas_gemvt_warp_reduce_kernelILb0ELi1024ElPK19rocblas_complex_numIdES1_KPS1_EviiT3_lPKT2_lT1_lS9_lSA_lS6_lPT4_lSA_li
                                        ; -- End function
	.section	.AMDGPU.csdata,"",@progbits
; Kernel info:
; codeLenInByte = 2088
; NumSgprs: 46
; NumVgprs: 22
; NumAgprs: 0
; TotalNumVgprs: 22
; ScratchSize: 0
; MemoryBound: 0
; FloatMode: 240
; IeeeMode: 1
; LDSByteSize: 1024 bytes/workgroup (compile time only)
; SGPRBlocks: 5
; VGPRBlocks: 2
; NumSGPRsForWavesPerEU: 46
; NumVGPRsForWavesPerEU: 22
; AccumOffset: 24
; Occupancy: 8
; WaveLimiterHint : 1
; COMPUTE_PGM_RSRC2:SCRATCH_EN: 0
; COMPUTE_PGM_RSRC2:USER_SGPR: 2
; COMPUTE_PGM_RSRC2:TRAP_HANDLER: 0
; COMPUTE_PGM_RSRC2:TGID_X_EN: 1
; COMPUTE_PGM_RSRC2:TGID_Y_EN: 0
; COMPUTE_PGM_RSRC2:TGID_Z_EN: 1
; COMPUTE_PGM_RSRC2:TIDIG_COMP_CNT: 0
; COMPUTE_PGM_RSRC3_GFX90A:ACCUM_OFFSET: 5
; COMPUTE_PGM_RSRC3_GFX90A:TG_SPLIT: 0
	.section	.text._ZL22rocblas_gemvtsm_kernelILb1ELi256EPK19rocblas_complex_numIdES3_KPS1_EviiT2_lPKT1_lilS9_lilS6_lPT3_lil,"axG",@progbits,_ZL22rocblas_gemvtsm_kernelILb1ELi256EPK19rocblas_complex_numIdES3_KPS1_EviiT2_lPKT1_lilS9_lilS6_lPT3_lil,comdat
	.globl	_ZL22rocblas_gemvtsm_kernelILb1ELi256EPK19rocblas_complex_numIdES3_KPS1_EviiT2_lPKT1_lilS9_lilS6_lPT3_lil ; -- Begin function _ZL22rocblas_gemvtsm_kernelILb1ELi256EPK19rocblas_complex_numIdES3_KPS1_EviiT2_lPKT1_lilS9_lilS6_lPT3_lil
	.p2align	8
	.type	_ZL22rocblas_gemvtsm_kernelILb1ELi256EPK19rocblas_complex_numIdES3_KPS1_EviiT2_lPKT1_lilS9_lilS6_lPT3_lil,@function
_ZL22rocblas_gemvtsm_kernelILb1ELi256EPK19rocblas_complex_numIdES3_KPS1_EviiT2_lPKT1_lilS9_lilS6_lPT3_lil: ; @_ZL22rocblas_gemvtsm_kernelILb1ELi256EPK19rocblas_complex_numIdES3_KPS1_EviiT2_lPKT1_lilS9_lilS6_lPT3_lil
; %bb.0:
	s_load_dwordx8 s[12:19], s[0:1], 0x8
	s_load_dwordx8 s[4:11], s[0:1], 0x58
	s_mov_b32 s3, 0
	s_mov_b64 s[24:25], 0
	s_waitcnt lgkmcnt(0)
	s_mul_i32 s15, s2, s15
	s_mul_hi_u32 s20, s2, s14
	s_add_i32 s15, s20, s15
	s_mul_i32 s14, s2, s14
	s_lshl_b64 s[14:15], s[14:15], 4
	s_add_u32 s12, s12, s14
	s_addc_u32 s13, s13, s15
	s_load_dwordx4 s[20:23], s[12:13], 0x0
	s_mul_i32 s7, s2, s7
	s_mul_hi_u32 s12, s2, s6
	s_add_i32 s7, s12, s7
	s_mul_i32 s6, s2, s6
	s_lshl_b64 s[6:7], s[6:7], 4
	s_add_u32 s4, s4, s6
	s_addc_u32 s5, s5, s7
	s_load_dwordx4 s[12:15], s[4:5], 0x0
	s_waitcnt lgkmcnt(0)
	v_cmp_neq_f64_e64 s[4:5], s[20:21], 0
	v_cmp_neq_f64_e64 s[6:7], s[22:23], 0
	s_or_b64 s[6:7], s[4:5], s[6:7]
	s_mov_b64 s[4:5], -1
	s_and_b64 vcc, exec, s[6:7]
	s_cbranch_vccz .LBB368_3
; %bb.1:
	s_andn2_b64 vcc, exec, s[4:5]
	s_cbranch_vccz .LBB368_4
.LBB368_2:
	s_andn2_b64 vcc, exec, s[24:25]
	s_cbranch_vccz .LBB368_5
	s_branch .LBB368_40
.LBB368_3:
	v_cmp_neq_f64_e64 s[24:25], s[12:13], 1.0
	v_cmp_neq_f64_e64 s[26:27], s[14:15], 0
	s_mov_b64 s[4:5], 0
	s_or_b64 s[24:25], s[24:25], s[26:27]
	s_cbranch_execnz .LBB368_2
.LBB368_4:
	s_lshl_b64 s[4:5], s[2:3], 3
	s_add_u32 s4, s16, s4
	s_addc_u32 s5, s17, s5
	s_load_dwordx2 s[4:5], s[4:5], 0x0
	s_lshl_b64 s[16:17], s[18:19], 4
	s_waitcnt lgkmcnt(0)
	s_add_u32 s4, s4, s16
	s_addc_u32 s5, s5, s17
.LBB368_5:
	s_xor_b64 s[24:25], s[6:7], -1
	s_andn2_b64 vcc, exec, s[6:7]
	s_mov_b64 s[18:19], 0
	s_cbranch_vccnz .LBB368_7
; %bb.6:
	s_load_dwordx4 s[16:19], s[0:1], 0x38
	s_lshl_b64 s[6:7], s[2:3], 3
	s_waitcnt lgkmcnt(0)
	s_add_u32 s6, s16, s6
	s_addc_u32 s7, s17, s7
	s_load_dwordx2 s[6:7], s[6:7], 0x0
	s_lshl_b64 s[16:17], s[18:19], 4
	s_waitcnt lgkmcnt(0)
	s_add_u32 s18, s6, s16
	s_addc_u32 s19, s7, s17
.LBB368_7:
	s_lshl_b64 s[2:3], s[2:3], 3
	s_add_u32 s2, s8, s2
	s_addc_u32 s3, s9, s3
	s_load_dwordx2 s[6:7], s[0:1], 0x0
	s_load_dword s16, s[0:1], 0x78
	s_andn2_b64 vcc, exec, s[24:25]
	s_load_dwordx2 s[2:3], s[2:3], 0x0
	s_mov_b64 s[8:9], -1
	s_cbranch_vccnz .LBB368_22
; %bb.8:
	v_cmp_neq_f64_e64 s[8:9], s[12:13], 0
	v_cmp_neq_f64_e64 s[24:25], s[14:15], 0
	s_or_b64 s[26:27], s[8:9], s[24:25]
	s_waitcnt lgkmcnt(0)
	s_cmp_gt_i32 s7, 0
	s_mov_b64 s[24:25], -1
	s_cselect_b64 s[8:9], -1, 0
	s_and_b64 vcc, exec, s[26:27]
	s_cbranch_vccnz .LBB368_15
; %bb.9:
	s_andn2_b64 vcc, exec, s[8:9]
	s_cbranch_vccnz .LBB368_14
; %bb.10:
	v_mad_i64_i32 v[2:3], s[24:25], s16, v0, 0
	s_ashr_i32 s17, s16, 31
	s_lshl_b64 s[24:25], s[10:11], 4
	s_add_u32 s24, s2, s24
	s_addc_u32 s25, s3, s25
	v_lshl_add_u64 v[2:3], v[2:3], 4, s[24:25]
	v_lshl_add_u64 v[6:7], v[2:3], 0, 8
	s_lshl_b64 s[24:25], s[16:17], 12
	s_mov_b32 s17, 0
	v_mov_b32_e32 v2, 0
	s_branch .LBB368_12
.LBB368_11:                             ;   in Loop: Header=BB368_12 Depth=1
	s_or_b64 exec, exec, s[26:27]
	s_addk_i32 s17, 0x100
	s_cmp_ge_i32 s17, s7
	v_lshl_add_u64 v[6:7], v[6:7], 0, s[24:25]
	s_cbranch_scc1 .LBB368_14
.LBB368_12:                             ; =>This Inner Loop Header: Depth=1
	v_add_u32_e32 v1, s17, v0
	v_cmp_gt_i32_e32 vcc, s7, v1
	s_and_saveexec_b64 s[26:27], vcc
	s_cbranch_execz .LBB368_11
; %bb.13:                               ;   in Loop: Header=BB368_12 Depth=1
	v_mov_b32_e32 v3, v2
	v_mov_b32_e32 v4, v2
	;; [unrolled: 1-line block ×3, first 2 shown]
	global_store_dwordx4 v[6:7], v[2:5], off offset:-8
	s_branch .LBB368_11
.LBB368_14:
	s_mov_b64 s[24:25], 0
.LBB368_15:
	s_andn2_b64 vcc, exec, s[24:25]
	s_cbranch_vccnz .LBB368_21
; %bb.16:
	s_andn2_b64 vcc, exec, s[8:9]
	s_cbranch_vccnz .LBB368_21
; %bb.17:
	v_mad_i64_i32 v[2:3], s[8:9], s16, v0, 0
	s_ashr_i32 s17, s16, 31
	s_lshl_b64 s[8:9], s[10:11], 4
	s_add_u32 s8, s2, s8
	s_addc_u32 s9, s3, s9
	v_lshl_add_u64 v[2:3], v[2:3], 4, s[8:9]
	v_lshl_add_u64 v[2:3], v[2:3], 0, 8
	s_lshl_b64 s[8:9], s[16:17], 12
	s_mov_b32 s17, 0
	s_branch .LBB368_19
.LBB368_18:                             ;   in Loop: Header=BB368_19 Depth=1
	s_or_b64 exec, exec, s[24:25]
	s_addk_i32 s17, 0x100
	s_cmp_ge_i32 s17, s7
	v_lshl_add_u64 v[2:3], v[2:3], 0, s[8:9]
	s_cbranch_scc1 .LBB368_21
.LBB368_19:                             ; =>This Inner Loop Header: Depth=1
	v_add_u32_e32 v1, s17, v0
	v_cmp_gt_i32_e32 vcc, s7, v1
	s_and_saveexec_b64 s[24:25], vcc
	s_cbranch_execz .LBB368_18
; %bb.20:                               ;   in Loop: Header=BB368_19 Depth=1
	global_load_dwordx4 v[4:7], v[2:3], off offset:-8
	s_waitcnt vmcnt(0)
	v_mul_f64 v[10:11], s[14:15], v[6:7]
	v_mul_f64 v[8:9], s[12:13], v[6:7]
	v_fma_f64 v[6:7], s[12:13], v[4:5], -v[10:11]
	v_fmac_f64_e32 v[8:9], s[14:15], v[4:5]
	global_store_dwordx4 v[2:3], v[6:9], off offset:-8
	s_branch .LBB368_18
.LBB368_21:
	s_mov_b64 s[8:9], 0
.LBB368_22:
	s_andn2_b64 vcc, exec, s[8:9]
	s_cbranch_vccnz .LBB368_40
; %bb.23:
	s_waitcnt lgkmcnt(0)
	v_cmp_gt_i32_e32 vcc, s6, v0
	s_and_saveexec_b64 s[8:9], vcc
	s_cbranch_execz .LBB368_25
; %bb.24:
	s_load_dword s17, s[0:1], 0x48
	v_lshlrev_b32_e32 v1, 4, v0
	s_waitcnt lgkmcnt(0)
	v_mad_i64_i32 v[2:3], s[24:25], s17, v0, 0
	v_lshl_add_u64 v[2:3], v[2:3], 4, s[18:19]
	flat_load_dwordx4 v[2:5], v[2:3]
	s_waitcnt vmcnt(0) lgkmcnt(0)
	v_mul_f64 v[8:9], s[22:23], v[4:5]
	v_mul_f64 v[6:7], s[20:21], v[4:5]
	v_fma_f64 v[4:5], s[20:21], v[2:3], -v[8:9]
	v_fmac_f64_e32 v[6:7], s[22:23], v[2:3]
	ds_write_b128 v1, v[4:7]
.LBB368_25:
	s_or_b64 exec, exec, s[8:9]
	s_cmp_lt_i32 s7, 1
	s_waitcnt lgkmcnt(0)
	s_barrier
	s_cbranch_scc1 .LBB368_40
; %bb.26:
	s_load_dword s0, s[0:1], 0x28
	s_lshl_b64 s[8:9], s[10:11], 4
	s_add_u32 s8, s2, s8
	s_addc_u32 s9, s3, s9
	v_cmp_neq_f64_e64 s[2:3], s[12:13], 0
	v_cmp_neq_f64_e64 s[18:19], s[14:15], 0
	s_ashr_i32 s17, s16, 31
	s_waitcnt lgkmcnt(0)
	s_ashr_i32 s1, s0, 31
	s_or_b64 s[2:3], s[2:3], s[18:19]
	s_cmp_gt_i32 s6, 0
	s_cselect_b64 s[22:23], -1, 0
	s_and_b32 s28, s6, 7
	s_cmp_gt_u32 s6, 7
	s_cselect_b64 s[24:25], -1, 0
	s_and_b32 s6, s6, 0x7ffffff8
	s_cmp_lg_u32 s28, 0
	v_mad_i64_i32 v[2:3], s[20:21], s0, v0, 0
	v_cndmask_b32_e64 v1, 0, 1, s[2:3]
	s_cselect_b64 s[18:19], -1, 0
	s_lshl_b64 s[20:21], s[0:1], 12
	v_cmp_ne_u32_e64 s[0:1], 1, v1
	v_cndmask_b32_e64 v1, 0, 1, s[22:23]
	v_cmp_ne_u32_e64 s[2:3], 1, v1
	v_cndmask_b32_e64 v1, 0, 1, s[24:25]
	s_mov_b32 s11, 0
	v_lshl_add_u64 v[6:7], v[2:3], 4, s[4:5]
	v_cmp_ne_u32_e64 s[4:5], 1, v1
	s_mov_b64 s[22:23], 0x80
	s_mov_b32 s29, 0
	s_branch .LBB368_29
.LBB368_27:                             ;   in Loop: Header=BB368_29 Depth=1
	global_store_dwordx4 v[8:9], v[2:5], off
.LBB368_28:                             ;   in Loop: Header=BB368_29 Depth=1
	s_or_b64 exec, exec, s[24:25]
	s_addk_i32 s29, 0x100
	s_cmp_ge_i32 s29, s7
	v_lshl_add_u64 v[6:7], v[6:7], 0, s[20:21]
	s_cbranch_scc1 .LBB368_40
.LBB368_29:                             ; =>This Loop Header: Depth=1
                                        ;     Child Loop BB368_35 Depth 2
                                        ;     Child Loop BB368_39 Depth 2
	v_add_u32_e32 v1, s29, v0
	v_cmp_gt_i32_e32 vcc, s7, v1
	s_and_saveexec_b64 s[24:25], vcc
	s_cbranch_execz .LBB368_28
; %bb.30:                               ;   in Loop: Header=BB368_29 Depth=1
	v_mad_u64_u32 v[4:5], s[26:27], v1, s16, 0
	v_mov_b32_e32 v2, v5
	v_mad_u64_u32 v[2:3], s[26:27], v1, s17, v[2:3]
	v_mov_b32_e32 v5, v2
	v_mov_b64_e32 v[2:3], 0
	s_and_b64 vcc, exec, s[0:1]
	v_lshl_add_u64 v[8:9], v[4:5], 4, s[8:9]
	v_mov_b64_e32 v[4:5], v[2:3]
	s_cbranch_vccnz .LBB368_32
; %bb.31:                               ;   in Loop: Header=BB368_29 Depth=1
	global_load_dwordx4 v[10:13], v[8:9], off
	s_waitcnt vmcnt(0)
	v_mul_f64 v[2:3], s[14:15], v[12:13]
	v_mul_f64 v[4:5], s[12:13], v[12:13]
	v_fma_f64 v[2:3], s[12:13], v[10:11], -v[2:3]
	v_fmac_f64_e32 v[4:5], s[14:15], v[10:11]
.LBB368_32:                             ;   in Loop: Header=BB368_29 Depth=1
	s_and_b64 vcc, exec, s[2:3]
	s_cbranch_vccnz .LBB368_27
; %bb.33:                               ;   in Loop: Header=BB368_29 Depth=1
	s_mov_b32 s10, 0
	s_and_b64 vcc, exec, s[4:5]
	s_cbranch_vccnz .LBB368_37
; %bb.34:                               ;   in Loop: Header=BB368_29 Depth=1
	s_mov_b32 s26, 0
	v_mov_b64_e32 v[10:11], v[6:7]
.LBB368_35:                             ;   Parent Loop BB368_29 Depth=1
                                        ; =>  This Inner Loop Header: Depth=2
	flat_load_dwordx4 v[12:15], v[10:11]
	flat_load_dwordx4 v[16:19], v[10:11] offset:16
	flat_load_dwordx4 v[20:23], v[10:11] offset:32
	;; [unrolled: 1-line block ×7, first 2 shown]
	v_mov_b32_e32 v1, s10
	ds_read_b128 v[44:47], v1
	ds_read_b128 v[48:51], v1 offset:16
	ds_read_b128 v[52:55], v1 offset:32
	;; [unrolled: 1-line block ×3, first 2 shown]
	s_add_i32 s26, s26, 8
	s_addk_i32 s10, 0x80
	v_lshl_add_u64 v[10:11], v[10:11], 0, s[22:23]
	s_cmp_eq_u32 s6, s26
	s_waitcnt vmcnt(0) lgkmcnt(0)
	v_mul_f64 v[60:61], v[14:15], v[46:47]
	v_mul_f64 v[14:15], v[14:15], v[44:45]
	v_fmac_f64_e32 v[60:61], v[12:13], v[44:45]
	v_fma_f64 v[44:45], v[12:13], v[46:47], -v[14:15]
	ds_read_b128 v[12:15], v1 offset:64
	v_mul_f64 v[46:47], v[18:19], v[50:51]
	v_mul_f64 v[18:19], v[18:19], v[48:49]
	v_fmac_f64_e32 v[46:47], v[16:17], v[48:49]
	v_fma_f64 v[48:49], v[16:17], v[50:51], -v[18:19]
	ds_read_b128 v[16:19], v1 offset:80
	;; [unrolled: 5-line block ×4, first 2 shown]
	v_add_f64 v[2:3], v[2:3], v[60:61]
	v_add_f64 v[4:5], v[4:5], v[44:45]
	;; [unrolled: 1-line block ×4, first 2 shown]
	s_waitcnt lgkmcnt(3)
	v_mul_f64 v[58:59], v[30:31], v[14:15]
	v_mul_f64 v[30:31], v[30:31], v[12:13]
	v_add_f64 v[2:3], v[2:3], v[50:51]
	v_add_f64 v[4:5], v[4:5], v[52:53]
	s_waitcnt lgkmcnt(2)
	v_mul_f64 v[62:63], v[34:35], v[18:19]
	v_fmac_f64_e32 v[58:59], v[28:29], v[12:13]
	v_fma_f64 v[12:13], v[28:29], v[14:15], -v[30:31]
	v_mul_f64 v[14:15], v[34:35], v[16:17]
	v_add_f64 v[2:3], v[2:3], v[54:55]
	v_add_f64 v[4:5], v[4:5], v[56:57]
	s_waitcnt lgkmcnt(1)
	v_mul_f64 v[28:29], v[38:39], v[22:23]
	v_mul_f64 v[30:31], v[38:39], v[20:21]
	v_fmac_f64_e32 v[62:63], v[32:33], v[16:17]
	v_fma_f64 v[14:15], v[32:33], v[18:19], -v[14:15]
	v_add_f64 v[2:3], v[2:3], v[58:59]
	v_add_f64 v[4:5], v[4:5], v[12:13]
	s_waitcnt lgkmcnt(0)
	v_mul_f64 v[34:35], v[42:43], v[26:27]
	v_mul_f64 v[16:17], v[42:43], v[24:25]
	v_fmac_f64_e32 v[28:29], v[36:37], v[20:21]
	v_fma_f64 v[18:19], v[36:37], v[22:23], -v[30:31]
	v_add_f64 v[2:3], v[2:3], v[62:63]
	v_add_f64 v[4:5], v[4:5], v[14:15]
	v_fmac_f64_e32 v[34:35], v[40:41], v[24:25]
	v_fma_f64 v[16:17], v[40:41], v[26:27], -v[16:17]
	v_add_f64 v[2:3], v[2:3], v[28:29]
	v_add_f64 v[4:5], v[4:5], v[18:19]
	;; [unrolled: 1-line block ×4, first 2 shown]
	s_cbranch_scc0 .LBB368_35
; %bb.36:                               ;   in Loop: Header=BB368_29 Depth=1
	s_mov_b32 s10, s6
.LBB368_37:                             ;   in Loop: Header=BB368_29 Depth=1
	s_andn2_b64 vcc, exec, s[18:19]
	s_cbranch_vccnz .LBB368_27
; %bb.38:                               ;   in Loop: Header=BB368_29 Depth=1
	s_lshl_b32 s30, s10, 4
	s_lshl_b64 s[26:27], s[10:11], 4
	s_mov_b32 s10, s28
.LBB368_39:                             ;   Parent Loop BB368_29 Depth=1
                                        ; =>  This Inner Loop Header: Depth=2
	v_lshl_add_u64 v[10:11], v[6:7], 0, s[26:27]
	flat_load_dwordx4 v[10:13], v[10:11]
	v_mov_b32_e32 v1, s30
	ds_read_b128 v[14:17], v1
	s_add_i32 s30, s30, 16
	s_add_u32 s26, s26, 16
	s_addc_u32 s27, s27, 0
	s_add_i32 s10, s10, -1
	s_cmp_lg_u32 s10, 0
	s_waitcnt vmcnt(0) lgkmcnt(0)
	v_mul_f64 v[18:19], v[12:13], v[16:17]
	v_mul_f64 v[12:13], v[12:13], v[14:15]
	v_fmac_f64_e32 v[18:19], v[10:11], v[14:15]
	v_fma_f64 v[10:11], v[10:11], v[16:17], -v[12:13]
	v_add_f64 v[2:3], v[2:3], v[18:19]
	v_add_f64 v[4:5], v[4:5], v[10:11]
	s_cbranch_scc1 .LBB368_39
	s_branch .LBB368_27
.LBB368_40:
	s_endpgm
	.section	.rodata,"a",@progbits
	.p2align	6, 0x0
	.amdhsa_kernel _ZL22rocblas_gemvtsm_kernelILb1ELi256EPK19rocblas_complex_numIdES3_KPS1_EviiT2_lPKT1_lilS9_lilS6_lPT3_lil
		.amdhsa_group_segment_fixed_size 1024
		.amdhsa_private_segment_fixed_size 0
		.amdhsa_kernarg_size 136
		.amdhsa_user_sgpr_count 2
		.amdhsa_user_sgpr_dispatch_ptr 0
		.amdhsa_user_sgpr_queue_ptr 0
		.amdhsa_user_sgpr_kernarg_segment_ptr 1
		.amdhsa_user_sgpr_dispatch_id 0
		.amdhsa_user_sgpr_kernarg_preload_length 0
		.amdhsa_user_sgpr_kernarg_preload_offset 0
		.amdhsa_user_sgpr_private_segment_size 0
		.amdhsa_uses_dynamic_stack 0
		.amdhsa_enable_private_segment 0
		.amdhsa_system_sgpr_workgroup_id_x 1
		.amdhsa_system_sgpr_workgroup_id_y 0
		.amdhsa_system_sgpr_workgroup_id_z 0
		.amdhsa_system_sgpr_workgroup_info 0
		.amdhsa_system_vgpr_workitem_id 0
		.amdhsa_next_free_vgpr 64
		.amdhsa_next_free_sgpr 31
		.amdhsa_accum_offset 64
		.amdhsa_reserve_vcc 1
		.amdhsa_float_round_mode_32 0
		.amdhsa_float_round_mode_16_64 0
		.amdhsa_float_denorm_mode_32 3
		.amdhsa_float_denorm_mode_16_64 3
		.amdhsa_dx10_clamp 1
		.amdhsa_ieee_mode 1
		.amdhsa_fp16_overflow 0
		.amdhsa_tg_split 0
		.amdhsa_exception_fp_ieee_invalid_op 0
		.amdhsa_exception_fp_denorm_src 0
		.amdhsa_exception_fp_ieee_div_zero 0
		.amdhsa_exception_fp_ieee_overflow 0
		.amdhsa_exception_fp_ieee_underflow 0
		.amdhsa_exception_fp_ieee_inexact 0
		.amdhsa_exception_int_div_zero 0
	.end_amdhsa_kernel
	.section	.text._ZL22rocblas_gemvtsm_kernelILb1ELi256EPK19rocblas_complex_numIdES3_KPS1_EviiT2_lPKT1_lilS9_lilS6_lPT3_lil,"axG",@progbits,_ZL22rocblas_gemvtsm_kernelILb1ELi256EPK19rocblas_complex_numIdES3_KPS1_EviiT2_lPKT1_lilS9_lilS6_lPT3_lil,comdat
.Lfunc_end368:
	.size	_ZL22rocblas_gemvtsm_kernelILb1ELi256EPK19rocblas_complex_numIdES3_KPS1_EviiT2_lPKT1_lilS9_lilS6_lPT3_lil, .Lfunc_end368-_ZL22rocblas_gemvtsm_kernelILb1ELi256EPK19rocblas_complex_numIdES3_KPS1_EviiT2_lPKT1_lilS9_lilS6_lPT3_lil
                                        ; -- End function
	.section	.AMDGPU.csdata,"",@progbits
; Kernel info:
; codeLenInByte = 1796
; NumSgprs: 37
; NumVgprs: 64
; NumAgprs: 0
; TotalNumVgprs: 64
; ScratchSize: 0
; MemoryBound: 0
; FloatMode: 240
; IeeeMode: 1
; LDSByteSize: 1024 bytes/workgroup (compile time only)
; SGPRBlocks: 4
; VGPRBlocks: 7
; NumSGPRsForWavesPerEU: 37
; NumVGPRsForWavesPerEU: 64
; AccumOffset: 64
; Occupancy: 8
; WaveLimiterHint : 1
; COMPUTE_PGM_RSRC2:SCRATCH_EN: 0
; COMPUTE_PGM_RSRC2:USER_SGPR: 2
; COMPUTE_PGM_RSRC2:TRAP_HANDLER: 0
; COMPUTE_PGM_RSRC2:TGID_X_EN: 1
; COMPUTE_PGM_RSRC2:TGID_Y_EN: 0
; COMPUTE_PGM_RSRC2:TGID_Z_EN: 0
; COMPUTE_PGM_RSRC2:TIDIG_COMP_CNT: 0
; COMPUTE_PGM_RSRC3_GFX90A:ACCUM_OFFSET: 15
; COMPUTE_PGM_RSRC3_GFX90A:TG_SPLIT: 0
	.section	.text._ZL22rocblas_gemvtsm_kernelILb1ELi256EPK19rocblas_complex_numIdES1_KPS1_EviiT2_lPKT1_lilS9_lilS6_lPT3_lil,"axG",@progbits,_ZL22rocblas_gemvtsm_kernelILb1ELi256EPK19rocblas_complex_numIdES1_KPS1_EviiT2_lPKT1_lilS9_lilS6_lPT3_lil,comdat
	.globl	_ZL22rocblas_gemvtsm_kernelILb1ELi256EPK19rocblas_complex_numIdES1_KPS1_EviiT2_lPKT1_lilS9_lilS6_lPT3_lil ; -- Begin function _ZL22rocblas_gemvtsm_kernelILb1ELi256EPK19rocblas_complex_numIdES1_KPS1_EviiT2_lPKT1_lilS9_lilS6_lPT3_lil
	.p2align	8
	.type	_ZL22rocblas_gemvtsm_kernelILb1ELi256EPK19rocblas_complex_numIdES1_KPS1_EviiT2_lPKT1_lilS9_lilS6_lPT3_lil,@function
_ZL22rocblas_gemvtsm_kernelILb1ELi256EPK19rocblas_complex_numIdES1_KPS1_EviiT2_lPKT1_lilS9_lilS6_lPT3_lil: ; @_ZL22rocblas_gemvtsm_kernelILb1ELi256EPK19rocblas_complex_numIdES1_KPS1_EviiT2_lPKT1_lilS9_lilS6_lPT3_lil
; %bb.0:
	s_load_dwordx4 s[12:15], s[0:1], 0x8
	s_load_dwordx4 s[8:11], s[0:1], 0x60
	s_waitcnt lgkmcnt(0)
	v_cmp_neq_f64_e64 s[4:5], s[12:13], 0
	v_cmp_neq_f64_e64 s[6:7], s[14:15], 0
	s_or_b64 s[6:7], s[4:5], s[6:7]
	s_mov_b64 s[4:5], -1
	s_and_b64 vcc, exec, s[6:7]
	s_cbranch_vccnz .LBB369_2
; %bb.1:
	v_cmp_neq_f64_e64 s[4:5], s[8:9], 1.0
	v_cmp_neq_f64_e64 s[16:17], s[10:11], 0
	s_or_b64 s[4:5], s[4:5], s[16:17]
.LBB369_2:
	s_andn2_b64 vcc, exec, s[4:5]
	s_cbranch_vccnz .LBB369_42
; %bb.3:
	s_xor_b64 s[16:17], s[6:7], -1
	v_cndmask_b32_e64 v1, 0, 1, s[16:17]
	v_cmp_ne_u32_e64 s[4:5], 1, v1
	s_andn2_b64 vcc, exec, s[16:17]
	s_cbranch_vccnz .LBB369_5
; %bb.4:
	s_mov_b32 s3, 0
	s_mov_b64 s[22:23], 0
	s_cbranch_execz .LBB369_6
	s_branch .LBB369_7
.LBB369_5:
                                        ; implicit-def: $sgpr22_sgpr23
.LBB369_6:
	s_load_dwordx4 s[16:19], s[0:1], 0x20
	s_mov_b32 s3, 0
	s_lshl_b64 s[20:21], s[2:3], 3
	s_waitcnt lgkmcnt(0)
	s_add_u32 s16, s16, s20
	s_addc_u32 s17, s17, s21
	s_load_dwordx2 s[16:17], s[16:17], 0x0
	s_lshl_b64 s[18:19], s[18:19], 4
	s_waitcnt lgkmcnt(0)
	s_add_u32 s22, s16, s18
	s_addc_u32 s23, s17, s19
.LBB369_7:
	s_andn2_b64 vcc, exec, s[6:7]
	s_mov_b64 s[24:25], 0
	s_cbranch_vccnz .LBB369_9
; %bb.8:
	s_load_dwordx4 s[16:19], s[0:1], 0x40
	s_lshl_b64 s[6:7], s[2:3], 3
	s_waitcnt lgkmcnt(0)
	s_add_u32 s6, s16, s6
	s_addc_u32 s7, s17, s7
	s_load_dwordx2 s[6:7], s[6:7], 0x0
	s_lshl_b64 s[16:17], s[18:19], 4
	s_waitcnt lgkmcnt(0)
	s_add_u32 s24, s6, s16
	s_addc_u32 s25, s7, s17
.LBB369_9:
	s_load_dwordx4 s[16:19], s[0:1], 0x78
	s_load_dwordx2 s[6:7], s[0:1], 0x0
	s_load_dword s20, s[0:1], 0x88
	s_lshl_b64 s[2:3], s[2:3], 3
	s_waitcnt lgkmcnt(0)
	s_add_u32 s2, s16, s2
	s_addc_u32 s3, s17, s3
	s_load_dwordx2 s[2:3], s[2:3], 0x0
	s_and_b64 vcc, exec, s[4:5]
	s_mov_b64 s[4:5], -1
	s_cbranch_vccnz .LBB369_24
; %bb.10:
	v_cmp_neq_f64_e64 s[4:5], s[8:9], 0
	v_cmp_neq_f64_e64 s[16:17], s[10:11], 0
	s_or_b64 s[26:27], s[4:5], s[16:17]
	s_cmp_gt_i32 s7, 0
	s_mov_b64 s[16:17], -1
	s_cselect_b64 s[4:5], -1, 0
	s_and_b64 vcc, exec, s[26:27]
	s_cbranch_vccnz .LBB369_17
; %bb.11:
	s_andn2_b64 vcc, exec, s[4:5]
	s_cbranch_vccnz .LBB369_16
; %bb.12:
	v_mad_i64_i32 v[2:3], s[16:17], s20, v0, 0
	s_ashr_i32 s21, s20, 31
	s_lshl_b64 s[16:17], s[18:19], 4
	s_waitcnt lgkmcnt(0)
	s_add_u32 s16, s2, s16
	s_addc_u32 s17, s3, s17
	v_lshl_add_u64 v[2:3], v[2:3], 4, s[16:17]
	v_lshl_add_u64 v[6:7], v[2:3], 0, 8
	s_lshl_b64 s[16:17], s[20:21], 12
	s_mov_b32 s21, 0
	v_mov_b32_e32 v2, 0
	s_branch .LBB369_14
.LBB369_13:                             ;   in Loop: Header=BB369_14 Depth=1
	s_or_b64 exec, exec, s[26:27]
	s_addk_i32 s21, 0x100
	s_cmp_ge_i32 s21, s7
	v_lshl_add_u64 v[6:7], v[6:7], 0, s[16:17]
	s_cbranch_scc1 .LBB369_16
.LBB369_14:                             ; =>This Inner Loop Header: Depth=1
	v_add_u32_e32 v1, s21, v0
	v_cmp_gt_i32_e32 vcc, s7, v1
	s_and_saveexec_b64 s[26:27], vcc
	s_cbranch_execz .LBB369_13
; %bb.15:                               ;   in Loop: Header=BB369_14 Depth=1
	v_mov_b32_e32 v3, v2
	v_mov_b32_e32 v4, v2
	;; [unrolled: 1-line block ×3, first 2 shown]
	global_store_dwordx4 v[6:7], v[2:5], off offset:-8
	s_branch .LBB369_13
.LBB369_16:
	s_mov_b64 s[16:17], 0
.LBB369_17:
	s_andn2_b64 vcc, exec, s[16:17]
	s_cbranch_vccnz .LBB369_23
; %bb.18:
	s_andn2_b64 vcc, exec, s[4:5]
	s_cbranch_vccnz .LBB369_23
; %bb.19:
	v_mad_i64_i32 v[2:3], s[4:5], s20, v0, 0
	s_ashr_i32 s21, s20, 31
	s_lshl_b64 s[4:5], s[18:19], 4
	s_waitcnt lgkmcnt(0)
	s_add_u32 s4, s2, s4
	s_addc_u32 s5, s3, s5
	v_lshl_add_u64 v[2:3], v[2:3], 4, s[4:5]
	v_lshl_add_u64 v[2:3], v[2:3], 0, 8
	s_lshl_b64 s[4:5], s[20:21], 12
	s_mov_b32 s21, 0
	s_branch .LBB369_21
.LBB369_20:                             ;   in Loop: Header=BB369_21 Depth=1
	s_or_b64 exec, exec, s[16:17]
	s_addk_i32 s21, 0x100
	s_cmp_ge_i32 s21, s7
	v_lshl_add_u64 v[2:3], v[2:3], 0, s[4:5]
	s_cbranch_scc1 .LBB369_23
.LBB369_21:                             ; =>This Inner Loop Header: Depth=1
	v_add_u32_e32 v1, s21, v0
	v_cmp_gt_i32_e32 vcc, s7, v1
	s_and_saveexec_b64 s[16:17], vcc
	s_cbranch_execz .LBB369_20
; %bb.22:                               ;   in Loop: Header=BB369_21 Depth=1
	global_load_dwordx4 v[4:7], v[2:3], off offset:-8
	s_waitcnt vmcnt(0)
	v_mul_f64 v[10:11], s[10:11], v[6:7]
	v_mul_f64 v[8:9], s[8:9], v[6:7]
	v_fma_f64 v[6:7], s[8:9], v[4:5], -v[10:11]
	v_fmac_f64_e32 v[8:9], s[10:11], v[4:5]
	global_store_dwordx4 v[2:3], v[6:9], off offset:-8
	s_branch .LBB369_20
.LBB369_23:
	s_mov_b64 s[4:5], 0
.LBB369_24:
	s_andn2_b64 vcc, exec, s[4:5]
	s_cbranch_vccnz .LBB369_42
; %bb.25:
	v_cmp_gt_i32_e32 vcc, s6, v0
	s_and_saveexec_b64 s[4:5], vcc
	s_cbranch_execz .LBB369_27
; %bb.26:
	s_load_dword s16, s[0:1], 0x50
	v_lshlrev_b32_e32 v1, 4, v0
	s_waitcnt lgkmcnt(0)
	v_mad_i64_i32 v[2:3], s[16:17], s16, v0, 0
	v_lshl_add_u64 v[2:3], v[2:3], 4, s[24:25]
	flat_load_dwordx4 v[2:5], v[2:3]
	s_waitcnt vmcnt(0) lgkmcnt(0)
	v_mul_f64 v[8:9], s[14:15], v[4:5]
	v_mul_f64 v[6:7], s[12:13], v[4:5]
	v_fma_f64 v[4:5], s[12:13], v[2:3], -v[8:9]
	v_fmac_f64_e32 v[6:7], s[14:15], v[2:3]
	ds_write_b128 v1, v[4:7]
.LBB369_27:
	s_or_b64 exec, exec, s[4:5]
	s_cmp_lt_i32 s7, 1
	s_waitcnt lgkmcnt(0)
	s_barrier
	s_cbranch_scc1 .LBB369_42
; %bb.28:
	s_load_dword s0, s[0:1], 0x30
	s_lshl_b64 s[4:5], s[18:19], 4
	s_add_u32 s12, s2, s4
	s_addc_u32 s13, s3, s5
	v_cmp_neq_f64_e64 s[2:3], s[8:9], 0
	v_cmp_neq_f64_e64 s[4:5], s[10:11], 0
	s_ashr_i32 s21, s20, 31
	s_waitcnt lgkmcnt(0)
	s_ashr_i32 s1, s0, 31
	s_or_b64 s[2:3], s[2:3], s[4:5]
	s_cmp_gt_i32 s6, 0
	s_cselect_b64 s[4:5], -1, 0
	s_and_b32 s28, s6, 7
	s_cmp_gt_u32 s6, 7
	s_cselect_b64 s[24:25], -1, 0
	s_and_b32 s6, s6, 0x7ffffff8
	s_cmp_lg_u32 s28, 0
	v_mad_i64_i32 v[2:3], s[18:19], s0, v0, 0
	v_cndmask_b32_e64 v1, 0, 1, s[2:3]
	s_cselect_b64 s[16:17], -1, 0
	s_lshl_b64 s[18:19], s[0:1], 12
	v_cmp_ne_u32_e64 s[0:1], 1, v1
	v_cndmask_b32_e64 v1, 0, 1, s[4:5]
	v_cmp_ne_u32_e64 s[2:3], 1, v1
	v_cndmask_b32_e64 v1, 0, 1, s[24:25]
	s_mov_b32 s15, 0
	v_lshl_add_u64 v[6:7], v[2:3], 4, s[22:23]
	v_cmp_ne_u32_e64 s[4:5], 1, v1
	s_mov_b64 s[22:23], 0x80
	s_mov_b32 s29, 0
	s_branch .LBB369_31
.LBB369_29:                             ;   in Loop: Header=BB369_31 Depth=1
	global_store_dwordx4 v[8:9], v[2:5], off
.LBB369_30:                             ;   in Loop: Header=BB369_31 Depth=1
	s_or_b64 exec, exec, s[24:25]
	s_addk_i32 s29, 0x100
	s_cmp_ge_i32 s29, s7
	v_lshl_add_u64 v[6:7], v[6:7], 0, s[18:19]
	s_cbranch_scc1 .LBB369_42
.LBB369_31:                             ; =>This Loop Header: Depth=1
                                        ;     Child Loop BB369_37 Depth 2
                                        ;     Child Loop BB369_41 Depth 2
	v_add_u32_e32 v1, s29, v0
	v_cmp_gt_i32_e32 vcc, s7, v1
	s_and_saveexec_b64 s[24:25], vcc
	s_cbranch_execz .LBB369_30
; %bb.32:                               ;   in Loop: Header=BB369_31 Depth=1
	v_mad_u64_u32 v[4:5], s[26:27], v1, s20, 0
	v_mov_b32_e32 v2, v5
	v_mad_u64_u32 v[2:3], s[26:27], v1, s21, v[2:3]
	v_mov_b32_e32 v5, v2
	v_mov_b64_e32 v[2:3], 0
	s_and_b64 vcc, exec, s[0:1]
	v_lshl_add_u64 v[8:9], v[4:5], 4, s[12:13]
	v_mov_b64_e32 v[4:5], v[2:3]
	s_cbranch_vccnz .LBB369_34
; %bb.33:                               ;   in Loop: Header=BB369_31 Depth=1
	global_load_dwordx4 v[10:13], v[8:9], off
	s_waitcnt vmcnt(0)
	v_mul_f64 v[2:3], s[10:11], v[12:13]
	v_mul_f64 v[4:5], s[8:9], v[12:13]
	v_fma_f64 v[2:3], s[8:9], v[10:11], -v[2:3]
	v_fmac_f64_e32 v[4:5], s[10:11], v[10:11]
.LBB369_34:                             ;   in Loop: Header=BB369_31 Depth=1
	s_and_b64 vcc, exec, s[2:3]
	s_cbranch_vccnz .LBB369_29
; %bb.35:                               ;   in Loop: Header=BB369_31 Depth=1
	s_mov_b32 s14, 0
	s_and_b64 vcc, exec, s[4:5]
	s_cbranch_vccnz .LBB369_39
; %bb.36:                               ;   in Loop: Header=BB369_31 Depth=1
	s_mov_b32 s26, 0
	v_mov_b64_e32 v[10:11], v[6:7]
.LBB369_37:                             ;   Parent Loop BB369_31 Depth=1
                                        ; =>  This Inner Loop Header: Depth=2
	flat_load_dwordx4 v[12:15], v[10:11]
	flat_load_dwordx4 v[16:19], v[10:11] offset:16
	flat_load_dwordx4 v[20:23], v[10:11] offset:32
	;; [unrolled: 1-line block ×7, first 2 shown]
	v_mov_b32_e32 v1, s14
	ds_read_b128 v[44:47], v1
	ds_read_b128 v[48:51], v1 offset:16
	ds_read_b128 v[52:55], v1 offset:32
	;; [unrolled: 1-line block ×3, first 2 shown]
	s_add_i32 s26, s26, 8
	s_addk_i32 s14, 0x80
	v_lshl_add_u64 v[10:11], v[10:11], 0, s[22:23]
	s_cmp_eq_u32 s6, s26
	s_waitcnt vmcnt(0) lgkmcnt(0)
	v_mul_f64 v[60:61], v[14:15], v[46:47]
	v_mul_f64 v[14:15], v[14:15], v[44:45]
	v_fmac_f64_e32 v[60:61], v[12:13], v[44:45]
	v_fma_f64 v[44:45], v[12:13], v[46:47], -v[14:15]
	ds_read_b128 v[12:15], v1 offset:64
	v_mul_f64 v[46:47], v[18:19], v[50:51]
	v_mul_f64 v[18:19], v[18:19], v[48:49]
	v_fmac_f64_e32 v[46:47], v[16:17], v[48:49]
	v_fma_f64 v[48:49], v[16:17], v[50:51], -v[18:19]
	ds_read_b128 v[16:19], v1 offset:80
	;; [unrolled: 5-line block ×4, first 2 shown]
	v_add_f64 v[2:3], v[2:3], v[60:61]
	v_add_f64 v[4:5], v[4:5], v[44:45]
	;; [unrolled: 1-line block ×4, first 2 shown]
	s_waitcnt lgkmcnt(3)
	v_mul_f64 v[58:59], v[30:31], v[14:15]
	v_mul_f64 v[30:31], v[30:31], v[12:13]
	v_add_f64 v[2:3], v[2:3], v[50:51]
	v_add_f64 v[4:5], v[4:5], v[52:53]
	s_waitcnt lgkmcnt(2)
	v_mul_f64 v[62:63], v[34:35], v[18:19]
	v_fmac_f64_e32 v[58:59], v[28:29], v[12:13]
	v_fma_f64 v[12:13], v[28:29], v[14:15], -v[30:31]
	v_mul_f64 v[14:15], v[34:35], v[16:17]
	v_add_f64 v[2:3], v[2:3], v[54:55]
	v_add_f64 v[4:5], v[4:5], v[56:57]
	s_waitcnt lgkmcnt(1)
	v_mul_f64 v[28:29], v[38:39], v[22:23]
	v_mul_f64 v[30:31], v[38:39], v[20:21]
	v_fmac_f64_e32 v[62:63], v[32:33], v[16:17]
	v_fma_f64 v[14:15], v[32:33], v[18:19], -v[14:15]
	v_add_f64 v[2:3], v[2:3], v[58:59]
	v_add_f64 v[4:5], v[4:5], v[12:13]
	s_waitcnt lgkmcnt(0)
	v_mul_f64 v[34:35], v[42:43], v[26:27]
	v_mul_f64 v[16:17], v[42:43], v[24:25]
	v_fmac_f64_e32 v[28:29], v[36:37], v[20:21]
	v_fma_f64 v[18:19], v[36:37], v[22:23], -v[30:31]
	v_add_f64 v[2:3], v[2:3], v[62:63]
	v_add_f64 v[4:5], v[4:5], v[14:15]
	v_fmac_f64_e32 v[34:35], v[40:41], v[24:25]
	v_fma_f64 v[16:17], v[40:41], v[26:27], -v[16:17]
	v_add_f64 v[2:3], v[2:3], v[28:29]
	v_add_f64 v[4:5], v[4:5], v[18:19]
	v_add_f64 v[2:3], v[2:3], v[34:35]
	v_add_f64 v[4:5], v[4:5], v[16:17]
	s_cbranch_scc0 .LBB369_37
; %bb.38:                               ;   in Loop: Header=BB369_31 Depth=1
	s_mov_b32 s14, s6
.LBB369_39:                             ;   in Loop: Header=BB369_31 Depth=1
	s_andn2_b64 vcc, exec, s[16:17]
	s_cbranch_vccnz .LBB369_29
; %bb.40:                               ;   in Loop: Header=BB369_31 Depth=1
	s_lshl_b32 s30, s14, 4
	s_lshl_b64 s[26:27], s[14:15], 4
	s_mov_b32 s14, s28
.LBB369_41:                             ;   Parent Loop BB369_31 Depth=1
                                        ; =>  This Inner Loop Header: Depth=2
	v_lshl_add_u64 v[10:11], v[6:7], 0, s[26:27]
	flat_load_dwordx4 v[10:13], v[10:11]
	v_mov_b32_e32 v1, s30
	ds_read_b128 v[14:17], v1
	s_add_i32 s30, s30, 16
	s_add_u32 s26, s26, 16
	s_addc_u32 s27, s27, 0
	s_add_i32 s14, s14, -1
	s_cmp_lg_u32 s14, 0
	s_waitcnt vmcnt(0) lgkmcnt(0)
	v_mul_f64 v[18:19], v[12:13], v[16:17]
	v_mul_f64 v[12:13], v[12:13], v[14:15]
	v_fmac_f64_e32 v[18:19], v[10:11], v[14:15]
	v_fma_f64 v[10:11], v[10:11], v[16:17], -v[12:13]
	v_add_f64 v[2:3], v[2:3], v[18:19]
	v_add_f64 v[4:5], v[4:5], v[10:11]
	s_cbranch_scc1 .LBB369_41
	s_branch .LBB369_29
.LBB369_42:
	s_endpgm
	.section	.rodata,"a",@progbits
	.p2align	6, 0x0
	.amdhsa_kernel _ZL22rocblas_gemvtsm_kernelILb1ELi256EPK19rocblas_complex_numIdES1_KPS1_EviiT2_lPKT1_lilS9_lilS6_lPT3_lil
		.amdhsa_group_segment_fixed_size 1024
		.amdhsa_private_segment_fixed_size 0
		.amdhsa_kernarg_size 152
		.amdhsa_user_sgpr_count 2
		.amdhsa_user_sgpr_dispatch_ptr 0
		.amdhsa_user_sgpr_queue_ptr 0
		.amdhsa_user_sgpr_kernarg_segment_ptr 1
		.amdhsa_user_sgpr_dispatch_id 0
		.amdhsa_user_sgpr_kernarg_preload_length 0
		.amdhsa_user_sgpr_kernarg_preload_offset 0
		.amdhsa_user_sgpr_private_segment_size 0
		.amdhsa_uses_dynamic_stack 0
		.amdhsa_enable_private_segment 0
		.amdhsa_system_sgpr_workgroup_id_x 1
		.amdhsa_system_sgpr_workgroup_id_y 0
		.amdhsa_system_sgpr_workgroup_id_z 0
		.amdhsa_system_sgpr_workgroup_info 0
		.amdhsa_system_vgpr_workitem_id 0
		.amdhsa_next_free_vgpr 64
		.amdhsa_next_free_sgpr 31
		.amdhsa_accum_offset 64
		.amdhsa_reserve_vcc 1
		.amdhsa_float_round_mode_32 0
		.amdhsa_float_round_mode_16_64 0
		.amdhsa_float_denorm_mode_32 3
		.amdhsa_float_denorm_mode_16_64 3
		.amdhsa_dx10_clamp 1
		.amdhsa_ieee_mode 1
		.amdhsa_fp16_overflow 0
		.amdhsa_tg_split 0
		.amdhsa_exception_fp_ieee_invalid_op 0
		.amdhsa_exception_fp_denorm_src 0
		.amdhsa_exception_fp_ieee_div_zero 0
		.amdhsa_exception_fp_ieee_overflow 0
		.amdhsa_exception_fp_ieee_underflow 0
		.amdhsa_exception_fp_ieee_inexact 0
		.amdhsa_exception_int_div_zero 0
	.end_amdhsa_kernel
	.section	.text._ZL22rocblas_gemvtsm_kernelILb1ELi256EPK19rocblas_complex_numIdES1_KPS1_EviiT2_lPKT1_lilS9_lilS6_lPT3_lil,"axG",@progbits,_ZL22rocblas_gemvtsm_kernelILb1ELi256EPK19rocblas_complex_numIdES1_KPS1_EviiT2_lPKT1_lilS9_lilS6_lPT3_lil,comdat
.Lfunc_end369:
	.size	_ZL22rocblas_gemvtsm_kernelILb1ELi256EPK19rocblas_complex_numIdES1_KPS1_EviiT2_lPKT1_lilS9_lilS6_lPT3_lil, .Lfunc_end369-_ZL22rocblas_gemvtsm_kernelILb1ELi256EPK19rocblas_complex_numIdES1_KPS1_EviiT2_lPKT1_lilS9_lilS6_lPT3_lil
                                        ; -- End function
	.section	.AMDGPU.csdata,"",@progbits
; Kernel info:
; codeLenInByte = 1760
; NumSgprs: 37
; NumVgprs: 64
; NumAgprs: 0
; TotalNumVgprs: 64
; ScratchSize: 0
; MemoryBound: 0
; FloatMode: 240
; IeeeMode: 1
; LDSByteSize: 1024 bytes/workgroup (compile time only)
; SGPRBlocks: 4
; VGPRBlocks: 7
; NumSGPRsForWavesPerEU: 37
; NumVGPRsForWavesPerEU: 64
; AccumOffset: 64
; Occupancy: 8
; WaveLimiterHint : 1
; COMPUTE_PGM_RSRC2:SCRATCH_EN: 0
; COMPUTE_PGM_RSRC2:USER_SGPR: 2
; COMPUTE_PGM_RSRC2:TRAP_HANDLER: 0
; COMPUTE_PGM_RSRC2:TGID_X_EN: 1
; COMPUTE_PGM_RSRC2:TGID_Y_EN: 0
; COMPUTE_PGM_RSRC2:TGID_Z_EN: 0
; COMPUTE_PGM_RSRC2:TIDIG_COMP_CNT: 0
; COMPUTE_PGM_RSRC3_GFX90A:ACCUM_OFFSET: 15
; COMPUTE_PGM_RSRC3_GFX90A:TG_SPLIT: 0
	.section	.text._ZL23rocblas_gemvt_sn_kernelILb1ELi256ELi4EiPK19rocblas_complex_numIdES3_S1_EviiT4_lPKT3_lilS7_lilPT5_i,"axG",@progbits,_ZL23rocblas_gemvt_sn_kernelILb1ELi256ELi4EiPK19rocblas_complex_numIdES3_S1_EviiT4_lPKT3_lilS7_lilPT5_i,comdat
	.globl	_ZL23rocblas_gemvt_sn_kernelILb1ELi256ELi4EiPK19rocblas_complex_numIdES3_S1_EviiT4_lPKT3_lilS7_lilPT5_i ; -- Begin function _ZL23rocblas_gemvt_sn_kernelILb1ELi256ELi4EiPK19rocblas_complex_numIdES3_S1_EviiT4_lPKT3_lilS7_lilPT5_i
	.p2align	8
	.type	_ZL23rocblas_gemvt_sn_kernelILb1ELi256ELi4EiPK19rocblas_complex_numIdES3_S1_EviiT4_lPKT3_lilS7_lilPT5_i,@function
_ZL23rocblas_gemvt_sn_kernelILb1ELi256ELi4EiPK19rocblas_complex_numIdES3_S1_EviiT4_lPKT3_lilS7_lilPT5_i: ; @_ZL23rocblas_gemvt_sn_kernelILb1ELi256ELi4EiPK19rocblas_complex_numIdES3_S1_EviiT4_lPKT3_lilS7_lilPT5_i
; %bb.0:
	s_load_dwordx8 s[4:11], s[0:1], 0x8
	s_mov_b32 s12, s3
	s_mov_b32 s13, 0
	s_mov_b64 s[14:15], 0
	s_waitcnt lgkmcnt(0)
	s_mul_i32 s3, s3, s7
	s_mul_hi_u32 s7, s12, s6
	s_add_i32 s7, s7, s3
	s_mul_i32 s6, s12, s6
	s_lshl_b64 s[6:7], s[6:7], 4
	s_add_u32 s4, s4, s6
	s_addc_u32 s5, s5, s7
	s_load_dwordx4 s[16:19], s[4:5], 0x0
	s_waitcnt lgkmcnt(0)
	v_cmp_neq_f64_e64 s[4:5], s[16:17], 0
	v_cmp_neq_f64_e64 s[6:7], s[18:19], 0
	s_or_b64 s[20:21], s[4:5], s[6:7]
	s_xor_b64 s[4:5], s[20:21], -1
	s_and_b64 vcc, exec, s[4:5]
	s_mov_b64 s[6:7], 0
	s_cbranch_vccnz .LBB370_2
; %bb.1:
	s_lshl_b64 s[6:7], s[12:13], 3
	s_add_u32 s6, s8, s6
	s_addc_u32 s7, s9, s7
	s_load_dwordx2 s[6:7], s[6:7], 0x0
	s_lshl_b64 s[8:9], s[10:11], 4
	s_waitcnt lgkmcnt(0)
	s_add_u32 s6, s6, s8
	s_addc_u32 s7, s7, s9
.LBB370_2:
	s_andn2_b64 vcc, exec, s[20:21]
	s_cbranch_vccnz .LBB370_4
; %bb.3:
	s_load_dwordx4 s[8:11], s[0:1], 0x38
	s_lshl_b64 s[14:15], s[12:13], 3
	s_waitcnt lgkmcnt(0)
	s_add_u32 s8, s8, s14
	s_addc_u32 s9, s9, s15
	s_load_dwordx2 s[8:9], s[8:9], 0x0
	s_lshl_b64 s[10:11], s[10:11], 4
	s_waitcnt lgkmcnt(0)
	s_add_u32 s14, s8, s10
	s_addc_u32 s15, s9, s11
.LBB370_4:
	s_load_dwordx2 s[20:21], s[0:1], 0x0
	s_load_dwordx2 s[8:9], s[0:1], 0x58
	s_load_dword s22, s[0:1], 0x68
	s_mov_b32 s23, 0
	s_andn2_b64 vcc, exec, s[4:5]
	s_waitcnt lgkmcnt(0)
	s_ashr_i32 s26, s21, 31
	s_mul_hi_u32 s3, s21, s12
	s_mul_i32 s10, s26, s12
	s_add_i32 s3, s3, s10
	s_mul_i32 s10, s21, s12
	s_mul_i32 s3, s3, s22
	s_mul_hi_u32 s11, s10, s22
	s_add_i32 s11, s11, s3
	s_mul_i32 s10, s10, s22
	s_mov_b64 s[12:13], -1
	v_cmp_eq_u32_e64 s[4:5], 0, v0
	s_cbranch_vccnz .LBB370_9
; %bb.5:
	s_cmp_gt_i32 s21, 0
	s_cselect_b64 s[12:13], -1, 0
	s_and_b64 s[12:13], s[4:5], s[12:13]
	s_and_saveexec_b64 s[4:5], s[12:13]
	s_cbranch_execz .LBB370_8
; %bb.6:
	s_mov_b32 s3, 0
	s_lshl_b64 s[12:13], s[10:11], 4
	s_lshl_b64 s[24:25], s[2:3], 4
	s_add_u32 s3, s12, s24
	s_addc_u32 s12, s13, s25
	s_add_u32 s3, s3, s8
	s_addc_u32 s13, s12, s9
	s_add_u32 s12, s3, 8
	v_mov_b32_e32 v2, 0
	s_addc_u32 s13, s13, 0
	s_lshl_b64 s[24:25], s[22:23], 4
	v_mov_b32_e32 v3, v2
	v_mov_b32_e32 v4, v2
	;; [unrolled: 1-line block ×3, first 2 shown]
	s_mov_b32 s3, s21
.LBB370_7:                              ; =>This Inner Loop Header: Depth=1
	s_add_i32 s3, s3, -1
	global_store_dwordx4 v2, v[2:5], s[12:13] offset:-8
	s_add_u32 s12, s12, s24
	s_addc_u32 s13, s13, s25
	s_cmp_eq_u32 s3, 0
	s_cbranch_scc0 .LBB370_7
.LBB370_8:
	s_or_b64 exec, exec, s[4:5]
	s_mov_b64 s[12:13], 0
.LBB370_9:
	s_andn2_b64 vcc, exec, s[12:13]
	s_cbranch_vccnz .LBB370_80
; %bb.10:
	s_lshl_b64 s[4:5], s[10:11], 4
	s_add_u32 s44, s8, s4
	s_addc_u32 s45, s9, s5
	s_load_dword s23, s[0:1], 0x28
	s_load_dword s33, s[0:1], 0x48
	s_lshl_b32 s0, s2, 10
	v_lshl_or_b32 v2, v0, 2, s0
	s_lshr_b32 s0, s26, 30
	s_add_i32 s0, s21, s0
	s_and_b32 s3, s0, -4
	s_ashr_i32 s0, s20, 31
	s_lshr_b32 s0, s0, 30
	s_add_i32 s0, s20, s0
	s_and_b32 s0, s0, -4
	v_ashrrev_i32_e32 v3, 31, v2
	s_sub_i32 s42, s20, s0
	v_lshl_add_u64 v[22:23], v[2:3], 4, s[6:7]
	s_cmp_lt_i32 s3, 1
	v_add_u32_e32 v41, 4, v2
	v_add_u32_e32 v42, s42, v2
	v_and_b32_e32 v1, 63, v0
	v_cmp_gt_u32_e64 s[0:1], 64, v0
	v_mbcnt_lo_u32_b32 v40, -1, 0
	v_cmp_gt_u32_e64 s[4:5], 4, v0
	v_lshrrev_b32_e32 v25, 2, v0
	s_waitcnt lgkmcnt(0)
	v_mul_lo_u32 v24, v2, s33
	s_cbranch_scc1 .LBB370_57
; %bb.11:
	v_mbcnt_hi_u32_b32 v3, -1, v40
	v_and_b32_e32 v4, 63, v3
	v_cmp_gt_u32_e32 vcc, 32, v4
	v_mul_lo_u32 v26, v2, s33
	v_add_u32_e32 v2, s33, v26
	v_cndmask_b32_e64 v5, 0, 1, vcc
	v_lshlrev_b32_e32 v5, 5, v5
	v_cmp_gt_u32_e32 vcc, 48, v4
	v_add_lshl_u32 v43, v5, v3, 2
	s_mov_b32 s25, 0
	v_cndmask_b32_e64 v5, 0, 1, vcc
	v_lshlrev_b32_e32 v5, 4, v5
	v_cmp_gt_u32_e32 vcc, 56, v4
	v_add_lshl_u32 v44, v5, v3, 2
	s_cmp_gt_i32 s42, 0
	v_cndmask_b32_e64 v5, 0, 1, vcc
	v_lshlrev_b32_e32 v5, 3, v5
	v_cmp_gt_u32_e32 vcc, 60, v4
	v_add_lshl_u32 v45, v5, v3, 2
	v_ashrrev_i32_e32 v27, 31, v26
	v_cndmask_b32_e64 v5, 0, 1, vcc
	v_lshlrev_b32_e32 v5, 2, v5
	v_cmp_gt_u32_e32 vcc, 62, v4
	v_add_lshl_u32 v46, v5, v3, 2
	v_cmp_ge_i32_e64 s[6:7], s20, v41
	v_cndmask_b32_e64 v5, 0, 1, vcc
	v_lshlrev_b32_e32 v5, 1, v5
	v_cmp_ne_u32_e32 vcc, 63, v4
	v_add_lshl_u32 v47, v5, v3, 2
	v_mov_b32_e32 v4, 0
	v_addc_co_u32_e32 v3, vcc, 0, v3, vcc
	v_lshlrev_b32_e32 v48, 2, v3
	v_ashrrev_i32_e32 v3, 31, v2
	v_lshl_add_u64 v[30:31], v[2:3], 4, s[14:15]
	v_add_u32_e32 v2, s33, v2
	v_ashrrev_i32_e32 v3, 31, v2
	v_lshl_add_u64 v[32:33], v[2:3], 4, s[14:15]
	v_add_u32_e32 v2, s33, v2
	v_ashrrev_i32_e32 v3, 31, v2
	v_cmp_ge_i32_e64 s[8:9], s20, v42
	s_cselect_b64 s[26:27], -1, 0
	v_cmp_eq_u32_e64 s[10:11], 0, v1
	v_lshlrev_b32_e32 v49, 4, v1
	v_and_b32_e32 v50, 48, v25
	v_cmp_eq_u32_e64 s[12:13], 0, v0
	v_lshl_add_u64 v[28:29], v[26:27], 4, s[14:15]
	v_add_u32_e32 v27, 16, v4
	v_add_u32_e32 v51, 32, v4
	v_lshl_add_u64 v[34:35], v[2:3], 4, s[14:15]
	v_add_u32_e32 v52, 48, v4
	s_lshl_b32 s46, s23, 2
	s_lshl_b32 s47, s23, 1
	s_mul_i32 s48, s23, 3
	v_mov_b32_e32 v2, 0
	s_mov_b32 s28, s25
	s_mov_b32 s49, s23
	;; [unrolled: 1-line block ×3, first 2 shown]
	s_branch .LBB370_13
.LBB370_12:                             ;   in Loop: Header=BB370_13 Depth=1
	s_or_b64 exec, exec, s[30:31]
	s_add_i32 s43, s43, 4
	s_add_i32 s49, s49, s46
	;; [unrolled: 1-line block ×5, first 2 shown]
	s_cmp_ge_i32 s43, s3
	s_cbranch_scc1 .LBB370_58
.LBB370_13:                             ; =>This Loop Header: Depth=1
                                        ;     Child Loop BB370_44 Depth 2
                                        ;     Child Loop BB370_46 Depth 2
                                        ; implicit-def: $vgpr18_vgpr19
                                        ; implicit-def: $vgpr20_vgpr21
                                        ; implicit-def: $vgpr14_vgpr15
                                        ; implicit-def: $vgpr16_vgpr17
                                        ; implicit-def: $vgpr10_vgpr11
                                        ; implicit-def: $vgpr12_vgpr13
                                        ; implicit-def: $vgpr36_vgpr37
                                        ; implicit-def: $vgpr8_vgpr9
	s_and_saveexec_b64 s[30:31], s[6:7]
	s_xor_b64 s[30:31], exec, s[30:31]
	s_cbranch_execnz .LBB370_40
; %bb.14:                               ;   in Loop: Header=BB370_13 Depth=1
	s_andn2_saveexec_b64 s[30:31], s[30:31]
	s_cbranch_execnz .LBB370_41
.LBB370_15:                             ;   in Loop: Header=BB370_13 Depth=1
	s_or_b64 exec, exec, s[30:31]
	s_and_saveexec_b64 s[30:31], s[0:1]
	s_cbranch_execz .LBB370_17
.LBB370_16:                             ;   in Loop: Header=BB370_13 Depth=1
	v_mov_b32_e32 v3, v2
	v_mov_b32_e32 v4, v2
	v_mov_b32_e32 v5, v2
	ds_write_b128 v49, v[2:5]
.LBB370_17:                             ;   in Loop: Header=BB370_13 Depth=1
	s_or_b64 exec, exec, s[30:31]
	ds_bpermute_b32 v4, v43, v36
	ds_bpermute_b32 v5, v43, v37
	;; [unrolled: 1-line block ×4, first 2 shown]
	s_waitcnt lgkmcnt(0)
	s_barrier
	v_add_f64 v[4:5], v[36:37], v[4:5]
	v_add_f64 v[6:7], v[8:9], v[6:7]
	ds_bpermute_b32 v8, v44, v4
	ds_bpermute_b32 v9, v44, v5
	;; [unrolled: 1-line block ×4, first 2 shown]
	s_waitcnt lgkmcnt(2)
	v_add_f64 v[4:5], v[4:5], v[8:9]
	ds_bpermute_b32 v8, v45, v4
	s_waitcnt lgkmcnt(1)
	v_add_f64 v[6:7], v[6:7], v[36:37]
	ds_bpermute_b32 v9, v45, v5
	ds_bpermute_b32 v36, v45, v6
	ds_bpermute_b32 v37, v45, v7
	s_waitcnt lgkmcnt(2)
	v_add_f64 v[4:5], v[4:5], v[8:9]
	ds_bpermute_b32 v8, v46, v4
	s_waitcnt lgkmcnt(1)
	v_add_f64 v[6:7], v[6:7], v[36:37]
	ds_bpermute_b32 v9, v46, v5
	ds_bpermute_b32 v36, v46, v6
	ds_bpermute_b32 v37, v46, v7
	;; [unrolled: 8-line block ×3, first 2 shown]
	s_waitcnt lgkmcnt(2)
	v_add_f64 v[4:5], v[4:5], v[8:9]
	s_waitcnt lgkmcnt(0)
	v_add_f64 v[8:9], v[6:7], v[36:37]
	ds_bpermute_b32 v6, v48, v4
	ds_bpermute_b32 v7, v48, v5
	;; [unrolled: 1-line block ×4, first 2 shown]
	s_and_saveexec_b64 s[30:31], s[10:11]
	s_cbranch_execz .LBB370_19
; %bb.18:                               ;   in Loop: Header=BB370_13 Depth=1
	s_waitcnt lgkmcnt(0)
	v_add_f64 v[8:9], v[8:9], v[36:37]
	v_add_f64 v[6:7], v[4:5], v[6:7]
	ds_write_b128 v50, v[6:9]
.LBB370_19:                             ;   in Loop: Header=BB370_13 Depth=1
	s_or_b64 exec, exec, s[30:31]
	v_mov_b64_e32 v[8:9], 0
	s_waitcnt lgkmcnt(2)
	v_mov_b64_e32 v[6:7], v[8:9]
	s_waitcnt lgkmcnt(0)
	s_barrier
	s_and_saveexec_b64 s[30:31], s[4:5]
	s_cbranch_execnz .LBB370_48
; %bb.20:                               ;   in Loop: Header=BB370_13 Depth=1
	s_or_b64 exec, exec, s[30:31]
	s_and_saveexec_b64 s[30:31], s[0:1]
	s_cbranch_execnz .LBB370_49
.LBB370_21:                             ;   in Loop: Header=BB370_13 Depth=1
	s_or_b64 exec, exec, s[30:31]
	s_and_saveexec_b64 s[30:31], s[0:1]
	s_cbranch_execz .LBB370_23
.LBB370_22:                             ;   in Loop: Header=BB370_13 Depth=1
	v_mov_b32_e32 v3, v2
	v_mov_b32_e32 v4, v2
	;; [unrolled: 1-line block ×3, first 2 shown]
	ds_write_b128 v49, v[2:5]
.LBB370_23:                             ;   in Loop: Header=BB370_13 Depth=1
	s_or_b64 exec, exec, s[30:31]
	ds_bpermute_b32 v4, v43, v10
	ds_bpermute_b32 v5, v43, v11
	;; [unrolled: 1-line block ×4, first 2 shown]
	s_waitcnt lgkmcnt(0)
	s_barrier
	v_add_f64 v[4:5], v[10:11], v[4:5]
	v_add_f64 v[10:11], v[12:13], v[36:37]
	ds_bpermute_b32 v12, v44, v4
	ds_bpermute_b32 v13, v44, v5
	;; [unrolled: 1-line block ×4, first 2 shown]
	s_waitcnt lgkmcnt(2)
	v_add_f64 v[4:5], v[4:5], v[12:13]
	ds_bpermute_b32 v12, v45, v4
	s_waitcnt lgkmcnt(1)
	v_add_f64 v[10:11], v[10:11], v[36:37]
	ds_bpermute_b32 v13, v45, v5
	ds_bpermute_b32 v36, v45, v10
	ds_bpermute_b32 v37, v45, v11
	s_waitcnt lgkmcnt(2)
	v_add_f64 v[4:5], v[4:5], v[12:13]
	ds_bpermute_b32 v12, v46, v4
	s_waitcnt lgkmcnt(1)
	v_add_f64 v[10:11], v[10:11], v[36:37]
	ds_bpermute_b32 v13, v46, v5
	ds_bpermute_b32 v36, v46, v10
	ds_bpermute_b32 v37, v46, v11
	;; [unrolled: 8-line block ×3, first 2 shown]
	s_waitcnt lgkmcnt(2)
	v_add_f64 v[4:5], v[4:5], v[12:13]
	s_waitcnt lgkmcnt(0)
	v_add_f64 v[12:13], v[10:11], v[36:37]
	ds_bpermute_b32 v10, v48, v4
	ds_bpermute_b32 v11, v48, v5
	;; [unrolled: 1-line block ×4, first 2 shown]
	s_and_saveexec_b64 s[30:31], s[10:11]
	s_cbranch_execz .LBB370_25
; %bb.24:                               ;   in Loop: Header=BB370_13 Depth=1
	s_waitcnt lgkmcnt(0)
	v_add_f64 v[12:13], v[12:13], v[36:37]
	v_add_f64 v[10:11], v[4:5], v[10:11]
	ds_write_b128 v50, v[10:13]
.LBB370_25:                             ;   in Loop: Header=BB370_13 Depth=1
	s_or_b64 exec, exec, s[30:31]
	v_mov_b64_e32 v[12:13], 0
	s_waitcnt lgkmcnt(2)
	v_mov_b64_e32 v[10:11], v[12:13]
	s_waitcnt lgkmcnt(0)
	s_barrier
	s_and_saveexec_b64 s[30:31], s[4:5]
	s_cbranch_execnz .LBB370_50
; %bb.26:                               ;   in Loop: Header=BB370_13 Depth=1
	s_or_b64 exec, exec, s[30:31]
	s_and_saveexec_b64 s[30:31], s[0:1]
	s_cbranch_execnz .LBB370_51
.LBB370_27:                             ;   in Loop: Header=BB370_13 Depth=1
	s_or_b64 exec, exec, s[30:31]
	s_and_saveexec_b64 s[30:31], s[0:1]
	s_cbranch_execz .LBB370_29
.LBB370_28:                             ;   in Loop: Header=BB370_13 Depth=1
	v_mov_b32_e32 v3, v2
	v_mov_b32_e32 v4, v2
	;; [unrolled: 1-line block ×3, first 2 shown]
	ds_write_b128 v49, v[2:5]
.LBB370_29:                             ;   in Loop: Header=BB370_13 Depth=1
	s_or_b64 exec, exec, s[30:31]
	ds_bpermute_b32 v4, v43, v14
	ds_bpermute_b32 v5, v43, v15
	;; [unrolled: 1-line block ×4, first 2 shown]
	s_waitcnt lgkmcnt(0)
	s_barrier
	v_add_f64 v[4:5], v[14:15], v[4:5]
	v_add_f64 v[14:15], v[16:17], v[36:37]
	ds_bpermute_b32 v16, v44, v4
	ds_bpermute_b32 v17, v44, v5
	ds_bpermute_b32 v36, v44, v14
	ds_bpermute_b32 v37, v44, v15
	s_waitcnt lgkmcnt(2)
	v_add_f64 v[4:5], v[4:5], v[16:17]
	ds_bpermute_b32 v16, v45, v4
	s_waitcnt lgkmcnt(1)
	v_add_f64 v[14:15], v[14:15], v[36:37]
	ds_bpermute_b32 v17, v45, v5
	ds_bpermute_b32 v36, v45, v14
	ds_bpermute_b32 v37, v45, v15
	s_waitcnt lgkmcnt(2)
	v_add_f64 v[4:5], v[4:5], v[16:17]
	ds_bpermute_b32 v16, v46, v4
	s_waitcnt lgkmcnt(1)
	v_add_f64 v[14:15], v[14:15], v[36:37]
	ds_bpermute_b32 v17, v46, v5
	ds_bpermute_b32 v36, v46, v14
	ds_bpermute_b32 v37, v46, v15
	;; [unrolled: 8-line block ×3, first 2 shown]
	s_waitcnt lgkmcnt(2)
	v_add_f64 v[4:5], v[4:5], v[16:17]
	s_waitcnt lgkmcnt(0)
	v_add_f64 v[16:17], v[14:15], v[36:37]
	ds_bpermute_b32 v14, v48, v4
	ds_bpermute_b32 v15, v48, v5
	;; [unrolled: 1-line block ×4, first 2 shown]
	s_and_saveexec_b64 s[30:31], s[10:11]
	s_cbranch_execz .LBB370_31
; %bb.30:                               ;   in Loop: Header=BB370_13 Depth=1
	s_waitcnt lgkmcnt(0)
	v_add_f64 v[16:17], v[16:17], v[36:37]
	v_add_f64 v[14:15], v[4:5], v[14:15]
	ds_write_b128 v50, v[14:17]
.LBB370_31:                             ;   in Loop: Header=BB370_13 Depth=1
	s_or_b64 exec, exec, s[30:31]
	v_mov_b64_e32 v[16:17], 0
	s_waitcnt lgkmcnt(2)
	v_mov_b64_e32 v[14:15], v[16:17]
	s_waitcnt lgkmcnt(0)
	s_barrier
	s_and_saveexec_b64 s[30:31], s[4:5]
	s_cbranch_execnz .LBB370_52
; %bb.32:                               ;   in Loop: Header=BB370_13 Depth=1
	s_or_b64 exec, exec, s[30:31]
	s_and_saveexec_b64 s[30:31], s[0:1]
	s_cbranch_execnz .LBB370_53
.LBB370_33:                             ;   in Loop: Header=BB370_13 Depth=1
	s_or_b64 exec, exec, s[30:31]
	s_and_saveexec_b64 s[30:31], s[0:1]
	s_cbranch_execz .LBB370_35
.LBB370_34:                             ;   in Loop: Header=BB370_13 Depth=1
	v_mov_b32_e32 v3, v2
	v_mov_b32_e32 v4, v2
	;; [unrolled: 1-line block ×3, first 2 shown]
	ds_write_b128 v49, v[2:5]
.LBB370_35:                             ;   in Loop: Header=BB370_13 Depth=1
	s_or_b64 exec, exec, s[30:31]
	ds_bpermute_b32 v4, v43, v18
	ds_bpermute_b32 v5, v43, v19
	;; [unrolled: 1-line block ×4, first 2 shown]
	s_waitcnt lgkmcnt(0)
	s_barrier
	v_add_f64 v[4:5], v[18:19], v[4:5]
	v_add_f64 v[18:19], v[20:21], v[36:37]
	ds_bpermute_b32 v20, v44, v4
	ds_bpermute_b32 v21, v44, v5
	;; [unrolled: 1-line block ×4, first 2 shown]
	s_waitcnt lgkmcnt(2)
	v_add_f64 v[4:5], v[4:5], v[20:21]
	ds_bpermute_b32 v20, v45, v4
	s_waitcnt lgkmcnt(1)
	v_add_f64 v[18:19], v[18:19], v[36:37]
	ds_bpermute_b32 v21, v45, v5
	ds_bpermute_b32 v36, v45, v18
	ds_bpermute_b32 v37, v45, v19
	s_waitcnt lgkmcnt(2)
	v_add_f64 v[4:5], v[4:5], v[20:21]
	ds_bpermute_b32 v20, v46, v4
	s_waitcnt lgkmcnt(1)
	v_add_f64 v[18:19], v[18:19], v[36:37]
	ds_bpermute_b32 v21, v46, v5
	ds_bpermute_b32 v36, v46, v18
	ds_bpermute_b32 v37, v46, v19
	;; [unrolled: 8-line block ×3, first 2 shown]
	s_waitcnt lgkmcnt(2)
	v_add_f64 v[4:5], v[4:5], v[20:21]
	s_waitcnt lgkmcnt(0)
	v_add_f64 v[20:21], v[18:19], v[36:37]
	ds_bpermute_b32 v18, v48, v4
	ds_bpermute_b32 v19, v48, v5
	;; [unrolled: 1-line block ×4, first 2 shown]
	s_and_saveexec_b64 s[30:31], s[10:11]
	s_cbranch_execz .LBB370_37
; %bb.36:                               ;   in Loop: Header=BB370_13 Depth=1
	s_waitcnt lgkmcnt(0)
	v_add_f64 v[20:21], v[20:21], v[36:37]
	v_add_f64 v[18:19], v[4:5], v[18:19]
	ds_write_b128 v50, v[18:21]
.LBB370_37:                             ;   in Loop: Header=BB370_13 Depth=1
	s_or_b64 exec, exec, s[30:31]
	v_mov_b64_e32 v[20:21], 0
	s_waitcnt lgkmcnt(2)
	v_mov_b64_e32 v[18:19], v[20:21]
	s_waitcnt lgkmcnt(0)
	s_barrier
	s_and_saveexec_b64 s[30:31], s[4:5]
	s_cbranch_execnz .LBB370_54
; %bb.38:                               ;   in Loop: Header=BB370_13 Depth=1
	s_or_b64 exec, exec, s[30:31]
	s_and_saveexec_b64 s[30:31], s[0:1]
	s_cbranch_execnz .LBB370_55
.LBB370_39:                             ;   in Loop: Header=BB370_13 Depth=1
	s_or_b64 exec, exec, s[30:31]
	s_and_saveexec_b64 s[30:31], s[12:13]
	s_cbranch_execz .LBB370_12
	s_branch .LBB370_56
.LBB370_40:                             ;   in Loop: Header=BB370_13 Depth=1
	flat_load_dwordx4 v[4:7], v[28:29]
	flat_load_dwordx4 v[8:11], v[30:31]
	s_mul_i32 s34, s43, s23
	s_ashr_i32 s35, s34, 31
	s_waitcnt vmcnt(0) lgkmcnt(0)
	scratch_store_dwordx4 off, v[4:7], off
	scratch_store_dwordx4 v27, v[8:11], off
	flat_load_dwordx4 v[8:11], v[32:33]
	s_waitcnt vmcnt(0) lgkmcnt(0)
	scratch_store_dwordx4 v51, v[8:11], off
	flat_load_dwordx4 v[8:11], v[34:35]
	s_waitcnt vmcnt(0) lgkmcnt(0)
	scratch_store_dwordx4 v52, v[8:11], off
	s_nop 1
	v_lshl_add_u64 v[8:9], s[34:35], 4, v[22:23]
	flat_load_dwordx4 v[10:13], v[8:9]
	s_add_i32 s34, s34, s23
	s_ashr_i32 s35, s34, 31
	s_waitcnt vmcnt(0) lgkmcnt(0)
	v_mul_f64 v[14:15], v[6:7], v[12:13]
	v_mul_f64 v[12:13], v[4:5], v[12:13]
	v_fmac_f64_e32 v[14:15], v[4:5], v[10:11]
	v_fma_f64 v[10:11], v[6:7], v[10:11], -v[12:13]
	v_add_f64 v[58:59], v[10:11], 0
	v_lshl_add_u64 v[10:11], s[34:35], 4, v[22:23]
	v_add_f64 v[38:39], v[14:15], 0
	flat_load_dwordx4 v[12:15], v[10:11]
	s_add_i32 s34, s34, s23
	s_ashr_i32 s35, s34, 31
	s_waitcnt vmcnt(0) lgkmcnt(0)
	v_mul_f64 v[16:17], v[6:7], v[14:15]
	v_mul_f64 v[14:15], v[4:5], v[14:15]
	v_fmac_f64_e32 v[16:17], v[4:5], v[12:13]
	v_fma_f64 v[12:13], v[6:7], v[12:13], -v[14:15]
	v_lshl_add_u64 v[14:15], s[34:35], 4, v[22:23]
	v_add_f64 v[60:61], v[16:17], 0
	flat_load_dwordx4 v[16:19], v[14:15]
	s_add_i32 s34, s34, s23
	v_add_f64 v[62:63], v[12:13], 0
	s_ashr_i32 s35, s34, 31
	s_waitcnt vmcnt(0) lgkmcnt(0)
	v_mul_f64 v[12:13], v[6:7], v[18:19]
	v_mul_f64 v[18:19], v[4:5], v[18:19]
	v_fmac_f64_e32 v[12:13], v[4:5], v[16:17]
	v_fma_f64 v[16:17], v[6:7], v[16:17], -v[18:19]
	v_lshl_add_u64 v[18:19], s[34:35], 4, v[22:23]
	flat_load_dwordx4 v[54:57], v[18:19]
	v_add_f64 v[20:21], v[12:13], 0
	v_add_f64 v[36:37], v[16:17], 0
	s_waitcnt vmcnt(0) lgkmcnt(0)
	v_mul_f64 v[12:13], v[6:7], v[56:57]
	v_fmac_f64_e32 v[12:13], v[4:5], v[54:55]
	v_mul_f64 v[4:5], v[4:5], v[56:57]
	v_fma_f64 v[4:5], v[6:7], v[54:55], -v[4:5]
	v_add_f64 v[16:17], v[4:5], 0
	scratch_load_dwordx4 v[4:7], off, off offset:16
	flat_load_dwordx4 v[54:57], v[8:9] offset:16
	v_add_f64 v[12:13], v[12:13], 0
	s_waitcnt vmcnt(0) lgkmcnt(0)
	v_mul_f64 v[64:65], v[6:7], v[56:57]
	v_mul_f64 v[56:57], v[4:5], v[56:57]
	v_fmac_f64_e32 v[64:65], v[4:5], v[54:55]
	v_fma_f64 v[54:55], v[6:7], v[54:55], -v[56:57]
	v_add_f64 v[58:59], v[58:59], v[54:55]
	flat_load_dwordx4 v[54:57], v[10:11] offset:16
	v_add_f64 v[64:65], v[38:39], v[64:65]
	s_waitcnt vmcnt(0) lgkmcnt(0)
	v_mul_f64 v[38:39], v[6:7], v[56:57]
	v_mul_f64 v[56:57], v[4:5], v[56:57]
	v_fmac_f64_e32 v[38:39], v[4:5], v[54:55]
	v_fma_f64 v[54:55], v[6:7], v[54:55], -v[56:57]
	v_add_f64 v[62:63], v[62:63], v[54:55]
	;; [unrolled: 8-line block ×3, first 2 shown]
	v_add_f64 v[54:55], v[36:37], v[54:55]
	flat_load_dwordx4 v[36:39], v[18:19] offset:16
	s_waitcnt vmcnt(0) lgkmcnt(0)
	v_mul_f64 v[56:57], v[6:7], v[38:39]
	v_fmac_f64_e32 v[56:57], v[4:5], v[36:37]
	v_mul_f64 v[4:5], v[4:5], v[38:39]
	v_fma_f64 v[4:5], v[6:7], v[36:37], -v[4:5]
	v_add_f64 v[16:17], v[16:17], v[4:5]
	scratch_load_dwordx4 v[4:7], off, off offset:32
	flat_load_dwordx4 v[36:39], v[8:9] offset:32
	v_add_f64 v[12:13], v[12:13], v[56:57]
	s_waitcnt vmcnt(0) lgkmcnt(0)
	v_mul_f64 v[56:57], v[6:7], v[38:39]
	v_mul_f64 v[38:39], v[4:5], v[38:39]
	v_fmac_f64_e32 v[56:57], v[4:5], v[36:37]
	v_fma_f64 v[36:37], v[6:7], v[36:37], -v[38:39]
	v_add_f64 v[58:59], v[58:59], v[36:37]
	flat_load_dwordx4 v[36:39], v[10:11] offset:32
	v_add_f64 v[64:65], v[64:65], v[56:57]
	s_waitcnt vmcnt(0) lgkmcnt(0)
	v_mul_f64 v[56:57], v[6:7], v[38:39]
	v_mul_f64 v[38:39], v[4:5], v[38:39]
	v_fmac_f64_e32 v[56:57], v[4:5], v[36:37]
	v_fma_f64 v[36:37], v[6:7], v[36:37], -v[38:39]
	v_add_f64 v[62:63], v[62:63], v[36:37]
	;; [unrolled: 8-line block ×3, first 2 shown]
	flat_load_dwordx4 v[36:39], v[18:19] offset:32
	v_add_f64 v[66:67], v[20:21], v[56:57]
	s_waitcnt vmcnt(0) lgkmcnt(0)
	v_mul_f64 v[20:21], v[6:7], v[38:39]
	v_fmac_f64_e32 v[20:21], v[4:5], v[36:37]
	v_mul_f64 v[4:5], v[4:5], v[38:39]
	v_fma_f64 v[4:5], v[6:7], v[36:37], -v[4:5]
	v_add_f64 v[38:39], v[16:17], v[4:5]
	scratch_load_dwordx4 v[4:7], off, off offset:48
	flat_load_dwordx4 v[54:57], v[8:9] offset:48
	v_add_f64 v[20:21], v[12:13], v[20:21]
	s_waitcnt vmcnt(0) lgkmcnt(0)
	v_mul_f64 v[8:9], v[6:7], v[56:57]
	v_mul_f64 v[12:13], v[4:5], v[56:57]
	v_fmac_f64_e32 v[8:9], v[4:5], v[54:55]
	v_fma_f64 v[12:13], v[6:7], v[54:55], -v[12:13]
	v_add_f64 v[36:37], v[64:65], v[8:9]
	v_add_f64 v[8:9], v[58:59], v[12:13]
	flat_load_dwordx4 v[10:13], v[10:11] offset:48
	s_waitcnt vmcnt(0) lgkmcnt(0)
	v_mul_f64 v[16:17], v[6:7], v[12:13]
	v_fmac_f64_e32 v[16:17], v[4:5], v[10:11]
	v_mul_f64 v[12:13], v[4:5], v[12:13]
	v_fma_f64 v[12:13], v[6:7], v[10:11], -v[12:13]
	v_add_f64 v[10:11], v[60:61], v[16:17]
	flat_load_dwordx4 v[14:17], v[14:15] offset:48
	v_add_f64 v[12:13], v[62:63], v[12:13]
	s_waitcnt vmcnt(0) lgkmcnt(0)
	v_mul_f64 v[54:55], v[6:7], v[16:17]
	v_fmac_f64_e32 v[54:55], v[4:5], v[14:15]
	v_mul_f64 v[16:17], v[4:5], v[16:17]
	v_fma_f64 v[16:17], v[6:7], v[14:15], -v[16:17]
	v_add_f64 v[14:15], v[66:67], v[54:55]
	flat_load_dwordx4 v[54:57], v[18:19] offset:48
	v_add_f64 v[16:17], v[68:69], v[16:17]
	s_waitcnt vmcnt(0) lgkmcnt(0)
	v_mul_f64 v[18:19], v[6:7], v[56:57]
	v_fmac_f64_e32 v[18:19], v[4:5], v[54:55]
	v_mul_f64 v[4:5], v[4:5], v[56:57]
	v_fma_f64 v[4:5], v[6:7], v[54:55], -v[4:5]
	v_add_f64 v[18:19], v[20:21], v[18:19]
	v_add_f64 v[20:21], v[38:39], v[4:5]
	s_andn2_saveexec_b64 s[30:31], s[30:31]
	s_cbranch_execz .LBB370_15
.LBB370_41:                             ;   in Loop: Header=BB370_13 Depth=1
	s_waitcnt lgkmcnt(0)
	v_mov_b64_e32 v[18:19], 0
	v_mov_b64_e32 v[20:21], v[18:19]
	;; [unrolled: 1-line block ×8, first 2 shown]
	s_and_saveexec_b64 s[34:35], s[8:9]
	s_cbranch_execz .LBB370_47
; %bb.42:                               ;   in Loop: Header=BB370_13 Depth=1
	v_mov_b64_e32 v[18:19], 0
	s_andn2_b64 vcc, exec, s[26:27]
	v_mov_b64_e32 v[20:21], v[18:19]
	v_mov_b64_e32 v[14:15], v[18:19]
	;; [unrolled: 1-line block ×7, first 2 shown]
	s_cbranch_vccnz .LBB370_47
; %bb.43:                               ;   in Loop: Header=BB370_13 Depth=1
	v_mov_b32_e32 v3, 0
	v_mov_b32_e32 v4, v26
	s_mov_b32 s24, s42
.LBB370_44:                             ;   Parent Loop BB370_13 Depth=1
                                        ; =>  This Inner Loop Header: Depth=2
	v_ashrrev_i32_e32 v5, 31, v4
	v_lshl_add_u64 v[6:7], v[4:5], 4, s[14:15]
	flat_load_dwordx4 v[6:9], v[6:7]
	s_add_i32 s24, s24, -1
	v_add_u32_e32 v4, s33, v4
	s_cmp_eq_u32 s24, 0
	s_waitcnt vmcnt(0) lgkmcnt(0)
	scratch_store_dwordx4 v3, v[6:9], off
	v_add_u32_e32 v3, 16, v3
	s_cbranch_scc0 .LBB370_44
; %bb.45:                               ;   in Loop: Header=BB370_13 Depth=1
	s_ashr_i32 s29, s28, 31
	v_mov_b64_e32 v[8:9], 0
	v_lshl_add_u64 v[4:5], s[28:29], 4, v[22:23]
	v_mov_b32_e32 v3, 0
	s_mov_b32 s36, s48
	s_mov_b32 s38, s47
	s_mov_b32 s40, s49
	s_mov_b32 s24, s42
	v_mov_b64_e32 v[36:37], v[8:9]
	v_mov_b64_e32 v[12:13], v[8:9]
	;; [unrolled: 1-line block ×7, first 2 shown]
.LBB370_46:                             ;   Parent Loop BB370_13 Depth=1
                                        ; =>  This Inner Loop Header: Depth=2
	scratch_load_dwordx4 v[54:57], v3, off
	flat_load_dwordx4 v[58:61], v[4:5]
	s_ashr_i32 s41, s40, 31
	s_ashr_i32 s39, s38, 31
	;; [unrolled: 1-line block ×3, first 2 shown]
	s_add_i32 s24, s24, -1
	v_add_u32_e32 v3, 16, v3
	v_lshl_add_u64 v[4:5], v[4:5], 0, 16
	s_waitcnt vmcnt(0) lgkmcnt(0)
	v_mul_f64 v[6:7], v[56:57], v[60:61]
	v_fmac_f64_e32 v[6:7], v[54:55], v[58:59]
	v_mul_f64 v[38:39], v[54:55], v[60:61]
	v_add_f64 v[36:37], v[36:37], v[6:7]
	v_lshl_add_u64 v[6:7], s[40:41], 4, v[22:23]
	v_fma_f64 v[38:39], v[56:57], v[58:59], -v[38:39]
	flat_load_dwordx4 v[58:61], v[6:7]
	v_add_f64 v[8:9], v[8:9], v[38:39]
	s_add_i32 s40, s40, 1
	s_waitcnt vmcnt(0) lgkmcnt(0)
	v_mul_f64 v[6:7], v[56:57], v[60:61]
	v_fmac_f64_e32 v[6:7], v[54:55], v[58:59]
	v_mul_f64 v[38:39], v[54:55], v[60:61]
	v_add_f64 v[10:11], v[10:11], v[6:7]
	v_lshl_add_u64 v[6:7], s[38:39], 4, v[22:23]
	v_fma_f64 v[38:39], v[56:57], v[58:59], -v[38:39]
	flat_load_dwordx4 v[58:61], v[6:7]
	v_add_f64 v[12:13], v[12:13], v[38:39]
	s_add_i32 s38, s38, 1
	;; [unrolled: 10-line block ×3, first 2 shown]
	s_cmp_lg_u32 s24, 0
	s_waitcnt vmcnt(0) lgkmcnt(0)
	v_mul_f64 v[6:7], v[56:57], v[60:61]
	v_mul_f64 v[38:39], v[54:55], v[60:61]
	v_fmac_f64_e32 v[6:7], v[54:55], v[58:59]
	v_fma_f64 v[38:39], v[56:57], v[58:59], -v[38:39]
	v_add_f64 v[18:19], v[18:19], v[6:7]
	v_add_f64 v[20:21], v[20:21], v[38:39]
	s_cbranch_scc1 .LBB370_46
.LBB370_47:                             ;   in Loop: Header=BB370_13 Depth=1
	s_or_b64 exec, exec, s[34:35]
	s_or_b64 exec, exec, s[30:31]
	s_and_saveexec_b64 s[30:31], s[0:1]
	s_cbranch_execnz .LBB370_16
	s_branch .LBB370_17
.LBB370_48:                             ;   in Loop: Header=BB370_13 Depth=1
	ds_read_b128 v[6:9], v49
	s_or_b64 exec, exec, s[30:31]
	s_and_saveexec_b64 s[30:31], s[0:1]
	s_cbranch_execz .LBB370_21
.LBB370_49:                             ;   in Loop: Header=BB370_13 Depth=1
	s_waitcnt lgkmcnt(0)
	ds_bpermute_b32 v4, v47, v6
	ds_bpermute_b32 v5, v47, v7
	;; [unrolled: 1-line block ×4, first 2 shown]
	s_waitcnt lgkmcnt(2)
	v_add_f64 v[4:5], v[6:7], v[4:5]
	ds_bpermute_b32 v6, v48, v4
	s_waitcnt lgkmcnt(1)
	v_add_f64 v[8:9], v[8:9], v[36:37]
	ds_bpermute_b32 v7, v48, v5
	ds_bpermute_b32 v36, v48, v8
	ds_bpermute_b32 v37, v48, v9
	s_waitcnt lgkmcnt(2)
	v_add_f64 v[6:7], v[4:5], v[6:7]
	s_waitcnt lgkmcnt(0)
	v_add_f64 v[8:9], v[8:9], v[36:37]
	s_or_b64 exec, exec, s[30:31]
	s_and_saveexec_b64 s[30:31], s[0:1]
	s_cbranch_execnz .LBB370_22
	s_branch .LBB370_23
.LBB370_50:                             ;   in Loop: Header=BB370_13 Depth=1
	ds_read_b128 v[10:13], v49
	s_or_b64 exec, exec, s[30:31]
	s_and_saveexec_b64 s[30:31], s[0:1]
	s_cbranch_execz .LBB370_27
.LBB370_51:                             ;   in Loop: Header=BB370_13 Depth=1
	s_waitcnt lgkmcnt(0)
	ds_bpermute_b32 v4, v47, v10
	ds_bpermute_b32 v5, v47, v11
	;; [unrolled: 1-line block ×4, first 2 shown]
	s_waitcnt lgkmcnt(2)
	v_add_f64 v[4:5], v[10:11], v[4:5]
	ds_bpermute_b32 v10, v48, v4
	s_waitcnt lgkmcnt(1)
	v_add_f64 v[12:13], v[12:13], v[36:37]
	ds_bpermute_b32 v11, v48, v5
	ds_bpermute_b32 v36, v48, v12
	ds_bpermute_b32 v37, v48, v13
	s_waitcnt lgkmcnt(2)
	v_add_f64 v[10:11], v[4:5], v[10:11]
	s_waitcnt lgkmcnt(0)
	v_add_f64 v[12:13], v[12:13], v[36:37]
	s_or_b64 exec, exec, s[30:31]
	s_and_saveexec_b64 s[30:31], s[0:1]
	s_cbranch_execnz .LBB370_28
	s_branch .LBB370_29
.LBB370_52:                             ;   in Loop: Header=BB370_13 Depth=1
	ds_read_b128 v[14:17], v49
	s_or_b64 exec, exec, s[30:31]
	s_and_saveexec_b64 s[30:31], s[0:1]
	s_cbranch_execz .LBB370_33
.LBB370_53:                             ;   in Loop: Header=BB370_13 Depth=1
	s_waitcnt lgkmcnt(0)
	ds_bpermute_b32 v4, v47, v14
	ds_bpermute_b32 v5, v47, v15
	;; [unrolled: 1-line block ×4, first 2 shown]
	s_waitcnt lgkmcnt(2)
	v_add_f64 v[4:5], v[14:15], v[4:5]
	ds_bpermute_b32 v14, v48, v4
	s_waitcnt lgkmcnt(1)
	v_add_f64 v[16:17], v[16:17], v[36:37]
	ds_bpermute_b32 v15, v48, v5
	ds_bpermute_b32 v36, v48, v16
	;; [unrolled: 1-line block ×3, first 2 shown]
	s_waitcnt lgkmcnt(2)
	v_add_f64 v[14:15], v[4:5], v[14:15]
	s_waitcnt lgkmcnt(0)
	v_add_f64 v[16:17], v[16:17], v[36:37]
	s_or_b64 exec, exec, s[30:31]
	s_and_saveexec_b64 s[30:31], s[0:1]
	s_cbranch_execnz .LBB370_34
	s_branch .LBB370_35
.LBB370_54:                             ;   in Loop: Header=BB370_13 Depth=1
	ds_read_b128 v[18:21], v49
	s_or_b64 exec, exec, s[30:31]
	s_and_saveexec_b64 s[30:31], s[0:1]
	s_cbranch_execz .LBB370_39
.LBB370_55:                             ;   in Loop: Header=BB370_13 Depth=1
	s_waitcnt lgkmcnt(0)
	ds_bpermute_b32 v4, v47, v18
	ds_bpermute_b32 v5, v47, v19
	;; [unrolled: 1-line block ×4, first 2 shown]
	s_waitcnt lgkmcnt(2)
	v_add_f64 v[4:5], v[18:19], v[4:5]
	ds_bpermute_b32 v18, v48, v4
	s_waitcnt lgkmcnt(1)
	v_add_f64 v[20:21], v[20:21], v[36:37]
	ds_bpermute_b32 v19, v48, v5
	ds_bpermute_b32 v36, v48, v20
	;; [unrolled: 1-line block ×3, first 2 shown]
	s_waitcnt lgkmcnt(2)
	v_add_f64 v[18:19], v[4:5], v[18:19]
	s_waitcnt lgkmcnt(0)
	v_add_f64 v[20:21], v[20:21], v[36:37]
	s_or_b64 exec, exec, s[30:31]
	s_and_saveexec_b64 s[30:31], s[12:13]
	s_cbranch_execz .LBB370_12
.LBB370_56:                             ;   in Loop: Header=BB370_13 Depth=1
	s_mul_i32 s24, s43, s22
	s_add_i32 s24, s24, s2
	s_lshl_b64 s[34:35], s[24:25], 4
	v_mul_f64 v[4:5], s[18:19], v[8:9]
	v_mul_f64 v[38:39], s[16:17], v[8:9]
	s_add_u32 s34, s44, s34
	v_fma_f64 v[36:37], s[16:17], v[6:7], -v[4:5]
	v_fmac_f64_e32 v[38:39], s[18:19], v[6:7]
	s_addc_u32 s35, s45, s35
	s_add_i32 s24, s24, s22
	global_store_dwordx4 v2, v[36:39], s[34:35]
	s_lshl_b64 s[34:35], s[24:25], 4
	v_mul_f64 v[4:5], s[18:19], v[12:13]
	v_mul_f64 v[6:7], s[16:17], v[12:13]
	s_add_u32 s34, s44, s34
	v_fma_f64 v[4:5], s[16:17], v[10:11], -v[4:5]
	v_fmac_f64_e32 v[6:7], s[18:19], v[10:11]
	s_addc_u32 s35, s45, s35
	s_add_i32 s24, s24, s22
	global_store_dwordx4 v2, v[4:7], s[34:35]
	s_lshl_b64 s[34:35], s[24:25], 4
	s_add_u32 s34, s44, s34
	v_mul_f64 v[4:5], s[18:19], v[16:17]
	v_mul_f64 v[6:7], s[16:17], v[16:17]
	v_fma_f64 v[4:5], s[16:17], v[14:15], -v[4:5]
	v_fmac_f64_e32 v[6:7], s[18:19], v[14:15]
	s_addc_u32 s35, s45, s35
	s_add_i32 s24, s24, s22
	global_store_dwordx4 v2, v[4:7], s[34:35]
	s_lshl_b64 s[34:35], s[24:25], 4
	s_add_u32 s34, s44, s34
	s_waitcnt lgkmcnt(0)
	v_mul_f64 v[4:5], s[18:19], v[20:21]
	v_mul_f64 v[6:7], s[16:17], v[20:21]
	v_fma_f64 v[4:5], s[16:17], v[18:19], -v[4:5]
	v_fmac_f64_e32 v[6:7], s[18:19], v[18:19]
	s_addc_u32 s35, s45, s35
	global_store_dwordx4 v2, v[4:7], s[34:35]
	s_branch .LBB370_12
.LBB370_57:
	s_mov_b32 s43, 0
.LBB370_58:
	s_cmp_ge_i32 s43, s21
	s_cbranch_scc1 .LBB370_80
; %bb.59:
	v_mbcnt_hi_u32_b32 v2, -1, v40
	v_and_b32_e32 v3, 63, v2
	v_cmp_gt_u32_e64 s[4:5], 32, v3
	v_cmp_gt_u32_e64 s[0:1], 64, v0
	;; [unrolled: 1-line block ×3, first 2 shown]
	v_cndmask_b32_e64 v4, 0, 1, s[4:5]
	v_lshlrev_b32_e32 v4, 5, v4
	v_cmp_gt_u32_e64 s[4:5], 48, v3
	s_waitcnt lgkmcnt(0)
	v_add_lshl_u32 v19, v4, v2, 2
	v_cmp_eq_u32_e64 s[8:9], 0, v0
	v_cndmask_b32_e64 v4, 0, 1, s[4:5]
	v_lshlrev_b32_e32 v4, 4, v4
	v_cmp_gt_u32_e64 s[4:5], 56, v3
	v_add_lshl_u32 v20, v4, v2, 2
	v_add_u32_e32 v0, s33, v24
	v_cndmask_b32_e64 v4, 0, 1, s[4:5]
	v_lshlrev_b32_e32 v4, 3, v4
	v_cmp_gt_u32_e64 s[4:5], 60, v3
	v_add_lshl_u32 v21, v4, v2, 2
	v_lshlrev_b32_e32 v18, 4, v1
	v_cndmask_b32_e64 v4, 0, 1, s[4:5]
	v_lshlrev_b32_e32 v4, 2, v4
	v_cmp_gt_u32_e64 s[4:5], 62, v3
	v_add_lshl_u32 v26, v4, v2, 2
	s_mov_b32 s3, 0
	v_cndmask_b32_e64 v4, 0, 1, s[4:5]
	v_lshlrev_b32_e32 v4, 1, v4
	v_cmp_ne_u32_e64 s[4:5], 63, v3
	v_add_lshl_u32 v27, v4, v2, 2
	s_cmp_gt_i32 s42, 0
	v_addc_co_u32_e64 v2, s[4:5], 0, v2, s[4:5]
	v_cmp_eq_u32_e64 s[4:5], 0, v1
	v_ashrrev_i32_e32 v1, 31, v0
	v_lshl_add_u64 v[8:9], v[0:1], 4, s[14:15]
	v_add_u32_e32 v0, s33, v0
	v_ashrrev_i32_e32 v1, 31, v0
	s_cselect_b64 s[12:13], -1, 0
	s_lshl_b64 s[2:3], s[2:3], 4
	v_lshl_add_u64 v[10:11], v[0:1], 4, s[14:15]
	v_add_u32_e32 v0, s33, v0
	v_cmp_ge_i32_e32 vcc, s20, v41
	v_cmp_ge_i32_e64 s[10:11], s20, v42
	v_lshlrev_b32_e32 v28, 2, v2
	v_and_b32_e32 v29, 48, v25
	s_add_u32 s20, s44, s2
	v_ashrrev_i32_e32 v25, 31, v24
	v_mov_b32_e32 v2, 0
	v_ashrrev_i32_e32 v1, 31, v0
	s_addc_u32 s26, s45, s3
	v_lshl_add_u64 v[6:7], v[24:25], 4, s[14:15]
	v_add_u32_e32 v25, 16, v2
	v_add_u32_e32 v30, 32, v2
	v_lshl_add_u64 v[12:13], v[0:1], 4, s[14:15]
	v_add_u32_e32 v31, 48, v2
	s_and_b64 s[2:3], s[12:13], s[10:11]
	s_mul_i32 s10, s43, s23
	v_mov_b32_e32 v0, 0
	s_branch .LBB370_61
.LBB370_60:                             ;   in Loop: Header=BB370_61 Depth=1
	s_or_b64 exec, exec, s[12:13]
	s_add_i32 s43, s43, 1
	s_add_i32 s10, s10, s23
	s_cmp_lt_i32 s43, s21
	s_cbranch_scc0 .LBB370_80
.LBB370_61:                             ; =>This Loop Header: Depth=1
                                        ;     Child Loop BB370_73 Depth 2
                                        ;     Child Loop BB370_75 Depth 2
                                        ; implicit-def: $vgpr4_vgpr5
                                        ; implicit-def: $vgpr14_vgpr15
	s_and_saveexec_b64 s[12:13], vcc
	s_xor_b64 s[12:13], exec, s[12:13]
	s_cbranch_execnz .LBB370_70
; %bb.62:                               ;   in Loop: Header=BB370_61 Depth=1
	s_andn2_saveexec_b64 s[12:13], s[12:13]
	s_cbranch_execnz .LBB370_71
.LBB370_63:                             ;   in Loop: Header=BB370_61 Depth=1
	s_or_b64 exec, exec, s[12:13]
	s_and_saveexec_b64 s[12:13], s[0:1]
	s_cbranch_execz .LBB370_65
.LBB370_64:                             ;   in Loop: Header=BB370_61 Depth=1
	v_mov_b32_e32 v1, v0
	s_waitcnt lgkmcnt(0)
	v_mov_b32_e32 v2, v0
	v_mov_b32_e32 v3, v0
	ds_write_b128 v18, v[0:3]
.LBB370_65:                             ;   in Loop: Header=BB370_61 Depth=1
	s_or_b64 exec, exec, s[12:13]
	s_waitcnt lgkmcnt(0)
	ds_bpermute_b32 v2, v19, v4
	ds_bpermute_b32 v3, v19, v5
	;; [unrolled: 1-line block ×4, first 2 shown]
	s_waitcnt lgkmcnt(0)
	s_barrier
	v_add_f64 v[2:3], v[4:5], v[2:3]
	v_add_f64 v[4:5], v[14:15], v[16:17]
	ds_bpermute_b32 v14, v20, v2
	ds_bpermute_b32 v15, v20, v3
	;; [unrolled: 1-line block ×4, first 2 shown]
	s_waitcnt lgkmcnt(2)
	v_add_f64 v[2:3], v[2:3], v[14:15]
	ds_bpermute_b32 v14, v21, v2
	s_waitcnt lgkmcnt(1)
	v_add_f64 v[4:5], v[4:5], v[16:17]
	ds_bpermute_b32 v15, v21, v3
	ds_bpermute_b32 v16, v21, v4
	ds_bpermute_b32 v17, v21, v5
	s_waitcnt lgkmcnt(2)
	v_add_f64 v[2:3], v[2:3], v[14:15]
	ds_bpermute_b32 v14, v26, v2
	s_waitcnt lgkmcnt(1)
	v_add_f64 v[4:5], v[4:5], v[16:17]
	ds_bpermute_b32 v15, v26, v3
	ds_bpermute_b32 v16, v26, v4
	ds_bpermute_b32 v17, v26, v5
	s_waitcnt lgkmcnt(2)
	v_add_f64 v[2:3], v[2:3], v[14:15]
	ds_bpermute_b32 v14, v27, v2
	s_waitcnt lgkmcnt(1)
	v_add_f64 v[4:5], v[4:5], v[16:17]
	ds_bpermute_b32 v15, v27, v3
	ds_bpermute_b32 v16, v27, v4
	ds_bpermute_b32 v17, v27, v5
	s_waitcnt lgkmcnt(2)
	v_add_f64 v[2:3], v[2:3], v[14:15]
	s_waitcnt lgkmcnt(0)
	v_add_f64 v[14:15], v[4:5], v[16:17]
	ds_bpermute_b32 v4, v28, v2
	ds_bpermute_b32 v5, v28, v3
	;; [unrolled: 1-line block ×4, first 2 shown]
	s_and_saveexec_b64 s[12:13], s[4:5]
	s_cbranch_execz .LBB370_67
; %bb.66:                               ;   in Loop: Header=BB370_61 Depth=1
	s_waitcnt lgkmcnt(0)
	v_add_f64 v[16:17], v[14:15], v[16:17]
	v_add_f64 v[14:15], v[2:3], v[4:5]
	ds_write_b128 v29, v[14:17]
.LBB370_67:                             ;   in Loop: Header=BB370_61 Depth=1
	s_or_b64 exec, exec, s[12:13]
	s_waitcnt lgkmcnt(2)
	v_mov_b64_e32 v[4:5], 0
	v_mov_b64_e32 v[2:3], v[4:5]
	s_waitcnt lgkmcnt(0)
	s_barrier
	s_and_saveexec_b64 s[12:13], s[6:7]
	s_cbranch_execnz .LBB370_77
; %bb.68:                               ;   in Loop: Header=BB370_61 Depth=1
	s_or_b64 exec, exec, s[12:13]
	s_and_saveexec_b64 s[12:13], s[0:1]
	s_cbranch_execnz .LBB370_78
.LBB370_69:                             ;   in Loop: Header=BB370_61 Depth=1
	s_or_b64 exec, exec, s[12:13]
	s_and_saveexec_b64 s[12:13], s[8:9]
	s_cbranch_execz .LBB370_60
	s_branch .LBB370_79
.LBB370_70:                             ;   in Loop: Header=BB370_61 Depth=1
	s_waitcnt lgkmcnt(0)
	flat_load_dwordx4 v[2:5], v[8:9]
	flat_load_dwordx4 v[14:17], v[10:11]
	;; [unrolled: 1-line block ×4, first 2 shown]
	s_mul_i32 s24, s43, s23
	s_ashr_i32 s25, s24, 31
	v_lshl_add_u64 v[56:57], s[24:25], 4, v[22:23]
	flat_load_dwordx4 v[40:43], v[56:57]
	flat_load_dwordx4 v[44:47], v[56:57] offset:16
	flat_load_dwordx4 v[48:51], v[56:57] offset:32
	;; [unrolled: 1-line block ×3, first 2 shown]
	s_waitcnt vmcnt(0) lgkmcnt(0)
	v_mul_f64 v[56:57], v[42:43], v[38:39]
	scratch_store_dwordx4 v25, v[2:5], off
	scratch_load_dwordx4 v[2:5], off, off offset:16
	v_mul_f64 v[42:43], v[42:43], v[36:37]
	scratch_store_dwordx4 v30, v[14:17], off
	scratch_load_dwordx4 v[14:17], off, off offset:32
	v_fmac_f64_e32 v[56:57], v[40:41], v[36:37]
	scratch_store_dwordx4 v31, v[32:35], off
	scratch_load_dwordx4 v[32:35], off, off offset:48
	s_nop 0
	scratch_store_dwordx4 off, v[36:39], off
	s_nop 1
	v_fma_f64 v[36:37], v[40:41], v[38:39], -v[42:43]
	v_add_f64 v[38:39], v[56:57], 0
	v_add_f64 v[36:37], v[36:37], 0
	s_waitcnt vmcnt(5)
	v_mul_f64 v[40:41], v[46:47], v[4:5]
	v_mul_f64 v[42:43], v[46:47], v[2:3]
	v_fmac_f64_e32 v[40:41], v[44:45], v[2:3]
	s_waitcnt vmcnt(3)
	v_mul_f64 v[46:47], v[50:51], v[16:17]
	v_mul_f64 v[50:51], v[50:51], v[14:15]
	v_fma_f64 v[2:3], v[44:45], v[4:5], -v[42:43]
	s_waitcnt vmcnt(1)
	v_mul_f64 v[56:57], v[54:55], v[34:35]
	v_mul_f64 v[54:55], v[54:55], v[32:33]
	v_fmac_f64_e32 v[46:47], v[48:49], v[14:15]
	v_fma_f64 v[4:5], v[48:49], v[16:17], -v[50:51]
	v_add_f64 v[16:17], v[38:39], v[40:41]
	v_add_f64 v[2:3], v[36:37], v[2:3]
	v_fmac_f64_e32 v[56:57], v[52:53], v[32:33]
	v_fma_f64 v[14:15], v[52:53], v[34:35], -v[54:55]
	v_add_f64 v[16:17], v[16:17], v[46:47]
	v_add_f64 v[2:3], v[2:3], v[4:5]
	;; [unrolled: 1-line block ×4, first 2 shown]
	s_andn2_saveexec_b64 s[12:13], s[12:13]
	s_cbranch_execz .LBB370_63
.LBB370_71:                             ;   in Loop: Header=BB370_61 Depth=1
	s_waitcnt lgkmcnt(0)
	v_mov_b64_e32 v[4:5], 0
	v_mov_b64_e32 v[14:15], v[4:5]
	s_and_saveexec_b64 s[24:25], s[2:3]
	s_cbranch_execz .LBB370_76
; %bb.72:                               ;   in Loop: Header=BB370_61 Depth=1
	v_mov_b32_e32 v1, 0
	v_mov_b32_e32 v2, v24
	s_mov_b32 s11, s42
.LBB370_73:                             ;   Parent Loop BB370_61 Depth=1
                                        ; =>  This Inner Loop Header: Depth=2
	v_ashrrev_i32_e32 v3, 31, v2
	v_lshl_add_u64 v[4:5], v[2:3], 4, s[14:15]
	flat_load_dwordx4 v[14:17], v[4:5]
	s_add_i32 s11, s11, -1
	v_add_u32_e32 v2, s33, v2
	s_cmp_eq_u32 s11, 0
	s_waitcnt vmcnt(0) lgkmcnt(0)
	scratch_store_dwordx4 v1, v[14:17], off
	v_add_u32_e32 v1, 16, v1
	s_cbranch_scc0 .LBB370_73
; %bb.74:                               ;   in Loop: Header=BB370_61 Depth=1
	s_ashr_i32 s11, s10, 31
	v_mov_b64_e32 v[4:5], 0
	v_lshl_add_u64 v[2:3], s[10:11], 4, v[22:23]
	v_mov_b32_e32 v1, 0
	s_mov_b32 s11, s42
	v_mov_b64_e32 v[14:15], v[4:5]
.LBB370_75:                             ;   Parent Loop BB370_61 Depth=1
                                        ; =>  This Inner Loop Header: Depth=2
	flat_load_dwordx4 v[32:35], v[2:3]
	scratch_load_dwordx4 v[36:39], v1, off
	s_add_i32 s11, s11, -1
	v_add_u32_e32 v1, 16, v1
	v_lshl_add_u64 v[2:3], v[2:3], 0, 16
	s_cmp_lg_u32 s11, 0
	s_waitcnt vmcnt(0) lgkmcnt(0)
	v_mul_f64 v[16:17], v[34:35], v[38:39]
	v_mul_f64 v[34:35], v[34:35], v[36:37]
	v_fmac_f64_e32 v[16:17], v[32:33], v[36:37]
	v_fma_f64 v[32:33], v[32:33], v[38:39], -v[34:35]
	v_add_f64 v[4:5], v[4:5], v[16:17]
	v_add_f64 v[14:15], v[14:15], v[32:33]
	s_cbranch_scc1 .LBB370_75
.LBB370_76:                             ;   in Loop: Header=BB370_61 Depth=1
	s_or_b64 exec, exec, s[24:25]
	s_or_b64 exec, exec, s[12:13]
	s_and_saveexec_b64 s[12:13], s[0:1]
	s_cbranch_execnz .LBB370_64
	s_branch .LBB370_65
.LBB370_77:                             ;   in Loop: Header=BB370_61 Depth=1
	ds_read_b128 v[2:5], v18
	s_or_b64 exec, exec, s[12:13]
	s_and_saveexec_b64 s[12:13], s[0:1]
	s_cbranch_execz .LBB370_69
.LBB370_78:                             ;   in Loop: Header=BB370_61 Depth=1
	s_waitcnt lgkmcnt(0)
	ds_bpermute_b32 v14, v27, v2
	ds_bpermute_b32 v15, v27, v3
	;; [unrolled: 1-line block ×4, first 2 shown]
	s_waitcnt lgkmcnt(2)
	v_add_f64 v[2:3], v[2:3], v[14:15]
	ds_bpermute_b32 v14, v28, v2
	s_waitcnt lgkmcnt(1)
	v_add_f64 v[4:5], v[4:5], v[16:17]
	ds_bpermute_b32 v15, v28, v3
	ds_bpermute_b32 v16, v28, v4
	;; [unrolled: 1-line block ×3, first 2 shown]
	s_waitcnt lgkmcnt(2)
	v_add_f64 v[2:3], v[2:3], v[14:15]
	s_waitcnt lgkmcnt(0)
	v_add_f64 v[4:5], v[4:5], v[16:17]
	s_or_b64 exec, exec, s[12:13]
	s_and_saveexec_b64 s[12:13], s[8:9]
	s_cbranch_execz .LBB370_60
.LBB370_79:                             ;   in Loop: Header=BB370_61 Depth=1
	s_mul_hi_u32 s25, s43, s22
	s_mul_i32 s24, s43, s22
	s_lshl_b64 s[24:25], s[24:25], 4
	s_waitcnt lgkmcnt(0)
	v_mul_f64 v[14:15], s[18:19], v[4:5]
	v_mul_f64 v[16:17], s[16:17], v[4:5]
	s_add_u32 s24, s20, s24
	v_fma_f64 v[14:15], s[16:17], v[2:3], -v[14:15]
	v_fmac_f64_e32 v[16:17], s[18:19], v[2:3]
	s_addc_u32 s25, s26, s25
	global_store_dwordx4 v0, v[14:17], s[24:25]
	s_branch .LBB370_60
.LBB370_80:
	s_endpgm
	.section	.rodata,"a",@progbits
	.p2align	6, 0x0
	.amdhsa_kernel _ZL23rocblas_gemvt_sn_kernelILb1ELi256ELi4EiPK19rocblas_complex_numIdES3_S1_EviiT4_lPKT3_lilS7_lilPT5_i
		.amdhsa_group_segment_fixed_size 1024
		.amdhsa_private_segment_fixed_size 80
		.amdhsa_kernarg_size 360
		.amdhsa_user_sgpr_count 2
		.amdhsa_user_sgpr_dispatch_ptr 0
		.amdhsa_user_sgpr_queue_ptr 0
		.amdhsa_user_sgpr_kernarg_segment_ptr 1
		.amdhsa_user_sgpr_dispatch_id 0
		.amdhsa_user_sgpr_kernarg_preload_length 0
		.amdhsa_user_sgpr_kernarg_preload_offset 0
		.amdhsa_user_sgpr_private_segment_size 0
		.amdhsa_uses_dynamic_stack 0
		.amdhsa_enable_private_segment 1
		.amdhsa_system_sgpr_workgroup_id_x 1
		.amdhsa_system_sgpr_workgroup_id_y 0
		.amdhsa_system_sgpr_workgroup_id_z 1
		.amdhsa_system_sgpr_workgroup_info 0
		.amdhsa_system_vgpr_workitem_id 0
		.amdhsa_next_free_vgpr 70
		.amdhsa_next_free_sgpr 50
		.amdhsa_accum_offset 72
		.amdhsa_reserve_vcc 1
		.amdhsa_float_round_mode_32 0
		.amdhsa_float_round_mode_16_64 0
		.amdhsa_float_denorm_mode_32 3
		.amdhsa_float_denorm_mode_16_64 3
		.amdhsa_dx10_clamp 1
		.amdhsa_ieee_mode 1
		.amdhsa_fp16_overflow 0
		.amdhsa_tg_split 0
		.amdhsa_exception_fp_ieee_invalid_op 0
		.amdhsa_exception_fp_denorm_src 0
		.amdhsa_exception_fp_ieee_div_zero 0
		.amdhsa_exception_fp_ieee_overflow 0
		.amdhsa_exception_fp_ieee_underflow 0
		.amdhsa_exception_fp_ieee_inexact 0
		.amdhsa_exception_int_div_zero 0
	.end_amdhsa_kernel
	.section	.text._ZL23rocblas_gemvt_sn_kernelILb1ELi256ELi4EiPK19rocblas_complex_numIdES3_S1_EviiT4_lPKT3_lilS7_lilPT5_i,"axG",@progbits,_ZL23rocblas_gemvt_sn_kernelILb1ELi256ELi4EiPK19rocblas_complex_numIdES3_S1_EviiT4_lPKT3_lilS7_lilPT5_i,comdat
.Lfunc_end370:
	.size	_ZL23rocblas_gemvt_sn_kernelILb1ELi256ELi4EiPK19rocblas_complex_numIdES3_S1_EviiT4_lPKT3_lilS7_lilPT5_i, .Lfunc_end370-_ZL23rocblas_gemvt_sn_kernelILb1ELi256ELi4EiPK19rocblas_complex_numIdES3_S1_EviiT4_lPKT3_lilS7_lilPT5_i
                                        ; -- End function
	.section	.AMDGPU.csdata,"",@progbits
; Kernel info:
; codeLenInByte = 6704
; NumSgprs: 56
; NumVgprs: 70
; NumAgprs: 0
; TotalNumVgprs: 70
; ScratchSize: 80
; MemoryBound: 0
; FloatMode: 240
; IeeeMode: 1
; LDSByteSize: 1024 bytes/workgroup (compile time only)
; SGPRBlocks: 6
; VGPRBlocks: 8
; NumSGPRsForWavesPerEU: 56
; NumVGPRsForWavesPerEU: 70
; AccumOffset: 72
; Occupancy: 7
; WaveLimiterHint : 0
; COMPUTE_PGM_RSRC2:SCRATCH_EN: 1
; COMPUTE_PGM_RSRC2:USER_SGPR: 2
; COMPUTE_PGM_RSRC2:TRAP_HANDLER: 0
; COMPUTE_PGM_RSRC2:TGID_X_EN: 1
; COMPUTE_PGM_RSRC2:TGID_Y_EN: 0
; COMPUTE_PGM_RSRC2:TGID_Z_EN: 1
; COMPUTE_PGM_RSRC2:TIDIG_COMP_CNT: 0
; COMPUTE_PGM_RSRC3_GFX90A:ACCUM_OFFSET: 17
; COMPUTE_PGM_RSRC3_GFX90A:TG_SPLIT: 0
	.section	.text._ZL23rocblas_gemvt_sn_kernelILb1ELi256ELi4ElPK19rocblas_complex_numIdES3_S1_EviiT4_lPKT3_lilS7_lilPT5_i,"axG",@progbits,_ZL23rocblas_gemvt_sn_kernelILb1ELi256ELi4ElPK19rocblas_complex_numIdES3_S1_EviiT4_lPKT3_lilS7_lilPT5_i,comdat
	.globl	_ZL23rocblas_gemvt_sn_kernelILb1ELi256ELi4ElPK19rocblas_complex_numIdES3_S1_EviiT4_lPKT3_lilS7_lilPT5_i ; -- Begin function _ZL23rocblas_gemvt_sn_kernelILb1ELi256ELi4ElPK19rocblas_complex_numIdES3_S1_EviiT4_lPKT3_lilS7_lilPT5_i
	.p2align	8
	.type	_ZL23rocblas_gemvt_sn_kernelILb1ELi256ELi4ElPK19rocblas_complex_numIdES3_S1_EviiT4_lPKT3_lilS7_lilPT5_i,@function
_ZL23rocblas_gemvt_sn_kernelILb1ELi256ELi4ElPK19rocblas_complex_numIdES3_S1_EviiT4_lPKT3_lilS7_lilPT5_i: ; @_ZL23rocblas_gemvt_sn_kernelILb1ELi256ELi4ElPK19rocblas_complex_numIdES3_S1_EviiT4_lPKT3_lilS7_lilPT5_i
; %bb.0:
	s_load_dwordx8 s[4:11], s[0:1], 0x8
	s_mov_b32 s12, s3
	s_mov_b32 s13, 0
	s_mov_b64 s[26:27], 0
	s_mov_b64 s[24:25], 0
	s_waitcnt lgkmcnt(0)
	s_mul_i32 s3, s3, s7
	s_mul_hi_u32 s7, s12, s6
	s_add_i32 s7, s7, s3
	s_mul_i32 s6, s12, s6
	s_lshl_b64 s[6:7], s[6:7], 4
	s_add_u32 s4, s4, s6
	s_addc_u32 s5, s5, s7
	s_load_dwordx4 s[16:19], s[4:5], 0x0
	s_waitcnt lgkmcnt(0)
	v_cmp_neq_f64_e64 s[4:5], s[16:17], 0
	v_cmp_neq_f64_e64 s[6:7], s[18:19], 0
	s_or_b64 s[6:7], s[4:5], s[6:7]
	s_xor_b64 s[4:5], s[6:7], -1
	s_and_b64 vcc, exec, s[4:5]
	s_cbranch_vccnz .LBB371_2
; %bb.1:
	s_lshl_b64 s[14:15], s[12:13], 3
	s_add_u32 s8, s8, s14
	s_addc_u32 s9, s9, s15
	s_load_dwordx2 s[8:9], s[8:9], 0x0
	s_lshl_b64 s[10:11], s[10:11], 4
	s_waitcnt lgkmcnt(0)
	s_add_u32 s24, s8, s10
	s_addc_u32 s25, s9, s11
.LBB371_2:
	s_andn2_b64 vcc, exec, s[6:7]
	s_cbranch_vccnz .LBB371_4
; %bb.3:
	s_load_dwordx4 s[8:11], s[0:1], 0x38
	s_lshl_b64 s[6:7], s[12:13], 3
	s_waitcnt lgkmcnt(0)
	s_add_u32 s6, s8, s6
	s_addc_u32 s7, s9, s7
	s_load_dwordx2 s[6:7], s[6:7], 0x0
	s_lshl_b64 s[8:9], s[10:11], 4
	s_waitcnt lgkmcnt(0)
	s_add_u32 s26, s6, s8
	s_addc_u32 s27, s7, s9
.LBB371_4:
	s_load_dwordx2 s[14:15], s[0:1], 0x0
	s_load_dwordx2 s[6:7], s[0:1], 0x58
	s_load_dword s20, s[0:1], 0x68
	s_mov_b32 s21, 0
	s_mov_b64 s[10:11], -1
	s_waitcnt lgkmcnt(0)
	s_ashr_i32 s30, s15, 31
	s_mul_hi_u32 s3, s15, s12
	s_mul_i32 s8, s30, s12
	s_add_i32 s3, s3, s8
	s_mul_i32 s8, s15, s12
	s_mul_i32 s3, s3, s20
	s_mul_hi_u32 s9, s8, s20
	s_add_i32 s9, s9, s3
	s_mul_i32 s8, s8, s20
	s_andn2_b64 vcc, exec, s[4:5]
	v_cmp_eq_u32_e64 s[4:5], 0, v0
	s_cbranch_vccnz .LBB371_9
; %bb.5:
	s_cmp_gt_i32 s15, 0
	s_cselect_b64 s[10:11], -1, 0
	s_and_b64 s[10:11], s[4:5], s[10:11]
	s_and_saveexec_b64 s[4:5], s[10:11]
	s_cbranch_execz .LBB371_8
; %bb.6:
	s_mov_b32 s3, 0
	s_lshl_b64 s[10:11], s[8:9], 4
	s_lshl_b64 s[12:13], s[2:3], 4
	s_add_u32 s3, s10, s12
	s_addc_u32 s10, s11, s13
	s_add_u32 s3, s3, s6
	s_addc_u32 s11, s10, s7
	s_add_u32 s10, s3, 8
	v_mov_b32_e32 v2, 0
	s_addc_u32 s11, s11, 0
	s_lshl_b64 s[12:13], s[20:21], 4
	v_mov_b32_e32 v3, v2
	v_mov_b32_e32 v4, v2
	;; [unrolled: 1-line block ×3, first 2 shown]
	s_mov_b32 s3, s15
.LBB371_7:                              ; =>This Inner Loop Header: Depth=1
	s_add_i32 s3, s3, -1
	global_store_dwordx4 v2, v[2:5], s[10:11] offset:-8
	s_add_u32 s10, s10, s12
	s_addc_u32 s11, s11, s13
	s_cmp_eq_u32 s3, 0
	s_cbranch_scc0 .LBB371_7
.LBB371_8:
	s_or_b64 exec, exec, s[4:5]
	s_mov_b64 s[10:11], 0
.LBB371_9:
	s_andn2_b64 vcc, exec, s[10:11]
	s_cbranch_vccnz .LBB371_80
; %bb.10:
	s_load_dword s22, s[0:1], 0x28
	s_load_dword s28, s[0:1], 0x48
	s_lshl_b64 s[0:1], s[8:9], 4
	v_and_b32_e32 v42, 63, v0
	v_mbcnt_lo_u32_b32 v44, -1, 0
	s_waitcnt lgkmcnt(0)
	s_ashr_i32 s23, s22, 31
	s_ashr_i32 s29, s28, 31
	s_add_u32 s33, s6, s0
	s_addc_u32 s44, s7, s1
	s_lshl_b32 s0, s2, 10
	v_lshl_or_b32 v24, v0, 2, s0
	s_lshr_b32 s0, s30, 30
	s_add_i32 s0, s15, s0
	s_and_b32 s45, s0, -4
	s_ashr_i32 s0, s14, 31
	s_lshr_b32 s0, s0, 30
	s_add_i32 s0, s14, s0
	s_and_b32 s0, s0, -4
	v_ashrrev_i32_e32 v25, 31, v24
	s_sub_i32 s21, s14, s0
	v_lshl_add_u64 v[22:23], v[24:25], 4, s[24:25]
	s_cmp_lt_i32 s45, 1
	v_add_u32_e32 v45, 4, v24
	v_add_u32_e32 v46, s21, v24
	v_cmp_gt_u32_e64 s[0:1], 64, v0
	v_cmp_gt_u32_e64 s[4:5], 4, v0
	v_lshrrev_b32_e32 v43, 2, v0
	v_or_b32_e32 v41, 1, v24
	v_or_b32_e32 v40, 2, v24
	v_or_b32_e32 v1, 3, v24
	s_cbranch_scc1 .LBB371_57
; %bb.11:
	v_mbcnt_hi_u32_b32 v2, -1, v44
	v_and_b32_e32 v3, 63, v2
	v_cmp_gt_u32_e32 vcc, 32, v3
	s_mov_b32 s3, 0
	s_cmp_gt_i32 s21, 0
	v_cndmask_b32_e64 v4, 0, 1, vcc
	v_lshlrev_b32_e32 v4, 5, v4
	v_cmp_gt_u32_e32 vcc, 48, v3
	v_add_lshl_u32 v47, v4, v2, 2
	s_cselect_b64 s[30:31], -1, 0
	v_cndmask_b32_e64 v4, 0, 1, vcc
	v_lshlrev_b32_e32 v4, 4, v4
	v_cmp_gt_u32_e32 vcc, 56, v3
	v_add_lshl_u32 v48, v4, v2, 2
	s_lshl_b64 s[34:35], s[2:3], 4
	v_cndmask_b32_e64 v4, 0, 1, vcc
	v_lshlrev_b32_e32 v4, 3, v4
	v_cmp_gt_u32_e32 vcc, 60, v3
	v_add_lshl_u32 v49, v4, v2, 2
	s_add_u32 s46, s33, s34
	v_cndmask_b32_e64 v4, 0, 1, vcc
	v_lshlrev_b32_e32 v4, 2, v4
	v_cmp_gt_u32_e32 vcc, 62, v3
	v_add_lshl_u32 v50, v4, v2, 2
	s_addc_u32 s47, s44, s35
	v_cndmask_b32_e64 v4, 0, 1, vcc
	v_lshlrev_b32_e32 v4, 1, v4
	v_cmp_ne_u32_e32 vcc, 63, v3
	v_add_lshl_u32 v51, v4, v2, 2
	v_mov_b32_e32 v4, 0
	v_addc_co_u32_e32 v2, vcc, 0, v2, vcc
	v_lshlrev_b32_e32 v52, 2, v2
	v_mad_i64_i32 v[2:3], s[34:35], s28, v24, 0
	v_lshl_add_u64 v[26:27], v[2:3], 4, s[26:27]
	v_mad_i64_i32 v[2:3], s[34:35], s28, v41, 0
	v_lshl_add_u64 v[28:29], v[2:3], 4, s[26:27]
	;; [unrolled: 2-line block ×3, first 2 shown]
	v_mad_i64_i32 v[2:3], s[34:35], s28, v1, 0
	v_cmp_ge_i32_e64 s[6:7], s14, v45
	v_cmp_ge_i32_e64 s[8:9], s14, v46
	v_cmp_eq_u32_e64 s[10:11], 0, v42
	v_lshlrev_b32_e32 v53, 4, v42
	v_and_b32_e32 v54, 48, v43
	v_cmp_eq_u32_e64 s[12:13], 0, v0
	v_add_u32_e32 v55, 16, v4
	v_add_u32_e32 v56, 32, v4
	v_lshl_add_u64 v[32:33], v[2:3], 4, s[26:27]
	v_add_u32_e32 v57, 48, v4
	s_lshl_b64 s[34:35], s[28:29], 4
	s_lshl_b64 s[36:37], s[22:23], 6
	;; [unrolled: 1-line block ×3, first 2 shown]
	v_mov_b32_e32 v2, 0
	v_mov_b64_e32 v[34:35], v[22:23]
	s_branch .LBB371_13
.LBB371_12:                             ;   in Loop: Header=BB371_13 Depth=1
	s_or_b64 exec, exec, s[40:41]
	s_add_i32 s3, s3, 4
	s_cmp_ge_i32 s3, s45
	v_lshl_add_u64 v[34:35], v[34:35], 0, s[36:37]
	s_cbranch_scc1 .LBB371_58
.LBB371_13:                             ; =>This Loop Header: Depth=1
                                        ;     Child Loop BB371_44 Depth 2
                                        ;     Child Loop BB371_46 Depth 2
                                        ; implicit-def: $vgpr18_vgpr19
                                        ; implicit-def: $vgpr20_vgpr21
                                        ; implicit-def: $vgpr14_vgpr15
                                        ; implicit-def: $vgpr16_vgpr17
                                        ; implicit-def: $vgpr10_vgpr11
                                        ; implicit-def: $vgpr12_vgpr13
                                        ; implicit-def: $vgpr36_vgpr37
                                        ; implicit-def: $vgpr8_vgpr9
	s_and_saveexec_b64 s[40:41], s[6:7]
	s_xor_b64 s[40:41], exec, s[40:41]
	s_cbranch_execnz .LBB371_40
; %bb.14:                               ;   in Loop: Header=BB371_13 Depth=1
	s_andn2_saveexec_b64 s[40:41], s[40:41]
	s_cbranch_execnz .LBB371_41
.LBB371_15:                             ;   in Loop: Header=BB371_13 Depth=1
	s_or_b64 exec, exec, s[40:41]
	s_and_saveexec_b64 s[40:41], s[0:1]
	s_cbranch_execz .LBB371_17
.LBB371_16:                             ;   in Loop: Header=BB371_13 Depth=1
	v_mov_b32_e32 v3, v2
	v_mov_b32_e32 v4, v2
	v_mov_b32_e32 v5, v2
	ds_write_b128 v53, v[2:5]
.LBB371_17:                             ;   in Loop: Header=BB371_13 Depth=1
	s_or_b64 exec, exec, s[40:41]
	ds_bpermute_b32 v4, v47, v36
	ds_bpermute_b32 v5, v47, v37
	ds_bpermute_b32 v6, v47, v8
	ds_bpermute_b32 v7, v47, v9
	s_waitcnt lgkmcnt(0)
	s_barrier
	v_add_f64 v[4:5], v[36:37], v[4:5]
	v_add_f64 v[6:7], v[8:9], v[6:7]
	ds_bpermute_b32 v8, v48, v4
	ds_bpermute_b32 v9, v48, v5
	;; [unrolled: 1-line block ×4, first 2 shown]
	s_waitcnt lgkmcnt(2)
	v_add_f64 v[4:5], v[4:5], v[8:9]
	ds_bpermute_b32 v8, v49, v4
	s_waitcnt lgkmcnt(1)
	v_add_f64 v[6:7], v[6:7], v[36:37]
	ds_bpermute_b32 v9, v49, v5
	ds_bpermute_b32 v36, v49, v6
	ds_bpermute_b32 v37, v49, v7
	s_waitcnt lgkmcnt(2)
	v_add_f64 v[4:5], v[4:5], v[8:9]
	ds_bpermute_b32 v8, v50, v4
	s_waitcnt lgkmcnt(1)
	v_add_f64 v[6:7], v[6:7], v[36:37]
	ds_bpermute_b32 v9, v50, v5
	ds_bpermute_b32 v36, v50, v6
	ds_bpermute_b32 v37, v50, v7
	;; [unrolled: 8-line block ×3, first 2 shown]
	s_waitcnt lgkmcnt(2)
	v_add_f64 v[4:5], v[4:5], v[8:9]
	s_waitcnt lgkmcnt(0)
	v_add_f64 v[8:9], v[6:7], v[36:37]
	ds_bpermute_b32 v6, v52, v4
	ds_bpermute_b32 v7, v52, v5
	;; [unrolled: 1-line block ×4, first 2 shown]
	s_and_saveexec_b64 s[40:41], s[10:11]
	s_cbranch_execz .LBB371_19
; %bb.18:                               ;   in Loop: Header=BB371_13 Depth=1
	s_waitcnt lgkmcnt(0)
	v_add_f64 v[8:9], v[8:9], v[36:37]
	v_add_f64 v[6:7], v[4:5], v[6:7]
	ds_write_b128 v54, v[6:9]
.LBB371_19:                             ;   in Loop: Header=BB371_13 Depth=1
	s_or_b64 exec, exec, s[40:41]
	v_mov_b64_e32 v[8:9], 0
	s_waitcnt lgkmcnt(2)
	v_mov_b64_e32 v[6:7], v[8:9]
	s_waitcnt lgkmcnt(0)
	s_barrier
	s_and_saveexec_b64 s[40:41], s[4:5]
	s_cbranch_execnz .LBB371_48
; %bb.20:                               ;   in Loop: Header=BB371_13 Depth=1
	s_or_b64 exec, exec, s[40:41]
	s_and_saveexec_b64 s[40:41], s[0:1]
	s_cbranch_execnz .LBB371_49
.LBB371_21:                             ;   in Loop: Header=BB371_13 Depth=1
	s_or_b64 exec, exec, s[40:41]
	s_and_saveexec_b64 s[40:41], s[0:1]
	s_cbranch_execz .LBB371_23
.LBB371_22:                             ;   in Loop: Header=BB371_13 Depth=1
	v_mov_b32_e32 v3, v2
	v_mov_b32_e32 v4, v2
	;; [unrolled: 1-line block ×3, first 2 shown]
	ds_write_b128 v53, v[2:5]
.LBB371_23:                             ;   in Loop: Header=BB371_13 Depth=1
	s_or_b64 exec, exec, s[40:41]
	ds_bpermute_b32 v4, v47, v10
	ds_bpermute_b32 v5, v47, v11
	;; [unrolled: 1-line block ×4, first 2 shown]
	s_waitcnt lgkmcnt(0)
	s_barrier
	v_add_f64 v[4:5], v[10:11], v[4:5]
	v_add_f64 v[10:11], v[12:13], v[36:37]
	ds_bpermute_b32 v12, v48, v4
	ds_bpermute_b32 v13, v48, v5
	;; [unrolled: 1-line block ×4, first 2 shown]
	s_waitcnt lgkmcnt(2)
	v_add_f64 v[4:5], v[4:5], v[12:13]
	ds_bpermute_b32 v12, v49, v4
	s_waitcnt lgkmcnt(1)
	v_add_f64 v[10:11], v[10:11], v[36:37]
	ds_bpermute_b32 v13, v49, v5
	ds_bpermute_b32 v36, v49, v10
	ds_bpermute_b32 v37, v49, v11
	s_waitcnt lgkmcnt(2)
	v_add_f64 v[4:5], v[4:5], v[12:13]
	ds_bpermute_b32 v12, v50, v4
	s_waitcnt lgkmcnt(1)
	v_add_f64 v[10:11], v[10:11], v[36:37]
	ds_bpermute_b32 v13, v50, v5
	ds_bpermute_b32 v36, v50, v10
	ds_bpermute_b32 v37, v50, v11
	;; [unrolled: 8-line block ×3, first 2 shown]
	s_waitcnt lgkmcnt(2)
	v_add_f64 v[4:5], v[4:5], v[12:13]
	s_waitcnt lgkmcnt(0)
	v_add_f64 v[12:13], v[10:11], v[36:37]
	ds_bpermute_b32 v10, v52, v4
	ds_bpermute_b32 v11, v52, v5
	ds_bpermute_b32 v36, v52, v12
	ds_bpermute_b32 v37, v52, v13
	s_and_saveexec_b64 s[40:41], s[10:11]
	s_cbranch_execz .LBB371_25
; %bb.24:                               ;   in Loop: Header=BB371_13 Depth=1
	s_waitcnt lgkmcnt(0)
	v_add_f64 v[12:13], v[12:13], v[36:37]
	v_add_f64 v[10:11], v[4:5], v[10:11]
	ds_write_b128 v54, v[10:13]
.LBB371_25:                             ;   in Loop: Header=BB371_13 Depth=1
	s_or_b64 exec, exec, s[40:41]
	v_mov_b64_e32 v[12:13], 0
	s_waitcnt lgkmcnt(2)
	v_mov_b64_e32 v[10:11], v[12:13]
	s_waitcnt lgkmcnt(0)
	s_barrier
	s_and_saveexec_b64 s[40:41], s[4:5]
	s_cbranch_execnz .LBB371_50
; %bb.26:                               ;   in Loop: Header=BB371_13 Depth=1
	s_or_b64 exec, exec, s[40:41]
	s_and_saveexec_b64 s[40:41], s[0:1]
	s_cbranch_execnz .LBB371_51
.LBB371_27:                             ;   in Loop: Header=BB371_13 Depth=1
	s_or_b64 exec, exec, s[40:41]
	s_and_saveexec_b64 s[40:41], s[0:1]
	s_cbranch_execz .LBB371_29
.LBB371_28:                             ;   in Loop: Header=BB371_13 Depth=1
	v_mov_b32_e32 v3, v2
	v_mov_b32_e32 v4, v2
	;; [unrolled: 1-line block ×3, first 2 shown]
	ds_write_b128 v53, v[2:5]
.LBB371_29:                             ;   in Loop: Header=BB371_13 Depth=1
	s_or_b64 exec, exec, s[40:41]
	ds_bpermute_b32 v4, v47, v14
	ds_bpermute_b32 v5, v47, v15
	;; [unrolled: 1-line block ×4, first 2 shown]
	s_waitcnt lgkmcnt(0)
	s_barrier
	v_add_f64 v[4:5], v[14:15], v[4:5]
	v_add_f64 v[14:15], v[16:17], v[36:37]
	ds_bpermute_b32 v16, v48, v4
	ds_bpermute_b32 v17, v48, v5
	;; [unrolled: 1-line block ×4, first 2 shown]
	s_waitcnt lgkmcnt(2)
	v_add_f64 v[4:5], v[4:5], v[16:17]
	ds_bpermute_b32 v16, v49, v4
	s_waitcnt lgkmcnt(1)
	v_add_f64 v[14:15], v[14:15], v[36:37]
	ds_bpermute_b32 v17, v49, v5
	ds_bpermute_b32 v36, v49, v14
	ds_bpermute_b32 v37, v49, v15
	s_waitcnt lgkmcnt(2)
	v_add_f64 v[4:5], v[4:5], v[16:17]
	ds_bpermute_b32 v16, v50, v4
	s_waitcnt lgkmcnt(1)
	v_add_f64 v[14:15], v[14:15], v[36:37]
	ds_bpermute_b32 v17, v50, v5
	ds_bpermute_b32 v36, v50, v14
	ds_bpermute_b32 v37, v50, v15
	;; [unrolled: 8-line block ×3, first 2 shown]
	s_waitcnt lgkmcnt(2)
	v_add_f64 v[4:5], v[4:5], v[16:17]
	s_waitcnt lgkmcnt(0)
	v_add_f64 v[16:17], v[14:15], v[36:37]
	ds_bpermute_b32 v14, v52, v4
	ds_bpermute_b32 v15, v52, v5
	;; [unrolled: 1-line block ×4, first 2 shown]
	s_and_saveexec_b64 s[40:41], s[10:11]
	s_cbranch_execz .LBB371_31
; %bb.30:                               ;   in Loop: Header=BB371_13 Depth=1
	s_waitcnt lgkmcnt(0)
	v_add_f64 v[16:17], v[16:17], v[36:37]
	v_add_f64 v[14:15], v[4:5], v[14:15]
	ds_write_b128 v54, v[14:17]
.LBB371_31:                             ;   in Loop: Header=BB371_13 Depth=1
	s_or_b64 exec, exec, s[40:41]
	v_mov_b64_e32 v[16:17], 0
	s_waitcnt lgkmcnt(2)
	v_mov_b64_e32 v[14:15], v[16:17]
	s_waitcnt lgkmcnt(0)
	s_barrier
	s_and_saveexec_b64 s[40:41], s[4:5]
	s_cbranch_execnz .LBB371_52
; %bb.32:                               ;   in Loop: Header=BB371_13 Depth=1
	s_or_b64 exec, exec, s[40:41]
	s_and_saveexec_b64 s[40:41], s[0:1]
	s_cbranch_execnz .LBB371_53
.LBB371_33:                             ;   in Loop: Header=BB371_13 Depth=1
	s_or_b64 exec, exec, s[40:41]
	s_and_saveexec_b64 s[40:41], s[0:1]
	s_cbranch_execz .LBB371_35
.LBB371_34:                             ;   in Loop: Header=BB371_13 Depth=1
	v_mov_b32_e32 v3, v2
	v_mov_b32_e32 v4, v2
	;; [unrolled: 1-line block ×3, first 2 shown]
	ds_write_b128 v53, v[2:5]
.LBB371_35:                             ;   in Loop: Header=BB371_13 Depth=1
	s_or_b64 exec, exec, s[40:41]
	ds_bpermute_b32 v4, v47, v18
	ds_bpermute_b32 v5, v47, v19
	;; [unrolled: 1-line block ×4, first 2 shown]
	s_waitcnt lgkmcnt(0)
	s_barrier
	v_add_f64 v[4:5], v[18:19], v[4:5]
	v_add_f64 v[18:19], v[20:21], v[36:37]
	ds_bpermute_b32 v20, v48, v4
	ds_bpermute_b32 v21, v48, v5
	;; [unrolled: 1-line block ×4, first 2 shown]
	s_waitcnt lgkmcnt(2)
	v_add_f64 v[4:5], v[4:5], v[20:21]
	ds_bpermute_b32 v20, v49, v4
	s_waitcnt lgkmcnt(1)
	v_add_f64 v[18:19], v[18:19], v[36:37]
	ds_bpermute_b32 v21, v49, v5
	ds_bpermute_b32 v36, v49, v18
	ds_bpermute_b32 v37, v49, v19
	s_waitcnt lgkmcnt(2)
	v_add_f64 v[4:5], v[4:5], v[20:21]
	ds_bpermute_b32 v20, v50, v4
	s_waitcnt lgkmcnt(1)
	v_add_f64 v[18:19], v[18:19], v[36:37]
	ds_bpermute_b32 v21, v50, v5
	ds_bpermute_b32 v36, v50, v18
	ds_bpermute_b32 v37, v50, v19
	;; [unrolled: 8-line block ×3, first 2 shown]
	s_waitcnt lgkmcnt(2)
	v_add_f64 v[4:5], v[4:5], v[20:21]
	s_waitcnt lgkmcnt(0)
	v_add_f64 v[20:21], v[18:19], v[36:37]
	ds_bpermute_b32 v18, v52, v4
	ds_bpermute_b32 v19, v52, v5
	;; [unrolled: 1-line block ×4, first 2 shown]
	s_and_saveexec_b64 s[40:41], s[10:11]
	s_cbranch_execz .LBB371_37
; %bb.36:                               ;   in Loop: Header=BB371_13 Depth=1
	s_waitcnt lgkmcnt(0)
	v_add_f64 v[20:21], v[20:21], v[36:37]
	v_add_f64 v[18:19], v[4:5], v[18:19]
	ds_write_b128 v54, v[18:21]
.LBB371_37:                             ;   in Loop: Header=BB371_13 Depth=1
	s_or_b64 exec, exec, s[40:41]
	v_mov_b64_e32 v[20:21], 0
	s_waitcnt lgkmcnt(2)
	v_mov_b64_e32 v[18:19], v[20:21]
	s_waitcnt lgkmcnt(0)
	s_barrier
	s_and_saveexec_b64 s[40:41], s[4:5]
	s_cbranch_execnz .LBB371_54
; %bb.38:                               ;   in Loop: Header=BB371_13 Depth=1
	s_or_b64 exec, exec, s[40:41]
	s_and_saveexec_b64 s[40:41], s[0:1]
	s_cbranch_execnz .LBB371_55
.LBB371_39:                             ;   in Loop: Header=BB371_13 Depth=1
	s_or_b64 exec, exec, s[40:41]
	s_and_saveexec_b64 s[40:41], s[12:13]
	s_cbranch_execz .LBB371_12
	s_branch .LBB371_56
.LBB371_40:                             ;   in Loop: Header=BB371_13 Depth=1
	flat_load_dwordx4 v[36:39], v[26:27]
	flat_load_dwordx4 v[4:7], v[28:29]
	s_mul_i32 s42, s3, s23
	s_mul_hi_u32 s43, s3, s22
	s_add_i32 s43, s43, s42
	s_mul_i32 s42, s3, s22
	v_lshl_add_u64 v[8:9], s[42:43], 4, v[22:23]
	s_or_b32 s42, s3, 1
	s_mul_i32 s43, s42, s23
	s_mul_hi_u32 s48, s42, s22
	s_add_i32 s43, s48, s43
	s_mul_i32 s42, s42, s22
	s_waitcnt vmcnt(0) lgkmcnt(0)
	scratch_store_dwordx4 off, v[36:39], off
	scratch_store_dwordx4 v55, v[4:7], off
	flat_load_dwordx4 v[4:7], v[30:31]
	s_waitcnt vmcnt(0) lgkmcnt(0)
	scratch_store_dwordx4 v56, v[4:7], off
	flat_load_dwordx4 v[4:7], v[32:33]
	s_waitcnt vmcnt(0) lgkmcnt(0)
	;; [unrolled: 3-line block ×3, first 2 shown]
	v_mul_f64 v[10:11], v[38:39], v[6:7]
	v_fmac_f64_e32 v[10:11], v[36:37], v[4:5]
	v_mul_f64 v[6:7], v[36:37], v[6:7]
	v_fma_f64 v[6:7], v[38:39], v[4:5], -v[6:7]
	v_add_f64 v[4:5], v[10:11], 0
	v_lshl_add_u64 v[10:11], s[42:43], 4, v[22:23]
	flat_load_dwordx4 v[12:15], v[10:11]
	s_or_b32 s42, s3, 2
	s_mul_i32 s43, s42, s23
	s_mul_hi_u32 s48, s42, s22
	s_add_i32 s43, s48, s43
	s_mul_i32 s42, s42, s22
	v_add_f64 v[6:7], v[6:7], 0
	s_waitcnt vmcnt(0) lgkmcnt(0)
	v_mul_f64 v[16:17], v[38:39], v[14:15]
	v_mul_f64 v[14:15], v[36:37], v[14:15]
	v_fmac_f64_e32 v[16:17], v[36:37], v[12:13]
	v_fma_f64 v[12:13], v[38:39], v[12:13], -v[14:15]
	v_lshl_add_u64 v[14:15], s[42:43], 4, v[22:23]
	v_add_f64 v[20:21], v[16:17], 0
	flat_load_dwordx4 v[16:19], v[14:15]
	s_or_b32 s42, s3, 3
	s_mul_i32 s43, s42, s23
	s_mul_hi_u32 s48, s42, s22
	s_add_i32 s43, s48, s43
	s_mul_i32 s42, s42, s22
	v_add_f64 v[12:13], v[12:13], 0
	s_waitcnt vmcnt(0) lgkmcnt(0)
	v_mul_f64 v[58:59], v[38:39], v[18:19]
	v_mul_f64 v[18:19], v[36:37], v[18:19]
	v_fmac_f64_e32 v[58:59], v[36:37], v[16:17]
	v_fma_f64 v[16:17], v[38:39], v[16:17], -v[18:19]
	v_lshl_add_u64 v[18:19], s[42:43], 4, v[22:23]
	v_add_f64 v[62:63], v[58:59], 0
	flat_load_dwordx4 v[58:61], v[18:19]
	v_add_f64 v[16:17], v[16:17], 0
	s_waitcnt vmcnt(0) lgkmcnt(0)
	v_mul_f64 v[64:65], v[38:39], v[60:61]
	v_fmac_f64_e32 v[64:65], v[36:37], v[58:59]
	v_mul_f64 v[36:37], v[36:37], v[60:61]
	v_fma_f64 v[36:37], v[38:39], v[58:59], -v[36:37]
	v_add_f64 v[66:67], v[36:37], 0
	scratch_load_dwordx4 v[36:39], off, off offset:16
	flat_load_dwordx4 v[58:61], v[8:9] offset:16
	v_add_f64 v[64:65], v[64:65], 0
	s_waitcnt vmcnt(0) lgkmcnt(0)
	v_mul_f64 v[68:69], v[38:39], v[60:61]
	v_mul_f64 v[60:61], v[36:37], v[60:61]
	v_fmac_f64_e32 v[68:69], v[36:37], v[58:59]
	v_fma_f64 v[58:59], v[38:39], v[58:59], -v[60:61]
	v_add_f64 v[60:61], v[4:5], v[68:69]
	v_add_f64 v[58:59], v[6:7], v[58:59]
	flat_load_dwordx4 v[4:7], v[10:11] offset:16
	s_waitcnt vmcnt(0) lgkmcnt(0)
	v_mul_f64 v[68:69], v[38:39], v[6:7]
	v_mul_f64 v[6:7], v[36:37], v[6:7]
	v_fmac_f64_e32 v[68:69], v[36:37], v[4:5]
	v_fma_f64 v[4:5], v[38:39], v[4:5], -v[6:7]
	v_add_f64 v[12:13], v[12:13], v[4:5]
	flat_load_dwordx4 v[4:7], v[14:15] offset:16
	v_add_f64 v[20:21], v[20:21], v[68:69]
	s_waitcnt vmcnt(0) lgkmcnt(0)
	v_mul_f64 v[68:69], v[38:39], v[6:7]
	v_mul_f64 v[6:7], v[36:37], v[6:7]
	v_fmac_f64_e32 v[68:69], v[36:37], v[4:5]
	v_fma_f64 v[4:5], v[38:39], v[4:5], -v[6:7]
	v_add_f64 v[16:17], v[16:17], v[4:5]
	flat_load_dwordx4 v[4:7], v[18:19] offset:16
	v_add_f64 v[62:63], v[62:63], v[68:69]
	s_waitcnt vmcnt(0) lgkmcnt(0)
	v_mul_f64 v[68:69], v[38:39], v[6:7]
	v_mul_f64 v[6:7], v[36:37], v[6:7]
	v_fmac_f64_e32 v[68:69], v[36:37], v[4:5]
	v_fma_f64 v[4:5], v[38:39], v[4:5], -v[6:7]
	v_add_f64 v[66:67], v[66:67], v[4:5]
	scratch_load_dwordx4 v[4:7], off, off offset:32
	flat_load_dwordx4 v[36:39], v[8:9] offset:32
	v_add_f64 v[64:65], v[64:65], v[68:69]
	s_waitcnt vmcnt(0) lgkmcnt(0)
	v_mul_f64 v[68:69], v[6:7], v[38:39]
	v_mul_f64 v[38:39], v[4:5], v[38:39]
	v_fmac_f64_e32 v[68:69], v[4:5], v[36:37]
	v_fma_f64 v[36:37], v[6:7], v[36:37], -v[38:39]
	v_add_f64 v[70:71], v[58:59], v[36:37]
	flat_load_dwordx4 v[36:39], v[10:11] offset:32
	v_add_f64 v[68:69], v[60:61], v[68:69]
	s_waitcnt vmcnt(0) lgkmcnt(0)
	v_mul_f64 v[58:59], v[6:7], v[38:39]
	v_mul_f64 v[38:39], v[4:5], v[38:39]
	v_fmac_f64_e32 v[58:59], v[4:5], v[36:37]
	v_fma_f64 v[36:37], v[6:7], v[36:37], -v[38:39]
	v_add_f64 v[74:75], v[12:13], v[36:37]
	flat_load_dwordx4 v[36:39], v[14:15] offset:32
	v_add_f64 v[72:73], v[20:21], v[58:59]
	s_waitcnt vmcnt(0) lgkmcnt(0)
	v_mul_f64 v[12:13], v[6:7], v[38:39]
	v_mul_f64 v[20:21], v[4:5], v[38:39]
	v_fmac_f64_e32 v[12:13], v[4:5], v[36:37]
	v_fma_f64 v[20:21], v[6:7], v[36:37], -v[20:21]
	flat_load_dwordx4 v[36:39], v[18:19] offset:32
	v_add_f64 v[62:63], v[62:63], v[12:13]
	v_add_f64 v[76:77], v[16:17], v[20:21]
	s_waitcnt vmcnt(0) lgkmcnt(0)
	v_mul_f64 v[12:13], v[6:7], v[38:39]
	v_fmac_f64_e32 v[12:13], v[4:5], v[36:37]
	v_mul_f64 v[4:5], v[4:5], v[38:39]
	v_fma_f64 v[4:5], v[6:7], v[36:37], -v[4:5]
	v_add_f64 v[38:39], v[66:67], v[4:5]
	scratch_load_dwordx4 v[4:7], off, off offset:48
	flat_load_dwordx4 v[58:61], v[8:9] offset:48
	v_add_f64 v[20:21], v[64:65], v[12:13]
	s_waitcnt vmcnt(0) lgkmcnt(0)
	v_mul_f64 v[8:9], v[6:7], v[60:61]
	v_mul_f64 v[12:13], v[4:5], v[60:61]
	v_fmac_f64_e32 v[8:9], v[4:5], v[58:59]
	v_fma_f64 v[12:13], v[6:7], v[58:59], -v[12:13]
	v_add_f64 v[36:37], v[68:69], v[8:9]
	v_add_f64 v[8:9], v[70:71], v[12:13]
	flat_load_dwordx4 v[10:13], v[10:11] offset:48
	s_waitcnt vmcnt(0) lgkmcnt(0)
	v_mul_f64 v[16:17], v[6:7], v[12:13]
	v_fmac_f64_e32 v[16:17], v[4:5], v[10:11]
	v_mul_f64 v[12:13], v[4:5], v[12:13]
	v_fma_f64 v[12:13], v[6:7], v[10:11], -v[12:13]
	v_add_f64 v[10:11], v[72:73], v[16:17]
	flat_load_dwordx4 v[14:17], v[14:15] offset:48
	v_add_f64 v[12:13], v[74:75], v[12:13]
	s_waitcnt vmcnt(0) lgkmcnt(0)
	v_mul_f64 v[58:59], v[6:7], v[16:17]
	v_fmac_f64_e32 v[58:59], v[4:5], v[14:15]
	v_mul_f64 v[16:17], v[4:5], v[16:17]
	v_fma_f64 v[16:17], v[6:7], v[14:15], -v[16:17]
	v_add_f64 v[14:15], v[62:63], v[58:59]
	flat_load_dwordx4 v[58:61], v[18:19] offset:48
	v_add_f64 v[16:17], v[76:77], v[16:17]
	s_waitcnt vmcnt(0) lgkmcnt(0)
	v_mul_f64 v[18:19], v[6:7], v[60:61]
	v_fmac_f64_e32 v[18:19], v[4:5], v[58:59]
	v_mul_f64 v[4:5], v[4:5], v[60:61]
	v_fma_f64 v[4:5], v[6:7], v[58:59], -v[4:5]
	v_add_f64 v[18:19], v[20:21], v[18:19]
	v_add_f64 v[20:21], v[38:39], v[4:5]
	s_andn2_saveexec_b64 s[40:41], s[40:41]
	s_cbranch_execz .LBB371_15
.LBB371_41:                             ;   in Loop: Header=BB371_13 Depth=1
	s_waitcnt lgkmcnt(0)
	v_mov_b64_e32 v[18:19], 0
	v_mov_b64_e32 v[20:21], v[18:19]
	;; [unrolled: 1-line block ×8, first 2 shown]
	s_and_saveexec_b64 s[42:43], s[8:9]
	s_cbranch_execz .LBB371_47
; %bb.42:                               ;   in Loop: Header=BB371_13 Depth=1
	v_mov_b64_e32 v[18:19], 0
	s_andn2_b64 vcc, exec, s[30:31]
	v_mov_b64_e32 v[20:21], v[18:19]
	v_mov_b64_e32 v[14:15], v[18:19]
	;; [unrolled: 1-line block ×7, first 2 shown]
	s_cbranch_vccnz .LBB371_47
; %bb.43:                               ;   in Loop: Header=BB371_13 Depth=1
	v_mov_b32_e32 v3, 0
	v_mov_b64_e32 v[4:5], v[26:27]
	s_mov_b32 s48, s21
.LBB371_44:                             ;   Parent Loop BB371_13 Depth=1
                                        ; =>  This Inner Loop Header: Depth=2
	flat_load_dwordx4 v[6:9], v[4:5]
	s_add_i32 s48, s48, -1
	v_lshl_add_u64 v[4:5], v[4:5], 0, s[34:35]
	s_cmp_eq_u32 s48, 0
	s_waitcnt vmcnt(0) lgkmcnt(0)
	scratch_store_dwordx4 v3, v[6:9], off
	v_add_u32_e32 v3, 16, v3
	s_cbranch_scc0 .LBB371_44
; %bb.45:                               ;   in Loop: Header=BB371_13 Depth=1
	v_mov_b64_e32 v[8:9], 0
	v_mov_b32_e32 v3, 0
	v_mov_b64_e32 v[4:5], v[34:35]
	s_mov_b32 s48, s21
	v_mov_b64_e32 v[36:37], v[8:9]
	v_mov_b64_e32 v[12:13], v[8:9]
	;; [unrolled: 1-line block ×7, first 2 shown]
.LBB371_46:                             ;   Parent Loop BB371_13 Depth=1
                                        ; =>  This Inner Loop Header: Depth=2
	scratch_load_dwordx4 v[58:61], v3, off
	flat_load_dwordx4 v[62:65], v[4:5]
	s_add_i32 s48, s48, -1
	v_add_u32_e32 v3, 16, v3
	s_cmp_lg_u32 s48, 0
	s_waitcnt vmcnt(0) lgkmcnt(0)
	v_mul_f64 v[6:7], v[60:61], v[64:65]
	v_fmac_f64_e32 v[6:7], v[58:59], v[62:63]
	v_mul_f64 v[38:39], v[58:59], v[64:65]
	v_add_f64 v[36:37], v[36:37], v[6:7]
	v_lshl_add_u64 v[6:7], v[4:5], 0, s[38:39]
	v_fma_f64 v[38:39], v[60:61], v[62:63], -v[38:39]
	flat_load_dwordx4 v[62:65], v[6:7]
	v_add_f64 v[8:9], v[8:9], v[38:39]
	v_lshl_add_u64 v[6:7], v[6:7], 0, s[38:39]
	v_lshl_add_u64 v[4:5], v[4:5], 0, 16
	s_waitcnt vmcnt(0) lgkmcnt(0)
	v_mul_f64 v[38:39], v[60:61], v[64:65]
	v_mul_f64 v[64:65], v[58:59], v[64:65]
	v_fmac_f64_e32 v[38:39], v[58:59], v[62:63]
	v_fma_f64 v[62:63], v[60:61], v[62:63], -v[64:65]
	v_add_f64 v[12:13], v[12:13], v[62:63]
	flat_load_dwordx4 v[62:65], v[6:7]
	v_add_f64 v[10:11], v[10:11], v[38:39]
	v_lshl_add_u64 v[6:7], v[6:7], 0, s[38:39]
	s_waitcnt vmcnt(0) lgkmcnt(0)
	v_mul_f64 v[38:39], v[60:61], v[64:65]
	v_mul_f64 v[64:65], v[58:59], v[64:65]
	v_fmac_f64_e32 v[38:39], v[58:59], v[62:63]
	v_fma_f64 v[62:63], v[60:61], v[62:63], -v[64:65]
	v_add_f64 v[16:17], v[16:17], v[62:63]
	flat_load_dwordx4 v[62:65], v[6:7]
	v_add_f64 v[14:15], v[14:15], v[38:39]
	s_waitcnt vmcnt(0) lgkmcnt(0)
	v_mul_f64 v[6:7], v[60:61], v[64:65]
	v_mul_f64 v[38:39], v[58:59], v[64:65]
	v_fmac_f64_e32 v[6:7], v[58:59], v[62:63]
	v_fma_f64 v[38:39], v[60:61], v[62:63], -v[38:39]
	v_add_f64 v[18:19], v[18:19], v[6:7]
	v_add_f64 v[20:21], v[20:21], v[38:39]
	s_cbranch_scc1 .LBB371_46
.LBB371_47:                             ;   in Loop: Header=BB371_13 Depth=1
	s_or_b64 exec, exec, s[42:43]
	s_or_b64 exec, exec, s[40:41]
	s_and_saveexec_b64 s[40:41], s[0:1]
	s_cbranch_execnz .LBB371_16
	s_branch .LBB371_17
.LBB371_48:                             ;   in Loop: Header=BB371_13 Depth=1
	ds_read_b128 v[6:9], v53
	s_or_b64 exec, exec, s[40:41]
	s_and_saveexec_b64 s[40:41], s[0:1]
	s_cbranch_execz .LBB371_21
.LBB371_49:                             ;   in Loop: Header=BB371_13 Depth=1
	s_waitcnt lgkmcnt(0)
	ds_bpermute_b32 v4, v51, v6
	ds_bpermute_b32 v5, v51, v7
	;; [unrolled: 1-line block ×4, first 2 shown]
	s_waitcnt lgkmcnt(2)
	v_add_f64 v[4:5], v[6:7], v[4:5]
	ds_bpermute_b32 v6, v52, v4
	s_waitcnt lgkmcnt(1)
	v_add_f64 v[8:9], v[8:9], v[36:37]
	ds_bpermute_b32 v7, v52, v5
	ds_bpermute_b32 v36, v52, v8
	;; [unrolled: 1-line block ×3, first 2 shown]
	s_waitcnt lgkmcnt(2)
	v_add_f64 v[6:7], v[4:5], v[6:7]
	s_waitcnt lgkmcnt(0)
	v_add_f64 v[8:9], v[8:9], v[36:37]
	s_or_b64 exec, exec, s[40:41]
	s_and_saveexec_b64 s[40:41], s[0:1]
	s_cbranch_execnz .LBB371_22
	s_branch .LBB371_23
.LBB371_50:                             ;   in Loop: Header=BB371_13 Depth=1
	ds_read_b128 v[10:13], v53
	s_or_b64 exec, exec, s[40:41]
	s_and_saveexec_b64 s[40:41], s[0:1]
	s_cbranch_execz .LBB371_27
.LBB371_51:                             ;   in Loop: Header=BB371_13 Depth=1
	s_waitcnt lgkmcnt(0)
	ds_bpermute_b32 v4, v51, v10
	ds_bpermute_b32 v5, v51, v11
	;; [unrolled: 1-line block ×4, first 2 shown]
	s_waitcnt lgkmcnt(2)
	v_add_f64 v[4:5], v[10:11], v[4:5]
	ds_bpermute_b32 v10, v52, v4
	s_waitcnt lgkmcnt(1)
	v_add_f64 v[12:13], v[12:13], v[36:37]
	ds_bpermute_b32 v11, v52, v5
	ds_bpermute_b32 v36, v52, v12
	;; [unrolled: 1-line block ×3, first 2 shown]
	s_waitcnt lgkmcnt(2)
	v_add_f64 v[10:11], v[4:5], v[10:11]
	s_waitcnt lgkmcnt(0)
	v_add_f64 v[12:13], v[12:13], v[36:37]
	s_or_b64 exec, exec, s[40:41]
	s_and_saveexec_b64 s[40:41], s[0:1]
	s_cbranch_execnz .LBB371_28
	s_branch .LBB371_29
.LBB371_52:                             ;   in Loop: Header=BB371_13 Depth=1
	ds_read_b128 v[14:17], v53
	s_or_b64 exec, exec, s[40:41]
	s_and_saveexec_b64 s[40:41], s[0:1]
	s_cbranch_execz .LBB371_33
.LBB371_53:                             ;   in Loop: Header=BB371_13 Depth=1
	s_waitcnt lgkmcnt(0)
	ds_bpermute_b32 v4, v51, v14
	ds_bpermute_b32 v5, v51, v15
	;; [unrolled: 1-line block ×4, first 2 shown]
	s_waitcnt lgkmcnt(2)
	v_add_f64 v[4:5], v[14:15], v[4:5]
	ds_bpermute_b32 v14, v52, v4
	s_waitcnt lgkmcnt(1)
	v_add_f64 v[16:17], v[16:17], v[36:37]
	ds_bpermute_b32 v15, v52, v5
	ds_bpermute_b32 v36, v52, v16
	ds_bpermute_b32 v37, v52, v17
	s_waitcnt lgkmcnt(2)
	v_add_f64 v[14:15], v[4:5], v[14:15]
	s_waitcnt lgkmcnt(0)
	v_add_f64 v[16:17], v[16:17], v[36:37]
	s_or_b64 exec, exec, s[40:41]
	s_and_saveexec_b64 s[40:41], s[0:1]
	s_cbranch_execnz .LBB371_34
	s_branch .LBB371_35
.LBB371_54:                             ;   in Loop: Header=BB371_13 Depth=1
	ds_read_b128 v[18:21], v53
	s_or_b64 exec, exec, s[40:41]
	s_and_saveexec_b64 s[40:41], s[0:1]
	s_cbranch_execz .LBB371_39
.LBB371_55:                             ;   in Loop: Header=BB371_13 Depth=1
	s_waitcnt lgkmcnt(0)
	ds_bpermute_b32 v4, v51, v18
	ds_bpermute_b32 v5, v51, v19
	;; [unrolled: 1-line block ×4, first 2 shown]
	s_waitcnt lgkmcnt(2)
	v_add_f64 v[4:5], v[18:19], v[4:5]
	ds_bpermute_b32 v18, v52, v4
	s_waitcnt lgkmcnt(1)
	v_add_f64 v[20:21], v[20:21], v[36:37]
	ds_bpermute_b32 v19, v52, v5
	ds_bpermute_b32 v36, v52, v20
	;; [unrolled: 1-line block ×3, first 2 shown]
	s_waitcnt lgkmcnt(2)
	v_add_f64 v[18:19], v[4:5], v[18:19]
	s_waitcnt lgkmcnt(0)
	v_add_f64 v[20:21], v[20:21], v[36:37]
	s_or_b64 exec, exec, s[40:41]
	s_and_saveexec_b64 s[40:41], s[12:13]
	s_cbranch_execz .LBB371_12
.LBB371_56:                             ;   in Loop: Header=BB371_13 Depth=1
	s_mul_hi_u32 s43, s3, s20
	s_mul_i32 s42, s3, s20
	s_lshl_b64 s[42:43], s[42:43], 4
	v_mul_f64 v[4:5], s[18:19], v[8:9]
	v_mul_f64 v[38:39], s[16:17], v[8:9]
	s_add_u32 s42, s46, s42
	v_fma_f64 v[36:37], s[16:17], v[6:7], -v[4:5]
	v_fmac_f64_e32 v[38:39], s[18:19], v[6:7]
	s_addc_u32 s43, s47, s43
	global_store_dwordx4 v2, v[36:39], s[42:43]
	s_or_b32 s42, s3, 1
	s_mul_hi_u32 s43, s42, s20
	s_mul_i32 s42, s42, s20
	s_lshl_b64 s[42:43], s[42:43], 4
	v_mul_f64 v[4:5], s[18:19], v[12:13]
	v_mul_f64 v[6:7], s[16:17], v[12:13]
	s_add_u32 s42, s46, s42
	v_fma_f64 v[4:5], s[16:17], v[10:11], -v[4:5]
	v_fmac_f64_e32 v[6:7], s[18:19], v[10:11]
	s_addc_u32 s43, s47, s43
	global_store_dwordx4 v2, v[4:7], s[42:43]
	s_or_b32 s42, s3, 2
	;; [unrolled: 11-line block ×3, first 2 shown]
	s_mul_hi_u32 s43, s42, s20
	s_mul_i32 s42, s42, s20
	s_lshl_b64 s[42:43], s[42:43], 4
	s_waitcnt lgkmcnt(0)
	v_mul_f64 v[4:5], s[18:19], v[20:21]
	v_mul_f64 v[6:7], s[16:17], v[20:21]
	s_add_u32 s42, s46, s42
	v_fma_f64 v[4:5], s[16:17], v[18:19], -v[4:5]
	v_fmac_f64_e32 v[6:7], s[18:19], v[18:19]
	s_addc_u32 s43, s47, s43
	global_store_dwordx4 v2, v[4:7], s[42:43]
	s_branch .LBB371_12
.LBB371_57:
	s_mov_b32 s3, 0
.LBB371_58:
	s_cmp_ge_i32 s3, s15
	s_cbranch_scc1 .LBB371_80
; %bb.59:
	v_mbcnt_hi_u32_b32 v2, -1, v44
	v_and_b32_e32 v3, 63, v2
	v_cmp_gt_u32_e64 s[4:5], 32, v3
	s_mov_b32 s13, 0
	s_cmp_gt_i32 s21, 0
	v_cndmask_b32_e64 v4, 0, 1, s[4:5]
	v_lshlrev_b32_e32 v4, 5, v4
	v_cmp_gt_u32_e64 s[4:5], 48, v3
	s_waitcnt lgkmcnt(0)
	v_add_lshl_u32 v21, v4, v2, 2
	s_mov_b32 s12, s2
	v_cndmask_b32_e64 v4, 0, 1, s[4:5]
	v_lshlrev_b32_e32 v4, 4, v4
	v_cmp_gt_u32_e64 s[4:5], 56, v3
	v_add_lshl_u32 v26, v4, v2, 2
	s_cselect_b64 s[30:31], -1, 0
	v_cndmask_b32_e64 v4, 0, 1, s[4:5]
	v_lshlrev_b32_e32 v4, 3, v4
	v_cmp_gt_u32_e64 s[4:5], 60, v3
	v_add_lshl_u32 v27, v4, v2, 2
	s_lshl_b64 s[12:13], s[12:13], 4
	v_cndmask_b32_e64 v4, 0, 1, s[4:5]
	v_lshlrev_b32_e32 v4, 2, v4
	v_cmp_gt_u32_e64 s[4:5], 62, v3
	v_add_lshl_u32 v28, v4, v2, 2
	s_add_u32 s2, s33, s12
	v_cndmask_b32_e64 v4, 0, 1, s[4:5]
	v_lshlrev_b32_e32 v4, 1, v4
	v_cmp_ne_u32_e64 s[4:5], 63, v3
	v_add_lshl_u32 v29, v4, v2, 2
	v_cmp_ge_i32_e32 vcc, s14, v45
	v_addc_co_u32_e64 v2, s[4:5], 0, v2, s[4:5]
	v_cmp_ge_i32_e64 s[10:11], s14, v46
	v_lshlrev_b32_e32 v30, 2, v2
	s_addc_u32 s14, s44, s13
	v_mad_i64_i32 v[2:3], s[12:13], s28, v24, 0
	v_lshl_add_u64 v[6:7], v[2:3], 4, s[26:27]
	v_mad_i64_i32 v[2:3], s[12:13], s28, v41, 0
	v_cmp_gt_u32_e64 s[0:1], 64, v0
	v_cmp_gt_u32_e64 s[6:7], 4, v0
	v_cmp_eq_u32_e64 s[8:9], 0, v0
	v_lshl_add_u64 v[8:9], v[2:3], 4, s[26:27]
	v_mad_i64_i32 v[2:3], s[12:13], s28, v40, 0
	v_mad_i64_i32 v[0:1], s[12:13], s28, v1, 0
	v_lshl_add_u64 v[10:11], v[2:3], 4, s[26:27]
	v_lshl_add_u64 v[12:13], v[0:1], 4, s[26:27]
	s_mul_i32 s26, s23, s3
	s_mul_hi_u32 s27, s22, s3
	s_add_i32 s27, s27, s26
	s_mul_i32 s26, s22, s3
	s_and_b64 s[10:11], s[30:31], s[10:11]
	s_lshl_b64 s[12:13], s[28:29], 4
	s_lshl_b64 s[26:27], s[26:27], 4
	s_add_u32 s24, s24, s26
	v_mov_b32_e32 v4, 0
	s_addc_u32 s25, s25, s27
	v_lshlrev_b32_e32 v20, 4, v42
	v_cmp_eq_u32_e64 s[4:5], 0, v42
	v_and_b32_e32 v31, 48, v43
	v_add_u32_e32 v32, 16, v4
	v_add_u32_e32 v33, 32, v4
	;; [unrolled: 1-line block ×3, first 2 shown]
	v_lshl_add_u64 v[14:15], v[24:25], 4, s[24:25]
	s_lshl_b64 s[24:25], s[22:23], 4
	v_mov_b32_e32 v0, 0
	s_branch .LBB371_61
.LBB371_60:                             ;   in Loop: Header=BB371_61 Depth=1
	s_or_b64 exec, exec, s[26:27]
	s_add_i32 s3, s3, 1
	s_cmp_lt_i32 s3, s15
	v_lshl_add_u64 v[14:15], v[14:15], 0, s[24:25]
	s_cbranch_scc0 .LBB371_80
.LBB371_61:                             ; =>This Loop Header: Depth=1
                                        ;     Child Loop BB371_73 Depth 2
                                        ;     Child Loop BB371_75 Depth 2
                                        ; implicit-def: $vgpr4_vgpr5
                                        ; implicit-def: $vgpr16_vgpr17
	s_and_saveexec_b64 s[26:27], vcc
	s_xor_b64 s[26:27], exec, s[26:27]
	s_cbranch_execnz .LBB371_70
; %bb.62:                               ;   in Loop: Header=BB371_61 Depth=1
	s_andn2_saveexec_b64 s[26:27], s[26:27]
	s_cbranch_execnz .LBB371_71
.LBB371_63:                             ;   in Loop: Header=BB371_61 Depth=1
	s_or_b64 exec, exec, s[26:27]
	s_and_saveexec_b64 s[26:27], s[0:1]
	s_cbranch_execz .LBB371_65
.LBB371_64:                             ;   in Loop: Header=BB371_61 Depth=1
	v_mov_b32_e32 v1, v0
	s_waitcnt lgkmcnt(0)
	v_mov_b32_e32 v2, v0
	v_mov_b32_e32 v3, v0
	ds_write_b128 v20, v[0:3]
.LBB371_65:                             ;   in Loop: Header=BB371_61 Depth=1
	s_or_b64 exec, exec, s[26:27]
	s_waitcnt lgkmcnt(0)
	ds_bpermute_b32 v2, v21, v4
	ds_bpermute_b32 v3, v21, v5
	;; [unrolled: 1-line block ×4, first 2 shown]
	s_waitcnt lgkmcnt(0)
	s_barrier
	v_add_f64 v[2:3], v[4:5], v[2:3]
	v_add_f64 v[4:5], v[16:17], v[18:19]
	ds_bpermute_b32 v16, v26, v2
	ds_bpermute_b32 v17, v26, v3
	;; [unrolled: 1-line block ×4, first 2 shown]
	s_waitcnt lgkmcnt(2)
	v_add_f64 v[2:3], v[2:3], v[16:17]
	ds_bpermute_b32 v16, v27, v2
	s_waitcnt lgkmcnt(1)
	v_add_f64 v[4:5], v[4:5], v[18:19]
	ds_bpermute_b32 v17, v27, v3
	ds_bpermute_b32 v18, v27, v4
	ds_bpermute_b32 v19, v27, v5
	s_waitcnt lgkmcnt(2)
	v_add_f64 v[2:3], v[2:3], v[16:17]
	ds_bpermute_b32 v16, v28, v2
	s_waitcnt lgkmcnt(1)
	v_add_f64 v[4:5], v[4:5], v[18:19]
	ds_bpermute_b32 v17, v28, v3
	ds_bpermute_b32 v18, v28, v4
	ds_bpermute_b32 v19, v28, v5
	;; [unrolled: 8-line block ×3, first 2 shown]
	s_waitcnt lgkmcnt(2)
	v_add_f64 v[2:3], v[2:3], v[16:17]
	s_waitcnt lgkmcnt(0)
	v_add_f64 v[16:17], v[4:5], v[18:19]
	ds_bpermute_b32 v4, v30, v2
	ds_bpermute_b32 v5, v30, v3
	;; [unrolled: 1-line block ×4, first 2 shown]
	s_and_saveexec_b64 s[26:27], s[4:5]
	s_cbranch_execz .LBB371_67
; %bb.66:                               ;   in Loop: Header=BB371_61 Depth=1
	s_waitcnt lgkmcnt(0)
	v_add_f64 v[18:19], v[16:17], v[18:19]
	v_add_f64 v[16:17], v[2:3], v[4:5]
	ds_write_b128 v31, v[16:19]
.LBB371_67:                             ;   in Loop: Header=BB371_61 Depth=1
	s_or_b64 exec, exec, s[26:27]
	s_waitcnt lgkmcnt(2)
	v_mov_b64_e32 v[4:5], 0
	v_mov_b64_e32 v[2:3], v[4:5]
	s_waitcnt lgkmcnt(0)
	s_barrier
	s_and_saveexec_b64 s[26:27], s[6:7]
	s_cbranch_execnz .LBB371_77
; %bb.68:                               ;   in Loop: Header=BB371_61 Depth=1
	s_or_b64 exec, exec, s[26:27]
	s_and_saveexec_b64 s[26:27], s[0:1]
	s_cbranch_execnz .LBB371_78
.LBB371_69:                             ;   in Loop: Header=BB371_61 Depth=1
	s_or_b64 exec, exec, s[26:27]
	s_and_saveexec_b64 s[26:27], s[8:9]
	s_cbranch_execz .LBB371_60
	s_branch .LBB371_79
.LBB371_70:                             ;   in Loop: Header=BB371_61 Depth=1
	s_waitcnt lgkmcnt(0)
	flat_load_dwordx4 v[2:5], v[8:9]
	flat_load_dwordx4 v[16:19], v[10:11]
	;; [unrolled: 1-line block ×4, first 2 shown]
	s_mul_i32 s29, s3, s23
	s_mul_hi_u32 s30, s3, s22
	s_mul_i32 s28, s3, s22
	s_add_i32 s29, s30, s29
	v_lshl_add_u64 v[24:25], s[28:29], 4, v[22:23]
	flat_load_dwordx4 v[44:47], v[24:25]
	flat_load_dwordx4 v[48:51], v[24:25] offset:16
	flat_load_dwordx4 v[52:55], v[24:25] offset:32
	;; [unrolled: 1-line block ×3, first 2 shown]
	s_waitcnt vmcnt(0) lgkmcnt(0)
	v_mul_f64 v[24:25], v[46:47], v[42:43]
	scratch_store_dwordx4 v32, v[2:5], off
	scratch_load_dwordx4 v[2:5], off, off offset:16
	v_mul_f64 v[46:47], v[46:47], v[40:41]
	scratch_store_dwordx4 v33, v[16:19], off
	scratch_load_dwordx4 v[16:19], off, off offset:32
	v_fmac_f64_e32 v[24:25], v[44:45], v[40:41]
	scratch_store_dwordx4 v34, v[36:39], off
	scratch_load_dwordx4 v[36:39], off, off offset:48
	v_add_f64 v[24:25], v[24:25], 0
	scratch_store_dwordx4 off, v[40:43], off
	s_nop 1
	v_fma_f64 v[40:41], v[44:45], v[42:43], -v[46:47]
	v_add_f64 v[40:41], v[40:41], 0
	s_waitcnt vmcnt(5)
	v_mul_f64 v[42:43], v[50:51], v[4:5]
	v_mul_f64 v[44:45], v[50:51], v[2:3]
	v_fmac_f64_e32 v[42:43], v[48:49], v[2:3]
	s_waitcnt vmcnt(3)
	v_mul_f64 v[46:47], v[54:55], v[18:19]
	v_mul_f64 v[50:51], v[54:55], v[16:17]
	v_fma_f64 v[2:3], v[48:49], v[4:5], -v[44:45]
	s_waitcnt vmcnt(1)
	v_mul_f64 v[54:55], v[58:59], v[38:39]
	v_mul_f64 v[58:59], v[58:59], v[36:37]
	v_fmac_f64_e32 v[46:47], v[52:53], v[16:17]
	v_fma_f64 v[4:5], v[52:53], v[18:19], -v[50:51]
	v_add_f64 v[18:19], v[24:25], v[42:43]
	v_add_f64 v[2:3], v[40:41], v[2:3]
	v_fmac_f64_e32 v[54:55], v[56:57], v[36:37]
	v_fma_f64 v[16:17], v[56:57], v[38:39], -v[58:59]
	v_add_f64 v[18:19], v[18:19], v[46:47]
	v_add_f64 v[2:3], v[2:3], v[4:5]
	;; [unrolled: 1-line block ×4, first 2 shown]
	s_andn2_saveexec_b64 s[26:27], s[26:27]
	s_cbranch_execz .LBB371_63
.LBB371_71:                             ;   in Loop: Header=BB371_61 Depth=1
	s_waitcnt lgkmcnt(0)
	v_mov_b64_e32 v[4:5], 0
	v_mov_b64_e32 v[16:17], v[4:5]
	s_and_saveexec_b64 s[28:29], s[10:11]
	s_cbranch_execz .LBB371_76
; %bb.72:                               ;   in Loop: Header=BB371_61 Depth=1
	v_mov_b32_e32 v1, 0
	v_mov_b64_e32 v[2:3], v[6:7]
	s_mov_b32 s30, s21
.LBB371_73:                             ;   Parent Loop BB371_61 Depth=1
                                        ; =>  This Inner Loop Header: Depth=2
	flat_load_dwordx4 v[16:19], v[2:3]
	s_add_i32 s30, s30, -1
	v_lshl_add_u64 v[2:3], v[2:3], 0, s[12:13]
	s_cmp_eq_u32 s30, 0
	s_waitcnt vmcnt(0) lgkmcnt(0)
	scratch_store_dwordx4 v1, v[16:19], off
	v_add_u32_e32 v1, 16, v1
	s_cbranch_scc0 .LBB371_73
; %bb.74:                               ;   in Loop: Header=BB371_61 Depth=1
	v_mov_b64_e32 v[4:5], 0
	v_mov_b32_e32 v1, 0
	v_mov_b64_e32 v[2:3], v[14:15]
	s_mov_b32 s30, s21
	v_mov_b64_e32 v[16:17], v[4:5]
.LBB371_75:                             ;   Parent Loop BB371_61 Depth=1
                                        ; =>  This Inner Loop Header: Depth=2
	flat_load_dwordx4 v[36:39], v[2:3]
	scratch_load_dwordx4 v[40:43], v1, off
	s_add_i32 s30, s30, -1
	v_add_u32_e32 v1, 16, v1
	v_lshl_add_u64 v[2:3], v[2:3], 0, 16
	s_cmp_lg_u32 s30, 0
	s_waitcnt vmcnt(0) lgkmcnt(0)
	v_mul_f64 v[18:19], v[38:39], v[42:43]
	v_mul_f64 v[24:25], v[38:39], v[40:41]
	v_fmac_f64_e32 v[18:19], v[36:37], v[40:41]
	v_fma_f64 v[24:25], v[36:37], v[42:43], -v[24:25]
	v_add_f64 v[4:5], v[4:5], v[18:19]
	v_add_f64 v[16:17], v[16:17], v[24:25]
	s_cbranch_scc1 .LBB371_75
.LBB371_76:                             ;   in Loop: Header=BB371_61 Depth=1
	s_or_b64 exec, exec, s[28:29]
	s_or_b64 exec, exec, s[26:27]
	s_and_saveexec_b64 s[26:27], s[0:1]
	s_cbranch_execnz .LBB371_64
	s_branch .LBB371_65
.LBB371_77:                             ;   in Loop: Header=BB371_61 Depth=1
	ds_read_b128 v[2:5], v20
	s_or_b64 exec, exec, s[26:27]
	s_and_saveexec_b64 s[26:27], s[0:1]
	s_cbranch_execz .LBB371_69
.LBB371_78:                             ;   in Loop: Header=BB371_61 Depth=1
	s_waitcnt lgkmcnt(0)
	ds_bpermute_b32 v16, v29, v2
	ds_bpermute_b32 v17, v29, v3
	ds_bpermute_b32 v18, v29, v4
	ds_bpermute_b32 v19, v29, v5
	s_waitcnt lgkmcnt(2)
	v_add_f64 v[2:3], v[2:3], v[16:17]
	ds_bpermute_b32 v16, v30, v2
	s_waitcnt lgkmcnt(1)
	v_add_f64 v[4:5], v[4:5], v[18:19]
	ds_bpermute_b32 v17, v30, v3
	ds_bpermute_b32 v18, v30, v4
	;; [unrolled: 1-line block ×3, first 2 shown]
	s_waitcnt lgkmcnt(2)
	v_add_f64 v[2:3], v[2:3], v[16:17]
	s_waitcnt lgkmcnt(0)
	v_add_f64 v[4:5], v[4:5], v[18:19]
	s_or_b64 exec, exec, s[26:27]
	s_and_saveexec_b64 s[26:27], s[8:9]
	s_cbranch_execz .LBB371_60
.LBB371_79:                             ;   in Loop: Header=BB371_61 Depth=1
	s_mul_hi_u32 s29, s3, s20
	s_mul_i32 s28, s3, s20
	s_lshl_b64 s[28:29], s[28:29], 4
	s_waitcnt lgkmcnt(0)
	v_mul_f64 v[16:17], s[18:19], v[4:5]
	v_mul_f64 v[18:19], s[16:17], v[4:5]
	s_add_u32 s28, s2, s28
	v_fma_f64 v[16:17], s[16:17], v[2:3], -v[16:17]
	v_fmac_f64_e32 v[18:19], s[18:19], v[2:3]
	s_addc_u32 s29, s14, s29
	global_store_dwordx4 v0, v[16:19], s[28:29]
	s_branch .LBB371_60
.LBB371_80:
	s_endpgm
	.section	.rodata,"a",@progbits
	.p2align	6, 0x0
	.amdhsa_kernel _ZL23rocblas_gemvt_sn_kernelILb1ELi256ELi4ElPK19rocblas_complex_numIdES3_S1_EviiT4_lPKT3_lilS7_lilPT5_i
		.amdhsa_group_segment_fixed_size 1024
		.amdhsa_private_segment_fixed_size 80
		.amdhsa_kernarg_size 360
		.amdhsa_user_sgpr_count 2
		.amdhsa_user_sgpr_dispatch_ptr 0
		.amdhsa_user_sgpr_queue_ptr 0
		.amdhsa_user_sgpr_kernarg_segment_ptr 1
		.amdhsa_user_sgpr_dispatch_id 0
		.amdhsa_user_sgpr_kernarg_preload_length 0
		.amdhsa_user_sgpr_kernarg_preload_offset 0
		.amdhsa_user_sgpr_private_segment_size 0
		.amdhsa_uses_dynamic_stack 0
		.amdhsa_enable_private_segment 1
		.amdhsa_system_sgpr_workgroup_id_x 1
		.amdhsa_system_sgpr_workgroup_id_y 0
		.amdhsa_system_sgpr_workgroup_id_z 1
		.amdhsa_system_sgpr_workgroup_info 0
		.amdhsa_system_vgpr_workitem_id 0
		.amdhsa_next_free_vgpr 78
		.amdhsa_next_free_sgpr 49
		.amdhsa_accum_offset 80
		.amdhsa_reserve_vcc 1
		.amdhsa_float_round_mode_32 0
		.amdhsa_float_round_mode_16_64 0
		.amdhsa_float_denorm_mode_32 3
		.amdhsa_float_denorm_mode_16_64 3
		.amdhsa_dx10_clamp 1
		.amdhsa_ieee_mode 1
		.amdhsa_fp16_overflow 0
		.amdhsa_tg_split 0
		.amdhsa_exception_fp_ieee_invalid_op 0
		.amdhsa_exception_fp_denorm_src 0
		.amdhsa_exception_fp_ieee_div_zero 0
		.amdhsa_exception_fp_ieee_overflow 0
		.amdhsa_exception_fp_ieee_underflow 0
		.amdhsa_exception_fp_ieee_inexact 0
		.amdhsa_exception_int_div_zero 0
	.end_amdhsa_kernel
	.section	.text._ZL23rocblas_gemvt_sn_kernelILb1ELi256ELi4ElPK19rocblas_complex_numIdES3_S1_EviiT4_lPKT3_lilS7_lilPT5_i,"axG",@progbits,_ZL23rocblas_gemvt_sn_kernelILb1ELi256ELi4ElPK19rocblas_complex_numIdES3_S1_EviiT4_lPKT3_lilS7_lilPT5_i,comdat
.Lfunc_end371:
	.size	_ZL23rocblas_gemvt_sn_kernelILb1ELi256ELi4ElPK19rocblas_complex_numIdES3_S1_EviiT4_lPKT3_lilS7_lilPT5_i, .Lfunc_end371-_ZL23rocblas_gemvt_sn_kernelILb1ELi256ELi4ElPK19rocblas_complex_numIdES3_S1_EviiT4_lPKT3_lilS7_lilPT5_i
                                        ; -- End function
	.section	.AMDGPU.csdata,"",@progbits
; Kernel info:
; codeLenInByte = 6760
; NumSgprs: 55
; NumVgprs: 78
; NumAgprs: 0
; TotalNumVgprs: 78
; ScratchSize: 80
; MemoryBound: 0
; FloatMode: 240
; IeeeMode: 1
; LDSByteSize: 1024 bytes/workgroup (compile time only)
; SGPRBlocks: 6
; VGPRBlocks: 9
; NumSGPRsForWavesPerEU: 55
; NumVGPRsForWavesPerEU: 78
; AccumOffset: 80
; Occupancy: 6
; WaveLimiterHint : 0
; COMPUTE_PGM_RSRC2:SCRATCH_EN: 1
; COMPUTE_PGM_RSRC2:USER_SGPR: 2
; COMPUTE_PGM_RSRC2:TRAP_HANDLER: 0
; COMPUTE_PGM_RSRC2:TGID_X_EN: 1
; COMPUTE_PGM_RSRC2:TGID_Y_EN: 0
; COMPUTE_PGM_RSRC2:TGID_Z_EN: 1
; COMPUTE_PGM_RSRC2:TIDIG_COMP_CNT: 0
; COMPUTE_PGM_RSRC3_GFX90A:ACCUM_OFFSET: 19
; COMPUTE_PGM_RSRC3_GFX90A:TG_SPLIT: 0
	.section	.text._ZL23rocblas_gemvt_sn_kernelILb1ELi256ELi4EiPK19rocblas_complex_numIdES1_S1_EviiT4_lPKT3_lilS7_lilPT5_i,"axG",@progbits,_ZL23rocblas_gemvt_sn_kernelILb1ELi256ELi4EiPK19rocblas_complex_numIdES1_S1_EviiT4_lPKT3_lilS7_lilPT5_i,comdat
	.globl	_ZL23rocblas_gemvt_sn_kernelILb1ELi256ELi4EiPK19rocblas_complex_numIdES1_S1_EviiT4_lPKT3_lilS7_lilPT5_i ; -- Begin function _ZL23rocblas_gemvt_sn_kernelILb1ELi256ELi4EiPK19rocblas_complex_numIdES1_S1_EviiT4_lPKT3_lilS7_lilPT5_i
	.p2align	8
	.type	_ZL23rocblas_gemvt_sn_kernelILb1ELi256ELi4EiPK19rocblas_complex_numIdES1_S1_EviiT4_lPKT3_lilS7_lilPT5_i,@function
_ZL23rocblas_gemvt_sn_kernelILb1ELi256ELi4EiPK19rocblas_complex_numIdES1_S1_EviiT4_lPKT3_lilS7_lilPT5_i: ; @_ZL23rocblas_gemvt_sn_kernelILb1ELi256ELi4EiPK19rocblas_complex_numIdES1_S1_EviiT4_lPKT3_lilS7_lilPT5_i
; %bb.0:
	s_load_dwordx4 s[16:19], s[0:1], 0x8
	s_mov_b32 s4, s3
	s_mov_b64 s[10:11], -1
	s_waitcnt lgkmcnt(0)
	v_cmp_neq_f64_e64 s[6:7], s[16:17], 0
	v_cmp_neq_f64_e64 s[8:9], s[18:19], 0
	s_or_b64 s[8:9], s[6:7], s[8:9]
	s_and_b64 vcc, exec, s[8:9]
	s_cbranch_vccnz .LBB372_2
; %bb.1:
	s_mov_b32 s5, 0
	s_mov_b64 s[6:7], 0
	s_cbranch_execz .LBB372_3
	s_branch .LBB372_4
.LBB372_2:
                                        ; implicit-def: $sgpr6_sgpr7
	s_andn2_b64 vcc, exec, s[10:11]
	s_cbranch_vccnz .LBB372_4
.LBB372_3:
	s_load_dwordx4 s[12:15], s[0:1], 0x20
	s_mov_b32 s5, 0
	s_lshl_b64 s[6:7], s[4:5], 3
	s_waitcnt lgkmcnt(0)
	s_add_u32 s6, s12, s6
	s_addc_u32 s7, s13, s7
	s_load_dwordx2 s[6:7], s[6:7], 0x0
	s_lshl_b64 s[10:11], s[14:15], 4
	s_waitcnt lgkmcnt(0)
	s_add_u32 s6, s6, s10
	s_addc_u32 s7, s7, s11
.LBB372_4:
	s_xor_b64 s[12:13], s[8:9], -1
	s_andn2_b64 vcc, exec, s[8:9]
	s_mov_b64 s[14:15], 0
	s_cbranch_vccnz .LBB372_6
; %bb.5:
	s_load_dwordx4 s[8:11], s[0:1], 0x40
	s_lshl_b64 s[14:15], s[4:5], 3
	s_waitcnt lgkmcnt(0)
	s_add_u32 s8, s8, s14
	s_addc_u32 s9, s9, s15
	s_load_dwordx2 s[8:9], s[8:9], 0x0
	s_lshl_b64 s[10:11], s[10:11], 4
	s_waitcnt lgkmcnt(0)
	s_add_u32 s14, s8, s10
	s_addc_u32 s15, s9, s11
.LBB372_6:
	s_load_dwordx2 s[20:21], s[0:1], 0x0
	s_load_dwordx2 s[8:9], s[0:1], 0x60
	s_load_dword s22, s[0:1], 0x70
	s_mov_b32 s23, 0
	s_mov_b64 s[24:25], -1
	s_waitcnt lgkmcnt(0)
	s_ashr_i32 s26, s21, 31
	s_mul_hi_u32 s3, s4, s21
	s_mul_i32 s10, s4, s26
	s_add_i32 s3, s3, s10
	s_mul_i32 s5, s5, s21
	s_add_i32 s3, s3, s5
	s_mul_i32 s4, s4, s21
	s_mul_i32 s3, s3, s22
	s_mul_hi_u32 s5, s4, s22
	s_add_i32 s11, s5, s3
	s_mul_i32 s10, s4, s22
	s_andn2_b64 vcc, exec, s[12:13]
	v_cmp_eq_u32_e64 s[4:5], 0, v0
	s_cbranch_vccnz .LBB372_11
; %bb.7:
	s_cmp_gt_i32 s21, 0
	s_cselect_b64 s[12:13], -1, 0
	s_and_b64 s[12:13], s[4:5], s[12:13]
	s_and_saveexec_b64 s[4:5], s[12:13]
	s_cbranch_execz .LBB372_10
; %bb.8:
	s_mov_b32 s3, 0
	s_lshl_b64 s[12:13], s[10:11], 4
	s_lshl_b64 s[24:25], s[2:3], 4
	s_add_u32 s3, s12, s24
	s_addc_u32 s12, s13, s25
	s_add_u32 s3, s3, s8
	s_addc_u32 s13, s12, s9
	s_add_u32 s12, s3, 8
	v_mov_b32_e32 v2, 0
	s_addc_u32 s13, s13, 0
	s_lshl_b64 s[24:25], s[22:23], 4
	v_mov_b32_e32 v3, v2
	v_mov_b32_e32 v4, v2
	;; [unrolled: 1-line block ×3, first 2 shown]
	s_mov_b32 s3, s21
.LBB372_9:                              ; =>This Inner Loop Header: Depth=1
	s_add_i32 s3, s3, -1
	global_store_dwordx4 v2, v[2:5], s[12:13] offset:-8
	s_add_u32 s12, s12, s24
	s_addc_u32 s13, s13, s25
	s_cmp_eq_u32 s3, 0
	s_cbranch_scc0 .LBB372_9
.LBB372_10:
	s_or_b64 exec, exec, s[4:5]
	s_mov_b64 s[24:25], 0
.LBB372_11:
	s_andn2_b64 vcc, exec, s[24:25]
	s_cbranch_vccnz .LBB372_82
; %bb.12:
	s_lshl_b64 s[4:5], s[10:11], 4
	s_add_u32 s44, s8, s4
	s_addc_u32 s45, s9, s5
	s_load_dword s23, s[0:1], 0x30
	s_load_dword s33, s[0:1], 0x50
	s_lshl_b32 s0, s2, 10
	v_lshl_or_b32 v2, v0, 2, s0
	s_lshr_b32 s0, s26, 30
	s_add_i32 s0, s21, s0
	s_and_b32 s3, s0, -4
	s_ashr_i32 s0, s20, 31
	s_lshr_b32 s0, s0, 30
	s_add_i32 s0, s20, s0
	s_and_b32 s0, s0, -4
	v_ashrrev_i32_e32 v3, 31, v2
	s_sub_i32 s42, s20, s0
	v_lshl_add_u64 v[22:23], v[2:3], 4, s[6:7]
	s_cmp_lt_i32 s3, 1
	v_add_u32_e32 v41, 4, v2
	v_add_u32_e32 v42, s42, v2
	v_and_b32_e32 v1, 63, v0
	v_cmp_gt_u32_e64 s[0:1], 64, v0
	v_mbcnt_lo_u32_b32 v40, -1, 0
	v_cmp_gt_u32_e64 s[4:5], 4, v0
	v_lshrrev_b32_e32 v25, 2, v0
	s_waitcnt lgkmcnt(0)
	v_mul_lo_u32 v24, v2, s33
	s_cbranch_scc1 .LBB372_59
; %bb.13:
	v_mbcnt_hi_u32_b32 v3, -1, v40
	v_and_b32_e32 v4, 63, v3
	v_cmp_gt_u32_e32 vcc, 32, v4
	v_mul_lo_u32 v26, v2, s33
	v_add_u32_e32 v2, s33, v26
	v_cndmask_b32_e64 v5, 0, 1, vcc
	v_lshlrev_b32_e32 v5, 5, v5
	v_cmp_gt_u32_e32 vcc, 48, v4
	v_add_lshl_u32 v43, v5, v3, 2
	s_mov_b32 s25, 0
	v_cndmask_b32_e64 v5, 0, 1, vcc
	v_lshlrev_b32_e32 v5, 4, v5
	v_cmp_gt_u32_e32 vcc, 56, v4
	v_add_lshl_u32 v44, v5, v3, 2
	s_cmp_gt_i32 s42, 0
	v_cndmask_b32_e64 v5, 0, 1, vcc
	v_lshlrev_b32_e32 v5, 3, v5
	v_cmp_gt_u32_e32 vcc, 60, v4
	v_add_lshl_u32 v45, v5, v3, 2
	v_ashrrev_i32_e32 v27, 31, v26
	v_cndmask_b32_e64 v5, 0, 1, vcc
	v_lshlrev_b32_e32 v5, 2, v5
	v_cmp_gt_u32_e32 vcc, 62, v4
	v_add_lshl_u32 v46, v5, v3, 2
	v_cmp_ge_i32_e64 s[6:7], s20, v41
	v_cndmask_b32_e64 v5, 0, 1, vcc
	v_lshlrev_b32_e32 v5, 1, v5
	v_cmp_ne_u32_e32 vcc, 63, v4
	v_add_lshl_u32 v47, v5, v3, 2
	v_mov_b32_e32 v4, 0
	v_addc_co_u32_e32 v3, vcc, 0, v3, vcc
	v_lshlrev_b32_e32 v48, 2, v3
	v_ashrrev_i32_e32 v3, 31, v2
	v_lshl_add_u64 v[30:31], v[2:3], 4, s[14:15]
	v_add_u32_e32 v2, s33, v2
	v_ashrrev_i32_e32 v3, 31, v2
	v_lshl_add_u64 v[32:33], v[2:3], 4, s[14:15]
	v_add_u32_e32 v2, s33, v2
	v_ashrrev_i32_e32 v3, 31, v2
	v_cmp_ge_i32_e64 s[8:9], s20, v42
	s_cselect_b64 s[26:27], -1, 0
	v_cmp_eq_u32_e64 s[10:11], 0, v1
	v_lshlrev_b32_e32 v49, 4, v1
	v_and_b32_e32 v50, 48, v25
	v_cmp_eq_u32_e64 s[12:13], 0, v0
	v_lshl_add_u64 v[28:29], v[26:27], 4, s[14:15]
	v_add_u32_e32 v27, 16, v4
	v_add_u32_e32 v51, 32, v4
	v_lshl_add_u64 v[34:35], v[2:3], 4, s[14:15]
	v_add_u32_e32 v52, 48, v4
	s_lshl_b32 s46, s23, 2
	s_lshl_b32 s47, s23, 1
	s_mul_i32 s48, s23, 3
	v_mov_b32_e32 v2, 0
	s_mov_b32 s28, s25
	s_mov_b32 s49, s23
	;; [unrolled: 1-line block ×3, first 2 shown]
	s_branch .LBB372_15
.LBB372_14:                             ;   in Loop: Header=BB372_15 Depth=1
	s_or_b64 exec, exec, s[30:31]
	s_add_i32 s43, s43, 4
	s_add_i32 s49, s49, s46
	;; [unrolled: 1-line block ×5, first 2 shown]
	s_cmp_ge_i32 s43, s3
	s_cbranch_scc1 .LBB372_60
.LBB372_15:                             ; =>This Loop Header: Depth=1
                                        ;     Child Loop BB372_46 Depth 2
                                        ;     Child Loop BB372_48 Depth 2
                                        ; implicit-def: $vgpr18_vgpr19
                                        ; implicit-def: $vgpr20_vgpr21
                                        ; implicit-def: $vgpr14_vgpr15
                                        ; implicit-def: $vgpr16_vgpr17
                                        ; implicit-def: $vgpr10_vgpr11
                                        ; implicit-def: $vgpr12_vgpr13
                                        ; implicit-def: $vgpr36_vgpr37
                                        ; implicit-def: $vgpr8_vgpr9
	s_and_saveexec_b64 s[30:31], s[6:7]
	s_xor_b64 s[30:31], exec, s[30:31]
	s_cbranch_execnz .LBB372_42
; %bb.16:                               ;   in Loop: Header=BB372_15 Depth=1
	s_andn2_saveexec_b64 s[30:31], s[30:31]
	s_cbranch_execnz .LBB372_43
.LBB372_17:                             ;   in Loop: Header=BB372_15 Depth=1
	s_or_b64 exec, exec, s[30:31]
	s_and_saveexec_b64 s[30:31], s[0:1]
	s_cbranch_execz .LBB372_19
.LBB372_18:                             ;   in Loop: Header=BB372_15 Depth=1
	v_mov_b32_e32 v3, v2
	v_mov_b32_e32 v4, v2
	;; [unrolled: 1-line block ×3, first 2 shown]
	ds_write_b128 v49, v[2:5]
.LBB372_19:                             ;   in Loop: Header=BB372_15 Depth=1
	s_or_b64 exec, exec, s[30:31]
	ds_bpermute_b32 v4, v43, v36
	ds_bpermute_b32 v5, v43, v37
	;; [unrolled: 1-line block ×4, first 2 shown]
	s_waitcnt lgkmcnt(0)
	s_barrier
	v_add_f64 v[4:5], v[36:37], v[4:5]
	v_add_f64 v[6:7], v[8:9], v[6:7]
	ds_bpermute_b32 v8, v44, v4
	ds_bpermute_b32 v9, v44, v5
	;; [unrolled: 1-line block ×4, first 2 shown]
	s_waitcnt lgkmcnt(2)
	v_add_f64 v[4:5], v[4:5], v[8:9]
	ds_bpermute_b32 v8, v45, v4
	s_waitcnt lgkmcnt(1)
	v_add_f64 v[6:7], v[6:7], v[36:37]
	ds_bpermute_b32 v9, v45, v5
	ds_bpermute_b32 v36, v45, v6
	ds_bpermute_b32 v37, v45, v7
	s_waitcnt lgkmcnt(2)
	v_add_f64 v[4:5], v[4:5], v[8:9]
	ds_bpermute_b32 v8, v46, v4
	s_waitcnt lgkmcnt(1)
	v_add_f64 v[6:7], v[6:7], v[36:37]
	ds_bpermute_b32 v9, v46, v5
	ds_bpermute_b32 v36, v46, v6
	ds_bpermute_b32 v37, v46, v7
	;; [unrolled: 8-line block ×3, first 2 shown]
	s_waitcnt lgkmcnt(2)
	v_add_f64 v[4:5], v[4:5], v[8:9]
	s_waitcnt lgkmcnt(0)
	v_add_f64 v[8:9], v[6:7], v[36:37]
	ds_bpermute_b32 v6, v48, v4
	ds_bpermute_b32 v7, v48, v5
	;; [unrolled: 1-line block ×4, first 2 shown]
	s_and_saveexec_b64 s[30:31], s[10:11]
	s_cbranch_execz .LBB372_21
; %bb.20:                               ;   in Loop: Header=BB372_15 Depth=1
	s_waitcnt lgkmcnt(0)
	v_add_f64 v[8:9], v[8:9], v[36:37]
	v_add_f64 v[6:7], v[4:5], v[6:7]
	ds_write_b128 v50, v[6:9]
.LBB372_21:                             ;   in Loop: Header=BB372_15 Depth=1
	s_or_b64 exec, exec, s[30:31]
	v_mov_b64_e32 v[8:9], 0
	s_waitcnt lgkmcnt(2)
	v_mov_b64_e32 v[6:7], v[8:9]
	s_waitcnt lgkmcnt(0)
	s_barrier
	s_and_saveexec_b64 s[30:31], s[4:5]
	s_cbranch_execnz .LBB372_50
; %bb.22:                               ;   in Loop: Header=BB372_15 Depth=1
	s_or_b64 exec, exec, s[30:31]
	s_and_saveexec_b64 s[30:31], s[0:1]
	s_cbranch_execnz .LBB372_51
.LBB372_23:                             ;   in Loop: Header=BB372_15 Depth=1
	s_or_b64 exec, exec, s[30:31]
	s_and_saveexec_b64 s[30:31], s[0:1]
	s_cbranch_execz .LBB372_25
.LBB372_24:                             ;   in Loop: Header=BB372_15 Depth=1
	v_mov_b32_e32 v3, v2
	v_mov_b32_e32 v4, v2
	;; [unrolled: 1-line block ×3, first 2 shown]
	ds_write_b128 v49, v[2:5]
.LBB372_25:                             ;   in Loop: Header=BB372_15 Depth=1
	s_or_b64 exec, exec, s[30:31]
	ds_bpermute_b32 v4, v43, v10
	ds_bpermute_b32 v5, v43, v11
	;; [unrolled: 1-line block ×4, first 2 shown]
	s_waitcnt lgkmcnt(0)
	s_barrier
	v_add_f64 v[4:5], v[10:11], v[4:5]
	v_add_f64 v[10:11], v[12:13], v[36:37]
	ds_bpermute_b32 v12, v44, v4
	ds_bpermute_b32 v13, v44, v5
	;; [unrolled: 1-line block ×4, first 2 shown]
	s_waitcnt lgkmcnt(2)
	v_add_f64 v[4:5], v[4:5], v[12:13]
	ds_bpermute_b32 v12, v45, v4
	s_waitcnt lgkmcnt(1)
	v_add_f64 v[10:11], v[10:11], v[36:37]
	ds_bpermute_b32 v13, v45, v5
	ds_bpermute_b32 v36, v45, v10
	ds_bpermute_b32 v37, v45, v11
	s_waitcnt lgkmcnt(2)
	v_add_f64 v[4:5], v[4:5], v[12:13]
	ds_bpermute_b32 v12, v46, v4
	s_waitcnt lgkmcnt(1)
	v_add_f64 v[10:11], v[10:11], v[36:37]
	ds_bpermute_b32 v13, v46, v5
	ds_bpermute_b32 v36, v46, v10
	ds_bpermute_b32 v37, v46, v11
	;; [unrolled: 8-line block ×3, first 2 shown]
	s_waitcnt lgkmcnt(2)
	v_add_f64 v[4:5], v[4:5], v[12:13]
	s_waitcnt lgkmcnt(0)
	v_add_f64 v[12:13], v[10:11], v[36:37]
	ds_bpermute_b32 v10, v48, v4
	ds_bpermute_b32 v11, v48, v5
	ds_bpermute_b32 v36, v48, v12
	ds_bpermute_b32 v37, v48, v13
	s_and_saveexec_b64 s[30:31], s[10:11]
	s_cbranch_execz .LBB372_27
; %bb.26:                               ;   in Loop: Header=BB372_15 Depth=1
	s_waitcnt lgkmcnt(0)
	v_add_f64 v[12:13], v[12:13], v[36:37]
	v_add_f64 v[10:11], v[4:5], v[10:11]
	ds_write_b128 v50, v[10:13]
.LBB372_27:                             ;   in Loop: Header=BB372_15 Depth=1
	s_or_b64 exec, exec, s[30:31]
	v_mov_b64_e32 v[12:13], 0
	s_waitcnt lgkmcnt(2)
	v_mov_b64_e32 v[10:11], v[12:13]
	s_waitcnt lgkmcnt(0)
	s_barrier
	s_and_saveexec_b64 s[30:31], s[4:5]
	s_cbranch_execnz .LBB372_52
; %bb.28:                               ;   in Loop: Header=BB372_15 Depth=1
	s_or_b64 exec, exec, s[30:31]
	s_and_saveexec_b64 s[30:31], s[0:1]
	s_cbranch_execnz .LBB372_53
.LBB372_29:                             ;   in Loop: Header=BB372_15 Depth=1
	s_or_b64 exec, exec, s[30:31]
	s_and_saveexec_b64 s[30:31], s[0:1]
	s_cbranch_execz .LBB372_31
.LBB372_30:                             ;   in Loop: Header=BB372_15 Depth=1
	v_mov_b32_e32 v3, v2
	v_mov_b32_e32 v4, v2
	v_mov_b32_e32 v5, v2
	ds_write_b128 v49, v[2:5]
.LBB372_31:                             ;   in Loop: Header=BB372_15 Depth=1
	s_or_b64 exec, exec, s[30:31]
	ds_bpermute_b32 v4, v43, v14
	ds_bpermute_b32 v5, v43, v15
	;; [unrolled: 1-line block ×4, first 2 shown]
	s_waitcnt lgkmcnt(0)
	s_barrier
	v_add_f64 v[4:5], v[14:15], v[4:5]
	v_add_f64 v[14:15], v[16:17], v[36:37]
	ds_bpermute_b32 v16, v44, v4
	ds_bpermute_b32 v17, v44, v5
	;; [unrolled: 1-line block ×4, first 2 shown]
	s_waitcnt lgkmcnt(2)
	v_add_f64 v[4:5], v[4:5], v[16:17]
	ds_bpermute_b32 v16, v45, v4
	s_waitcnt lgkmcnt(1)
	v_add_f64 v[14:15], v[14:15], v[36:37]
	ds_bpermute_b32 v17, v45, v5
	ds_bpermute_b32 v36, v45, v14
	ds_bpermute_b32 v37, v45, v15
	s_waitcnt lgkmcnt(2)
	v_add_f64 v[4:5], v[4:5], v[16:17]
	ds_bpermute_b32 v16, v46, v4
	s_waitcnt lgkmcnt(1)
	v_add_f64 v[14:15], v[14:15], v[36:37]
	ds_bpermute_b32 v17, v46, v5
	ds_bpermute_b32 v36, v46, v14
	ds_bpermute_b32 v37, v46, v15
	;; [unrolled: 8-line block ×3, first 2 shown]
	s_waitcnt lgkmcnt(2)
	v_add_f64 v[4:5], v[4:5], v[16:17]
	s_waitcnt lgkmcnt(0)
	v_add_f64 v[16:17], v[14:15], v[36:37]
	ds_bpermute_b32 v14, v48, v4
	ds_bpermute_b32 v15, v48, v5
	;; [unrolled: 1-line block ×4, first 2 shown]
	s_and_saveexec_b64 s[30:31], s[10:11]
	s_cbranch_execz .LBB372_33
; %bb.32:                               ;   in Loop: Header=BB372_15 Depth=1
	s_waitcnt lgkmcnt(0)
	v_add_f64 v[16:17], v[16:17], v[36:37]
	v_add_f64 v[14:15], v[4:5], v[14:15]
	ds_write_b128 v50, v[14:17]
.LBB372_33:                             ;   in Loop: Header=BB372_15 Depth=1
	s_or_b64 exec, exec, s[30:31]
	v_mov_b64_e32 v[16:17], 0
	s_waitcnt lgkmcnt(2)
	v_mov_b64_e32 v[14:15], v[16:17]
	s_waitcnt lgkmcnt(0)
	s_barrier
	s_and_saveexec_b64 s[30:31], s[4:5]
	s_cbranch_execnz .LBB372_54
; %bb.34:                               ;   in Loop: Header=BB372_15 Depth=1
	s_or_b64 exec, exec, s[30:31]
	s_and_saveexec_b64 s[30:31], s[0:1]
	s_cbranch_execnz .LBB372_55
.LBB372_35:                             ;   in Loop: Header=BB372_15 Depth=1
	s_or_b64 exec, exec, s[30:31]
	s_and_saveexec_b64 s[30:31], s[0:1]
	s_cbranch_execz .LBB372_37
.LBB372_36:                             ;   in Loop: Header=BB372_15 Depth=1
	v_mov_b32_e32 v3, v2
	v_mov_b32_e32 v4, v2
	;; [unrolled: 1-line block ×3, first 2 shown]
	ds_write_b128 v49, v[2:5]
.LBB372_37:                             ;   in Loop: Header=BB372_15 Depth=1
	s_or_b64 exec, exec, s[30:31]
	ds_bpermute_b32 v4, v43, v18
	ds_bpermute_b32 v5, v43, v19
	ds_bpermute_b32 v36, v43, v20
	ds_bpermute_b32 v37, v43, v21
	s_waitcnt lgkmcnt(0)
	s_barrier
	v_add_f64 v[4:5], v[18:19], v[4:5]
	v_add_f64 v[18:19], v[20:21], v[36:37]
	ds_bpermute_b32 v20, v44, v4
	ds_bpermute_b32 v21, v44, v5
	ds_bpermute_b32 v36, v44, v18
	ds_bpermute_b32 v37, v44, v19
	s_waitcnt lgkmcnt(2)
	v_add_f64 v[4:5], v[4:5], v[20:21]
	ds_bpermute_b32 v20, v45, v4
	s_waitcnt lgkmcnt(1)
	v_add_f64 v[18:19], v[18:19], v[36:37]
	ds_bpermute_b32 v21, v45, v5
	ds_bpermute_b32 v36, v45, v18
	ds_bpermute_b32 v37, v45, v19
	s_waitcnt lgkmcnt(2)
	v_add_f64 v[4:5], v[4:5], v[20:21]
	ds_bpermute_b32 v20, v46, v4
	s_waitcnt lgkmcnt(1)
	v_add_f64 v[18:19], v[18:19], v[36:37]
	ds_bpermute_b32 v21, v46, v5
	ds_bpermute_b32 v36, v46, v18
	ds_bpermute_b32 v37, v46, v19
	;; [unrolled: 8-line block ×3, first 2 shown]
	s_waitcnt lgkmcnt(2)
	v_add_f64 v[4:5], v[4:5], v[20:21]
	s_waitcnt lgkmcnt(0)
	v_add_f64 v[20:21], v[18:19], v[36:37]
	ds_bpermute_b32 v18, v48, v4
	ds_bpermute_b32 v19, v48, v5
	ds_bpermute_b32 v36, v48, v20
	ds_bpermute_b32 v37, v48, v21
	s_and_saveexec_b64 s[30:31], s[10:11]
	s_cbranch_execz .LBB372_39
; %bb.38:                               ;   in Loop: Header=BB372_15 Depth=1
	s_waitcnt lgkmcnt(0)
	v_add_f64 v[20:21], v[20:21], v[36:37]
	v_add_f64 v[18:19], v[4:5], v[18:19]
	ds_write_b128 v50, v[18:21]
.LBB372_39:                             ;   in Loop: Header=BB372_15 Depth=1
	s_or_b64 exec, exec, s[30:31]
	v_mov_b64_e32 v[20:21], 0
	s_waitcnt lgkmcnt(2)
	v_mov_b64_e32 v[18:19], v[20:21]
	s_waitcnt lgkmcnt(0)
	s_barrier
	s_and_saveexec_b64 s[30:31], s[4:5]
	s_cbranch_execnz .LBB372_56
; %bb.40:                               ;   in Loop: Header=BB372_15 Depth=1
	s_or_b64 exec, exec, s[30:31]
	s_and_saveexec_b64 s[30:31], s[0:1]
	s_cbranch_execnz .LBB372_57
.LBB372_41:                             ;   in Loop: Header=BB372_15 Depth=1
	s_or_b64 exec, exec, s[30:31]
	s_and_saveexec_b64 s[30:31], s[12:13]
	s_cbranch_execz .LBB372_14
	s_branch .LBB372_58
.LBB372_42:                             ;   in Loop: Header=BB372_15 Depth=1
	flat_load_dwordx4 v[4:7], v[28:29]
	flat_load_dwordx4 v[8:11], v[30:31]
	s_mul_i32 s34, s43, s23
	s_ashr_i32 s35, s34, 31
	s_waitcnt vmcnt(0) lgkmcnt(0)
	scratch_store_dwordx4 off, v[4:7], off
	scratch_store_dwordx4 v27, v[8:11], off
	flat_load_dwordx4 v[8:11], v[32:33]
	s_waitcnt vmcnt(0) lgkmcnt(0)
	scratch_store_dwordx4 v51, v[8:11], off
	flat_load_dwordx4 v[8:11], v[34:35]
	s_waitcnt vmcnt(0) lgkmcnt(0)
	scratch_store_dwordx4 v52, v[8:11], off
	s_nop 1
	v_lshl_add_u64 v[8:9], s[34:35], 4, v[22:23]
	flat_load_dwordx4 v[10:13], v[8:9]
	s_add_i32 s34, s34, s23
	s_ashr_i32 s35, s34, 31
	s_waitcnt vmcnt(0) lgkmcnt(0)
	v_mul_f64 v[14:15], v[6:7], v[12:13]
	v_mul_f64 v[12:13], v[4:5], v[12:13]
	v_fmac_f64_e32 v[14:15], v[4:5], v[10:11]
	v_fma_f64 v[10:11], v[6:7], v[10:11], -v[12:13]
	v_add_f64 v[54:55], v[10:11], 0
	v_lshl_add_u64 v[10:11], s[34:35], 4, v[22:23]
	v_add_f64 v[20:21], v[14:15], 0
	flat_load_dwordx4 v[12:15], v[10:11]
	s_add_i32 s34, s34, s23
	s_ashr_i32 s35, s34, 31
	s_waitcnt vmcnt(0) lgkmcnt(0)
	v_mul_f64 v[16:17], v[6:7], v[14:15]
	v_mul_f64 v[14:15], v[4:5], v[14:15]
	v_fmac_f64_e32 v[16:17], v[4:5], v[12:13]
	v_fma_f64 v[12:13], v[6:7], v[12:13], -v[14:15]
	v_lshl_add_u64 v[14:15], s[34:35], 4, v[22:23]
	v_add_f64 v[56:57], v[16:17], 0
	flat_load_dwordx4 v[16:19], v[14:15]
	s_add_i32 s34, s34, s23
	s_ashr_i32 s35, s34, 31
	v_add_f64 v[12:13], v[12:13], 0
	s_waitcnt vmcnt(0) lgkmcnt(0)
	v_mul_f64 v[36:37], v[6:7], v[18:19]
	v_mul_f64 v[18:19], v[4:5], v[18:19]
	v_fmac_f64_e32 v[36:37], v[4:5], v[16:17]
	v_fma_f64 v[16:17], v[6:7], v[16:17], -v[18:19]
	v_lshl_add_u64 v[18:19], s[34:35], 4, v[22:23]
	v_add_f64 v[58:59], v[36:37], 0
	flat_load_dwordx4 v[36:39], v[18:19]
	v_add_f64 v[16:17], v[16:17], 0
	s_waitcnt vmcnt(0) lgkmcnt(0)
	v_mul_f64 v[60:61], v[6:7], v[38:39]
	v_fmac_f64_e32 v[60:61], v[4:5], v[36:37]
	v_mul_f64 v[4:5], v[4:5], v[38:39]
	v_fma_f64 v[4:5], v[6:7], v[36:37], -v[4:5]
	v_add_f64 v[62:63], v[4:5], 0
	scratch_load_dwordx4 v[4:7], off, off offset:16
	flat_load_dwordx4 v[36:39], v[8:9] offset:16
	v_add_f64 v[60:61], v[60:61], 0
	s_waitcnt vmcnt(0) lgkmcnt(0)
	v_mul_f64 v[64:65], v[6:7], v[38:39]
	v_mul_f64 v[38:39], v[4:5], v[38:39]
	v_fmac_f64_e32 v[64:65], v[4:5], v[36:37]
	v_fma_f64 v[36:37], v[6:7], v[36:37], -v[38:39]
	v_add_f64 v[54:55], v[54:55], v[36:37]
	flat_load_dwordx4 v[36:39], v[10:11] offset:16
	v_add_f64 v[20:21], v[20:21], v[64:65]
	s_waitcnt vmcnt(0) lgkmcnt(0)
	v_mul_f64 v[64:65], v[6:7], v[38:39]
	v_mul_f64 v[38:39], v[4:5], v[38:39]
	v_fmac_f64_e32 v[64:65], v[4:5], v[36:37]
	v_fma_f64 v[36:37], v[6:7], v[36:37], -v[38:39]
	v_add_f64 v[12:13], v[12:13], v[36:37]
	;; [unrolled: 8-line block ×3, first 2 shown]
	flat_load_dwordx4 v[36:39], v[18:19] offset:16
	v_add_f64 v[58:59], v[58:59], v[64:65]
	s_waitcnt vmcnt(0) lgkmcnt(0)
	v_mul_f64 v[64:65], v[6:7], v[38:39]
	v_fmac_f64_e32 v[64:65], v[4:5], v[36:37]
	v_mul_f64 v[4:5], v[4:5], v[38:39]
	v_fma_f64 v[4:5], v[6:7], v[36:37], -v[4:5]
	v_add_f64 v[62:63], v[62:63], v[4:5]
	scratch_load_dwordx4 v[4:7], off, off offset:32
	flat_load_dwordx4 v[36:39], v[8:9] offset:32
	v_add_f64 v[60:61], v[60:61], v[64:65]
	s_waitcnt vmcnt(0) lgkmcnt(0)
	v_mul_f64 v[64:65], v[6:7], v[38:39]
	v_mul_f64 v[38:39], v[4:5], v[38:39]
	v_fmac_f64_e32 v[64:65], v[4:5], v[36:37]
	v_fma_f64 v[36:37], v[6:7], v[36:37], -v[38:39]
	v_add_f64 v[66:67], v[54:55], v[36:37]
	flat_load_dwordx4 v[36:39], v[10:11] offset:32
	v_add_f64 v[64:65], v[20:21], v[64:65]
	s_waitcnt vmcnt(0) lgkmcnt(0)
	v_mul_f64 v[20:21], v[6:7], v[38:39]
	v_mul_f64 v[38:39], v[4:5], v[38:39]
	v_fmac_f64_e32 v[20:21], v[4:5], v[36:37]
	v_fma_f64 v[36:37], v[6:7], v[36:37], -v[38:39]
	v_add_f64 v[70:71], v[12:13], v[36:37]
	flat_load_dwordx4 v[36:39], v[14:15] offset:32
	v_add_f64 v[68:69], v[56:57], v[20:21]
	s_waitcnt vmcnt(0) lgkmcnt(0)
	v_mul_f64 v[12:13], v[6:7], v[38:39]
	v_mul_f64 v[20:21], v[4:5], v[38:39]
	v_fmac_f64_e32 v[12:13], v[4:5], v[36:37]
	v_fma_f64 v[20:21], v[6:7], v[36:37], -v[20:21]
	flat_load_dwordx4 v[36:39], v[18:19] offset:32
	v_add_f64 v[58:59], v[58:59], v[12:13]
	v_add_f64 v[72:73], v[16:17], v[20:21]
	s_waitcnt vmcnt(0) lgkmcnt(0)
	v_mul_f64 v[12:13], v[6:7], v[38:39]
	v_fmac_f64_e32 v[12:13], v[4:5], v[36:37]
	v_mul_f64 v[4:5], v[4:5], v[38:39]
	v_fma_f64 v[4:5], v[6:7], v[36:37], -v[4:5]
	v_add_f64 v[38:39], v[62:63], v[4:5]
	scratch_load_dwordx4 v[4:7], off, off offset:48
	flat_load_dwordx4 v[54:57], v[8:9] offset:48
	v_add_f64 v[20:21], v[60:61], v[12:13]
	s_waitcnt vmcnt(0) lgkmcnt(0)
	v_mul_f64 v[8:9], v[6:7], v[56:57]
	v_mul_f64 v[12:13], v[4:5], v[56:57]
	v_fmac_f64_e32 v[8:9], v[4:5], v[54:55]
	v_fma_f64 v[12:13], v[6:7], v[54:55], -v[12:13]
	v_add_f64 v[36:37], v[64:65], v[8:9]
	v_add_f64 v[8:9], v[66:67], v[12:13]
	flat_load_dwordx4 v[10:13], v[10:11] offset:48
	s_waitcnt vmcnt(0) lgkmcnt(0)
	v_mul_f64 v[16:17], v[6:7], v[12:13]
	v_fmac_f64_e32 v[16:17], v[4:5], v[10:11]
	v_mul_f64 v[12:13], v[4:5], v[12:13]
	v_fma_f64 v[12:13], v[6:7], v[10:11], -v[12:13]
	v_add_f64 v[10:11], v[68:69], v[16:17]
	flat_load_dwordx4 v[14:17], v[14:15] offset:48
	v_add_f64 v[12:13], v[70:71], v[12:13]
	s_waitcnt vmcnt(0) lgkmcnt(0)
	v_mul_f64 v[54:55], v[6:7], v[16:17]
	v_fmac_f64_e32 v[54:55], v[4:5], v[14:15]
	v_mul_f64 v[16:17], v[4:5], v[16:17]
	v_fma_f64 v[16:17], v[6:7], v[14:15], -v[16:17]
	v_add_f64 v[14:15], v[58:59], v[54:55]
	flat_load_dwordx4 v[54:57], v[18:19] offset:48
	v_add_f64 v[16:17], v[72:73], v[16:17]
	s_waitcnt vmcnt(0) lgkmcnt(0)
	v_mul_f64 v[18:19], v[6:7], v[56:57]
	v_fmac_f64_e32 v[18:19], v[4:5], v[54:55]
	v_mul_f64 v[4:5], v[4:5], v[56:57]
	v_fma_f64 v[4:5], v[6:7], v[54:55], -v[4:5]
	v_add_f64 v[18:19], v[20:21], v[18:19]
	v_add_f64 v[20:21], v[38:39], v[4:5]
	s_andn2_saveexec_b64 s[30:31], s[30:31]
	s_cbranch_execz .LBB372_17
.LBB372_43:                             ;   in Loop: Header=BB372_15 Depth=1
	s_waitcnt lgkmcnt(0)
	v_mov_b64_e32 v[18:19], 0
	v_mov_b64_e32 v[20:21], v[18:19]
	v_mov_b64_e32 v[14:15], v[18:19]
	v_mov_b64_e32 v[16:17], v[18:19]
	v_mov_b64_e32 v[10:11], v[18:19]
	v_mov_b64_e32 v[12:13], v[18:19]
	v_mov_b64_e32 v[36:37], v[18:19]
	v_mov_b64_e32 v[8:9], v[18:19]
	s_and_saveexec_b64 s[34:35], s[8:9]
	s_cbranch_execz .LBB372_49
; %bb.44:                               ;   in Loop: Header=BB372_15 Depth=1
	v_mov_b64_e32 v[18:19], 0
	s_andn2_b64 vcc, exec, s[26:27]
	v_mov_b64_e32 v[20:21], v[18:19]
	v_mov_b64_e32 v[14:15], v[18:19]
	;; [unrolled: 1-line block ×7, first 2 shown]
	s_cbranch_vccnz .LBB372_49
; %bb.45:                               ;   in Loop: Header=BB372_15 Depth=1
	v_mov_b32_e32 v3, 0
	v_mov_b32_e32 v4, v26
	s_mov_b32 s24, s42
.LBB372_46:                             ;   Parent Loop BB372_15 Depth=1
                                        ; =>  This Inner Loop Header: Depth=2
	v_ashrrev_i32_e32 v5, 31, v4
	v_lshl_add_u64 v[6:7], v[4:5], 4, s[14:15]
	flat_load_dwordx4 v[6:9], v[6:7]
	s_add_i32 s24, s24, -1
	v_add_u32_e32 v4, s33, v4
	s_cmp_eq_u32 s24, 0
	s_waitcnt vmcnt(0) lgkmcnt(0)
	scratch_store_dwordx4 v3, v[6:9], off
	v_add_u32_e32 v3, 16, v3
	s_cbranch_scc0 .LBB372_46
; %bb.47:                               ;   in Loop: Header=BB372_15 Depth=1
	s_ashr_i32 s29, s28, 31
	v_mov_b64_e32 v[8:9], 0
	v_lshl_add_u64 v[4:5], s[28:29], 4, v[22:23]
	v_mov_b32_e32 v3, 0
	s_mov_b32 s36, s48
	s_mov_b32 s38, s47
	;; [unrolled: 1-line block ×4, first 2 shown]
	v_mov_b64_e32 v[36:37], v[8:9]
	v_mov_b64_e32 v[12:13], v[8:9]
	;; [unrolled: 1-line block ×7, first 2 shown]
.LBB372_48:                             ;   Parent Loop BB372_15 Depth=1
                                        ; =>  This Inner Loop Header: Depth=2
	scratch_load_dwordx4 v[54:57], v3, off
	flat_load_dwordx4 v[58:61], v[4:5]
	s_ashr_i32 s41, s40, 31
	s_ashr_i32 s39, s38, 31
	;; [unrolled: 1-line block ×3, first 2 shown]
	s_add_i32 s24, s24, -1
	v_add_u32_e32 v3, 16, v3
	v_lshl_add_u64 v[4:5], v[4:5], 0, 16
	s_waitcnt vmcnt(0) lgkmcnt(0)
	v_mul_f64 v[6:7], v[56:57], v[60:61]
	v_fmac_f64_e32 v[6:7], v[54:55], v[58:59]
	v_mul_f64 v[38:39], v[54:55], v[60:61]
	v_add_f64 v[36:37], v[36:37], v[6:7]
	v_lshl_add_u64 v[6:7], s[40:41], 4, v[22:23]
	v_fma_f64 v[38:39], v[56:57], v[58:59], -v[38:39]
	flat_load_dwordx4 v[58:61], v[6:7]
	v_add_f64 v[8:9], v[8:9], v[38:39]
	s_add_i32 s40, s40, 1
	s_waitcnt vmcnt(0) lgkmcnt(0)
	v_mul_f64 v[6:7], v[56:57], v[60:61]
	v_fmac_f64_e32 v[6:7], v[54:55], v[58:59]
	v_mul_f64 v[38:39], v[54:55], v[60:61]
	v_add_f64 v[10:11], v[10:11], v[6:7]
	v_lshl_add_u64 v[6:7], s[38:39], 4, v[22:23]
	v_fma_f64 v[38:39], v[56:57], v[58:59], -v[38:39]
	flat_load_dwordx4 v[58:61], v[6:7]
	v_add_f64 v[12:13], v[12:13], v[38:39]
	s_add_i32 s38, s38, 1
	;; [unrolled: 10-line block ×3, first 2 shown]
	s_cmp_lg_u32 s24, 0
	s_waitcnt vmcnt(0) lgkmcnt(0)
	v_mul_f64 v[6:7], v[56:57], v[60:61]
	v_mul_f64 v[38:39], v[54:55], v[60:61]
	v_fmac_f64_e32 v[6:7], v[54:55], v[58:59]
	v_fma_f64 v[38:39], v[56:57], v[58:59], -v[38:39]
	v_add_f64 v[18:19], v[18:19], v[6:7]
	v_add_f64 v[20:21], v[20:21], v[38:39]
	s_cbranch_scc1 .LBB372_48
.LBB372_49:                             ;   in Loop: Header=BB372_15 Depth=1
	s_or_b64 exec, exec, s[34:35]
	s_or_b64 exec, exec, s[30:31]
	s_and_saveexec_b64 s[30:31], s[0:1]
	s_cbranch_execnz .LBB372_18
	s_branch .LBB372_19
.LBB372_50:                             ;   in Loop: Header=BB372_15 Depth=1
	ds_read_b128 v[6:9], v49
	s_or_b64 exec, exec, s[30:31]
	s_and_saveexec_b64 s[30:31], s[0:1]
	s_cbranch_execz .LBB372_23
.LBB372_51:                             ;   in Loop: Header=BB372_15 Depth=1
	s_waitcnt lgkmcnt(0)
	ds_bpermute_b32 v4, v47, v6
	ds_bpermute_b32 v5, v47, v7
	;; [unrolled: 1-line block ×4, first 2 shown]
	s_waitcnt lgkmcnt(2)
	v_add_f64 v[4:5], v[6:7], v[4:5]
	ds_bpermute_b32 v6, v48, v4
	s_waitcnt lgkmcnt(1)
	v_add_f64 v[8:9], v[8:9], v[36:37]
	ds_bpermute_b32 v7, v48, v5
	ds_bpermute_b32 v36, v48, v8
	ds_bpermute_b32 v37, v48, v9
	s_waitcnt lgkmcnt(2)
	v_add_f64 v[6:7], v[4:5], v[6:7]
	s_waitcnt lgkmcnt(0)
	v_add_f64 v[8:9], v[8:9], v[36:37]
	s_or_b64 exec, exec, s[30:31]
	s_and_saveexec_b64 s[30:31], s[0:1]
	s_cbranch_execnz .LBB372_24
	s_branch .LBB372_25
.LBB372_52:                             ;   in Loop: Header=BB372_15 Depth=1
	ds_read_b128 v[10:13], v49
	s_or_b64 exec, exec, s[30:31]
	s_and_saveexec_b64 s[30:31], s[0:1]
	s_cbranch_execz .LBB372_29
.LBB372_53:                             ;   in Loop: Header=BB372_15 Depth=1
	s_waitcnt lgkmcnt(0)
	ds_bpermute_b32 v4, v47, v10
	ds_bpermute_b32 v5, v47, v11
	;; [unrolled: 1-line block ×4, first 2 shown]
	s_waitcnt lgkmcnt(2)
	v_add_f64 v[4:5], v[10:11], v[4:5]
	ds_bpermute_b32 v10, v48, v4
	s_waitcnt lgkmcnt(1)
	v_add_f64 v[12:13], v[12:13], v[36:37]
	ds_bpermute_b32 v11, v48, v5
	ds_bpermute_b32 v36, v48, v12
	;; [unrolled: 1-line block ×3, first 2 shown]
	s_waitcnt lgkmcnt(2)
	v_add_f64 v[10:11], v[4:5], v[10:11]
	s_waitcnt lgkmcnt(0)
	v_add_f64 v[12:13], v[12:13], v[36:37]
	s_or_b64 exec, exec, s[30:31]
	s_and_saveexec_b64 s[30:31], s[0:1]
	s_cbranch_execnz .LBB372_30
	s_branch .LBB372_31
.LBB372_54:                             ;   in Loop: Header=BB372_15 Depth=1
	ds_read_b128 v[14:17], v49
	s_or_b64 exec, exec, s[30:31]
	s_and_saveexec_b64 s[30:31], s[0:1]
	s_cbranch_execz .LBB372_35
.LBB372_55:                             ;   in Loop: Header=BB372_15 Depth=1
	s_waitcnt lgkmcnt(0)
	ds_bpermute_b32 v4, v47, v14
	ds_bpermute_b32 v5, v47, v15
	;; [unrolled: 1-line block ×4, first 2 shown]
	s_waitcnt lgkmcnt(2)
	v_add_f64 v[4:5], v[14:15], v[4:5]
	ds_bpermute_b32 v14, v48, v4
	s_waitcnt lgkmcnt(1)
	v_add_f64 v[16:17], v[16:17], v[36:37]
	ds_bpermute_b32 v15, v48, v5
	ds_bpermute_b32 v36, v48, v16
	;; [unrolled: 1-line block ×3, first 2 shown]
	s_waitcnt lgkmcnt(2)
	v_add_f64 v[14:15], v[4:5], v[14:15]
	s_waitcnt lgkmcnt(0)
	v_add_f64 v[16:17], v[16:17], v[36:37]
	s_or_b64 exec, exec, s[30:31]
	s_and_saveexec_b64 s[30:31], s[0:1]
	s_cbranch_execnz .LBB372_36
	s_branch .LBB372_37
.LBB372_56:                             ;   in Loop: Header=BB372_15 Depth=1
	ds_read_b128 v[18:21], v49
	s_or_b64 exec, exec, s[30:31]
	s_and_saveexec_b64 s[30:31], s[0:1]
	s_cbranch_execz .LBB372_41
.LBB372_57:                             ;   in Loop: Header=BB372_15 Depth=1
	s_waitcnt lgkmcnt(0)
	ds_bpermute_b32 v4, v47, v18
	ds_bpermute_b32 v5, v47, v19
	;; [unrolled: 1-line block ×4, first 2 shown]
	s_waitcnt lgkmcnt(2)
	v_add_f64 v[4:5], v[18:19], v[4:5]
	ds_bpermute_b32 v18, v48, v4
	s_waitcnt lgkmcnt(1)
	v_add_f64 v[20:21], v[20:21], v[36:37]
	ds_bpermute_b32 v19, v48, v5
	ds_bpermute_b32 v36, v48, v20
	ds_bpermute_b32 v37, v48, v21
	s_waitcnt lgkmcnt(2)
	v_add_f64 v[18:19], v[4:5], v[18:19]
	s_waitcnt lgkmcnt(0)
	v_add_f64 v[20:21], v[20:21], v[36:37]
	s_or_b64 exec, exec, s[30:31]
	s_and_saveexec_b64 s[30:31], s[12:13]
	s_cbranch_execz .LBB372_14
.LBB372_58:                             ;   in Loop: Header=BB372_15 Depth=1
	s_mul_i32 s24, s43, s22
	s_add_i32 s24, s24, s2
	s_lshl_b64 s[34:35], s[24:25], 4
	v_mul_f64 v[4:5], s[18:19], v[8:9]
	v_mul_f64 v[38:39], s[16:17], v[8:9]
	s_add_u32 s34, s44, s34
	v_fma_f64 v[36:37], s[16:17], v[6:7], -v[4:5]
	v_fmac_f64_e32 v[38:39], s[18:19], v[6:7]
	s_addc_u32 s35, s45, s35
	s_add_i32 s24, s24, s22
	global_store_dwordx4 v2, v[36:39], s[34:35]
	s_lshl_b64 s[34:35], s[24:25], 4
	v_mul_f64 v[4:5], s[18:19], v[12:13]
	v_mul_f64 v[6:7], s[16:17], v[12:13]
	s_add_u32 s34, s44, s34
	v_fma_f64 v[4:5], s[16:17], v[10:11], -v[4:5]
	v_fmac_f64_e32 v[6:7], s[18:19], v[10:11]
	s_addc_u32 s35, s45, s35
	s_add_i32 s24, s24, s22
	global_store_dwordx4 v2, v[4:7], s[34:35]
	s_lshl_b64 s[34:35], s[24:25], 4
	s_add_u32 s34, s44, s34
	v_mul_f64 v[4:5], s[18:19], v[16:17]
	v_mul_f64 v[6:7], s[16:17], v[16:17]
	v_fma_f64 v[4:5], s[16:17], v[14:15], -v[4:5]
	v_fmac_f64_e32 v[6:7], s[18:19], v[14:15]
	s_addc_u32 s35, s45, s35
	s_add_i32 s24, s24, s22
	global_store_dwordx4 v2, v[4:7], s[34:35]
	s_lshl_b64 s[34:35], s[24:25], 4
	s_add_u32 s34, s44, s34
	s_waitcnt lgkmcnt(0)
	v_mul_f64 v[4:5], s[18:19], v[20:21]
	v_mul_f64 v[6:7], s[16:17], v[20:21]
	v_fma_f64 v[4:5], s[16:17], v[18:19], -v[4:5]
	v_fmac_f64_e32 v[6:7], s[18:19], v[18:19]
	s_addc_u32 s35, s45, s35
	global_store_dwordx4 v2, v[4:7], s[34:35]
	s_branch .LBB372_14
.LBB372_59:
	s_mov_b32 s43, 0
.LBB372_60:
	s_cmp_ge_i32 s43, s21
	s_cbranch_scc1 .LBB372_82
; %bb.61:
	v_mbcnt_hi_u32_b32 v2, -1, v40
	v_and_b32_e32 v3, 63, v2
	v_cmp_gt_u32_e64 s[4:5], 32, v3
	v_cmp_gt_u32_e64 s[0:1], 64, v0
	;; [unrolled: 1-line block ×3, first 2 shown]
	v_cndmask_b32_e64 v4, 0, 1, s[4:5]
	v_lshlrev_b32_e32 v4, 5, v4
	v_cmp_gt_u32_e64 s[4:5], 48, v3
	s_waitcnt lgkmcnt(0)
	v_add_lshl_u32 v19, v4, v2, 2
	v_cmp_eq_u32_e64 s[8:9], 0, v0
	v_cndmask_b32_e64 v4, 0, 1, s[4:5]
	v_lshlrev_b32_e32 v4, 4, v4
	v_cmp_gt_u32_e64 s[4:5], 56, v3
	v_add_lshl_u32 v20, v4, v2, 2
	v_add_u32_e32 v0, s33, v24
	v_cndmask_b32_e64 v4, 0, 1, s[4:5]
	v_lshlrev_b32_e32 v4, 3, v4
	v_cmp_gt_u32_e64 s[4:5], 60, v3
	v_add_lshl_u32 v21, v4, v2, 2
	v_lshlrev_b32_e32 v18, 4, v1
	v_cndmask_b32_e64 v4, 0, 1, s[4:5]
	v_lshlrev_b32_e32 v4, 2, v4
	v_cmp_gt_u32_e64 s[4:5], 62, v3
	v_add_lshl_u32 v26, v4, v2, 2
	s_mov_b32 s3, 0
	v_cndmask_b32_e64 v4, 0, 1, s[4:5]
	v_lshlrev_b32_e32 v4, 1, v4
	v_cmp_ne_u32_e64 s[4:5], 63, v3
	v_add_lshl_u32 v27, v4, v2, 2
	s_cmp_gt_i32 s42, 0
	v_addc_co_u32_e64 v2, s[4:5], 0, v2, s[4:5]
	v_cmp_eq_u32_e64 s[4:5], 0, v1
	v_ashrrev_i32_e32 v1, 31, v0
	v_lshl_add_u64 v[8:9], v[0:1], 4, s[14:15]
	v_add_u32_e32 v0, s33, v0
	v_ashrrev_i32_e32 v1, 31, v0
	s_cselect_b64 s[12:13], -1, 0
	s_lshl_b64 s[2:3], s[2:3], 4
	v_lshl_add_u64 v[10:11], v[0:1], 4, s[14:15]
	v_add_u32_e32 v0, s33, v0
	v_cmp_ge_i32_e32 vcc, s20, v41
	v_cmp_ge_i32_e64 s[10:11], s20, v42
	v_lshlrev_b32_e32 v28, 2, v2
	v_and_b32_e32 v29, 48, v25
	s_add_u32 s20, s44, s2
	v_ashrrev_i32_e32 v25, 31, v24
	v_mov_b32_e32 v2, 0
	v_ashrrev_i32_e32 v1, 31, v0
	s_addc_u32 s26, s45, s3
	v_lshl_add_u64 v[6:7], v[24:25], 4, s[14:15]
	v_add_u32_e32 v25, 16, v2
	v_add_u32_e32 v30, 32, v2
	v_lshl_add_u64 v[12:13], v[0:1], 4, s[14:15]
	v_add_u32_e32 v31, 48, v2
	s_and_b64 s[2:3], s[12:13], s[10:11]
	s_mul_i32 s10, s43, s23
	v_mov_b32_e32 v0, 0
	s_branch .LBB372_63
.LBB372_62:                             ;   in Loop: Header=BB372_63 Depth=1
	s_or_b64 exec, exec, s[12:13]
	s_add_i32 s43, s43, 1
	s_add_i32 s10, s10, s23
	s_cmp_lt_i32 s43, s21
	s_cbranch_scc0 .LBB372_82
.LBB372_63:                             ; =>This Loop Header: Depth=1
                                        ;     Child Loop BB372_75 Depth 2
                                        ;     Child Loop BB372_77 Depth 2
                                        ; implicit-def: $vgpr4_vgpr5
                                        ; implicit-def: $vgpr14_vgpr15
	s_and_saveexec_b64 s[12:13], vcc
	s_xor_b64 s[12:13], exec, s[12:13]
	s_cbranch_execnz .LBB372_72
; %bb.64:                               ;   in Loop: Header=BB372_63 Depth=1
	s_andn2_saveexec_b64 s[12:13], s[12:13]
	s_cbranch_execnz .LBB372_73
.LBB372_65:                             ;   in Loop: Header=BB372_63 Depth=1
	s_or_b64 exec, exec, s[12:13]
	s_and_saveexec_b64 s[12:13], s[0:1]
	s_cbranch_execz .LBB372_67
.LBB372_66:                             ;   in Loop: Header=BB372_63 Depth=1
	v_mov_b32_e32 v1, v0
	s_waitcnt lgkmcnt(0)
	v_mov_b32_e32 v2, v0
	v_mov_b32_e32 v3, v0
	ds_write_b128 v18, v[0:3]
.LBB372_67:                             ;   in Loop: Header=BB372_63 Depth=1
	s_or_b64 exec, exec, s[12:13]
	s_waitcnt lgkmcnt(0)
	ds_bpermute_b32 v2, v19, v4
	ds_bpermute_b32 v3, v19, v5
	;; [unrolled: 1-line block ×4, first 2 shown]
	s_waitcnt lgkmcnt(0)
	s_barrier
	v_add_f64 v[2:3], v[4:5], v[2:3]
	v_add_f64 v[4:5], v[14:15], v[16:17]
	ds_bpermute_b32 v14, v20, v2
	ds_bpermute_b32 v15, v20, v3
	;; [unrolled: 1-line block ×4, first 2 shown]
	s_waitcnt lgkmcnt(2)
	v_add_f64 v[2:3], v[2:3], v[14:15]
	ds_bpermute_b32 v14, v21, v2
	s_waitcnt lgkmcnt(1)
	v_add_f64 v[4:5], v[4:5], v[16:17]
	ds_bpermute_b32 v15, v21, v3
	ds_bpermute_b32 v16, v21, v4
	ds_bpermute_b32 v17, v21, v5
	s_waitcnt lgkmcnt(2)
	v_add_f64 v[2:3], v[2:3], v[14:15]
	ds_bpermute_b32 v14, v26, v2
	s_waitcnt lgkmcnt(1)
	v_add_f64 v[4:5], v[4:5], v[16:17]
	ds_bpermute_b32 v15, v26, v3
	ds_bpermute_b32 v16, v26, v4
	ds_bpermute_b32 v17, v26, v5
	;; [unrolled: 8-line block ×3, first 2 shown]
	s_waitcnt lgkmcnt(2)
	v_add_f64 v[2:3], v[2:3], v[14:15]
	s_waitcnt lgkmcnt(0)
	v_add_f64 v[14:15], v[4:5], v[16:17]
	ds_bpermute_b32 v4, v28, v2
	ds_bpermute_b32 v5, v28, v3
	;; [unrolled: 1-line block ×4, first 2 shown]
	s_and_saveexec_b64 s[12:13], s[4:5]
	s_cbranch_execz .LBB372_69
; %bb.68:                               ;   in Loop: Header=BB372_63 Depth=1
	s_waitcnt lgkmcnt(0)
	v_add_f64 v[16:17], v[14:15], v[16:17]
	v_add_f64 v[14:15], v[2:3], v[4:5]
	ds_write_b128 v29, v[14:17]
.LBB372_69:                             ;   in Loop: Header=BB372_63 Depth=1
	s_or_b64 exec, exec, s[12:13]
	s_waitcnt lgkmcnt(2)
	v_mov_b64_e32 v[4:5], 0
	v_mov_b64_e32 v[2:3], v[4:5]
	s_waitcnt lgkmcnt(0)
	s_barrier
	s_and_saveexec_b64 s[12:13], s[6:7]
	s_cbranch_execnz .LBB372_79
; %bb.70:                               ;   in Loop: Header=BB372_63 Depth=1
	s_or_b64 exec, exec, s[12:13]
	s_and_saveexec_b64 s[12:13], s[0:1]
	s_cbranch_execnz .LBB372_80
.LBB372_71:                             ;   in Loop: Header=BB372_63 Depth=1
	s_or_b64 exec, exec, s[12:13]
	s_and_saveexec_b64 s[12:13], s[8:9]
	s_cbranch_execz .LBB372_62
	s_branch .LBB372_81
.LBB372_72:                             ;   in Loop: Header=BB372_63 Depth=1
	s_waitcnt lgkmcnt(0)
	flat_load_dwordx4 v[2:5], v[6:7]
	flat_load_dwordx4 v[14:17], v[8:9]
	;; [unrolled: 1-line block ×4, first 2 shown]
	s_mul_i32 s24, s43, s23
	s_ashr_i32 s25, s24, 31
	v_lshl_add_u64 v[52:53], s[24:25], 4, v[22:23]
	s_waitcnt vmcnt(0) lgkmcnt(0)
	scratch_store_dwordx4 off, v[2:5], off
	scratch_store_dwordx4 v25, v[14:17], off
	scratch_store_dwordx4 v30, v[32:35], off
	;; [unrolled: 1-line block ×3, first 2 shown]
	flat_load_dwordx4 v[14:17], v[52:53]
	s_nop 0
	flat_load_dwordx4 v[32:35], v[52:53] offset:16
	scratch_load_dwordx4 v[36:39], off, off offset:16
	scratch_load_dwordx4 v[40:43], off, off offset:32
	flat_load_dwordx4 v[44:47], v[52:53] offset:32
	flat_load_dwordx4 v[48:51], v[52:53] offset:48
                                        ; kill: killed $vgpr52_vgpr53
	s_nop 0
	scratch_load_dwordx4 v[52:55], off, off offset:48
	s_waitcnt vmcnt(0) lgkmcnt(0)
	v_mul_f64 v[56:57], v[16:17], v[4:5]
	v_mul_f64 v[16:17], v[16:17], v[2:3]
	;; [unrolled: 1-line block ×4, first 2 shown]
	v_fmac_f64_e32 v[56:57], v[14:15], v[2:3]
	v_fma_f64 v[2:3], v[14:15], v[4:5], -v[16:17]
	v_mul_f64 v[60:61], v[46:47], v[42:43]
	v_mul_f64 v[46:47], v[46:47], v[40:41]
	v_fmac_f64_e32 v[58:59], v[32:33], v[36:37]
	v_fma_f64 v[4:5], v[32:33], v[38:39], -v[34:35]
	v_add_f64 v[32:33], v[56:57], 0
	v_add_f64 v[2:3], v[2:3], 0
	v_mul_f64 v[62:63], v[50:51], v[54:55]
	v_mul_f64 v[50:51], v[50:51], v[52:53]
	v_fmac_f64_e32 v[60:61], v[44:45], v[40:41]
	v_fma_f64 v[14:15], v[44:45], v[42:43], -v[46:47]
	v_add_f64 v[32:33], v[32:33], v[58:59]
	v_add_f64 v[2:3], v[2:3], v[4:5]
	v_fmac_f64_e32 v[62:63], v[48:49], v[52:53]
	v_fma_f64 v[16:17], v[48:49], v[54:55], -v[50:51]
	v_add_f64 v[4:5], v[32:33], v[60:61]
	v_add_f64 v[2:3], v[2:3], v[14:15]
	;; [unrolled: 1-line block ×4, first 2 shown]
	s_andn2_saveexec_b64 s[12:13], s[12:13]
	s_cbranch_execz .LBB372_65
.LBB372_73:                             ;   in Loop: Header=BB372_63 Depth=1
	s_waitcnt lgkmcnt(0)
	v_mov_b64_e32 v[4:5], 0
	v_mov_b64_e32 v[14:15], v[4:5]
	s_and_saveexec_b64 s[24:25], s[2:3]
	s_cbranch_execz .LBB372_78
; %bb.74:                               ;   in Loop: Header=BB372_63 Depth=1
	v_mov_b32_e32 v1, 0
	v_mov_b32_e32 v2, v24
	s_mov_b32 s11, s42
.LBB372_75:                             ;   Parent Loop BB372_63 Depth=1
                                        ; =>  This Inner Loop Header: Depth=2
	v_ashrrev_i32_e32 v3, 31, v2
	v_lshl_add_u64 v[4:5], v[2:3], 4, s[14:15]
	flat_load_dwordx4 v[14:17], v[4:5]
	s_add_i32 s11, s11, -1
	v_add_u32_e32 v2, s33, v2
	s_cmp_eq_u32 s11, 0
	s_waitcnt vmcnt(0) lgkmcnt(0)
	scratch_store_dwordx4 v1, v[14:17], off
	v_add_u32_e32 v1, 16, v1
	s_cbranch_scc0 .LBB372_75
; %bb.76:                               ;   in Loop: Header=BB372_63 Depth=1
	s_ashr_i32 s11, s10, 31
	v_mov_b64_e32 v[4:5], 0
	v_lshl_add_u64 v[2:3], s[10:11], 4, v[22:23]
	v_mov_b32_e32 v1, 0
	s_mov_b32 s11, s42
	v_mov_b64_e32 v[14:15], v[4:5]
.LBB372_77:                             ;   Parent Loop BB372_63 Depth=1
                                        ; =>  This Inner Loop Header: Depth=2
	flat_load_dwordx4 v[32:35], v[2:3]
	scratch_load_dwordx4 v[36:39], v1, off
	s_add_i32 s11, s11, -1
	v_add_u32_e32 v1, 16, v1
	v_lshl_add_u64 v[2:3], v[2:3], 0, 16
	s_cmp_lg_u32 s11, 0
	s_waitcnt vmcnt(0) lgkmcnt(0)
	v_mul_f64 v[16:17], v[34:35], v[38:39]
	v_mul_f64 v[34:35], v[34:35], v[36:37]
	v_fmac_f64_e32 v[16:17], v[32:33], v[36:37]
	v_fma_f64 v[32:33], v[32:33], v[38:39], -v[34:35]
	v_add_f64 v[4:5], v[4:5], v[16:17]
	v_add_f64 v[14:15], v[14:15], v[32:33]
	s_cbranch_scc1 .LBB372_77
.LBB372_78:                             ;   in Loop: Header=BB372_63 Depth=1
	s_or_b64 exec, exec, s[24:25]
	s_or_b64 exec, exec, s[12:13]
	s_and_saveexec_b64 s[12:13], s[0:1]
	s_cbranch_execnz .LBB372_66
	s_branch .LBB372_67
.LBB372_79:                             ;   in Loop: Header=BB372_63 Depth=1
	ds_read_b128 v[2:5], v18
	s_or_b64 exec, exec, s[12:13]
	s_and_saveexec_b64 s[12:13], s[0:1]
	s_cbranch_execz .LBB372_71
.LBB372_80:                             ;   in Loop: Header=BB372_63 Depth=1
	s_waitcnt lgkmcnt(0)
	ds_bpermute_b32 v14, v27, v2
	ds_bpermute_b32 v15, v27, v3
	;; [unrolled: 1-line block ×4, first 2 shown]
	s_waitcnt lgkmcnt(2)
	v_add_f64 v[2:3], v[2:3], v[14:15]
	ds_bpermute_b32 v14, v28, v2
	s_waitcnt lgkmcnt(1)
	v_add_f64 v[4:5], v[4:5], v[16:17]
	ds_bpermute_b32 v15, v28, v3
	ds_bpermute_b32 v16, v28, v4
	;; [unrolled: 1-line block ×3, first 2 shown]
	s_waitcnt lgkmcnt(2)
	v_add_f64 v[2:3], v[2:3], v[14:15]
	s_waitcnt lgkmcnt(0)
	v_add_f64 v[4:5], v[4:5], v[16:17]
	s_or_b64 exec, exec, s[12:13]
	s_and_saveexec_b64 s[12:13], s[8:9]
	s_cbranch_execz .LBB372_62
.LBB372_81:                             ;   in Loop: Header=BB372_63 Depth=1
	s_mul_hi_u32 s25, s43, s22
	s_mul_i32 s24, s43, s22
	s_lshl_b64 s[24:25], s[24:25], 4
	s_waitcnt lgkmcnt(0)
	v_mul_f64 v[14:15], s[18:19], v[4:5]
	v_mul_f64 v[16:17], s[16:17], v[4:5]
	s_add_u32 s24, s20, s24
	v_fma_f64 v[14:15], s[16:17], v[2:3], -v[14:15]
	v_fmac_f64_e32 v[16:17], s[18:19], v[2:3]
	s_addc_u32 s25, s26, s25
	global_store_dwordx4 v0, v[14:17], s[24:25]
	s_branch .LBB372_62
.LBB372_82:
	s_endpgm
	.section	.rodata,"a",@progbits
	.p2align	6, 0x0
	.amdhsa_kernel _ZL23rocblas_gemvt_sn_kernelILb1ELi256ELi4EiPK19rocblas_complex_numIdES1_S1_EviiT4_lPKT3_lilS7_lilPT5_i
		.amdhsa_group_segment_fixed_size 1024
		.amdhsa_private_segment_fixed_size 80
		.amdhsa_kernarg_size 368
		.amdhsa_user_sgpr_count 2
		.amdhsa_user_sgpr_dispatch_ptr 0
		.amdhsa_user_sgpr_queue_ptr 0
		.amdhsa_user_sgpr_kernarg_segment_ptr 1
		.amdhsa_user_sgpr_dispatch_id 0
		.amdhsa_user_sgpr_kernarg_preload_length 0
		.amdhsa_user_sgpr_kernarg_preload_offset 0
		.amdhsa_user_sgpr_private_segment_size 0
		.amdhsa_uses_dynamic_stack 0
		.amdhsa_enable_private_segment 1
		.amdhsa_system_sgpr_workgroup_id_x 1
		.amdhsa_system_sgpr_workgroup_id_y 0
		.amdhsa_system_sgpr_workgroup_id_z 1
		.amdhsa_system_sgpr_workgroup_info 0
		.amdhsa_system_vgpr_workitem_id 0
		.amdhsa_next_free_vgpr 74
		.amdhsa_next_free_sgpr 50
		.amdhsa_accum_offset 76
		.amdhsa_reserve_vcc 1
		.amdhsa_float_round_mode_32 0
		.amdhsa_float_round_mode_16_64 0
		.amdhsa_float_denorm_mode_32 3
		.amdhsa_float_denorm_mode_16_64 3
		.amdhsa_dx10_clamp 1
		.amdhsa_ieee_mode 1
		.amdhsa_fp16_overflow 0
		.amdhsa_tg_split 0
		.amdhsa_exception_fp_ieee_invalid_op 0
		.amdhsa_exception_fp_denorm_src 0
		.amdhsa_exception_fp_ieee_div_zero 0
		.amdhsa_exception_fp_ieee_overflow 0
		.amdhsa_exception_fp_ieee_underflow 0
		.amdhsa_exception_fp_ieee_inexact 0
		.amdhsa_exception_int_div_zero 0
	.end_amdhsa_kernel
	.section	.text._ZL23rocblas_gemvt_sn_kernelILb1ELi256ELi4EiPK19rocblas_complex_numIdES1_S1_EviiT4_lPKT3_lilS7_lilPT5_i,"axG",@progbits,_ZL23rocblas_gemvt_sn_kernelILb1ELi256ELi4EiPK19rocblas_complex_numIdES1_S1_EviiT4_lPKT3_lilS7_lilPT5_i,comdat
.Lfunc_end372:
	.size	_ZL23rocblas_gemvt_sn_kernelILb1ELi256ELi4EiPK19rocblas_complex_numIdES1_S1_EviiT4_lPKT3_lilS7_lilPT5_i, .Lfunc_end372-_ZL23rocblas_gemvt_sn_kernelILb1ELi256ELi4EiPK19rocblas_complex_numIdES1_S1_EviiT4_lPKT3_lilS7_lilPT5_i
                                        ; -- End function
	.section	.AMDGPU.csdata,"",@progbits
; Kernel info:
; codeLenInByte = 6700
; NumSgprs: 56
; NumVgprs: 74
; NumAgprs: 0
; TotalNumVgprs: 74
; ScratchSize: 80
; MemoryBound: 0
; FloatMode: 240
; IeeeMode: 1
; LDSByteSize: 1024 bytes/workgroup (compile time only)
; SGPRBlocks: 6
; VGPRBlocks: 9
; NumSGPRsForWavesPerEU: 56
; NumVGPRsForWavesPerEU: 74
; AccumOffset: 76
; Occupancy: 6
; WaveLimiterHint : 0
; COMPUTE_PGM_RSRC2:SCRATCH_EN: 1
; COMPUTE_PGM_RSRC2:USER_SGPR: 2
; COMPUTE_PGM_RSRC2:TRAP_HANDLER: 0
; COMPUTE_PGM_RSRC2:TGID_X_EN: 1
; COMPUTE_PGM_RSRC2:TGID_Y_EN: 0
; COMPUTE_PGM_RSRC2:TGID_Z_EN: 1
; COMPUTE_PGM_RSRC2:TIDIG_COMP_CNT: 0
; COMPUTE_PGM_RSRC3_GFX90A:ACCUM_OFFSET: 18
; COMPUTE_PGM_RSRC3_GFX90A:TG_SPLIT: 0
	.section	.text._ZL23rocblas_gemvt_sn_kernelILb1ELi256ELi4ElPK19rocblas_complex_numIdES1_S1_EviiT4_lPKT3_lilS7_lilPT5_i,"axG",@progbits,_ZL23rocblas_gemvt_sn_kernelILb1ELi256ELi4ElPK19rocblas_complex_numIdES1_S1_EviiT4_lPKT3_lilS7_lilPT5_i,comdat
	.globl	_ZL23rocblas_gemvt_sn_kernelILb1ELi256ELi4ElPK19rocblas_complex_numIdES1_S1_EviiT4_lPKT3_lilS7_lilPT5_i ; -- Begin function _ZL23rocblas_gemvt_sn_kernelILb1ELi256ELi4ElPK19rocblas_complex_numIdES1_S1_EviiT4_lPKT3_lilS7_lilPT5_i
	.p2align	8
	.type	_ZL23rocblas_gemvt_sn_kernelILb1ELi256ELi4ElPK19rocblas_complex_numIdES1_S1_EviiT4_lPKT3_lilS7_lilPT5_i,@function
_ZL23rocblas_gemvt_sn_kernelILb1ELi256ELi4ElPK19rocblas_complex_numIdES1_S1_EviiT4_lPKT3_lilS7_lilPT5_i: ; @_ZL23rocblas_gemvt_sn_kernelILb1ELi256ELi4ElPK19rocblas_complex_numIdES1_S1_EviiT4_lPKT3_lilS7_lilPT5_i
; %bb.0:
	s_load_dwordx4 s[16:19], s[0:1], 0x8
	s_mov_b32 s4, s3
	s_waitcnt lgkmcnt(0)
	v_cmp_neq_f64_e64 s[6:7], s[16:17], 0
	v_cmp_neq_f64_e64 s[8:9], s[18:19], 0
	s_or_b64 s[6:7], s[6:7], s[8:9]
	s_mov_b64 s[8:9], -1
	s_and_b64 vcc, exec, s[6:7]
	s_cbranch_vccnz .LBB373_2
; %bb.1:
	s_mov_b32 s5, 0
	s_mov_b64 s[24:25], 0
	s_cbranch_execz .LBB373_3
	s_branch .LBB373_4
.LBB373_2:
                                        ; implicit-def: $sgpr24_sgpr25
	s_andn2_b64 vcc, exec, s[8:9]
	s_cbranch_vccnz .LBB373_4
.LBB373_3:
	s_load_dwordx4 s[8:11], s[0:1], 0x20
	s_mov_b32 s5, 0
	s_lshl_b64 s[12:13], s[4:5], 3
	s_waitcnt lgkmcnt(0)
	s_add_u32 s8, s8, s12
	s_addc_u32 s9, s9, s13
	s_load_dwordx2 s[8:9], s[8:9], 0x0
	s_lshl_b64 s[10:11], s[10:11], 4
	s_waitcnt lgkmcnt(0)
	s_add_u32 s24, s8, s10
	s_addc_u32 s25, s9, s11
.LBB373_4:
	s_xor_b64 s[10:11], s[6:7], -1
	s_andn2_b64 vcc, exec, s[6:7]
	s_mov_b64 s[26:27], 0
	s_cbranch_vccnz .LBB373_6
; %bb.5:
	s_load_dwordx4 s[12:15], s[0:1], 0x40
	s_lshl_b64 s[6:7], s[4:5], 3
	s_waitcnt lgkmcnt(0)
	s_add_u32 s6, s12, s6
	s_addc_u32 s7, s13, s7
	s_load_dwordx2 s[6:7], s[6:7], 0x0
	s_lshl_b64 s[8:9], s[14:15], 4
	s_waitcnt lgkmcnt(0)
	s_add_u32 s26, s6, s8
	s_addc_u32 s27, s7, s9
.LBB373_6:
	s_load_dwordx2 s[14:15], s[0:1], 0x0
	s_load_dwordx2 s[6:7], s[0:1], 0x60
	s_load_dword s20, s[0:1], 0x70
	s_mov_b32 s21, 0
	s_mov_b64 s[12:13], -1
	s_waitcnt lgkmcnt(0)
	s_ashr_i32 s30, s15, 31
	s_mul_hi_u32 s3, s4, s15
	s_mul_i32 s8, s4, s30
	s_add_i32 s3, s3, s8
	s_mul_i32 s5, s5, s15
	s_add_i32 s3, s3, s5
	s_mul_i32 s4, s4, s15
	s_mul_i32 s3, s3, s20
	s_mul_hi_u32 s5, s4, s20
	s_add_i32 s9, s5, s3
	s_mul_i32 s8, s4, s20
	s_andn2_b64 vcc, exec, s[10:11]
	v_cmp_eq_u32_e64 s[4:5], 0, v0
	s_cbranch_vccnz .LBB373_11
; %bb.7:
	s_cmp_gt_i32 s15, 0
	s_cselect_b64 s[10:11], -1, 0
	s_and_b64 s[10:11], s[4:5], s[10:11]
	s_and_saveexec_b64 s[4:5], s[10:11]
	s_cbranch_execz .LBB373_10
; %bb.8:
	s_mov_b32 s3, 0
	s_lshl_b64 s[10:11], s[8:9], 4
	s_lshl_b64 s[12:13], s[2:3], 4
	s_add_u32 s3, s10, s12
	s_addc_u32 s10, s11, s13
	s_add_u32 s3, s3, s6
	s_addc_u32 s11, s10, s7
	s_add_u32 s10, s3, 8
	v_mov_b32_e32 v2, 0
	s_addc_u32 s11, s11, 0
	s_lshl_b64 s[12:13], s[20:21], 4
	v_mov_b32_e32 v3, v2
	v_mov_b32_e32 v4, v2
	;; [unrolled: 1-line block ×3, first 2 shown]
	s_mov_b32 s3, s15
.LBB373_9:                              ; =>This Inner Loop Header: Depth=1
	s_add_i32 s3, s3, -1
	global_store_dwordx4 v2, v[2:5], s[10:11] offset:-8
	s_add_u32 s10, s10, s12
	s_addc_u32 s11, s11, s13
	s_cmp_eq_u32 s3, 0
	s_cbranch_scc0 .LBB373_9
.LBB373_10:
	s_or_b64 exec, exec, s[4:5]
	s_mov_b64 s[12:13], 0
.LBB373_11:
	s_andn2_b64 vcc, exec, s[12:13]
	s_cbranch_vccnz .LBB373_82
; %bb.12:
	s_load_dword s22, s[0:1], 0x30
	s_load_dword s28, s[0:1], 0x50
	s_lshl_b64 s[0:1], s[8:9], 4
	v_and_b32_e32 v42, 63, v0
	v_mbcnt_lo_u32_b32 v44, -1, 0
	s_waitcnt lgkmcnt(0)
	s_ashr_i32 s23, s22, 31
	s_ashr_i32 s29, s28, 31
	s_add_u32 s33, s6, s0
	s_addc_u32 s44, s7, s1
	s_lshl_b32 s0, s2, 10
	v_lshl_or_b32 v24, v0, 2, s0
	s_lshr_b32 s0, s30, 30
	s_add_i32 s0, s15, s0
	s_and_b32 s45, s0, -4
	s_ashr_i32 s0, s14, 31
	s_lshr_b32 s0, s0, 30
	s_add_i32 s0, s14, s0
	s_and_b32 s0, s0, -4
	v_ashrrev_i32_e32 v25, 31, v24
	s_sub_i32 s21, s14, s0
	v_lshl_add_u64 v[22:23], v[24:25], 4, s[24:25]
	s_cmp_lt_i32 s45, 1
	v_add_u32_e32 v45, 4, v24
	v_add_u32_e32 v46, s21, v24
	v_cmp_gt_u32_e64 s[0:1], 64, v0
	v_cmp_gt_u32_e64 s[4:5], 4, v0
	v_lshrrev_b32_e32 v43, 2, v0
	v_or_b32_e32 v41, 1, v24
	v_or_b32_e32 v40, 2, v24
	;; [unrolled: 1-line block ×3, first 2 shown]
	s_cbranch_scc1 .LBB373_59
; %bb.13:
	v_mbcnt_hi_u32_b32 v2, -1, v44
	v_and_b32_e32 v3, 63, v2
	v_cmp_gt_u32_e32 vcc, 32, v3
	s_mov_b32 s3, 0
	s_cmp_gt_i32 s21, 0
	v_cndmask_b32_e64 v4, 0, 1, vcc
	v_lshlrev_b32_e32 v4, 5, v4
	v_cmp_gt_u32_e32 vcc, 48, v3
	v_add_lshl_u32 v47, v4, v2, 2
	s_cselect_b64 s[30:31], -1, 0
	v_cndmask_b32_e64 v4, 0, 1, vcc
	v_lshlrev_b32_e32 v4, 4, v4
	v_cmp_gt_u32_e32 vcc, 56, v3
	v_add_lshl_u32 v48, v4, v2, 2
	s_lshl_b64 s[34:35], s[2:3], 4
	v_cndmask_b32_e64 v4, 0, 1, vcc
	v_lshlrev_b32_e32 v4, 3, v4
	v_cmp_gt_u32_e32 vcc, 60, v3
	v_add_lshl_u32 v49, v4, v2, 2
	s_add_u32 s46, s33, s34
	v_cndmask_b32_e64 v4, 0, 1, vcc
	v_lshlrev_b32_e32 v4, 2, v4
	v_cmp_gt_u32_e32 vcc, 62, v3
	v_add_lshl_u32 v50, v4, v2, 2
	s_addc_u32 s47, s44, s35
	v_cndmask_b32_e64 v4, 0, 1, vcc
	v_lshlrev_b32_e32 v4, 1, v4
	v_cmp_ne_u32_e32 vcc, 63, v3
	v_add_lshl_u32 v51, v4, v2, 2
	v_mov_b32_e32 v4, 0
	v_addc_co_u32_e32 v2, vcc, 0, v2, vcc
	v_lshlrev_b32_e32 v52, 2, v2
	v_mad_i64_i32 v[2:3], s[34:35], s28, v24, 0
	v_lshl_add_u64 v[26:27], v[2:3], 4, s[26:27]
	v_mad_i64_i32 v[2:3], s[34:35], s28, v41, 0
	v_lshl_add_u64 v[28:29], v[2:3], 4, s[26:27]
	;; [unrolled: 2-line block ×3, first 2 shown]
	v_mad_i64_i32 v[2:3], s[34:35], s28, v1, 0
	v_cmp_ge_i32_e64 s[6:7], s14, v45
	v_cmp_ge_i32_e64 s[8:9], s14, v46
	v_cmp_eq_u32_e64 s[10:11], 0, v42
	v_lshlrev_b32_e32 v53, 4, v42
	v_and_b32_e32 v54, 48, v43
	v_cmp_eq_u32_e64 s[12:13], 0, v0
	v_add_u32_e32 v55, 16, v4
	v_add_u32_e32 v56, 32, v4
	v_lshl_add_u64 v[32:33], v[2:3], 4, s[26:27]
	v_add_u32_e32 v57, 48, v4
	s_lshl_b64 s[34:35], s[28:29], 4
	s_lshl_b64 s[36:37], s[22:23], 6
	;; [unrolled: 1-line block ×3, first 2 shown]
	v_mov_b32_e32 v2, 0
	v_mov_b64_e32 v[34:35], v[22:23]
	s_branch .LBB373_15
.LBB373_14:                             ;   in Loop: Header=BB373_15 Depth=1
	s_or_b64 exec, exec, s[40:41]
	s_add_i32 s3, s3, 4
	s_cmp_ge_i32 s3, s45
	v_lshl_add_u64 v[34:35], v[34:35], 0, s[36:37]
	s_cbranch_scc1 .LBB373_60
.LBB373_15:                             ; =>This Loop Header: Depth=1
                                        ;     Child Loop BB373_46 Depth 2
                                        ;     Child Loop BB373_48 Depth 2
                                        ; implicit-def: $vgpr18_vgpr19
                                        ; implicit-def: $vgpr20_vgpr21
                                        ; implicit-def: $vgpr14_vgpr15
                                        ; implicit-def: $vgpr16_vgpr17
                                        ; implicit-def: $vgpr10_vgpr11
                                        ; implicit-def: $vgpr12_vgpr13
                                        ; implicit-def: $vgpr36_vgpr37
                                        ; implicit-def: $vgpr8_vgpr9
	s_and_saveexec_b64 s[40:41], s[6:7]
	s_xor_b64 s[40:41], exec, s[40:41]
	s_cbranch_execnz .LBB373_42
; %bb.16:                               ;   in Loop: Header=BB373_15 Depth=1
	s_andn2_saveexec_b64 s[40:41], s[40:41]
	s_cbranch_execnz .LBB373_43
.LBB373_17:                             ;   in Loop: Header=BB373_15 Depth=1
	s_or_b64 exec, exec, s[40:41]
	s_and_saveexec_b64 s[40:41], s[0:1]
	s_cbranch_execz .LBB373_19
.LBB373_18:                             ;   in Loop: Header=BB373_15 Depth=1
	v_mov_b32_e32 v3, v2
	v_mov_b32_e32 v4, v2
	v_mov_b32_e32 v5, v2
	ds_write_b128 v53, v[2:5]
.LBB373_19:                             ;   in Loop: Header=BB373_15 Depth=1
	s_or_b64 exec, exec, s[40:41]
	ds_bpermute_b32 v4, v47, v36
	ds_bpermute_b32 v5, v47, v37
	;; [unrolled: 1-line block ×4, first 2 shown]
	s_waitcnt lgkmcnt(0)
	s_barrier
	v_add_f64 v[4:5], v[36:37], v[4:5]
	v_add_f64 v[6:7], v[8:9], v[6:7]
	ds_bpermute_b32 v8, v48, v4
	ds_bpermute_b32 v9, v48, v5
	;; [unrolled: 1-line block ×4, first 2 shown]
	s_waitcnt lgkmcnt(2)
	v_add_f64 v[4:5], v[4:5], v[8:9]
	ds_bpermute_b32 v8, v49, v4
	s_waitcnt lgkmcnt(1)
	v_add_f64 v[6:7], v[6:7], v[36:37]
	ds_bpermute_b32 v9, v49, v5
	ds_bpermute_b32 v36, v49, v6
	ds_bpermute_b32 v37, v49, v7
	s_waitcnt lgkmcnt(2)
	v_add_f64 v[4:5], v[4:5], v[8:9]
	ds_bpermute_b32 v8, v50, v4
	s_waitcnt lgkmcnt(1)
	v_add_f64 v[6:7], v[6:7], v[36:37]
	ds_bpermute_b32 v9, v50, v5
	ds_bpermute_b32 v36, v50, v6
	ds_bpermute_b32 v37, v50, v7
	;; [unrolled: 8-line block ×3, first 2 shown]
	s_waitcnt lgkmcnt(2)
	v_add_f64 v[4:5], v[4:5], v[8:9]
	s_waitcnt lgkmcnt(0)
	v_add_f64 v[8:9], v[6:7], v[36:37]
	ds_bpermute_b32 v6, v52, v4
	ds_bpermute_b32 v7, v52, v5
	;; [unrolled: 1-line block ×4, first 2 shown]
	s_and_saveexec_b64 s[40:41], s[10:11]
	s_cbranch_execz .LBB373_21
; %bb.20:                               ;   in Loop: Header=BB373_15 Depth=1
	s_waitcnt lgkmcnt(0)
	v_add_f64 v[8:9], v[8:9], v[36:37]
	v_add_f64 v[6:7], v[4:5], v[6:7]
	ds_write_b128 v54, v[6:9]
.LBB373_21:                             ;   in Loop: Header=BB373_15 Depth=1
	s_or_b64 exec, exec, s[40:41]
	v_mov_b64_e32 v[8:9], 0
	s_waitcnt lgkmcnt(2)
	v_mov_b64_e32 v[6:7], v[8:9]
	s_waitcnt lgkmcnt(0)
	s_barrier
	s_and_saveexec_b64 s[40:41], s[4:5]
	s_cbranch_execnz .LBB373_50
; %bb.22:                               ;   in Loop: Header=BB373_15 Depth=1
	s_or_b64 exec, exec, s[40:41]
	s_and_saveexec_b64 s[40:41], s[0:1]
	s_cbranch_execnz .LBB373_51
.LBB373_23:                             ;   in Loop: Header=BB373_15 Depth=1
	s_or_b64 exec, exec, s[40:41]
	s_and_saveexec_b64 s[40:41], s[0:1]
	s_cbranch_execz .LBB373_25
.LBB373_24:                             ;   in Loop: Header=BB373_15 Depth=1
	v_mov_b32_e32 v3, v2
	v_mov_b32_e32 v4, v2
	;; [unrolled: 1-line block ×3, first 2 shown]
	ds_write_b128 v53, v[2:5]
.LBB373_25:                             ;   in Loop: Header=BB373_15 Depth=1
	s_or_b64 exec, exec, s[40:41]
	ds_bpermute_b32 v4, v47, v10
	ds_bpermute_b32 v5, v47, v11
	;; [unrolled: 1-line block ×4, first 2 shown]
	s_waitcnt lgkmcnt(0)
	s_barrier
	v_add_f64 v[4:5], v[10:11], v[4:5]
	v_add_f64 v[10:11], v[12:13], v[36:37]
	ds_bpermute_b32 v12, v48, v4
	ds_bpermute_b32 v13, v48, v5
	;; [unrolled: 1-line block ×4, first 2 shown]
	s_waitcnt lgkmcnt(2)
	v_add_f64 v[4:5], v[4:5], v[12:13]
	ds_bpermute_b32 v12, v49, v4
	s_waitcnt lgkmcnt(1)
	v_add_f64 v[10:11], v[10:11], v[36:37]
	ds_bpermute_b32 v13, v49, v5
	ds_bpermute_b32 v36, v49, v10
	ds_bpermute_b32 v37, v49, v11
	s_waitcnt lgkmcnt(2)
	v_add_f64 v[4:5], v[4:5], v[12:13]
	ds_bpermute_b32 v12, v50, v4
	s_waitcnt lgkmcnt(1)
	v_add_f64 v[10:11], v[10:11], v[36:37]
	ds_bpermute_b32 v13, v50, v5
	ds_bpermute_b32 v36, v50, v10
	ds_bpermute_b32 v37, v50, v11
	;; [unrolled: 8-line block ×3, first 2 shown]
	s_waitcnt lgkmcnt(2)
	v_add_f64 v[4:5], v[4:5], v[12:13]
	s_waitcnt lgkmcnt(0)
	v_add_f64 v[12:13], v[10:11], v[36:37]
	ds_bpermute_b32 v10, v52, v4
	ds_bpermute_b32 v11, v52, v5
	;; [unrolled: 1-line block ×4, first 2 shown]
	s_and_saveexec_b64 s[40:41], s[10:11]
	s_cbranch_execz .LBB373_27
; %bb.26:                               ;   in Loop: Header=BB373_15 Depth=1
	s_waitcnt lgkmcnt(0)
	v_add_f64 v[12:13], v[12:13], v[36:37]
	v_add_f64 v[10:11], v[4:5], v[10:11]
	ds_write_b128 v54, v[10:13]
.LBB373_27:                             ;   in Loop: Header=BB373_15 Depth=1
	s_or_b64 exec, exec, s[40:41]
	v_mov_b64_e32 v[12:13], 0
	s_waitcnt lgkmcnt(2)
	v_mov_b64_e32 v[10:11], v[12:13]
	s_waitcnt lgkmcnt(0)
	s_barrier
	s_and_saveexec_b64 s[40:41], s[4:5]
	s_cbranch_execnz .LBB373_52
; %bb.28:                               ;   in Loop: Header=BB373_15 Depth=1
	s_or_b64 exec, exec, s[40:41]
	s_and_saveexec_b64 s[40:41], s[0:1]
	s_cbranch_execnz .LBB373_53
.LBB373_29:                             ;   in Loop: Header=BB373_15 Depth=1
	s_or_b64 exec, exec, s[40:41]
	s_and_saveexec_b64 s[40:41], s[0:1]
	s_cbranch_execz .LBB373_31
.LBB373_30:                             ;   in Loop: Header=BB373_15 Depth=1
	v_mov_b32_e32 v3, v2
	v_mov_b32_e32 v4, v2
	;; [unrolled: 1-line block ×3, first 2 shown]
	ds_write_b128 v53, v[2:5]
.LBB373_31:                             ;   in Loop: Header=BB373_15 Depth=1
	s_or_b64 exec, exec, s[40:41]
	ds_bpermute_b32 v4, v47, v14
	ds_bpermute_b32 v5, v47, v15
	;; [unrolled: 1-line block ×4, first 2 shown]
	s_waitcnt lgkmcnt(0)
	s_barrier
	v_add_f64 v[4:5], v[14:15], v[4:5]
	v_add_f64 v[14:15], v[16:17], v[36:37]
	ds_bpermute_b32 v16, v48, v4
	ds_bpermute_b32 v17, v48, v5
	;; [unrolled: 1-line block ×4, first 2 shown]
	s_waitcnt lgkmcnt(2)
	v_add_f64 v[4:5], v[4:5], v[16:17]
	ds_bpermute_b32 v16, v49, v4
	s_waitcnt lgkmcnt(1)
	v_add_f64 v[14:15], v[14:15], v[36:37]
	ds_bpermute_b32 v17, v49, v5
	ds_bpermute_b32 v36, v49, v14
	ds_bpermute_b32 v37, v49, v15
	s_waitcnt lgkmcnt(2)
	v_add_f64 v[4:5], v[4:5], v[16:17]
	ds_bpermute_b32 v16, v50, v4
	s_waitcnt lgkmcnt(1)
	v_add_f64 v[14:15], v[14:15], v[36:37]
	ds_bpermute_b32 v17, v50, v5
	ds_bpermute_b32 v36, v50, v14
	ds_bpermute_b32 v37, v50, v15
	;; [unrolled: 8-line block ×3, first 2 shown]
	s_waitcnt lgkmcnt(2)
	v_add_f64 v[4:5], v[4:5], v[16:17]
	s_waitcnt lgkmcnt(0)
	v_add_f64 v[16:17], v[14:15], v[36:37]
	ds_bpermute_b32 v14, v52, v4
	ds_bpermute_b32 v15, v52, v5
	;; [unrolled: 1-line block ×4, first 2 shown]
	s_and_saveexec_b64 s[40:41], s[10:11]
	s_cbranch_execz .LBB373_33
; %bb.32:                               ;   in Loop: Header=BB373_15 Depth=1
	s_waitcnt lgkmcnt(0)
	v_add_f64 v[16:17], v[16:17], v[36:37]
	v_add_f64 v[14:15], v[4:5], v[14:15]
	ds_write_b128 v54, v[14:17]
.LBB373_33:                             ;   in Loop: Header=BB373_15 Depth=1
	s_or_b64 exec, exec, s[40:41]
	v_mov_b64_e32 v[16:17], 0
	s_waitcnt lgkmcnt(2)
	v_mov_b64_e32 v[14:15], v[16:17]
	s_waitcnt lgkmcnt(0)
	s_barrier
	s_and_saveexec_b64 s[40:41], s[4:5]
	s_cbranch_execnz .LBB373_54
; %bb.34:                               ;   in Loop: Header=BB373_15 Depth=1
	s_or_b64 exec, exec, s[40:41]
	s_and_saveexec_b64 s[40:41], s[0:1]
	s_cbranch_execnz .LBB373_55
.LBB373_35:                             ;   in Loop: Header=BB373_15 Depth=1
	s_or_b64 exec, exec, s[40:41]
	s_and_saveexec_b64 s[40:41], s[0:1]
	s_cbranch_execz .LBB373_37
.LBB373_36:                             ;   in Loop: Header=BB373_15 Depth=1
	v_mov_b32_e32 v3, v2
	v_mov_b32_e32 v4, v2
	v_mov_b32_e32 v5, v2
	ds_write_b128 v53, v[2:5]
.LBB373_37:                             ;   in Loop: Header=BB373_15 Depth=1
	s_or_b64 exec, exec, s[40:41]
	ds_bpermute_b32 v4, v47, v18
	ds_bpermute_b32 v5, v47, v19
	;; [unrolled: 1-line block ×4, first 2 shown]
	s_waitcnt lgkmcnt(0)
	s_barrier
	v_add_f64 v[4:5], v[18:19], v[4:5]
	v_add_f64 v[18:19], v[20:21], v[36:37]
	ds_bpermute_b32 v20, v48, v4
	ds_bpermute_b32 v21, v48, v5
	;; [unrolled: 1-line block ×4, first 2 shown]
	s_waitcnt lgkmcnt(2)
	v_add_f64 v[4:5], v[4:5], v[20:21]
	ds_bpermute_b32 v20, v49, v4
	s_waitcnt lgkmcnt(1)
	v_add_f64 v[18:19], v[18:19], v[36:37]
	ds_bpermute_b32 v21, v49, v5
	ds_bpermute_b32 v36, v49, v18
	ds_bpermute_b32 v37, v49, v19
	s_waitcnt lgkmcnt(2)
	v_add_f64 v[4:5], v[4:5], v[20:21]
	ds_bpermute_b32 v20, v50, v4
	s_waitcnt lgkmcnt(1)
	v_add_f64 v[18:19], v[18:19], v[36:37]
	ds_bpermute_b32 v21, v50, v5
	ds_bpermute_b32 v36, v50, v18
	ds_bpermute_b32 v37, v50, v19
	;; [unrolled: 8-line block ×3, first 2 shown]
	s_waitcnt lgkmcnt(2)
	v_add_f64 v[4:5], v[4:5], v[20:21]
	s_waitcnt lgkmcnt(0)
	v_add_f64 v[20:21], v[18:19], v[36:37]
	ds_bpermute_b32 v18, v52, v4
	ds_bpermute_b32 v19, v52, v5
	ds_bpermute_b32 v36, v52, v20
	ds_bpermute_b32 v37, v52, v21
	s_and_saveexec_b64 s[40:41], s[10:11]
	s_cbranch_execz .LBB373_39
; %bb.38:                               ;   in Loop: Header=BB373_15 Depth=1
	s_waitcnt lgkmcnt(0)
	v_add_f64 v[20:21], v[20:21], v[36:37]
	v_add_f64 v[18:19], v[4:5], v[18:19]
	ds_write_b128 v54, v[18:21]
.LBB373_39:                             ;   in Loop: Header=BB373_15 Depth=1
	s_or_b64 exec, exec, s[40:41]
	v_mov_b64_e32 v[20:21], 0
	s_waitcnt lgkmcnt(2)
	v_mov_b64_e32 v[18:19], v[20:21]
	s_waitcnt lgkmcnt(0)
	s_barrier
	s_and_saveexec_b64 s[40:41], s[4:5]
	s_cbranch_execnz .LBB373_56
; %bb.40:                               ;   in Loop: Header=BB373_15 Depth=1
	s_or_b64 exec, exec, s[40:41]
	s_and_saveexec_b64 s[40:41], s[0:1]
	s_cbranch_execnz .LBB373_57
.LBB373_41:                             ;   in Loop: Header=BB373_15 Depth=1
	s_or_b64 exec, exec, s[40:41]
	s_and_saveexec_b64 s[40:41], s[12:13]
	s_cbranch_execz .LBB373_14
	s_branch .LBB373_58
.LBB373_42:                             ;   in Loop: Header=BB373_15 Depth=1
	flat_load_dwordx4 v[4:7], v[26:27]
	flat_load_dwordx4 v[8:11], v[28:29]
	s_mul_i32 s42, s3, s23
	s_mul_hi_u32 s43, s3, s22
	s_add_i32 s43, s43, s42
	s_mul_i32 s42, s3, s22
	s_waitcnt vmcnt(0) lgkmcnt(0)
	scratch_store_dwordx4 off, v[4:7], off
	scratch_store_dwordx4 v55, v[8:11], off
	flat_load_dwordx4 v[8:11], v[30:31]
	s_waitcnt vmcnt(0) lgkmcnt(0)
	scratch_store_dwordx4 v56, v[8:11], off
	flat_load_dwordx4 v[8:11], v[32:33]
	s_waitcnt vmcnt(0) lgkmcnt(0)
	scratch_store_dwordx4 v57, v[8:11], off
	s_nop 1
	v_lshl_add_u64 v[8:9], s[42:43], 4, v[22:23]
	flat_load_dwordx4 v[10:13], v[8:9]
	s_or_b32 s42, s3, 1
	s_mul_i32 s43, s42, s23
	s_mul_hi_u32 s48, s42, s22
	s_add_i32 s43, s48, s43
	s_mul_i32 s42, s42, s22
	s_waitcnt vmcnt(0) lgkmcnt(0)
	v_mul_f64 v[14:15], v[6:7], v[12:13]
	v_mul_f64 v[12:13], v[4:5], v[12:13]
	v_fmac_f64_e32 v[14:15], v[4:5], v[10:11]
	v_fma_f64 v[10:11], v[6:7], v[10:11], -v[12:13]
	v_add_f64 v[16:17], v[10:11], 0
	v_lshl_add_u64 v[10:11], s[42:43], 4, v[22:23]
	flat_load_dwordx4 v[18:21], v[10:11]
	s_or_b32 s42, s3, 2
	v_add_f64 v[12:13], v[14:15], 0
	s_mul_i32 s43, s42, s23
	s_mul_hi_u32 s48, s42, s22
	s_add_i32 s43, s48, s43
	s_mul_i32 s42, s42, s22
	s_waitcnt vmcnt(0) lgkmcnt(0)
	v_mul_f64 v[14:15], v[6:7], v[20:21]
	v_fmac_f64_e32 v[14:15], v[4:5], v[18:19]
	v_mul_f64 v[20:21], v[4:5], v[20:21]
	v_fma_f64 v[18:19], v[6:7], v[18:19], -v[20:21]
	v_add_f64 v[20:21], v[14:15], 0
	v_lshl_add_u64 v[14:15], s[42:43], 4, v[22:23]
	flat_load_dwordx4 v[58:61], v[14:15]
	s_or_b32 s42, s3, 3
	v_add_f64 v[36:37], v[18:19], 0
	s_mul_i32 s43, s42, s23
	s_mul_hi_u32 s48, s42, s22
	s_add_i32 s43, s48, s43
	s_mul_i32 s42, s42, s22
	s_waitcnt vmcnt(0) lgkmcnt(0)
	v_mul_f64 v[18:19], v[6:7], v[60:61]
	v_fmac_f64_e32 v[18:19], v[4:5], v[58:59]
	v_mul_f64 v[38:39], v[4:5], v[60:61]
	v_add_f64 v[62:63], v[18:19], 0
	v_lshl_add_u64 v[18:19], s[42:43], 4, v[22:23]
	v_fma_f64 v[38:39], v[6:7], v[58:59], -v[38:39]
	flat_load_dwordx4 v[58:61], v[18:19]
	v_add_f64 v[64:65], v[38:39], 0
	s_waitcnt vmcnt(0) lgkmcnt(0)
	v_mul_f64 v[38:39], v[6:7], v[60:61]
	v_fmac_f64_e32 v[38:39], v[4:5], v[58:59]
	v_mul_f64 v[4:5], v[4:5], v[60:61]
	v_fma_f64 v[4:5], v[6:7], v[58:59], -v[4:5]
	v_add_f64 v[68:69], v[4:5], 0
	scratch_load_dwordx4 v[4:7], off, off offset:16
	flat_load_dwordx4 v[58:61], v[8:9] offset:16
	v_add_f64 v[66:67], v[38:39], 0
	s_waitcnt vmcnt(0) lgkmcnt(0)
	v_mul_f64 v[38:39], v[6:7], v[60:61]
	v_mul_f64 v[60:61], v[4:5], v[60:61]
	v_fmac_f64_e32 v[38:39], v[4:5], v[58:59]
	v_fma_f64 v[58:59], v[6:7], v[58:59], -v[60:61]
	v_add_f64 v[16:17], v[16:17], v[58:59]
	flat_load_dwordx4 v[58:61], v[10:11] offset:16
	v_add_f64 v[12:13], v[12:13], v[38:39]
	s_waitcnt vmcnt(0) lgkmcnt(0)
	v_mul_f64 v[38:39], v[6:7], v[60:61]
	v_mul_f64 v[60:61], v[4:5], v[60:61]
	v_fmac_f64_e32 v[38:39], v[4:5], v[58:59]
	v_fma_f64 v[58:59], v[6:7], v[58:59], -v[60:61]
	v_add_f64 v[20:21], v[20:21], v[38:39]
	v_add_f64 v[58:59], v[36:37], v[58:59]
	flat_load_dwordx4 v[36:39], v[14:15] offset:16
	s_waitcnt vmcnt(0) lgkmcnt(0)
	v_mul_f64 v[60:61], v[6:7], v[38:39]
	v_mul_f64 v[38:39], v[4:5], v[38:39]
	v_fmac_f64_e32 v[60:61], v[4:5], v[36:37]
	v_fma_f64 v[36:37], v[6:7], v[36:37], -v[38:39]
	v_add_f64 v[60:61], v[62:63], v[60:61]
	v_add_f64 v[62:63], v[64:65], v[36:37]
	flat_load_dwordx4 v[36:39], v[18:19] offset:16
	s_waitcnt vmcnt(0) lgkmcnt(0)
	v_mul_f64 v[64:65], v[6:7], v[38:39]
	v_fmac_f64_e32 v[64:65], v[4:5], v[36:37]
	v_mul_f64 v[4:5], v[4:5], v[38:39]
	v_fma_f64 v[4:5], v[6:7], v[36:37], -v[4:5]
	v_add_f64 v[64:65], v[66:67], v[64:65]
	v_add_f64 v[66:67], v[68:69], v[4:5]
	scratch_load_dwordx4 v[4:7], off, off offset:32
	flat_load_dwordx4 v[36:39], v[8:9] offset:32
	s_waitcnt vmcnt(0) lgkmcnt(0)
	v_mul_f64 v[68:69], v[6:7], v[38:39]
	v_mul_f64 v[38:39], v[4:5], v[38:39]
	v_fmac_f64_e32 v[68:69], v[4:5], v[36:37]
	v_fma_f64 v[36:37], v[6:7], v[36:37], -v[38:39]
	v_add_f64 v[16:17], v[16:17], v[36:37]
	flat_load_dwordx4 v[36:39], v[10:11] offset:32
	v_add_f64 v[12:13], v[12:13], v[68:69]
	s_waitcnt vmcnt(0) lgkmcnt(0)
	v_mul_f64 v[68:69], v[6:7], v[38:39]
	v_mul_f64 v[38:39], v[4:5], v[38:39]
	v_fmac_f64_e32 v[68:69], v[4:5], v[36:37]
	v_fma_f64 v[36:37], v[6:7], v[36:37], -v[38:39]
	v_add_f64 v[70:71], v[58:59], v[36:37]
	flat_load_dwordx4 v[36:39], v[14:15] offset:32
	v_add_f64 v[68:69], v[20:21], v[68:69]
	;; [unrolled: 8-line block ×3, first 2 shown]
	s_waitcnt vmcnt(0) lgkmcnt(0)
	v_mul_f64 v[20:21], v[6:7], v[38:39]
	v_fmac_f64_e32 v[20:21], v[4:5], v[36:37]
	v_mul_f64 v[4:5], v[4:5], v[38:39]
	v_fma_f64 v[4:5], v[6:7], v[36:37], -v[4:5]
	v_add_f64 v[38:39], v[66:67], v[4:5]
	scratch_load_dwordx4 v[4:7], off, off offset:48
	flat_load_dwordx4 v[58:61], v[8:9] offset:48
	v_add_f64 v[20:21], v[64:65], v[20:21]
	s_waitcnt vmcnt(0) lgkmcnt(0)
	v_mul_f64 v[8:9], v[6:7], v[60:61]
	v_fmac_f64_e32 v[8:9], v[4:5], v[58:59]
	v_mul_f64 v[36:37], v[4:5], v[60:61]
	v_fma_f64 v[58:59], v[6:7], v[58:59], -v[36:37]
	v_add_f64 v[36:37], v[12:13], v[8:9]
	flat_load_dwordx4 v[10:13], v[10:11] offset:48
	v_add_f64 v[8:9], v[16:17], v[58:59]
	s_waitcnt vmcnt(0) lgkmcnt(0)
	v_mul_f64 v[16:17], v[6:7], v[12:13]
	v_fmac_f64_e32 v[16:17], v[4:5], v[10:11]
	v_mul_f64 v[12:13], v[4:5], v[12:13]
	v_fma_f64 v[12:13], v[6:7], v[10:11], -v[12:13]
	v_add_f64 v[10:11], v[68:69], v[16:17]
	;; [unrolled: 8-line block ×4, first 2 shown]
	v_add_f64 v[20:21], v[38:39], v[4:5]
	s_andn2_saveexec_b64 s[40:41], s[40:41]
	s_cbranch_execz .LBB373_17
.LBB373_43:                             ;   in Loop: Header=BB373_15 Depth=1
	s_waitcnt lgkmcnt(0)
	v_mov_b64_e32 v[18:19], 0
	v_mov_b64_e32 v[20:21], v[18:19]
	;; [unrolled: 1-line block ×8, first 2 shown]
	s_and_saveexec_b64 s[42:43], s[8:9]
	s_cbranch_execz .LBB373_49
; %bb.44:                               ;   in Loop: Header=BB373_15 Depth=1
	v_mov_b64_e32 v[18:19], 0
	s_andn2_b64 vcc, exec, s[30:31]
	v_mov_b64_e32 v[20:21], v[18:19]
	v_mov_b64_e32 v[14:15], v[18:19]
	;; [unrolled: 1-line block ×7, first 2 shown]
	s_cbranch_vccnz .LBB373_49
; %bb.45:                               ;   in Loop: Header=BB373_15 Depth=1
	v_mov_b32_e32 v3, 0
	v_mov_b64_e32 v[4:5], v[26:27]
	s_mov_b32 s48, s21
.LBB373_46:                             ;   Parent Loop BB373_15 Depth=1
                                        ; =>  This Inner Loop Header: Depth=2
	flat_load_dwordx4 v[6:9], v[4:5]
	s_add_i32 s48, s48, -1
	v_lshl_add_u64 v[4:5], v[4:5], 0, s[34:35]
	s_cmp_eq_u32 s48, 0
	s_waitcnt vmcnt(0) lgkmcnt(0)
	scratch_store_dwordx4 v3, v[6:9], off
	v_add_u32_e32 v3, 16, v3
	s_cbranch_scc0 .LBB373_46
; %bb.47:                               ;   in Loop: Header=BB373_15 Depth=1
	v_mov_b64_e32 v[8:9], 0
	v_mov_b32_e32 v3, 0
	v_mov_b64_e32 v[4:5], v[34:35]
	s_mov_b32 s48, s21
	v_mov_b64_e32 v[36:37], v[8:9]
	v_mov_b64_e32 v[12:13], v[8:9]
	v_mov_b64_e32 v[10:11], v[8:9]
	v_mov_b64_e32 v[16:17], v[8:9]
	v_mov_b64_e32 v[14:15], v[8:9]
	v_mov_b64_e32 v[20:21], v[8:9]
	v_mov_b64_e32 v[18:19], v[8:9]
.LBB373_48:                             ;   Parent Loop BB373_15 Depth=1
                                        ; =>  This Inner Loop Header: Depth=2
	scratch_load_dwordx4 v[58:61], v3, off
	flat_load_dwordx4 v[62:65], v[4:5]
	s_add_i32 s48, s48, -1
	v_add_u32_e32 v3, 16, v3
	s_cmp_lg_u32 s48, 0
	s_waitcnt vmcnt(0) lgkmcnt(0)
	v_mul_f64 v[6:7], v[60:61], v[64:65]
	v_fmac_f64_e32 v[6:7], v[58:59], v[62:63]
	v_mul_f64 v[38:39], v[58:59], v[64:65]
	v_add_f64 v[36:37], v[36:37], v[6:7]
	v_lshl_add_u64 v[6:7], v[4:5], 0, s[38:39]
	v_fma_f64 v[38:39], v[60:61], v[62:63], -v[38:39]
	flat_load_dwordx4 v[62:65], v[6:7]
	v_add_f64 v[8:9], v[8:9], v[38:39]
	v_lshl_add_u64 v[6:7], v[6:7], 0, s[38:39]
	v_lshl_add_u64 v[4:5], v[4:5], 0, 16
	s_waitcnt vmcnt(0) lgkmcnt(0)
	v_mul_f64 v[38:39], v[60:61], v[64:65]
	v_mul_f64 v[64:65], v[58:59], v[64:65]
	v_fmac_f64_e32 v[38:39], v[58:59], v[62:63]
	v_fma_f64 v[62:63], v[60:61], v[62:63], -v[64:65]
	v_add_f64 v[12:13], v[12:13], v[62:63]
	flat_load_dwordx4 v[62:65], v[6:7]
	v_add_f64 v[10:11], v[10:11], v[38:39]
	v_lshl_add_u64 v[6:7], v[6:7], 0, s[38:39]
	s_waitcnt vmcnt(0) lgkmcnt(0)
	v_mul_f64 v[38:39], v[60:61], v[64:65]
	v_mul_f64 v[64:65], v[58:59], v[64:65]
	v_fmac_f64_e32 v[38:39], v[58:59], v[62:63]
	v_fma_f64 v[62:63], v[60:61], v[62:63], -v[64:65]
	v_add_f64 v[16:17], v[16:17], v[62:63]
	flat_load_dwordx4 v[62:65], v[6:7]
	v_add_f64 v[14:15], v[14:15], v[38:39]
	s_waitcnt vmcnt(0) lgkmcnt(0)
	v_mul_f64 v[6:7], v[60:61], v[64:65]
	v_mul_f64 v[38:39], v[58:59], v[64:65]
	v_fmac_f64_e32 v[6:7], v[58:59], v[62:63]
	v_fma_f64 v[38:39], v[60:61], v[62:63], -v[38:39]
	v_add_f64 v[18:19], v[18:19], v[6:7]
	v_add_f64 v[20:21], v[20:21], v[38:39]
	s_cbranch_scc1 .LBB373_48
.LBB373_49:                             ;   in Loop: Header=BB373_15 Depth=1
	s_or_b64 exec, exec, s[42:43]
	s_or_b64 exec, exec, s[40:41]
	s_and_saveexec_b64 s[40:41], s[0:1]
	s_cbranch_execnz .LBB373_18
	s_branch .LBB373_19
.LBB373_50:                             ;   in Loop: Header=BB373_15 Depth=1
	ds_read_b128 v[6:9], v53
	s_or_b64 exec, exec, s[40:41]
	s_and_saveexec_b64 s[40:41], s[0:1]
	s_cbranch_execz .LBB373_23
.LBB373_51:                             ;   in Loop: Header=BB373_15 Depth=1
	s_waitcnt lgkmcnt(0)
	ds_bpermute_b32 v4, v51, v6
	ds_bpermute_b32 v5, v51, v7
	;; [unrolled: 1-line block ×4, first 2 shown]
	s_waitcnt lgkmcnt(2)
	v_add_f64 v[4:5], v[6:7], v[4:5]
	ds_bpermute_b32 v6, v52, v4
	s_waitcnt lgkmcnt(1)
	v_add_f64 v[8:9], v[8:9], v[36:37]
	ds_bpermute_b32 v7, v52, v5
	ds_bpermute_b32 v36, v52, v8
	ds_bpermute_b32 v37, v52, v9
	s_waitcnt lgkmcnt(2)
	v_add_f64 v[6:7], v[4:5], v[6:7]
	s_waitcnt lgkmcnt(0)
	v_add_f64 v[8:9], v[8:9], v[36:37]
	s_or_b64 exec, exec, s[40:41]
	s_and_saveexec_b64 s[40:41], s[0:1]
	s_cbranch_execnz .LBB373_24
	s_branch .LBB373_25
.LBB373_52:                             ;   in Loop: Header=BB373_15 Depth=1
	ds_read_b128 v[10:13], v53
	s_or_b64 exec, exec, s[40:41]
	s_and_saveexec_b64 s[40:41], s[0:1]
	s_cbranch_execz .LBB373_29
.LBB373_53:                             ;   in Loop: Header=BB373_15 Depth=1
	s_waitcnt lgkmcnt(0)
	ds_bpermute_b32 v4, v51, v10
	ds_bpermute_b32 v5, v51, v11
	;; [unrolled: 1-line block ×4, first 2 shown]
	s_waitcnt lgkmcnt(2)
	v_add_f64 v[4:5], v[10:11], v[4:5]
	ds_bpermute_b32 v10, v52, v4
	s_waitcnt lgkmcnt(1)
	v_add_f64 v[12:13], v[12:13], v[36:37]
	ds_bpermute_b32 v11, v52, v5
	ds_bpermute_b32 v36, v52, v12
	;; [unrolled: 1-line block ×3, first 2 shown]
	s_waitcnt lgkmcnt(2)
	v_add_f64 v[10:11], v[4:5], v[10:11]
	s_waitcnt lgkmcnt(0)
	v_add_f64 v[12:13], v[12:13], v[36:37]
	s_or_b64 exec, exec, s[40:41]
	s_and_saveexec_b64 s[40:41], s[0:1]
	s_cbranch_execnz .LBB373_30
	s_branch .LBB373_31
.LBB373_54:                             ;   in Loop: Header=BB373_15 Depth=1
	ds_read_b128 v[14:17], v53
	s_or_b64 exec, exec, s[40:41]
	s_and_saveexec_b64 s[40:41], s[0:1]
	s_cbranch_execz .LBB373_35
.LBB373_55:                             ;   in Loop: Header=BB373_15 Depth=1
	s_waitcnt lgkmcnt(0)
	ds_bpermute_b32 v4, v51, v14
	ds_bpermute_b32 v5, v51, v15
	;; [unrolled: 1-line block ×4, first 2 shown]
	s_waitcnt lgkmcnt(2)
	v_add_f64 v[4:5], v[14:15], v[4:5]
	ds_bpermute_b32 v14, v52, v4
	s_waitcnt lgkmcnt(1)
	v_add_f64 v[16:17], v[16:17], v[36:37]
	ds_bpermute_b32 v15, v52, v5
	ds_bpermute_b32 v36, v52, v16
	;; [unrolled: 1-line block ×3, first 2 shown]
	s_waitcnt lgkmcnt(2)
	v_add_f64 v[14:15], v[4:5], v[14:15]
	s_waitcnt lgkmcnt(0)
	v_add_f64 v[16:17], v[16:17], v[36:37]
	s_or_b64 exec, exec, s[40:41]
	s_and_saveexec_b64 s[40:41], s[0:1]
	s_cbranch_execnz .LBB373_36
	s_branch .LBB373_37
.LBB373_56:                             ;   in Loop: Header=BB373_15 Depth=1
	ds_read_b128 v[18:21], v53
	s_or_b64 exec, exec, s[40:41]
	s_and_saveexec_b64 s[40:41], s[0:1]
	s_cbranch_execz .LBB373_41
.LBB373_57:                             ;   in Loop: Header=BB373_15 Depth=1
	s_waitcnt lgkmcnt(0)
	ds_bpermute_b32 v4, v51, v18
	ds_bpermute_b32 v5, v51, v19
	;; [unrolled: 1-line block ×4, first 2 shown]
	s_waitcnt lgkmcnt(2)
	v_add_f64 v[4:5], v[18:19], v[4:5]
	ds_bpermute_b32 v18, v52, v4
	s_waitcnt lgkmcnt(1)
	v_add_f64 v[20:21], v[20:21], v[36:37]
	ds_bpermute_b32 v19, v52, v5
	ds_bpermute_b32 v36, v52, v20
	ds_bpermute_b32 v37, v52, v21
	s_waitcnt lgkmcnt(2)
	v_add_f64 v[18:19], v[4:5], v[18:19]
	s_waitcnt lgkmcnt(0)
	v_add_f64 v[20:21], v[20:21], v[36:37]
	s_or_b64 exec, exec, s[40:41]
	s_and_saveexec_b64 s[40:41], s[12:13]
	s_cbranch_execz .LBB373_14
.LBB373_58:                             ;   in Loop: Header=BB373_15 Depth=1
	s_mul_hi_u32 s43, s3, s20
	s_mul_i32 s42, s3, s20
	s_lshl_b64 s[42:43], s[42:43], 4
	v_mul_f64 v[4:5], s[18:19], v[8:9]
	v_mul_f64 v[38:39], s[16:17], v[8:9]
	s_add_u32 s42, s46, s42
	v_fma_f64 v[36:37], s[16:17], v[6:7], -v[4:5]
	v_fmac_f64_e32 v[38:39], s[18:19], v[6:7]
	s_addc_u32 s43, s47, s43
	global_store_dwordx4 v2, v[36:39], s[42:43]
	s_or_b32 s42, s3, 1
	s_mul_hi_u32 s43, s42, s20
	s_mul_i32 s42, s42, s20
	s_lshl_b64 s[42:43], s[42:43], 4
	v_mul_f64 v[4:5], s[18:19], v[12:13]
	v_mul_f64 v[6:7], s[16:17], v[12:13]
	s_add_u32 s42, s46, s42
	v_fma_f64 v[4:5], s[16:17], v[10:11], -v[4:5]
	v_fmac_f64_e32 v[6:7], s[18:19], v[10:11]
	s_addc_u32 s43, s47, s43
	global_store_dwordx4 v2, v[4:7], s[42:43]
	s_or_b32 s42, s3, 2
	;; [unrolled: 11-line block ×3, first 2 shown]
	s_mul_hi_u32 s43, s42, s20
	s_mul_i32 s42, s42, s20
	s_lshl_b64 s[42:43], s[42:43], 4
	s_waitcnt lgkmcnt(0)
	v_mul_f64 v[4:5], s[18:19], v[20:21]
	v_mul_f64 v[6:7], s[16:17], v[20:21]
	s_add_u32 s42, s46, s42
	v_fma_f64 v[4:5], s[16:17], v[18:19], -v[4:5]
	v_fmac_f64_e32 v[6:7], s[18:19], v[18:19]
	s_addc_u32 s43, s47, s43
	global_store_dwordx4 v2, v[4:7], s[42:43]
	s_branch .LBB373_14
.LBB373_59:
	s_mov_b32 s3, 0
.LBB373_60:
	s_cmp_ge_i32 s3, s15
	s_cbranch_scc1 .LBB373_82
; %bb.61:
	v_mbcnt_hi_u32_b32 v2, -1, v44
	v_and_b32_e32 v3, 63, v2
	v_cmp_gt_u32_e64 s[4:5], 32, v3
	s_mov_b32 s13, 0
	s_cmp_gt_i32 s21, 0
	v_cndmask_b32_e64 v4, 0, 1, s[4:5]
	v_lshlrev_b32_e32 v4, 5, v4
	v_cmp_gt_u32_e64 s[4:5], 48, v3
	s_waitcnt lgkmcnt(0)
	v_add_lshl_u32 v21, v4, v2, 2
	s_mov_b32 s12, s2
	v_cndmask_b32_e64 v4, 0, 1, s[4:5]
	v_lshlrev_b32_e32 v4, 4, v4
	v_cmp_gt_u32_e64 s[4:5], 56, v3
	v_add_lshl_u32 v26, v4, v2, 2
	s_cselect_b64 s[30:31], -1, 0
	v_cndmask_b32_e64 v4, 0, 1, s[4:5]
	v_lshlrev_b32_e32 v4, 3, v4
	v_cmp_gt_u32_e64 s[4:5], 60, v3
	v_add_lshl_u32 v27, v4, v2, 2
	s_lshl_b64 s[12:13], s[12:13], 4
	v_cndmask_b32_e64 v4, 0, 1, s[4:5]
	v_lshlrev_b32_e32 v4, 2, v4
	v_cmp_gt_u32_e64 s[4:5], 62, v3
	v_add_lshl_u32 v28, v4, v2, 2
	s_add_u32 s2, s33, s12
	v_cndmask_b32_e64 v4, 0, 1, s[4:5]
	v_lshlrev_b32_e32 v4, 1, v4
	v_cmp_ne_u32_e64 s[4:5], 63, v3
	v_add_lshl_u32 v29, v4, v2, 2
	v_cmp_ge_i32_e32 vcc, s14, v45
	v_addc_co_u32_e64 v2, s[4:5], 0, v2, s[4:5]
	v_cmp_ge_i32_e64 s[10:11], s14, v46
	v_lshlrev_b32_e32 v30, 2, v2
	s_addc_u32 s14, s44, s13
	v_mad_i64_i32 v[2:3], s[12:13], s28, v24, 0
	v_lshl_add_u64 v[6:7], v[2:3], 4, s[26:27]
	v_mad_i64_i32 v[2:3], s[12:13], s28, v41, 0
	v_cmp_gt_u32_e64 s[0:1], 64, v0
	v_cmp_gt_u32_e64 s[6:7], 4, v0
	v_cmp_eq_u32_e64 s[8:9], 0, v0
	v_lshl_add_u64 v[8:9], v[2:3], 4, s[26:27]
	v_mad_i64_i32 v[2:3], s[12:13], s28, v40, 0
	v_mad_i64_i32 v[0:1], s[12:13], s28, v1, 0
	v_lshl_add_u64 v[10:11], v[2:3], 4, s[26:27]
	v_lshl_add_u64 v[12:13], v[0:1], 4, s[26:27]
	s_mul_i32 s26, s23, s3
	s_mul_hi_u32 s27, s22, s3
	s_add_i32 s27, s27, s26
	s_mul_i32 s26, s22, s3
	s_and_b64 s[10:11], s[30:31], s[10:11]
	s_lshl_b64 s[12:13], s[28:29], 4
	s_lshl_b64 s[26:27], s[26:27], 4
	s_add_u32 s24, s24, s26
	v_mov_b32_e32 v4, 0
	s_addc_u32 s25, s25, s27
	v_lshlrev_b32_e32 v20, 4, v42
	v_cmp_eq_u32_e64 s[4:5], 0, v42
	v_and_b32_e32 v31, 48, v43
	v_add_u32_e32 v32, 16, v4
	v_add_u32_e32 v33, 32, v4
	;; [unrolled: 1-line block ×3, first 2 shown]
	v_lshl_add_u64 v[14:15], v[24:25], 4, s[24:25]
	s_lshl_b64 s[24:25], s[22:23], 4
	v_mov_b32_e32 v0, 0
	s_branch .LBB373_63
.LBB373_62:                             ;   in Loop: Header=BB373_63 Depth=1
	s_or_b64 exec, exec, s[26:27]
	s_add_i32 s3, s3, 1
	s_cmp_lt_i32 s3, s15
	v_lshl_add_u64 v[14:15], v[14:15], 0, s[24:25]
	s_cbranch_scc0 .LBB373_82
.LBB373_63:                             ; =>This Loop Header: Depth=1
                                        ;     Child Loop BB373_75 Depth 2
                                        ;     Child Loop BB373_77 Depth 2
                                        ; implicit-def: $vgpr4_vgpr5
                                        ; implicit-def: $vgpr16_vgpr17
	s_and_saveexec_b64 s[26:27], vcc
	s_xor_b64 s[26:27], exec, s[26:27]
	s_cbranch_execnz .LBB373_72
; %bb.64:                               ;   in Loop: Header=BB373_63 Depth=1
	s_andn2_saveexec_b64 s[26:27], s[26:27]
	s_cbranch_execnz .LBB373_73
.LBB373_65:                             ;   in Loop: Header=BB373_63 Depth=1
	s_or_b64 exec, exec, s[26:27]
	s_and_saveexec_b64 s[26:27], s[0:1]
	s_cbranch_execz .LBB373_67
.LBB373_66:                             ;   in Loop: Header=BB373_63 Depth=1
	v_mov_b32_e32 v1, v0
	s_waitcnt lgkmcnt(0)
	v_mov_b32_e32 v2, v0
	v_mov_b32_e32 v3, v0
	ds_write_b128 v20, v[0:3]
.LBB373_67:                             ;   in Loop: Header=BB373_63 Depth=1
	s_or_b64 exec, exec, s[26:27]
	s_waitcnt lgkmcnt(0)
	ds_bpermute_b32 v2, v21, v4
	ds_bpermute_b32 v3, v21, v5
	;; [unrolled: 1-line block ×4, first 2 shown]
	s_waitcnt lgkmcnt(0)
	s_barrier
	v_add_f64 v[2:3], v[4:5], v[2:3]
	v_add_f64 v[4:5], v[16:17], v[18:19]
	ds_bpermute_b32 v16, v26, v2
	ds_bpermute_b32 v17, v26, v3
	;; [unrolled: 1-line block ×4, first 2 shown]
	s_waitcnt lgkmcnt(2)
	v_add_f64 v[2:3], v[2:3], v[16:17]
	ds_bpermute_b32 v16, v27, v2
	s_waitcnt lgkmcnt(1)
	v_add_f64 v[4:5], v[4:5], v[18:19]
	ds_bpermute_b32 v17, v27, v3
	ds_bpermute_b32 v18, v27, v4
	ds_bpermute_b32 v19, v27, v5
	s_waitcnt lgkmcnt(2)
	v_add_f64 v[2:3], v[2:3], v[16:17]
	ds_bpermute_b32 v16, v28, v2
	s_waitcnt lgkmcnt(1)
	v_add_f64 v[4:5], v[4:5], v[18:19]
	ds_bpermute_b32 v17, v28, v3
	ds_bpermute_b32 v18, v28, v4
	ds_bpermute_b32 v19, v28, v5
	;; [unrolled: 8-line block ×3, first 2 shown]
	s_waitcnt lgkmcnt(2)
	v_add_f64 v[2:3], v[2:3], v[16:17]
	s_waitcnt lgkmcnt(0)
	v_add_f64 v[16:17], v[4:5], v[18:19]
	ds_bpermute_b32 v4, v30, v2
	ds_bpermute_b32 v5, v30, v3
	;; [unrolled: 1-line block ×4, first 2 shown]
	s_and_saveexec_b64 s[26:27], s[4:5]
	s_cbranch_execz .LBB373_69
; %bb.68:                               ;   in Loop: Header=BB373_63 Depth=1
	s_waitcnt lgkmcnt(0)
	v_add_f64 v[18:19], v[16:17], v[18:19]
	v_add_f64 v[16:17], v[2:3], v[4:5]
	ds_write_b128 v31, v[16:19]
.LBB373_69:                             ;   in Loop: Header=BB373_63 Depth=1
	s_or_b64 exec, exec, s[26:27]
	s_waitcnt lgkmcnt(2)
	v_mov_b64_e32 v[4:5], 0
	v_mov_b64_e32 v[2:3], v[4:5]
	s_waitcnt lgkmcnt(0)
	s_barrier
	s_and_saveexec_b64 s[26:27], s[6:7]
	s_cbranch_execnz .LBB373_79
; %bb.70:                               ;   in Loop: Header=BB373_63 Depth=1
	s_or_b64 exec, exec, s[26:27]
	s_and_saveexec_b64 s[26:27], s[0:1]
	s_cbranch_execnz .LBB373_80
.LBB373_71:                             ;   in Loop: Header=BB373_63 Depth=1
	s_or_b64 exec, exec, s[26:27]
	s_and_saveexec_b64 s[26:27], s[8:9]
	s_cbranch_execz .LBB373_62
	s_branch .LBB373_81
.LBB373_72:                             ;   in Loop: Header=BB373_63 Depth=1
	s_waitcnt lgkmcnt(0)
	flat_load_dwordx4 v[2:5], v[6:7]
	flat_load_dwordx4 v[16:19], v[8:9]
	;; [unrolled: 1-line block ×4, first 2 shown]
	s_mul_i32 s29, s3, s23
	s_mul_hi_u32 s30, s3, s22
	s_mul_i32 s28, s3, s22
	s_add_i32 s29, s30, s29
	v_lshl_add_u64 v[24:25], s[28:29], 4, v[22:23]
	s_waitcnt vmcnt(0) lgkmcnt(0)
	scratch_store_dwordx4 off, v[2:5], off
	scratch_store_dwordx4 v32, v[16:19], off
	scratch_store_dwordx4 v33, v[36:39], off
	;; [unrolled: 1-line block ×3, first 2 shown]
	flat_load_dwordx4 v[16:19], v[24:25]
	s_nop 0
	flat_load_dwordx4 v[36:39], v[24:25] offset:16
	scratch_load_dwordx4 v[40:43], off, off offset:16
	scratch_load_dwordx4 v[44:47], off, off offset:32
	flat_load_dwordx4 v[48:51], v[24:25] offset:32
	flat_load_dwordx4 v[52:55], v[24:25] offset:48
                                        ; kill: killed $vgpr24_vgpr25
	scratch_load_dwordx4 v[56:59], off, off offset:48
	s_waitcnt vmcnt(0) lgkmcnt(0)
	v_mul_f64 v[24:25], v[18:19], v[4:5]
	v_mul_f64 v[18:19], v[18:19], v[2:3]
	;; [unrolled: 1-line block ×4, first 2 shown]
	v_fmac_f64_e32 v[24:25], v[16:17], v[2:3]
	v_fma_f64 v[2:3], v[16:17], v[4:5], -v[18:19]
	v_mul_f64 v[62:63], v[50:51], v[46:47]
	v_mul_f64 v[50:51], v[50:51], v[44:45]
	v_fmac_f64_e32 v[60:61], v[36:37], v[40:41]
	v_fma_f64 v[4:5], v[36:37], v[42:43], -v[38:39]
	v_add_f64 v[24:25], v[24:25], 0
	v_add_f64 v[2:3], v[2:3], 0
	v_mul_f64 v[64:65], v[54:55], v[58:59]
	v_mul_f64 v[54:55], v[54:55], v[56:57]
	v_fmac_f64_e32 v[62:63], v[48:49], v[44:45]
	v_fma_f64 v[16:17], v[48:49], v[46:47], -v[50:51]
	v_add_f64 v[24:25], v[24:25], v[60:61]
	v_add_f64 v[2:3], v[2:3], v[4:5]
	v_fmac_f64_e32 v[64:65], v[52:53], v[56:57]
	v_fma_f64 v[18:19], v[52:53], v[58:59], -v[54:55]
	v_add_f64 v[4:5], v[24:25], v[62:63]
	v_add_f64 v[2:3], v[2:3], v[16:17]
	v_add_f64 v[4:5], v[4:5], v[64:65]
	v_add_f64 v[16:17], v[2:3], v[18:19]
	s_andn2_saveexec_b64 s[26:27], s[26:27]
	s_cbranch_execz .LBB373_65
.LBB373_73:                             ;   in Loop: Header=BB373_63 Depth=1
	s_waitcnt lgkmcnt(0)
	v_mov_b64_e32 v[4:5], 0
	v_mov_b64_e32 v[16:17], v[4:5]
	s_and_saveexec_b64 s[28:29], s[10:11]
	s_cbranch_execz .LBB373_78
; %bb.74:                               ;   in Loop: Header=BB373_63 Depth=1
	v_mov_b32_e32 v1, 0
	v_mov_b64_e32 v[2:3], v[6:7]
	s_mov_b32 s30, s21
.LBB373_75:                             ;   Parent Loop BB373_63 Depth=1
                                        ; =>  This Inner Loop Header: Depth=2
	flat_load_dwordx4 v[16:19], v[2:3]
	s_add_i32 s30, s30, -1
	v_lshl_add_u64 v[2:3], v[2:3], 0, s[12:13]
	s_cmp_eq_u32 s30, 0
	s_waitcnt vmcnt(0) lgkmcnt(0)
	scratch_store_dwordx4 v1, v[16:19], off
	v_add_u32_e32 v1, 16, v1
	s_cbranch_scc0 .LBB373_75
; %bb.76:                               ;   in Loop: Header=BB373_63 Depth=1
	v_mov_b64_e32 v[4:5], 0
	v_mov_b32_e32 v1, 0
	v_mov_b64_e32 v[2:3], v[14:15]
	s_mov_b32 s30, s21
	v_mov_b64_e32 v[16:17], v[4:5]
.LBB373_77:                             ;   Parent Loop BB373_63 Depth=1
                                        ; =>  This Inner Loop Header: Depth=2
	flat_load_dwordx4 v[36:39], v[2:3]
	scratch_load_dwordx4 v[40:43], v1, off
	s_add_i32 s30, s30, -1
	v_add_u32_e32 v1, 16, v1
	v_lshl_add_u64 v[2:3], v[2:3], 0, 16
	s_cmp_lg_u32 s30, 0
	s_waitcnt vmcnt(0) lgkmcnt(0)
	v_mul_f64 v[18:19], v[38:39], v[42:43]
	v_mul_f64 v[24:25], v[38:39], v[40:41]
	v_fmac_f64_e32 v[18:19], v[36:37], v[40:41]
	v_fma_f64 v[24:25], v[36:37], v[42:43], -v[24:25]
	v_add_f64 v[4:5], v[4:5], v[18:19]
	v_add_f64 v[16:17], v[16:17], v[24:25]
	s_cbranch_scc1 .LBB373_77
.LBB373_78:                             ;   in Loop: Header=BB373_63 Depth=1
	s_or_b64 exec, exec, s[28:29]
	s_or_b64 exec, exec, s[26:27]
	s_and_saveexec_b64 s[26:27], s[0:1]
	s_cbranch_execnz .LBB373_66
	s_branch .LBB373_67
.LBB373_79:                             ;   in Loop: Header=BB373_63 Depth=1
	ds_read_b128 v[2:5], v20
	s_or_b64 exec, exec, s[26:27]
	s_and_saveexec_b64 s[26:27], s[0:1]
	s_cbranch_execz .LBB373_71
.LBB373_80:                             ;   in Loop: Header=BB373_63 Depth=1
	s_waitcnt lgkmcnt(0)
	ds_bpermute_b32 v16, v29, v2
	ds_bpermute_b32 v17, v29, v3
	;; [unrolled: 1-line block ×4, first 2 shown]
	s_waitcnt lgkmcnt(2)
	v_add_f64 v[2:3], v[2:3], v[16:17]
	ds_bpermute_b32 v16, v30, v2
	s_waitcnt lgkmcnt(1)
	v_add_f64 v[4:5], v[4:5], v[18:19]
	ds_bpermute_b32 v17, v30, v3
	ds_bpermute_b32 v18, v30, v4
	ds_bpermute_b32 v19, v30, v5
	s_waitcnt lgkmcnt(2)
	v_add_f64 v[2:3], v[2:3], v[16:17]
	s_waitcnt lgkmcnt(0)
	v_add_f64 v[4:5], v[4:5], v[18:19]
	s_or_b64 exec, exec, s[26:27]
	s_and_saveexec_b64 s[26:27], s[8:9]
	s_cbranch_execz .LBB373_62
.LBB373_81:                             ;   in Loop: Header=BB373_63 Depth=1
	s_mul_hi_u32 s29, s3, s20
	s_mul_i32 s28, s3, s20
	s_lshl_b64 s[28:29], s[28:29], 4
	s_waitcnt lgkmcnt(0)
	v_mul_f64 v[16:17], s[18:19], v[4:5]
	v_mul_f64 v[18:19], s[16:17], v[4:5]
	s_add_u32 s28, s2, s28
	v_fma_f64 v[16:17], s[16:17], v[2:3], -v[16:17]
	v_fmac_f64_e32 v[18:19], s[18:19], v[2:3]
	s_addc_u32 s29, s14, s29
	global_store_dwordx4 v0, v[16:19], s[28:29]
	s_branch .LBB373_62
.LBB373_82:
	s_endpgm
	.section	.rodata,"a",@progbits
	.p2align	6, 0x0
	.amdhsa_kernel _ZL23rocblas_gemvt_sn_kernelILb1ELi256ELi4ElPK19rocblas_complex_numIdES1_S1_EviiT4_lPKT3_lilS7_lilPT5_i
		.amdhsa_group_segment_fixed_size 1024
		.amdhsa_private_segment_fixed_size 80
		.amdhsa_kernarg_size 368
		.amdhsa_user_sgpr_count 2
		.amdhsa_user_sgpr_dispatch_ptr 0
		.amdhsa_user_sgpr_queue_ptr 0
		.amdhsa_user_sgpr_kernarg_segment_ptr 1
		.amdhsa_user_sgpr_dispatch_id 0
		.amdhsa_user_sgpr_kernarg_preload_length 0
		.amdhsa_user_sgpr_kernarg_preload_offset 0
		.amdhsa_user_sgpr_private_segment_size 0
		.amdhsa_uses_dynamic_stack 0
		.amdhsa_enable_private_segment 1
		.amdhsa_system_sgpr_workgroup_id_x 1
		.amdhsa_system_sgpr_workgroup_id_y 0
		.amdhsa_system_sgpr_workgroup_id_z 1
		.amdhsa_system_sgpr_workgroup_info 0
		.amdhsa_system_vgpr_workitem_id 0
		.amdhsa_next_free_vgpr 74
		.amdhsa_next_free_sgpr 49
		.amdhsa_accum_offset 76
		.amdhsa_reserve_vcc 1
		.amdhsa_float_round_mode_32 0
		.amdhsa_float_round_mode_16_64 0
		.amdhsa_float_denorm_mode_32 3
		.amdhsa_float_denorm_mode_16_64 3
		.amdhsa_dx10_clamp 1
		.amdhsa_ieee_mode 1
		.amdhsa_fp16_overflow 0
		.amdhsa_tg_split 0
		.amdhsa_exception_fp_ieee_invalid_op 0
		.amdhsa_exception_fp_denorm_src 0
		.amdhsa_exception_fp_ieee_div_zero 0
		.amdhsa_exception_fp_ieee_overflow 0
		.amdhsa_exception_fp_ieee_underflow 0
		.amdhsa_exception_fp_ieee_inexact 0
		.amdhsa_exception_int_div_zero 0
	.end_amdhsa_kernel
	.section	.text._ZL23rocblas_gemvt_sn_kernelILb1ELi256ELi4ElPK19rocblas_complex_numIdES1_S1_EviiT4_lPKT3_lilS7_lilPT5_i,"axG",@progbits,_ZL23rocblas_gemvt_sn_kernelILb1ELi256ELi4ElPK19rocblas_complex_numIdES1_S1_EviiT4_lPKT3_lilS7_lilPT5_i,comdat
.Lfunc_end373:
	.size	_ZL23rocblas_gemvt_sn_kernelILb1ELi256ELi4ElPK19rocblas_complex_numIdES1_S1_EviiT4_lPKT3_lilS7_lilPT5_i, .Lfunc_end373-_ZL23rocblas_gemvt_sn_kernelILb1ELi256ELi4ElPK19rocblas_complex_numIdES1_S1_EviiT4_lPKT3_lilS7_lilPT5_i
                                        ; -- End function
	.section	.AMDGPU.csdata,"",@progbits
; Kernel info:
; codeLenInByte = 6760
; NumSgprs: 55
; NumVgprs: 74
; NumAgprs: 0
; TotalNumVgprs: 74
; ScratchSize: 80
; MemoryBound: 0
; FloatMode: 240
; IeeeMode: 1
; LDSByteSize: 1024 bytes/workgroup (compile time only)
; SGPRBlocks: 6
; VGPRBlocks: 9
; NumSGPRsForWavesPerEU: 55
; NumVGPRsForWavesPerEU: 74
; AccumOffset: 76
; Occupancy: 6
; WaveLimiterHint : 0
; COMPUTE_PGM_RSRC2:SCRATCH_EN: 1
; COMPUTE_PGM_RSRC2:USER_SGPR: 2
; COMPUTE_PGM_RSRC2:TRAP_HANDLER: 0
; COMPUTE_PGM_RSRC2:TGID_X_EN: 1
; COMPUTE_PGM_RSRC2:TGID_Y_EN: 0
; COMPUTE_PGM_RSRC2:TGID_Z_EN: 1
; COMPUTE_PGM_RSRC2:TIDIG_COMP_CNT: 0
; COMPUTE_PGM_RSRC3_GFX90A:ACCUM_OFFSET: 18
; COMPUTE_PGM_RSRC3_GFX90A:TG_SPLIT: 0
	.section	.text._ZL20rocblas_gemvt_kernelILb1ELi256EPK19rocblas_complex_numIdES3_KPS1_EviiT2_lPKT1_lilS9_lilS6_lPT3_lili,"axG",@progbits,_ZL20rocblas_gemvt_kernelILb1ELi256EPK19rocblas_complex_numIdES3_KPS1_EviiT2_lPKT1_lilS9_lilS6_lPT3_lili,comdat
	.globl	_ZL20rocblas_gemvt_kernelILb1ELi256EPK19rocblas_complex_numIdES3_KPS1_EviiT2_lPKT1_lilS9_lilS6_lPT3_lili ; -- Begin function _ZL20rocblas_gemvt_kernelILb1ELi256EPK19rocblas_complex_numIdES3_KPS1_EviiT2_lPKT1_lilS9_lilS6_lPT3_lili
	.p2align	8
	.type	_ZL20rocblas_gemvt_kernelILb1ELi256EPK19rocblas_complex_numIdES3_KPS1_EviiT2_lPKT1_lilS9_lilS6_lPT3_lili,@function
_ZL20rocblas_gemvt_kernelILb1ELi256EPK19rocblas_complex_numIdES3_KPS1_EviiT2_lPKT1_lilS9_lilS6_lPT3_lili: ; @_ZL20rocblas_gemvt_kernelILb1ELi256EPK19rocblas_complex_numIdES3_KPS1_EviiT2_lPKT1_lilS9_lilS6_lPT3_lili
; %bb.0:
	s_load_dwordx8 s[12:19], s[0:1], 0x8
	s_load_dwordx8 s[4:11], s[0:1], 0x58
	s_mov_b32 s26, s3
	s_mov_b32 s27, 0
	s_waitcnt lgkmcnt(0)
	s_mul_i32 s3, s3, s15
	s_mul_hi_u32 s15, s26, s14
	s_add_i32 s15, s15, s3
	s_mul_i32 s14, s26, s14
	s_lshl_b64 s[14:15], s[14:15], 4
	s_add_u32 s12, s12, s14
	s_mul_i32 s3, s26, s7
	s_mul_hi_u32 s7, s26, s6
	s_addc_u32 s13, s13, s15
	s_add_i32 s7, s7, s3
	s_mul_i32 s6, s26, s6
	s_load_dwordx4 s[20:23], s[12:13], 0x0
	s_lshl_b64 s[6:7], s[6:7], 4
	s_add_u32 s4, s4, s6
	s_addc_u32 s5, s5, s7
	s_load_dwordx4 s[12:15], s[4:5], 0x0
	s_waitcnt lgkmcnt(0)
	v_cmp_neq_f64_e64 s[4:5], s[20:21], 0
	v_cmp_neq_f64_e64 s[24:25], s[22:23], 0
	s_or_b64 s[4:5], s[4:5], s[24:25]
	s_mov_b64 s[6:7], 0
	s_mov_b64 s[24:25], -1
	s_and_b64 vcc, exec, s[4:5]
	s_cbranch_vccz .LBB374_4
; %bb.1:
	s_andn2_b64 vcc, exec, s[24:25]
	s_cbranch_vccz .LBB374_5
.LBB374_2:
	s_andn2_b64 vcc, exec, s[6:7]
	s_cbranch_vccz .LBB374_6
.LBB374_3:
	s_endpgm
.LBB374_4:
	v_cmp_neq_f64_e64 s[6:7], s[12:13], 1.0
	v_cmp_neq_f64_e64 s[28:29], s[14:15], 0
	s_mov_b64 s[24:25], 0
	s_or_b64 s[6:7], s[6:7], s[28:29]
	s_cbranch_execnz .LBB374_2
.LBB374_5:
	s_lshl_b64 s[6:7], s[26:27], 3
	s_add_u32 s6, s16, s6
	s_addc_u32 s7, s17, s7
	s_load_dwordx2 s[6:7], s[6:7], 0x0
	s_lshl_b64 s[16:17], s[18:19], 4
	s_waitcnt lgkmcnt(0)
	s_add_u32 s24, s6, s16
	s_addc_u32 s25, s7, s17
.LBB374_6:
	s_xor_b64 s[18:19], s[4:5], -1
	s_mov_b64 s[6:7], 0
	s_andn2_b64 vcc, exec, s[4:5]
	s_mov_b64 s[16:17], 0
	s_cbranch_vccnz .LBB374_8
; %bb.7:
	s_load_dwordx4 s[28:31], s[0:1], 0x38
	s_lshl_b64 s[4:5], s[26:27], 3
	s_waitcnt lgkmcnt(0)
	s_add_u32 s4, s28, s4
	s_addc_u32 s5, s29, s5
	s_load_dwordx2 s[4:5], s[4:5], 0x0
	s_lshl_b64 s[16:17], s[30:31], 4
	s_waitcnt lgkmcnt(0)
	s_add_u32 s16, s4, s16
	s_addc_u32 s17, s5, s17
.LBB374_8:
	s_lshl_b64 s[4:5], s[26:27], 3
	s_add_u32 s4, s8, s4
	s_addc_u32 s5, s9, s5
	s_load_dwordx2 s[8:9], s[4:5], 0x0
	s_load_dword s27, s[0:1], 0x78
	s_lshl_b64 s[4:5], s[10:11], 4
	s_waitcnt lgkmcnt(0)
	s_add_u32 s3, s8, s4
	s_addc_u32 s26, s9, s5
	s_andn2_b64 vcc, exec, s[18:19]
	v_cmp_eq_u32_e64 s[4:5], 0, v0
	s_cbranch_vccnz .LBB374_13
; %bb.9:
	s_mov_b64 s[10:11], 0
                                        ; implicit-def: $vgpr4_vgpr5
                                        ; implicit-def: $sgpr8_sgpr9
	s_and_saveexec_b64 s[18:19], s[4:5]
	s_cbranch_execz .LBB374_14
; %bb.10:
	v_cmp_neq_f64_e64 s[4:5], s[12:13], 0
	v_cmp_neq_f64_e64 s[6:7], s[14:15], 0
	v_mov_b64_e32 v[4:5], 0
	s_or_b64 s[4:5], s[4:5], s[6:7]
	s_mul_hi_i32 s9, s27, s2
	s_mul_i32 s8, s27, s2
	s_andn2_b64 vcc, exec, s[4:5]
	v_mov_b64_e32 v[2:3], v[4:5]
	s_cbranch_vccnz .LBB374_12
; %bb.11:
	s_lshl_b64 s[4:5], s[8:9], 4
	s_add_u32 s4, s3, s4
	s_addc_u32 s5, s26, s5
	s_load_dwordx4 s[4:7], s[4:5], 0x0
	s_waitcnt lgkmcnt(0)
	v_mov_b64_e32 v[2:3], s[6:7]
	v_mov_b64_e32 v[6:7], s[4:5]
	v_mul_f64 v[8:9], s[14:15], v[2:3]
	v_mul_f64 v[4:5], s[12:13], v[2:3]
	v_fma_f64 v[2:3], s[12:13], v[6:7], -v[8:9]
	v_fmac_f64_e32 v[4:5], s[14:15], v[6:7]
.LBB374_12:
	s_mov_b64 s[6:7], exec
	s_or_b64 exec, exec, s[18:19]
	s_and_b64 vcc, exec, s[10:11]
	s_cbranch_vccnz .LBB374_15
	s_branch .LBB374_41
.LBB374_13:
                                        ; implicit-def: $vgpr4_vgpr5
                                        ; implicit-def: $sgpr8_sgpr9
	s_cbranch_execnz .LBB374_15
	s_branch .LBB374_41
.LBB374_14:
	s_or_b64 exec, exec, s[18:19]
	s_and_b64 vcc, exec, s[10:11]
	s_cbranch_vccz .LBB374_41
.LBB374_15:
	s_load_dword s18, s[0:1], 0x0
	s_load_dword s5, s[0:1], 0x28
	;; [unrolled: 1-line block ×3, first 2 shown]
	v_mov_b32_e32 v3, 0
	v_mov_b64_e32 v[4:5], 0
	s_waitcnt lgkmcnt(0)
	v_cmp_gt_i32_e32 vcc, s18, v0
	s_mul_hi_i32 s9, s5, s2
	s_mul_i32 s8, s5, s2
	s_lshl_b64 s[8:9], s[8:9], 4
	s_add_u32 s8, s8, s24
	s_addc_u32 s9, s9, s25
	s_ashr_i32 s0, s18, 31
	s_lshr_b32 s0, s0, 24
	v_cndmask_b32_e32 v1, 0, v0, vcc
	s_add_i32 s0, s18, s0
	v_lshlrev_b32_e32 v2, 4, v1
	s_and_b32 s0, s0, 0xffffff00
	s_mov_b32 s1, 0
	v_lshl_add_u64 v[6:7], s[8:9], 0, v[2:3]
	s_cmpk_lt_i32 s18, 0x100
	v_mov_b64_e32 v[2:3], v[4:5]
	s_cbranch_scc1 .LBB374_18
; %bb.16:
	s_ashr_i32 s5, s4, 31
	v_mad_i64_i32 v[2:3], s[8:9], s4, v0, 0
	v_mov_b64_e32 v[4:5], 0
	v_lshl_add_u64 v[8:9], v[2:3], 4, s[16:17]
	s_lshl_b64 s[8:9], s[4:5], 12
	s_mov_b64 s[10:11], 0x1000
	v_mov_b64_e32 v[10:11], v[6:7]
	v_mov_b64_e32 v[2:3], v[4:5]
.LBB374_17:                             ; =>This Inner Loop Header: Depth=1
	flat_load_dwordx4 v[12:15], v[10:11]
	flat_load_dwordx4 v[16:19], v[8:9]
	s_addk_i32 s1, 0x100
	v_lshl_add_u64 v[8:9], v[8:9], 0, s[8:9]
	v_lshl_add_u64 v[10:11], v[10:11], 0, s[10:11]
	s_cmp_ge_i32 s1, s0
	s_waitcnt vmcnt(0) lgkmcnt(0)
	v_mul_f64 v[20:21], v[14:15], v[18:19]
	v_mul_f64 v[14:15], v[14:15], v[16:17]
	v_fmac_f64_e32 v[20:21], v[12:13], v[16:17]
	v_fma_f64 v[12:13], v[12:13], v[18:19], -v[14:15]
	v_add_f64 v[2:3], v[2:3], v[20:21]
	v_add_f64 v[4:5], v[4:5], v[12:13]
	s_cbranch_scc0 .LBB374_17
.LBB374_18:
	v_add_u32_e32 v1, s0, v0
	v_cmp_gt_i32_e32 vcc, s18, v1
	s_and_saveexec_b64 s[8:9], vcc
	s_cbranch_execz .LBB374_20
; %bb.19:
	s_ashr_i32 s1, s0, 31
	v_lshl_add_u64 v[6:7], s[0:1], 4, v[6:7]
	v_mad_i64_i32 v[10:11], s[0:1], s4, v1, 0
	v_lshl_add_u64 v[10:11], v[10:11], 4, s[16:17]
	flat_load_dwordx4 v[6:9], v[6:7]
	s_nop 0
	flat_load_dwordx4 v[10:13], v[10:11]
	s_waitcnt vmcnt(0) lgkmcnt(0)
	v_mul_f64 v[14:15], v[8:9], v[12:13]
	v_mul_f64 v[8:9], v[8:9], v[10:11]
	v_fmac_f64_e32 v[14:15], v[6:7], v[10:11]
	v_fma_f64 v[6:7], v[6:7], v[12:13], -v[8:9]
	v_add_f64 v[2:3], v[2:3], v[14:15]
	v_add_f64 v[4:5], v[4:5], v[6:7]
.LBB374_20:
	s_or_b64 exec, exec, s[8:9]
	s_movk_i32 s0, 0x80
	v_lshlrev_b32_e32 v1, 4, v0
	v_cmp_gt_u32_e32 vcc, s0, v0
	ds_write_b128 v1, v[2:5]
	s_waitcnt lgkmcnt(0)
	s_barrier
	s_and_saveexec_b64 s[0:1], vcc
	s_cbranch_execz .LBB374_22
; %bb.21:
	ds_read_b128 v[2:5], v1 offset:2048
	ds_read_b128 v[6:9], v1
	s_waitcnt lgkmcnt(0)
	v_add_f64 v[2:3], v[2:3], v[6:7]
	v_add_f64 v[4:5], v[4:5], v[8:9]
	ds_write_b128 v1, v[2:5]
.LBB374_22:
	s_or_b64 exec, exec, s[0:1]
	v_cmp_gt_u32_e32 vcc, 64, v0
	s_waitcnt lgkmcnt(0)
	s_barrier
	s_and_saveexec_b64 s[0:1], vcc
	s_cbranch_execz .LBB374_24
; %bb.23:
	ds_read_b128 v[2:5], v1 offset:1024
	ds_read_b128 v[6:9], v1
	s_waitcnt lgkmcnt(0)
	v_add_f64 v[2:3], v[2:3], v[6:7]
	v_add_f64 v[4:5], v[4:5], v[8:9]
	ds_write_b128 v1, v[2:5]
.LBB374_24:
	s_or_b64 exec, exec, s[0:1]
	v_cmp_gt_u32_e32 vcc, 32, v0
	;; [unrolled: 14-line block ×6, first 2 shown]
	s_waitcnt lgkmcnt(0)
	s_barrier
	s_and_saveexec_b64 s[0:1], vcc
	s_cbranch_execz .LBB374_34
; %bb.33:
	ds_read_b128 v[2:5], v1
	ds_read_b128 v[6:9], v1 offset:32
	s_waitcnt lgkmcnt(0)
	v_add_f64 v[2:3], v[6:7], v[2:3]
	v_add_f64 v[4:5], v[8:9], v[4:5]
	ds_write_b128 v1, v[2:5]
.LBB374_34:
	s_or_b64 exec, exec, s[0:1]
	v_cmp_eq_u32_e32 vcc, 0, v0
	s_waitcnt lgkmcnt(0)
	s_barrier
	s_and_saveexec_b64 s[0:1], vcc
	s_cbranch_execz .LBB374_36
; %bb.35:
	v_mov_b32_e32 v8, 0
	ds_read_b128 v[0:3], v8
	ds_read_b128 v[4:7], v8 offset:16
	s_waitcnt lgkmcnt(0)
	v_add_f64 v[0:1], v[4:5], v[0:1]
	v_add_f64 v[2:3], v[6:7], v[2:3]
	ds_write_b128 v8, v[0:3]
.LBB374_36:
	s_or_b64 exec, exec, s[0:1]
	s_waitcnt lgkmcnt(0)
	s_barrier
	s_waitcnt lgkmcnt(0)
                                        ; implicit-def: $vgpr4_vgpr5
                                        ; implicit-def: $sgpr8_sgpr9
	s_and_saveexec_b64 s[0:1], vcc
	s_cbranch_execz .LBB374_40
; %bb.37:
	v_mov_b32_e32 v0, 0
	ds_read_b128 v[0:3], v0
	v_cmp_neq_f64_e64 s[4:5], s[12:13], 0
	v_cmp_neq_f64_e64 s[10:11], s[14:15], 0
	s_or_b64 s[4:5], s[4:5], s[10:11]
	s_mul_hi_i32 s9, s27, s2
	s_waitcnt lgkmcnt(0)
	v_mul_f64 v[6:7], s[22:23], v[2:3]
	v_mul_f64 v[4:5], s[20:21], v[2:3]
	v_fma_f64 v[2:3], s[20:21], v[0:1], -v[6:7]
	v_fmac_f64_e32 v[4:5], s[22:23], v[0:1]
	s_andn2_b64 vcc, exec, s[4:5]
	s_mul_i32 s8, s27, s2
	s_cbranch_vccnz .LBB374_39
; %bb.38:
	s_lshl_b64 s[4:5], s[8:9], 4
	s_add_u32 s4, s3, s4
	s_addc_u32 s5, s26, s5
	s_load_dwordx4 s[16:19], s[4:5], 0x0
	s_waitcnt lgkmcnt(0)
	v_mov_b64_e32 v[0:1], s[18:19]
	v_mov_b64_e32 v[6:7], s[16:17]
	v_mul_f64 v[8:9], s[14:15], v[0:1]
	v_mul_f64 v[0:1], s[12:13], v[0:1]
	v_fma_f64 v[8:9], s[12:13], v[6:7], -v[8:9]
	v_fmac_f64_e32 v[0:1], s[14:15], v[6:7]
	v_add_f64 v[2:3], v[2:3], v[8:9]
	v_add_f64 v[4:5], v[4:5], v[0:1]
.LBB374_39:
	s_or_b64 s[6:7], s[6:7], exec
.LBB374_40:
	s_or_b64 exec, exec, s[0:1]
.LBB374_41:
	s_and_saveexec_b64 s[0:1], s[6:7]
	s_cbranch_execz .LBB374_3
; %bb.42:
	s_lshl_b64 s[0:1], s[8:9], 4
	s_add_u32 s0, s3, s0
	s_addc_u32 s1, s26, s1
	v_mov_b32_e32 v0, 0
	global_store_dwordx4 v0, v[2:5], s[0:1]
	s_endpgm
	.section	.rodata,"a",@progbits
	.p2align	6, 0x0
	.amdhsa_kernel _ZL20rocblas_gemvt_kernelILb1ELi256EPK19rocblas_complex_numIdES3_KPS1_EviiT2_lPKT1_lilS9_lilS6_lPT3_lili
		.amdhsa_group_segment_fixed_size 4096
		.amdhsa_private_segment_fixed_size 0
		.amdhsa_kernarg_size 140
		.amdhsa_user_sgpr_count 2
		.amdhsa_user_sgpr_dispatch_ptr 0
		.amdhsa_user_sgpr_queue_ptr 0
		.amdhsa_user_sgpr_kernarg_segment_ptr 1
		.amdhsa_user_sgpr_dispatch_id 0
		.amdhsa_user_sgpr_kernarg_preload_length 0
		.amdhsa_user_sgpr_kernarg_preload_offset 0
		.amdhsa_user_sgpr_private_segment_size 0
		.amdhsa_uses_dynamic_stack 0
		.amdhsa_enable_private_segment 0
		.amdhsa_system_sgpr_workgroup_id_x 1
		.amdhsa_system_sgpr_workgroup_id_y 0
		.amdhsa_system_sgpr_workgroup_id_z 1
		.amdhsa_system_sgpr_workgroup_info 0
		.amdhsa_system_vgpr_workitem_id 0
		.amdhsa_next_free_vgpr 22
		.amdhsa_next_free_sgpr 32
		.amdhsa_accum_offset 24
		.amdhsa_reserve_vcc 1
		.amdhsa_float_round_mode_32 0
		.amdhsa_float_round_mode_16_64 0
		.amdhsa_float_denorm_mode_32 3
		.amdhsa_float_denorm_mode_16_64 3
		.amdhsa_dx10_clamp 1
		.amdhsa_ieee_mode 1
		.amdhsa_fp16_overflow 0
		.amdhsa_tg_split 0
		.amdhsa_exception_fp_ieee_invalid_op 0
		.amdhsa_exception_fp_denorm_src 0
		.amdhsa_exception_fp_ieee_div_zero 0
		.amdhsa_exception_fp_ieee_overflow 0
		.amdhsa_exception_fp_ieee_underflow 0
		.amdhsa_exception_fp_ieee_inexact 0
		.amdhsa_exception_int_div_zero 0
	.end_amdhsa_kernel
	.section	.text._ZL20rocblas_gemvt_kernelILb1ELi256EPK19rocblas_complex_numIdES3_KPS1_EviiT2_lPKT1_lilS9_lilS6_lPT3_lili,"axG",@progbits,_ZL20rocblas_gemvt_kernelILb1ELi256EPK19rocblas_complex_numIdES3_KPS1_EviiT2_lPKT1_lilS9_lilS6_lPT3_lili,comdat
.Lfunc_end374:
	.size	_ZL20rocblas_gemvt_kernelILb1ELi256EPK19rocblas_complex_numIdES3_KPS1_EviiT2_lPKT1_lilS9_lilS6_lPT3_lili, .Lfunc_end374-_ZL20rocblas_gemvt_kernelILb1ELi256EPK19rocblas_complex_numIdES3_KPS1_EviiT2_lPKT1_lilS9_lilS6_lPT3_lili
                                        ; -- End function
	.section	.AMDGPU.csdata,"",@progbits
; Kernel info:
; codeLenInByte = 1656
; NumSgprs: 38
; NumVgprs: 22
; NumAgprs: 0
; TotalNumVgprs: 22
; ScratchSize: 0
; MemoryBound: 0
; FloatMode: 240
; IeeeMode: 1
; LDSByteSize: 4096 bytes/workgroup (compile time only)
; SGPRBlocks: 4
; VGPRBlocks: 2
; NumSGPRsForWavesPerEU: 38
; NumVGPRsForWavesPerEU: 22
; AccumOffset: 24
; Occupancy: 8
; WaveLimiterHint : 1
; COMPUTE_PGM_RSRC2:SCRATCH_EN: 0
; COMPUTE_PGM_RSRC2:USER_SGPR: 2
; COMPUTE_PGM_RSRC2:TRAP_HANDLER: 0
; COMPUTE_PGM_RSRC2:TGID_X_EN: 1
; COMPUTE_PGM_RSRC2:TGID_Y_EN: 0
; COMPUTE_PGM_RSRC2:TGID_Z_EN: 1
; COMPUTE_PGM_RSRC2:TIDIG_COMP_CNT: 0
; COMPUTE_PGM_RSRC3_GFX90A:ACCUM_OFFSET: 5
; COMPUTE_PGM_RSRC3_GFX90A:TG_SPLIT: 0
	.section	.text._ZL20rocblas_gemvt_kernelILb1ELi256EPK19rocblas_complex_numIdES1_KPS1_EviiT2_lPKT1_lilS9_lilS6_lPT3_lili,"axG",@progbits,_ZL20rocblas_gemvt_kernelILb1ELi256EPK19rocblas_complex_numIdES1_KPS1_EviiT2_lPKT1_lilS9_lilS6_lPT3_lili,comdat
	.globl	_ZL20rocblas_gemvt_kernelILb1ELi256EPK19rocblas_complex_numIdES1_KPS1_EviiT2_lPKT1_lilS9_lilS6_lPT3_lili ; -- Begin function _ZL20rocblas_gemvt_kernelILb1ELi256EPK19rocblas_complex_numIdES1_KPS1_EviiT2_lPKT1_lilS9_lilS6_lPT3_lili
	.p2align	8
	.type	_ZL20rocblas_gemvt_kernelILb1ELi256EPK19rocblas_complex_numIdES1_KPS1_EviiT2_lPKT1_lilS9_lilS6_lPT3_lili,@function
_ZL20rocblas_gemvt_kernelILb1ELi256EPK19rocblas_complex_numIdES1_KPS1_EviiT2_lPKT1_lilS9_lilS6_lPT3_lili: ; @_ZL20rocblas_gemvt_kernelILb1ELi256EPK19rocblas_complex_numIdES1_KPS1_EviiT2_lPKT1_lilS9_lilS6_lPT3_lili
; %bb.0:
	s_load_dwordx4 s[12:15], s[0:1], 0x8
	s_load_dwordx4 s[8:11], s[0:1], 0x60
	s_mov_b32 s4, s3
	s_mov_b64 s[6:7], 0
	s_mov_b64 s[20:21], -1
	s_waitcnt lgkmcnt(0)
	v_cmp_neq_f64_e64 s[16:17], s[12:13], 0
	v_cmp_neq_f64_e64 s[18:19], s[14:15], 0
	s_or_b64 s[16:17], s[16:17], s[18:19]
	s_and_b64 vcc, exec, s[16:17]
	s_cbranch_vccnz .LBB375_3
; %bb.1:
	v_cmp_eq_f64_e64 s[6:7], s[8:9], 1.0
	v_cmp_eq_f64_e64 s[18:19], s[10:11], 0
	s_and_b64 s[6:7], s[6:7], s[18:19]
	s_andn2_b64 vcc, exec, s[6:7]
	s_mov_b64 s[20:21], 0
	s_cbranch_vccz .LBB375_13
; %bb.2:
	s_mov_b32 s5, 0
	s_mov_b64 s[6:7], -1
	s_mov_b64 s[18:19], 0
	s_and_b64 vcc, exec, s[20:21]
	s_cbranch_vccnz .LBB375_4
	s_branch .LBB375_5
.LBB375_3:
                                        ; implicit-def: $sgpr18_sgpr19
	s_and_b64 vcc, exec, s[20:21]
	s_cbranch_vccz .LBB375_5
.LBB375_4:
	s_load_dwordx4 s[20:23], s[0:1], 0x20
	s_mov_b32 s5, 0
	s_lshl_b64 s[6:7], s[4:5], 3
	s_waitcnt lgkmcnt(0)
	s_add_u32 s6, s20, s6
	s_addc_u32 s7, s21, s7
	s_load_dwordx2 s[6:7], s[6:7], 0x0
	s_lshl_b64 s[18:19], s[22:23], 4
	s_waitcnt lgkmcnt(0)
	s_add_u32 s18, s6, s18
	s_addc_u32 s19, s7, s19
	s_mov_b64 s[6:7], -1
.LBB375_5:
	s_andn2_b64 vcc, exec, s[6:7]
	s_cbranch_vccnz .LBB375_44
; %bb.6:
	s_xor_b64 s[20:21], s[16:17], -1
	s_mov_b64 s[6:7], 0
	s_andn2_b64 vcc, exec, s[16:17]
	s_mov_b64 s[16:17], 0
	s_cbranch_vccnz .LBB375_8
; %bb.7:
	s_load_dwordx4 s[24:27], s[0:1], 0x40
	s_lshl_b64 s[16:17], s[4:5], 3
	s_waitcnt lgkmcnt(0)
	s_add_u32 s16, s24, s16
	s_addc_u32 s17, s25, s17
	s_load_dwordx2 s[16:17], s[16:17], 0x0
	s_lshl_b64 s[22:23], s[26:27], 4
	s_waitcnt lgkmcnt(0)
	s_add_u32 s16, s16, s22
	s_addc_u32 s17, s17, s23
.LBB375_8:
	s_load_dwordx4 s[28:31], s[0:1], 0x78
	s_load_dword s27, s[0:1], 0x88
	s_lshl_b64 s[4:5], s[4:5], 3
	s_waitcnt lgkmcnt(0)
	s_add_u32 s4, s28, s4
	s_addc_u32 s5, s29, s5
	s_load_dwordx2 s[4:5], s[4:5], 0x0
	s_lshl_b64 s[22:23], s[30:31], 4
	s_waitcnt lgkmcnt(0)
	s_add_u32 s3, s4, s22
	s_addc_u32 s26, s5, s23
	s_andn2_b64 vcc, exec, s[20:21]
	v_cmp_eq_u32_e64 s[4:5], 0, v0
	s_cbranch_vccnz .LBB375_14
; %bb.9:
	s_mov_b64 s[22:23], 0
                                        ; implicit-def: $vgpr4_vgpr5
                                        ; implicit-def: $sgpr20_sgpr21
	s_and_saveexec_b64 s[24:25], s[4:5]
	s_cbranch_execz .LBB375_15
; %bb.10:
	v_cmp_neq_f64_e64 s[4:5], s[8:9], 0
	v_cmp_neq_f64_e64 s[6:7], s[10:11], 0
	v_mov_b64_e32 v[4:5], 0
	s_or_b64 s[4:5], s[4:5], s[6:7]
	s_mul_hi_i32 s21, s27, s2
	s_mul_i32 s20, s27, s2
	s_andn2_b64 vcc, exec, s[4:5]
	v_mov_b64_e32 v[2:3], v[4:5]
	s_cbranch_vccnz .LBB375_12
; %bb.11:
	s_lshl_b64 s[4:5], s[20:21], 4
	s_add_u32 s4, s3, s4
	s_addc_u32 s5, s26, s5
	s_load_dwordx4 s[4:7], s[4:5], 0x0
	s_waitcnt lgkmcnt(0)
	v_mov_b64_e32 v[2:3], s[6:7]
	v_mov_b64_e32 v[6:7], s[4:5]
	v_mul_f64 v[8:9], s[10:11], v[2:3]
	v_mul_f64 v[4:5], s[8:9], v[2:3]
	v_fma_f64 v[2:3], s[8:9], v[6:7], -v[8:9]
	v_fmac_f64_e32 v[4:5], s[10:11], v[6:7]
.LBB375_12:
	s_mov_b64 s[6:7], exec
	s_or_b64 exec, exec, s[24:25]
	s_and_b64 vcc, exec, s[22:23]
	s_cbranch_vccnz .LBB375_16
	s_branch .LBB375_42
.LBB375_13:
                                        ; implicit-def: $sgpr18_sgpr19
	s_mov_b64 s[6:7], 0
	s_and_b64 vcc, exec, s[20:21]
	s_cbranch_vccnz .LBB375_4
	s_branch .LBB375_5
.LBB375_14:
                                        ; implicit-def: $vgpr4_vgpr5
                                        ; implicit-def: $sgpr20_sgpr21
	s_cbranch_execnz .LBB375_16
	s_branch .LBB375_42
.LBB375_15:
	s_or_b64 exec, exec, s[24:25]
	s_and_b64 vcc, exec, s[22:23]
	s_cbranch_vccz .LBB375_42
.LBB375_16:
	s_load_dword s22, s[0:1], 0x0
	s_load_dword s5, s[0:1], 0x30
	;; [unrolled: 1-line block ×3, first 2 shown]
	v_mov_b32_e32 v3, 0
	v_mov_b64_e32 v[4:5], 0
	s_waitcnt lgkmcnt(0)
	v_cmp_gt_i32_e32 vcc, s22, v0
	s_mul_hi_i32 s21, s5, s2
	s_mul_i32 s20, s5, s2
	s_lshl_b64 s[20:21], s[20:21], 4
	s_add_u32 s18, s20, s18
	s_addc_u32 s19, s21, s19
	s_ashr_i32 s0, s22, 31
	s_lshr_b32 s0, s0, 24
	v_cndmask_b32_e32 v1, 0, v0, vcc
	s_add_i32 s0, s22, s0
	v_lshlrev_b32_e32 v2, 4, v1
	s_and_b32 s0, s0, 0xffffff00
	s_mov_b32 s1, 0
	v_lshl_add_u64 v[6:7], s[18:19], 0, v[2:3]
	s_cmpk_lt_i32 s22, 0x100
	v_mov_b64_e32 v[2:3], v[4:5]
	s_cbranch_scc1 .LBB375_19
; %bb.17:
	s_ashr_i32 s5, s4, 31
	v_mad_i64_i32 v[2:3], s[18:19], s4, v0, 0
	v_mov_b64_e32 v[4:5], 0
	v_lshl_add_u64 v[8:9], v[2:3], 4, s[16:17]
	s_lshl_b64 s[18:19], s[4:5], 12
	s_mov_b64 s[20:21], 0x1000
	v_mov_b64_e32 v[10:11], v[6:7]
	v_mov_b64_e32 v[2:3], v[4:5]
.LBB375_18:                             ; =>This Inner Loop Header: Depth=1
	flat_load_dwordx4 v[12:15], v[10:11]
	flat_load_dwordx4 v[16:19], v[8:9]
	s_addk_i32 s1, 0x100
	v_lshl_add_u64 v[8:9], v[8:9], 0, s[18:19]
	v_lshl_add_u64 v[10:11], v[10:11], 0, s[20:21]
	s_cmp_ge_i32 s1, s0
	s_waitcnt vmcnt(0) lgkmcnt(0)
	v_mul_f64 v[20:21], v[14:15], v[18:19]
	v_mul_f64 v[14:15], v[14:15], v[16:17]
	v_fmac_f64_e32 v[20:21], v[12:13], v[16:17]
	v_fma_f64 v[12:13], v[12:13], v[18:19], -v[14:15]
	v_add_f64 v[2:3], v[2:3], v[20:21]
	v_add_f64 v[4:5], v[4:5], v[12:13]
	s_cbranch_scc0 .LBB375_18
.LBB375_19:
	v_add_u32_e32 v1, s0, v0
	v_cmp_gt_i32_e32 vcc, s22, v1
	s_and_saveexec_b64 s[18:19], vcc
	s_cbranch_execz .LBB375_21
; %bb.20:
	s_ashr_i32 s1, s0, 31
	v_lshl_add_u64 v[6:7], s[0:1], 4, v[6:7]
	v_mad_i64_i32 v[10:11], s[0:1], s4, v1, 0
	v_lshl_add_u64 v[10:11], v[10:11], 4, s[16:17]
	flat_load_dwordx4 v[6:9], v[6:7]
	s_nop 0
	flat_load_dwordx4 v[10:13], v[10:11]
	s_waitcnt vmcnt(0) lgkmcnt(0)
	v_mul_f64 v[14:15], v[8:9], v[12:13]
	v_mul_f64 v[8:9], v[8:9], v[10:11]
	v_fmac_f64_e32 v[14:15], v[6:7], v[10:11]
	v_fma_f64 v[6:7], v[6:7], v[12:13], -v[8:9]
	v_add_f64 v[2:3], v[2:3], v[14:15]
	v_add_f64 v[4:5], v[4:5], v[6:7]
.LBB375_21:
	s_or_b64 exec, exec, s[18:19]
	s_movk_i32 s0, 0x80
	v_lshlrev_b32_e32 v1, 4, v0
	v_cmp_gt_u32_e32 vcc, s0, v0
	ds_write_b128 v1, v[2:5]
	s_waitcnt lgkmcnt(0)
	s_barrier
	s_and_saveexec_b64 s[0:1], vcc
	s_cbranch_execz .LBB375_23
; %bb.22:
	ds_read_b128 v[2:5], v1 offset:2048
	ds_read_b128 v[6:9], v1
	s_waitcnt lgkmcnt(0)
	v_add_f64 v[2:3], v[2:3], v[6:7]
	v_add_f64 v[4:5], v[4:5], v[8:9]
	ds_write_b128 v1, v[2:5]
.LBB375_23:
	s_or_b64 exec, exec, s[0:1]
	v_cmp_gt_u32_e32 vcc, 64, v0
	s_waitcnt lgkmcnt(0)
	s_barrier
	s_and_saveexec_b64 s[0:1], vcc
	s_cbranch_execz .LBB375_25
; %bb.24:
	ds_read_b128 v[2:5], v1 offset:1024
	ds_read_b128 v[6:9], v1
	s_waitcnt lgkmcnt(0)
	v_add_f64 v[2:3], v[2:3], v[6:7]
	v_add_f64 v[4:5], v[4:5], v[8:9]
	ds_write_b128 v1, v[2:5]
.LBB375_25:
	s_or_b64 exec, exec, s[0:1]
	v_cmp_gt_u32_e32 vcc, 32, v0
	;; [unrolled: 14-line block ×6, first 2 shown]
	s_waitcnt lgkmcnt(0)
	s_barrier
	s_and_saveexec_b64 s[0:1], vcc
	s_cbranch_execz .LBB375_35
; %bb.34:
	ds_read_b128 v[2:5], v1
	ds_read_b128 v[6:9], v1 offset:32
	s_waitcnt lgkmcnt(0)
	v_add_f64 v[2:3], v[6:7], v[2:3]
	v_add_f64 v[4:5], v[8:9], v[4:5]
	ds_write_b128 v1, v[2:5]
.LBB375_35:
	s_or_b64 exec, exec, s[0:1]
	v_cmp_eq_u32_e32 vcc, 0, v0
	s_waitcnt lgkmcnt(0)
	s_barrier
	s_and_saveexec_b64 s[0:1], vcc
	s_cbranch_execz .LBB375_37
; %bb.36:
	v_mov_b32_e32 v8, 0
	ds_read_b128 v[0:3], v8
	ds_read_b128 v[4:7], v8 offset:16
	s_waitcnt lgkmcnt(0)
	v_add_f64 v[0:1], v[4:5], v[0:1]
	v_add_f64 v[2:3], v[6:7], v[2:3]
	ds_write_b128 v8, v[0:3]
.LBB375_37:
	s_or_b64 exec, exec, s[0:1]
	s_waitcnt lgkmcnt(0)
	s_barrier
	s_waitcnt lgkmcnt(0)
                                        ; implicit-def: $vgpr4_vgpr5
                                        ; implicit-def: $sgpr20_sgpr21
	s_and_saveexec_b64 s[0:1], vcc
	s_cbranch_execz .LBB375_41
; %bb.38:
	v_mov_b32_e32 v0, 0
	ds_read_b128 v[0:3], v0
	v_cmp_neq_f64_e64 s[4:5], s[8:9], 0
	v_cmp_neq_f64_e64 s[16:17], s[10:11], 0
	s_or_b64 s[4:5], s[4:5], s[16:17]
	s_mul_hi_i32 s21, s27, s2
	s_waitcnt lgkmcnt(0)
	v_mul_f64 v[6:7], s[14:15], v[2:3]
	v_mul_f64 v[4:5], s[12:13], v[2:3]
	v_fma_f64 v[2:3], s[12:13], v[0:1], -v[6:7]
	v_fmac_f64_e32 v[4:5], s[14:15], v[0:1]
	s_andn2_b64 vcc, exec, s[4:5]
	s_mul_i32 s20, s27, s2
	s_cbranch_vccnz .LBB375_40
; %bb.39:
	s_lshl_b64 s[4:5], s[20:21], 4
	s_add_u32 s4, s3, s4
	s_addc_u32 s5, s26, s5
	s_load_dwordx4 s[12:15], s[4:5], 0x0
	s_waitcnt lgkmcnt(0)
	v_mov_b64_e32 v[0:1], s[14:15]
	v_mov_b64_e32 v[6:7], s[12:13]
	v_mul_f64 v[8:9], s[10:11], v[0:1]
	v_mul_f64 v[0:1], s[8:9], v[0:1]
	v_fma_f64 v[8:9], s[8:9], v[6:7], -v[8:9]
	v_fmac_f64_e32 v[0:1], s[10:11], v[6:7]
	v_add_f64 v[2:3], v[2:3], v[8:9]
	v_add_f64 v[4:5], v[4:5], v[0:1]
.LBB375_40:
	s_or_b64 s[6:7], s[6:7], exec
.LBB375_41:
	s_or_b64 exec, exec, s[0:1]
.LBB375_42:
	s_and_saveexec_b64 s[0:1], s[6:7]
	s_cbranch_execz .LBB375_44
; %bb.43:
	s_lshl_b64 s[0:1], s[20:21], 4
	s_add_u32 s0, s3, s0
	s_addc_u32 s1, s26, s1
	v_mov_b32_e32 v0, 0
	global_store_dwordx4 v0, v[2:5], s[0:1]
.LBB375_44:
	s_endpgm
	.section	.rodata,"a",@progbits
	.p2align	6, 0x0
	.amdhsa_kernel _ZL20rocblas_gemvt_kernelILb1ELi256EPK19rocblas_complex_numIdES1_KPS1_EviiT2_lPKT1_lilS9_lilS6_lPT3_lili
		.amdhsa_group_segment_fixed_size 4096
		.amdhsa_private_segment_fixed_size 0
		.amdhsa_kernarg_size 156
		.amdhsa_user_sgpr_count 2
		.amdhsa_user_sgpr_dispatch_ptr 0
		.amdhsa_user_sgpr_queue_ptr 0
		.amdhsa_user_sgpr_kernarg_segment_ptr 1
		.amdhsa_user_sgpr_dispatch_id 0
		.amdhsa_user_sgpr_kernarg_preload_length 0
		.amdhsa_user_sgpr_kernarg_preload_offset 0
		.amdhsa_user_sgpr_private_segment_size 0
		.amdhsa_uses_dynamic_stack 0
		.amdhsa_enable_private_segment 0
		.amdhsa_system_sgpr_workgroup_id_x 1
		.amdhsa_system_sgpr_workgroup_id_y 0
		.amdhsa_system_sgpr_workgroup_id_z 1
		.amdhsa_system_sgpr_workgroup_info 0
		.amdhsa_system_vgpr_workitem_id 0
		.amdhsa_next_free_vgpr 22
		.amdhsa_next_free_sgpr 32
		.amdhsa_accum_offset 24
		.amdhsa_reserve_vcc 1
		.amdhsa_float_round_mode_32 0
		.amdhsa_float_round_mode_16_64 0
		.amdhsa_float_denorm_mode_32 3
		.amdhsa_float_denorm_mode_16_64 3
		.amdhsa_dx10_clamp 1
		.amdhsa_ieee_mode 1
		.amdhsa_fp16_overflow 0
		.amdhsa_tg_split 0
		.amdhsa_exception_fp_ieee_invalid_op 0
		.amdhsa_exception_fp_denorm_src 0
		.amdhsa_exception_fp_ieee_div_zero 0
		.amdhsa_exception_fp_ieee_overflow 0
		.amdhsa_exception_fp_ieee_underflow 0
		.amdhsa_exception_fp_ieee_inexact 0
		.amdhsa_exception_int_div_zero 0
	.end_amdhsa_kernel
	.section	.text._ZL20rocblas_gemvt_kernelILb1ELi256EPK19rocblas_complex_numIdES1_KPS1_EviiT2_lPKT1_lilS9_lilS6_lPT3_lili,"axG",@progbits,_ZL20rocblas_gemvt_kernelILb1ELi256EPK19rocblas_complex_numIdES1_KPS1_EviiT2_lPKT1_lilS9_lilS6_lPT3_lili,comdat
.Lfunc_end375:
	.size	_ZL20rocblas_gemvt_kernelILb1ELi256EPK19rocblas_complex_numIdES1_KPS1_EviiT2_lPKT1_lilS9_lilS6_lPT3_lili, .Lfunc_end375-_ZL20rocblas_gemvt_kernelILb1ELi256EPK19rocblas_complex_numIdES1_KPS1_EviiT2_lPKT1_lilS9_lilS6_lPT3_lili
                                        ; -- End function
	.section	.AMDGPU.csdata,"",@progbits
; Kernel info:
; codeLenInByte = 1648
; NumSgprs: 38
; NumVgprs: 22
; NumAgprs: 0
; TotalNumVgprs: 22
; ScratchSize: 0
; MemoryBound: 0
; FloatMode: 240
; IeeeMode: 1
; LDSByteSize: 4096 bytes/workgroup (compile time only)
; SGPRBlocks: 4
; VGPRBlocks: 2
; NumSGPRsForWavesPerEU: 38
; NumVGPRsForWavesPerEU: 22
; AccumOffset: 24
; Occupancy: 8
; WaveLimiterHint : 1
; COMPUTE_PGM_RSRC2:SCRATCH_EN: 0
; COMPUTE_PGM_RSRC2:USER_SGPR: 2
; COMPUTE_PGM_RSRC2:TRAP_HANDLER: 0
; COMPUTE_PGM_RSRC2:TGID_X_EN: 1
; COMPUTE_PGM_RSRC2:TGID_Y_EN: 0
; COMPUTE_PGM_RSRC2:TGID_Z_EN: 1
; COMPUTE_PGM_RSRC2:TIDIG_COMP_CNT: 0
; COMPUTE_PGM_RSRC3_GFX90A:ACCUM_OFFSET: 5
; COMPUTE_PGM_RSRC3_GFX90A:TG_SPLIT: 0
	.section	.text._ZL32rocblas_gemvt_warp_reduce_kernelILb1ELi1024EiPK19rocblas_complex_numIdES3_KPS1_EviiT3_lPKT2_lT1_lS9_lSA_lS6_lPT4_lSA_li,"axG",@progbits,_ZL32rocblas_gemvt_warp_reduce_kernelILb1ELi1024EiPK19rocblas_complex_numIdES3_KPS1_EviiT3_lPKT2_lT1_lS9_lSA_lS6_lPT4_lSA_li,comdat
	.globl	_ZL32rocblas_gemvt_warp_reduce_kernelILb1ELi1024EiPK19rocblas_complex_numIdES3_KPS1_EviiT3_lPKT2_lT1_lS9_lSA_lS6_lPT4_lSA_li ; -- Begin function _ZL32rocblas_gemvt_warp_reduce_kernelILb1ELi1024EiPK19rocblas_complex_numIdES3_KPS1_EviiT3_lPKT2_lT1_lS9_lSA_lS6_lPT4_lSA_li
	.p2align	8
	.type	_ZL32rocblas_gemvt_warp_reduce_kernelILb1ELi1024EiPK19rocblas_complex_numIdES3_KPS1_EviiT3_lPKT2_lT1_lS9_lSA_lS6_lPT4_lSA_li,@function
_ZL32rocblas_gemvt_warp_reduce_kernelILb1ELi1024EiPK19rocblas_complex_numIdES3_KPS1_EviiT3_lPKT2_lT1_lS9_lSA_lS6_lPT4_lSA_li: ; @_ZL32rocblas_gemvt_warp_reduce_kernelILb1ELi1024EiPK19rocblas_complex_numIdES3_KPS1_EviiT3_lPKT2_lT1_lS9_lSA_lS6_lPT4_lSA_li
; %bb.0:
	s_load_dwordx8 s[12:19], s[0:1], 0x8
	s_load_dwordx8 s[4:11], s[0:1], 0x58
	s_mov_b32 s26, s3
	s_mov_b32 s27, 0
	s_waitcnt lgkmcnt(0)
	s_mul_i32 s3, s3, s15
	s_mul_hi_u32 s15, s26, s14
	s_add_i32 s15, s15, s3
	s_mul_i32 s14, s26, s14
	s_lshl_b64 s[14:15], s[14:15], 4
	s_add_u32 s12, s12, s14
	s_mul_i32 s3, s26, s7
	s_mul_hi_u32 s7, s26, s6
	s_addc_u32 s13, s13, s15
	s_add_i32 s7, s7, s3
	s_mul_i32 s6, s26, s6
	s_load_dwordx4 s[20:23], s[12:13], 0x0
	s_lshl_b64 s[6:7], s[6:7], 4
	s_add_u32 s4, s4, s6
	s_addc_u32 s5, s5, s7
	s_load_dwordx4 s[12:15], s[4:5], 0x0
	s_waitcnt lgkmcnt(0)
	v_cmp_neq_f64_e64 s[4:5], s[20:21], 0
	v_cmp_neq_f64_e64 s[24:25], s[22:23], 0
	s_or_b64 s[4:5], s[4:5], s[24:25]
	s_mov_b64 s[6:7], 0
	s_mov_b64 s[24:25], -1
	s_and_b64 vcc, exec, s[4:5]
	s_cbranch_vccnz .LBB376_3
; %bb.1:
	v_cmp_neq_f64_e64 s[6:7], s[12:13], 1.0
	v_cmp_neq_f64_e64 s[28:29], s[14:15], 0
	s_mov_b64 s[24:25], 0
	s_or_b64 s[6:7], s[6:7], s[28:29]
	s_cbranch_execz .LBB376_4
.LBB376_2:
	s_andn2_b64 vcc, exec, s[6:7]
	s_cbranch_vccz .LBB376_5
	s_branch .LBB376_35
.LBB376_3:
	s_andn2_b64 vcc, exec, s[24:25]
	s_cbranch_vccnz .LBB376_2
.LBB376_4:
	s_lshl_b64 s[6:7], s[26:27], 3
	s_add_u32 s6, s16, s6
	s_addc_u32 s7, s17, s7
	s_load_dwordx2 s[6:7], s[6:7], 0x0
	s_lshl_b64 s[16:17], s[18:19], 4
	s_waitcnt lgkmcnt(0)
	s_add_u32 s24, s6, s16
	s_addc_u32 s25, s7, s17
.LBB376_5:
	s_xor_b64 s[18:19], s[4:5], -1
	s_mov_b64 s[6:7], 0
	s_andn2_b64 vcc, exec, s[4:5]
	s_mov_b64 s[16:17], 0
	s_cbranch_vccnz .LBB376_7
; %bb.6:
	s_load_dwordx4 s[28:31], s[0:1], 0x38
	s_lshl_b64 s[4:5], s[26:27], 3
	s_waitcnt lgkmcnt(0)
	s_add_u32 s4, s28, s4
	s_addc_u32 s5, s29, s5
	s_load_dwordx2 s[4:5], s[4:5], 0x0
	s_lshl_b64 s[16:17], s[30:31], 4
	s_waitcnt lgkmcnt(0)
	s_add_u32 s16, s4, s16
	s_addc_u32 s17, s5, s17
.LBB376_7:
	s_lshl_b64 s[4:5], s[26:27], 3
	s_add_u32 s4, s8, s4
	s_addc_u32 s5, s9, s5
	s_load_dwordx2 s[8:9], s[4:5], 0x0
	s_load_dword s27, s[0:1], 0x78
	s_lshl_b64 s[4:5], s[10:11], 4
	s_waitcnt lgkmcnt(0)
	s_add_u32 s3, s8, s4
	s_addc_u32 s26, s9, s5
	s_andn2_b64 vcc, exec, s[18:19]
	v_cmp_eq_u32_e64 s[4:5], 0, v0
	s_cbranch_vccnz .LBB376_14
; %bb.8:
	s_mov_b64 s[10:11], 0
                                        ; implicit-def: $vgpr4_vgpr5
                                        ; implicit-def: $sgpr8_sgpr9
	s_and_saveexec_b64 s[18:19], s[4:5]
	s_cbranch_execz .LBB376_15
; %bb.9:
	v_cmp_neq_f64_e64 s[4:5], s[12:13], 0
	v_cmp_neq_f64_e64 s[6:7], s[14:15], 0
	v_mov_b64_e32 v[4:5], 0
	s_mul_i32 s8, s2, s27
	s_or_b64 s[4:5], s[4:5], s[6:7]
	s_ashr_i32 s9, s8, 31
	s_andn2_b64 vcc, exec, s[4:5]
	v_mov_b64_e32 v[2:3], v[4:5]
	s_cbranch_vccnz .LBB376_11
; %bb.10:
	s_lshl_b64 s[4:5], s[8:9], 4
	s_add_u32 s4, s3, s4
	s_addc_u32 s5, s26, s5
	s_load_dwordx4 s[4:7], s[4:5], 0x0
	s_waitcnt lgkmcnt(0)
	v_mov_b64_e32 v[2:3], s[6:7]
	v_mov_b64_e32 v[6:7], s[4:5]
	v_mul_f64 v[8:9], s[14:15], v[2:3]
	v_mul_f64 v[4:5], s[12:13], v[2:3]
	v_fma_f64 v[2:3], s[12:13], v[6:7], -v[8:9]
	v_fmac_f64_e32 v[4:5], s[14:15], v[6:7]
.LBB376_11:
	s_mov_b64 s[6:7], exec
	s_or_b64 exec, exec, s[18:19]
	s_and_b64 vcc, exec, s[10:11]
	s_cbranch_vccnz .LBB376_16
.LBB376_12:
	s_and_saveexec_b64 s[0:1], s[6:7]
	s_cbranch_execz .LBB376_35
.LBB376_13:
	s_lshl_b64 s[0:1], s[8:9], 4
	s_add_u32 s0, s3, s0
	s_addc_u32 s1, s26, s1
	v_mov_b32_e32 v0, 0
	global_store_dwordx4 v0, v[2:5], s[0:1]
	s_endpgm
.LBB376_14:
                                        ; implicit-def: $vgpr4_vgpr5
                                        ; implicit-def: $sgpr8_sgpr9
	s_cbranch_execnz .LBB376_16
	s_branch .LBB376_12
.LBB376_15:
	s_or_b64 exec, exec, s[18:19]
	s_and_b64 vcc, exec, s[10:11]
	s_cbranch_vccz .LBB376_12
.LBB376_16:
	s_load_dword s19, s[0:1], 0x0
	s_load_dword s4, s[0:1], 0x28
	s_load_dword s18, s[0:1], 0x48
	v_mov_b32_e32 v3, 0
	s_waitcnt lgkmcnt(0)
	v_cmp_gt_i32_e32 vcc, s19, v0
	s_mul_i32 s0, s2, s4
	s_ashr_i32 s1, s0, 31
	s_lshl_b64 s[0:1], s[0:1], 4
	v_cndmask_b32_e32 v1, 0, v0, vcc
	s_add_u32 s0, s0, s24
	v_lshlrev_b32_e32 v2, 4, v1
	s_addc_u32 s1, s1, s25
	v_lshl_add_u64 v[6:7], s[0:1], 0, v[2:3]
	s_ashr_i32 s0, s19, 31
	s_lshr_b32 s0, s0, 22
	s_add_i32 s0, s19, s0
	s_and_b32 s0, s0, 0xfffffc00
	v_mov_b64_e32 v[2:3], 0
	v_cmp_gt_i32_e32 vcc, s0, v0
	v_mov_b64_e32 v[4:5], v[2:3]
	s_and_saveexec_b64 s[4:5], vcc
	s_cbranch_execz .LBB376_20
; %bb.17:
	v_mov_b64_e32 v[2:3], 0
	v_mul_lo_u32 v8, v0, s18
	s_lshl_b32 s1, s18, 10
	s_mov_b64 s[8:9], 0
	s_mov_b64 s[10:11], 0x4000
	v_mov_b64_e32 v[10:11], v[6:7]
	v_mov_b32_e32 v1, v0
	v_mov_b64_e32 v[4:5], v[2:3]
.LBB376_18:                             ; =>This Inner Loop Header: Depth=1
	v_ashrrev_i32_e32 v9, 31, v8
	v_lshl_add_u64 v[16:17], v[8:9], 4, s[16:17]
	flat_load_dwordx4 v[12:15], v[10:11]
	v_add_u32_e32 v1, 0x400, v1
	flat_load_dwordx4 v[16:19], v[16:17]
	v_cmp_le_i32_e32 vcc, s0, v1
	v_lshl_add_u64 v[10:11], v[10:11], 0, s[10:11]
	v_add_u32_e32 v8, s1, v8
	s_or_b64 s[8:9], vcc, s[8:9]
	s_waitcnt vmcnt(0) lgkmcnt(0)
	v_mul_f64 v[20:21], v[14:15], v[18:19]
	v_mul_f64 v[14:15], v[14:15], v[16:17]
	v_fmac_f64_e32 v[20:21], v[12:13], v[16:17]
	v_fma_f64 v[12:13], v[12:13], v[18:19], -v[14:15]
	v_add_f64 v[4:5], v[4:5], v[20:21]
	v_add_f64 v[2:3], v[2:3], v[12:13]
	s_andn2_b64 exec, exec, s[8:9]
	s_cbranch_execnz .LBB376_18
; %bb.19:
	s_or_b64 exec, exec, s[8:9]
.LBB376_20:
	s_or_b64 exec, exec, s[4:5]
	v_or_b32_e32 v1, s0, v0
	v_cmp_gt_i32_e32 vcc, s19, v1
	s_and_saveexec_b64 s[4:5], vcc
	s_cbranch_execz .LBB376_22
; %bb.21:
	v_mul_lo_u32 v10, v1, s18
	s_ashr_i32 s1, s0, 31
	v_ashrrev_i32_e32 v11, 31, v10
	v_lshl_add_u64 v[6:7], s[0:1], 4, v[6:7]
	v_lshl_add_u64 v[10:11], v[10:11], 4, s[16:17]
	flat_load_dwordx4 v[6:9], v[6:7]
	s_nop 0
	flat_load_dwordx4 v[10:13], v[10:11]
	s_waitcnt vmcnt(0) lgkmcnt(0)
	v_mul_f64 v[14:15], v[8:9], v[12:13]
	v_mul_f64 v[8:9], v[8:9], v[10:11]
	v_fmac_f64_e32 v[14:15], v[6:7], v[10:11]
	v_fma_f64 v[6:7], v[6:7], v[12:13], -v[8:9]
	v_add_f64 v[4:5], v[4:5], v[14:15]
	v_add_f64 v[2:3], v[2:3], v[6:7]
.LBB376_22:
	s_or_b64 exec, exec, s[4:5]
	v_and_b32_e32 v13, 63, v0
	v_cmp_gt_u32_e32 vcc, 64, v0
	v_lshlrev_b32_e32 v1, 4, v13
	s_and_saveexec_b64 s[0:1], vcc
	s_cbranch_execz .LBB376_24
; %bb.23:
	v_mov_b32_e32 v6, 0
	v_mov_b32_e32 v7, v6
	;; [unrolled: 1-line block ×4, first 2 shown]
	ds_write_b128 v1, v[6:9]
.LBB376_24:
	s_or_b64 exec, exec, s[0:1]
	v_mbcnt_lo_u32_b32 v6, -1, 0
	v_mbcnt_hi_u32_b32 v14, -1, v6
	v_and_b32_e32 v15, 63, v14
	v_cmp_gt_u32_e64 s[0:1], 32, v15
	s_waitcnt lgkmcnt(0)
	s_barrier
	v_cndmask_b32_e64 v6, 0, 1, s[0:1]
	v_lshlrev_b32_e32 v6, 5, v6
	v_add_lshl_u32 v9, v6, v14, 2
	ds_bpermute_b32 v6, v9, v4
	ds_bpermute_b32 v7, v9, v5
	;; [unrolled: 1-line block ×4, first 2 shown]
	v_cmp_gt_u32_e64 s[0:1], 48, v15
	s_waitcnt lgkmcnt(0)
	v_add_f64 v[4:5], v[4:5], v[6:7]
	v_cndmask_b32_e64 v6, 0, 1, s[0:1]
	v_lshlrev_b32_e32 v6, 4, v6
	v_add_f64 v[2:3], v[2:3], v[8:9]
	v_add_lshl_u32 v9, v6, v14, 2
	ds_bpermute_b32 v6, v9, v4
	ds_bpermute_b32 v7, v9, v5
	ds_bpermute_b32 v8, v9, v2
	ds_bpermute_b32 v9, v9, v3
	v_cmp_gt_u32_e64 s[0:1], 56, v15
	s_waitcnt lgkmcnt(2)
	v_add_f64 v[4:5], v[4:5], v[6:7]
	v_cndmask_b32_e64 v6, 0, 1, s[0:1]
	v_lshlrev_b32_e32 v6, 3, v6
	v_add_lshl_u32 v10, v6, v14, 2
	ds_bpermute_b32 v6, v10, v4
	ds_bpermute_b32 v7, v10, v5
	s_waitcnt lgkmcnt(2)
	v_add_f64 v[2:3], v[2:3], v[8:9]
	ds_bpermute_b32 v8, v10, v2
	ds_bpermute_b32 v9, v10, v3
	v_cmp_gt_u32_e64 s[0:1], 60, v15
	s_waitcnt lgkmcnt(2)
	v_add_f64 v[4:5], v[4:5], v[6:7]
	s_waitcnt lgkmcnt(0)
	v_add_f64 v[2:3], v[2:3], v[8:9]
	v_cndmask_b32_e64 v6, 0, 1, s[0:1]
	v_lshlrev_b32_e32 v6, 2, v6
	v_add_lshl_u32 v11, v6, v14, 2
	ds_bpermute_b32 v6, v11, v4
	ds_bpermute_b32 v7, v11, v5
	;; [unrolled: 1-line block ×4, first 2 shown]
	v_cmp_gt_u32_e64 s[0:1], 62, v15
	s_waitcnt lgkmcnt(2)
	v_add_f64 v[4:5], v[4:5], v[6:7]
	s_waitcnt lgkmcnt(0)
	v_add_f64 v[6:7], v[2:3], v[8:9]
	v_cndmask_b32_e64 v2, 0, 1, s[0:1]
	v_lshlrev_b32_e32 v2, 1, v2
	v_add_lshl_u32 v12, v2, v14, 2
	ds_bpermute_b32 v2, v12, v4
	ds_bpermute_b32 v3, v12, v5
	;; [unrolled: 1-line block ×4, first 2 shown]
	v_cmp_ne_u32_e64 s[0:1], 63, v15
	s_waitcnt lgkmcnt(2)
	v_add_f64 v[2:3], v[4:5], v[2:3]
	v_addc_co_u32_e64 v4, s[0:1], 0, v14, s[0:1]
	s_waitcnt lgkmcnt(0)
	v_add_f64 v[6:7], v[6:7], v[8:9]
	v_lshlrev_b32_e32 v14, 2, v4
	ds_bpermute_b32 v4, v14, v2
	ds_bpermute_b32 v5, v14, v3
	;; [unrolled: 1-line block ×4, first 2 shown]
	v_cmp_eq_u32_e64 s[0:1], 0, v13
	s_and_saveexec_b64 s[4:5], s[0:1]
	s_cbranch_execz .LBB376_26
; %bb.25:
	v_lshrrev_b32_e32 v13, 2, v0
	v_and_b32_e32 v13, 0xf0, v13
	s_waitcnt lgkmcnt(0)
	v_add_f64 v[6:7], v[6:7], v[8:9]
	v_add_f64 v[4:5], v[2:3], v[4:5]
	ds_write_b128 v13, v[4:7]
.LBB376_26:
	s_or_b64 exec, exec, s[4:5]
	s_waitcnt lgkmcnt(0)
	v_mov_b64_e32 v[8:9], 0
	v_cmp_gt_u32_e64 s[0:1], 16, v0
	v_mov_b64_e32 v[6:7], v[8:9]
	s_barrier
	s_and_saveexec_b64 s[4:5], s[0:1]
	s_cbranch_execz .LBB376_28
; %bb.27:
	ds_read_b128 v[6:9], v1
	s_or_b64 exec, exec, s[4:5]
	s_and_saveexec_b64 s[0:1], vcc
	s_cbranch_execz .LBB376_30
	s_branch .LBB376_29
.LBB376_28:
	s_or_b64 exec, exec, s[4:5]
	s_and_saveexec_b64 s[0:1], vcc
	s_cbranch_execz .LBB376_30
.LBB376_29:
	s_waitcnt lgkmcnt(0)
	ds_bpermute_b32 v2, v10, v6
	ds_bpermute_b32 v3, v10, v7
	;; [unrolled: 1-line block ×4, first 2 shown]
	s_waitcnt lgkmcnt(2)
	v_add_f64 v[2:3], v[6:7], v[2:3]
	ds_bpermute_b32 v6, v11, v2
	s_waitcnt lgkmcnt(1)
	v_add_f64 v[4:5], v[8:9], v[4:5]
	ds_bpermute_b32 v7, v11, v3
	ds_bpermute_b32 v8, v11, v4
	ds_bpermute_b32 v9, v11, v5
	s_waitcnt lgkmcnt(2)
	v_add_f64 v[2:3], v[2:3], v[6:7]
	ds_bpermute_b32 v6, v12, v2
	s_waitcnt lgkmcnt(1)
	v_add_f64 v[4:5], v[4:5], v[8:9]
	ds_bpermute_b32 v7, v12, v3
	ds_bpermute_b32 v8, v12, v4
	ds_bpermute_b32 v9, v12, v5
	;; [unrolled: 8-line block ×3, first 2 shown]
	s_waitcnt lgkmcnt(2)
	v_add_f64 v[6:7], v[2:3], v[6:7]
	s_waitcnt lgkmcnt(0)
	v_add_f64 v[8:9], v[4:5], v[8:9]
.LBB376_30:
	s_or_b64 exec, exec, s[0:1]
	v_cmp_eq_u32_e32 vcc, 0, v0
                                        ; implicit-def: $vgpr4_vgpr5
                                        ; implicit-def: $sgpr8_sgpr9
	s_and_saveexec_b64 s[0:1], vcc
	s_cbranch_execz .LBB376_34
; %bb.31:
	v_cmp_neq_f64_e64 s[4:5], s[12:13], 0
	v_cmp_neq_f64_e64 s[10:11], s[14:15], 0
	s_waitcnt lgkmcnt(0)
	v_mul_f64 v[0:1], s[22:23], v[8:9]
	v_mul_f64 v[4:5], s[20:21], v[8:9]
	s_mul_i32 s8, s2, s27
	s_or_b64 s[4:5], s[4:5], s[10:11]
	v_fma_f64 v[2:3], s[20:21], v[6:7], -v[0:1]
	v_fmac_f64_e32 v[4:5], s[22:23], v[6:7]
	s_andn2_b64 vcc, exec, s[4:5]
	s_ashr_i32 s9, s8, 31
	s_cbranch_vccnz .LBB376_33
; %bb.32:
	s_lshl_b64 s[4:5], s[8:9], 4
	s_add_u32 s4, s3, s4
	s_addc_u32 s5, s26, s5
	s_load_dwordx4 s[16:19], s[4:5], 0x0
	s_waitcnt lgkmcnt(0)
	v_mov_b64_e32 v[0:1], s[18:19]
	v_mov_b64_e32 v[6:7], s[16:17]
	v_mul_f64 v[8:9], s[14:15], v[0:1]
	v_mul_f64 v[0:1], s[12:13], v[0:1]
	v_fma_f64 v[8:9], s[12:13], v[6:7], -v[8:9]
	v_fmac_f64_e32 v[0:1], s[14:15], v[6:7]
	v_add_f64 v[2:3], v[2:3], v[8:9]
	v_add_f64 v[4:5], v[4:5], v[0:1]
.LBB376_33:
	s_or_b64 s[6:7], s[6:7], exec
.LBB376_34:
	s_or_b64 exec, exec, s[0:1]
	s_and_saveexec_b64 s[0:1], s[6:7]
	s_cbranch_execnz .LBB376_13
.LBB376_35:
	s_endpgm
	.section	.rodata,"a",@progbits
	.p2align	6, 0x0
	.amdhsa_kernel _ZL32rocblas_gemvt_warp_reduce_kernelILb1ELi1024EiPK19rocblas_complex_numIdES3_KPS1_EviiT3_lPKT2_lT1_lS9_lSA_lS6_lPT4_lSA_li
		.amdhsa_group_segment_fixed_size 1024
		.amdhsa_private_segment_fixed_size 0
		.amdhsa_kernarg_size 140
		.amdhsa_user_sgpr_count 2
		.amdhsa_user_sgpr_dispatch_ptr 0
		.amdhsa_user_sgpr_queue_ptr 0
		.amdhsa_user_sgpr_kernarg_segment_ptr 1
		.amdhsa_user_sgpr_dispatch_id 0
		.amdhsa_user_sgpr_kernarg_preload_length 0
		.amdhsa_user_sgpr_kernarg_preload_offset 0
		.amdhsa_user_sgpr_private_segment_size 0
		.amdhsa_uses_dynamic_stack 0
		.amdhsa_enable_private_segment 0
		.amdhsa_system_sgpr_workgroup_id_x 1
		.amdhsa_system_sgpr_workgroup_id_y 0
		.amdhsa_system_sgpr_workgroup_id_z 1
		.amdhsa_system_sgpr_workgroup_info 0
		.amdhsa_system_vgpr_workitem_id 0
		.amdhsa_next_free_vgpr 22
		.amdhsa_next_free_sgpr 32
		.amdhsa_accum_offset 24
		.amdhsa_reserve_vcc 1
		.amdhsa_float_round_mode_32 0
		.amdhsa_float_round_mode_16_64 0
		.amdhsa_float_denorm_mode_32 3
		.amdhsa_float_denorm_mode_16_64 3
		.amdhsa_dx10_clamp 1
		.amdhsa_ieee_mode 1
		.amdhsa_fp16_overflow 0
		.amdhsa_tg_split 0
		.amdhsa_exception_fp_ieee_invalid_op 0
		.amdhsa_exception_fp_denorm_src 0
		.amdhsa_exception_fp_ieee_div_zero 0
		.amdhsa_exception_fp_ieee_overflow 0
		.amdhsa_exception_fp_ieee_underflow 0
		.amdhsa_exception_fp_ieee_inexact 0
		.amdhsa_exception_int_div_zero 0
	.end_amdhsa_kernel
	.section	.text._ZL32rocblas_gemvt_warp_reduce_kernelILb1ELi1024EiPK19rocblas_complex_numIdES3_KPS1_EviiT3_lPKT2_lT1_lS9_lSA_lS6_lPT4_lSA_li,"axG",@progbits,_ZL32rocblas_gemvt_warp_reduce_kernelILb1ELi1024EiPK19rocblas_complex_numIdES3_KPS1_EviiT3_lPKT2_lT1_lS9_lSA_lS6_lPT4_lSA_li,comdat
.Lfunc_end376:
	.size	_ZL32rocblas_gemvt_warp_reduce_kernelILb1ELi1024EiPK19rocblas_complex_numIdES3_KPS1_EviiT3_lPKT2_lT1_lS9_lSA_lS6_lPT4_lSA_li, .Lfunc_end376-_ZL32rocblas_gemvt_warp_reduce_kernelILb1ELi1024EiPK19rocblas_complex_numIdES3_KPS1_EviiT3_lPKT2_lT1_lS9_lSA_lS6_lPT4_lSA_li
                                        ; -- End function
	.section	.AMDGPU.csdata,"",@progbits
; Kernel info:
; codeLenInByte = 2012
; NumSgprs: 38
; NumVgprs: 22
; NumAgprs: 0
; TotalNumVgprs: 22
; ScratchSize: 0
; MemoryBound: 0
; FloatMode: 240
; IeeeMode: 1
; LDSByteSize: 1024 bytes/workgroup (compile time only)
; SGPRBlocks: 4
; VGPRBlocks: 2
; NumSGPRsForWavesPerEU: 38
; NumVGPRsForWavesPerEU: 22
; AccumOffset: 24
; Occupancy: 8
; WaveLimiterHint : 1
; COMPUTE_PGM_RSRC2:SCRATCH_EN: 0
; COMPUTE_PGM_RSRC2:USER_SGPR: 2
; COMPUTE_PGM_RSRC2:TRAP_HANDLER: 0
; COMPUTE_PGM_RSRC2:TGID_X_EN: 1
; COMPUTE_PGM_RSRC2:TGID_Y_EN: 0
; COMPUTE_PGM_RSRC2:TGID_Z_EN: 1
; COMPUTE_PGM_RSRC2:TIDIG_COMP_CNT: 0
; COMPUTE_PGM_RSRC3_GFX90A:ACCUM_OFFSET: 5
; COMPUTE_PGM_RSRC3_GFX90A:TG_SPLIT: 0
	.section	.text._ZL32rocblas_gemvt_warp_reduce_kernelILb1ELi1024ElPK19rocblas_complex_numIdES3_KPS1_EviiT3_lPKT2_lT1_lS9_lSA_lS6_lPT4_lSA_li,"axG",@progbits,_ZL32rocblas_gemvt_warp_reduce_kernelILb1ELi1024ElPK19rocblas_complex_numIdES3_KPS1_EviiT3_lPKT2_lT1_lS9_lSA_lS6_lPT4_lSA_li,comdat
	.globl	_ZL32rocblas_gemvt_warp_reduce_kernelILb1ELi1024ElPK19rocblas_complex_numIdES3_KPS1_EviiT3_lPKT2_lT1_lS9_lSA_lS6_lPT4_lSA_li ; -- Begin function _ZL32rocblas_gemvt_warp_reduce_kernelILb1ELi1024ElPK19rocblas_complex_numIdES3_KPS1_EviiT3_lPKT2_lT1_lS9_lSA_lS6_lPT4_lSA_li
	.p2align	8
	.type	_ZL32rocblas_gemvt_warp_reduce_kernelILb1ELi1024ElPK19rocblas_complex_numIdES3_KPS1_EviiT3_lPKT2_lT1_lS9_lSA_lS6_lPT4_lSA_li,@function
_ZL32rocblas_gemvt_warp_reduce_kernelILb1ELi1024ElPK19rocblas_complex_numIdES3_KPS1_EviiT3_lPKT2_lT1_lS9_lSA_lS6_lPT4_lSA_li: ; @_ZL32rocblas_gemvt_warp_reduce_kernelILb1ELi1024ElPK19rocblas_complex_numIdES3_KPS1_EviiT3_lPKT2_lT1_lS9_lSA_lS6_lPT4_lSA_li
; %bb.0:
	s_load_dwordx8 s[12:19], s[0:1], 0x8
	s_load_dwordx2 s[28:29], s[0:1], 0x28
	s_load_dwordx8 s[4:11], s[0:1], 0x58
	s_mov_b32 s34, s3
	s_mov_b32 s35, 0
	s_waitcnt lgkmcnt(0)
	s_mul_i32 s3, s3, s15
	s_mul_hi_u32 s15, s34, s14
	s_add_i32 s15, s15, s3
	s_mul_i32 s14, s34, s14
	s_lshl_b64 s[14:15], s[14:15], 4
	s_add_u32 s12, s12, s14
	s_mul_i32 s3, s34, s7
	s_mul_hi_u32 s7, s34, s6
	s_addc_u32 s13, s13, s15
	s_add_i32 s7, s7, s3
	s_mul_i32 s6, s34, s6
	s_load_dwordx4 s[20:23], s[12:13], 0x0
	s_lshl_b64 s[6:7], s[6:7], 4
	s_add_u32 s4, s4, s6
	s_addc_u32 s5, s5, s7
	s_load_dwordx4 s[12:15], s[4:5], 0x0
	s_waitcnt lgkmcnt(0)
	v_cmp_neq_f64_e64 s[6:7], s[20:21], 0
	v_cmp_neq_f64_e64 s[24:25], s[22:23], 0
	s_or_b64 s[26:27], s[6:7], s[24:25]
	s_mov_b64 s[4:5], 0
	s_mov_b64 s[30:31], -1
	s_and_b64 vcc, exec, s[26:27]
	s_cbranch_vccnz .LBB377_3
; %bb.1:
	v_cmp_neq_f64_e64 s[4:5], s[12:13], 1.0
	v_cmp_neq_f64_e64 s[6:7], s[14:15], 0
	s_mov_b64 s[30:31], 0
	s_or_b64 s[4:5], s[4:5], s[6:7]
	s_cbranch_execz .LBB377_4
.LBB377_2:
	s_andn2_b64 vcc, exec, s[4:5]
	s_cbranch_vccz .LBB377_5
	s_branch .LBB377_35
.LBB377_3:
	s_andn2_b64 vcc, exec, s[30:31]
	s_cbranch_vccnz .LBB377_2
.LBB377_4:
	s_lshl_b64 s[4:5], s[34:35], 3
	s_add_u32 s4, s16, s4
	s_addc_u32 s5, s17, s5
	s_load_dwordx2 s[4:5], s[4:5], 0x0
	s_lshl_b64 s[6:7], s[18:19], 4
	s_waitcnt lgkmcnt(0)
	s_add_u32 s30, s4, s6
	s_addc_u32 s31, s5, s7
.LBB377_5:
	s_load_dwordx2 s[18:19], s[0:1], 0x78
	s_load_dwordx4 s[4:7], s[0:1], 0x38
	s_load_dwordx2 s[24:25], s[0:1], 0x48
	s_xor_b64 s[36:37], s[26:27], -1
	s_mov_b64 s[16:17], 0
	s_andn2_b64 vcc, exec, s[26:27]
	s_mov_b64 s[26:27], 0
	s_cbranch_vccnz .LBB377_7
; %bb.6:
	s_lshl_b64 s[26:27], s[34:35], 3
	s_waitcnt lgkmcnt(0)
	s_add_u32 s4, s4, s26
	s_addc_u32 s5, s5, s27
	s_load_dwordx2 s[4:5], s[4:5], 0x0
	s_lshl_b64 s[6:7], s[6:7], 4
	s_waitcnt lgkmcnt(0)
	s_add_u32 s26, s4, s6
	s_addc_u32 s27, s5, s7
.LBB377_7:
	s_waitcnt lgkmcnt(0)
	s_lshl_b64 s[4:5], s[34:35], 3
	s_add_u32 s4, s8, s4
	s_addc_u32 s5, s9, s5
	s_load_dwordx2 s[4:5], s[4:5], 0x0
	s_lshl_b64 s[6:7], s[10:11], 4
	s_waitcnt lgkmcnt(0)
	s_add_u32 s3, s4, s6
	s_addc_u32 s33, s5, s7
	s_andn2_b64 vcc, exec, s[36:37]
	v_cmp_eq_u32_e64 s[4:5], 0, v0
	s_cbranch_vccnz .LBB377_14
; %bb.8:
	s_mov_b64 s[8:9], 0
                                        ; implicit-def: $vgpr4_vgpr5
                                        ; implicit-def: $sgpr6_sgpr7
	s_and_saveexec_b64 s[10:11], s[4:5]
	s_cbranch_execz .LBB377_15
; %bb.9:
	v_cmp_neq_f64_e64 s[4:5], s[12:13], 0
	v_cmp_neq_f64_e64 s[16:17], s[14:15], 0
	s_ashr_i32 s6, s2, 31
	s_mul_i32 s7, s2, s19
	s_mul_hi_u32 s34, s2, s18
	v_mov_b64_e32 v[4:5], 0
	s_add_i32 s7, s34, s7
	s_mul_i32 s6, s6, s18
	s_or_b64 s[4:5], s[4:5], s[16:17]
	s_add_i32 s7, s7, s6
	s_mul_i32 s6, s2, s18
	s_andn2_b64 vcc, exec, s[4:5]
	v_mov_b64_e32 v[2:3], v[4:5]
	s_cbranch_vccnz .LBB377_11
; %bb.10:
	s_lshl_b64 s[4:5], s[6:7], 4
	s_add_u32 s4, s3, s4
	s_addc_u32 s5, s33, s5
	s_load_dwordx4 s[36:39], s[4:5], 0x0
	s_waitcnt lgkmcnt(0)
	v_mov_b64_e32 v[2:3], s[38:39]
	v_mov_b64_e32 v[6:7], s[36:37]
	v_mul_f64 v[8:9], s[14:15], v[2:3]
	v_mul_f64 v[4:5], s[12:13], v[2:3]
	v_fma_f64 v[2:3], s[12:13], v[6:7], -v[8:9]
	v_fmac_f64_e32 v[4:5], s[14:15], v[6:7]
.LBB377_11:
	s_mov_b64 s[16:17], exec
	s_or_b64 exec, exec, s[10:11]
	s_and_b64 vcc, exec, s[8:9]
	s_cbranch_vccnz .LBB377_16
.LBB377_12:
	s_and_saveexec_b64 s[0:1], s[16:17]
	s_cbranch_execz .LBB377_35
.LBB377_13:
	s_lshl_b64 s[0:1], s[6:7], 4
	s_add_u32 s0, s3, s0
	s_addc_u32 s1, s33, s1
	v_mov_b32_e32 v0, 0
	global_store_dwordx4 v0, v[2:5], s[0:1]
	s_endpgm
.LBB377_14:
                                        ; implicit-def: $vgpr4_vgpr5
                                        ; implicit-def: $sgpr6_sgpr7
	s_cbranch_execnz .LBB377_16
	s_branch .LBB377_12
.LBB377_15:
	s_or_b64 exec, exec, s[10:11]
	s_and_b64 vcc, exec, s[8:9]
	s_cbranch_vccz .LBB377_12
.LBB377_16:
	s_load_dword s1, s[0:1], 0x0
	s_ashr_i32 s34, s2, 31
	s_mul_i32 s0, s2, s29
	s_mul_hi_u32 s4, s2, s28
	s_add_i32 s0, s4, s0
	s_mul_i32 s4, s34, s28
	s_add_i32 s5, s0, s4
	s_mul_i32 s4, s2, s28
	s_lshl_b64 s[4:5], s[4:5], 4
	s_add_u32 s4, s4, s30
	s_waitcnt lgkmcnt(0)
	v_cmp_gt_i32_e32 vcc, s1, v0
	s_addc_u32 s5, s5, s31
	s_ashr_i32 s0, s1, 31
	v_cndmask_b32_e32 v1, 0, v0, vcc
	s_lshr_b32 s0, s0, 22
	v_mov_b32_e32 v3, 0
	v_lshlrev_b32_e32 v2, 4, v1
	s_add_i32 s0, s1, s0
	v_lshl_add_u64 v[6:7], s[4:5], 0, v[2:3]
	s_and_b32 s0, s0, 0xfffffc00
	v_mov_b64_e32 v[2:3], 0
	v_cmp_gt_i32_e32 vcc, s0, v0
	v_mov_b64_e32 v[4:5], v[2:3]
	s_and_saveexec_b64 s[4:5], vcc
	s_cbranch_execz .LBB377_20
; %bb.17:
	v_mad_u64_u32 v[2:3], s[6:7], s24, v0, 0
	v_mov_b32_e32 v4, v3
	v_mad_u64_u32 v[4:5], s[6:7], s25, v0, v[4:5]
	v_mov_b32_e32 v3, v4
	v_lshl_add_u64 v[8:9], v[2:3], 4, s[26:27]
	v_mov_b64_e32 v[2:3], 0
	s_lshl_b64 s[8:9], s[24:25], 14
	s_mov_b64 s[6:7], 0
	s_mov_b64 s[10:11], 0x4000
	v_mov_b64_e32 v[10:11], v[6:7]
	v_mov_b32_e32 v1, v0
	v_mov_b64_e32 v[4:5], v[2:3]
.LBB377_18:                             ; =>This Inner Loop Header: Depth=1
	flat_load_dwordx4 v[12:15], v[10:11]
	flat_load_dwordx4 v[16:19], v[8:9]
	v_add_u32_e32 v1, 0x400, v1
	v_cmp_le_i32_e32 vcc, s0, v1
	v_lshl_add_u64 v[10:11], v[10:11], 0, s[10:11]
	v_lshl_add_u64 v[8:9], v[8:9], 0, s[8:9]
	s_or_b64 s[6:7], vcc, s[6:7]
	s_waitcnt vmcnt(0) lgkmcnt(0)
	v_mul_f64 v[20:21], v[14:15], v[18:19]
	v_mul_f64 v[14:15], v[14:15], v[16:17]
	v_fmac_f64_e32 v[20:21], v[12:13], v[16:17]
	v_fma_f64 v[12:13], v[12:13], v[18:19], -v[14:15]
	v_add_f64 v[4:5], v[4:5], v[20:21]
	v_add_f64 v[2:3], v[2:3], v[12:13]
	s_andn2_b64 exec, exec, s[6:7]
	s_cbranch_execnz .LBB377_18
; %bb.19:
	s_or_b64 exec, exec, s[6:7]
.LBB377_20:
	s_or_b64 exec, exec, s[4:5]
	v_or_b32_e32 v1, s0, v0
	v_cmp_gt_i32_e32 vcc, s1, v1
	s_and_saveexec_b64 s[4:5], vcc
	s_cbranch_execz .LBB377_22
; %bb.21:
	s_ashr_i32 s1, s0, 31
	v_ashrrev_i32_e32 v10, 31, v1
	v_lshl_add_u64 v[6:7], s[0:1], 4, v[6:7]
	v_mul_lo_u32 v12, v1, s25
	v_mul_lo_u32 v13, v10, s24
	v_mad_u64_u32 v[10:11], s[0:1], v1, s24, 0
	v_add3_u32 v11, v11, v12, v13
	v_lshl_add_u64 v[10:11], v[10:11], 4, s[26:27]
	flat_load_dwordx4 v[6:9], v[6:7]
	s_nop 0
	flat_load_dwordx4 v[10:13], v[10:11]
	s_waitcnt vmcnt(0) lgkmcnt(0)
	v_mul_f64 v[14:15], v[8:9], v[12:13]
	v_mul_f64 v[8:9], v[8:9], v[10:11]
	v_fmac_f64_e32 v[14:15], v[6:7], v[10:11]
	v_fma_f64 v[6:7], v[6:7], v[12:13], -v[8:9]
	v_add_f64 v[4:5], v[4:5], v[14:15]
	v_add_f64 v[2:3], v[2:3], v[6:7]
.LBB377_22:
	s_or_b64 exec, exec, s[4:5]
	v_and_b32_e32 v13, 63, v0
	v_cmp_gt_u32_e32 vcc, 64, v0
	v_lshlrev_b32_e32 v1, 4, v13
	s_and_saveexec_b64 s[0:1], vcc
	s_cbranch_execz .LBB377_24
; %bb.23:
	v_mov_b32_e32 v6, 0
	v_mov_b32_e32 v7, v6
	;; [unrolled: 1-line block ×4, first 2 shown]
	ds_write_b128 v1, v[6:9]
.LBB377_24:
	s_or_b64 exec, exec, s[0:1]
	v_mbcnt_lo_u32_b32 v6, -1, 0
	v_mbcnt_hi_u32_b32 v14, -1, v6
	v_and_b32_e32 v15, 63, v14
	v_cmp_gt_u32_e64 s[0:1], 32, v15
	s_waitcnt lgkmcnt(0)
	s_barrier
	v_cndmask_b32_e64 v6, 0, 1, s[0:1]
	v_lshlrev_b32_e32 v6, 5, v6
	v_add_lshl_u32 v9, v6, v14, 2
	ds_bpermute_b32 v6, v9, v4
	ds_bpermute_b32 v7, v9, v5
	;; [unrolled: 1-line block ×4, first 2 shown]
	v_cmp_gt_u32_e64 s[0:1], 48, v15
	s_waitcnt lgkmcnt(0)
	v_add_f64 v[4:5], v[4:5], v[6:7]
	v_cndmask_b32_e64 v6, 0, 1, s[0:1]
	v_lshlrev_b32_e32 v6, 4, v6
	v_add_f64 v[2:3], v[2:3], v[8:9]
	v_add_lshl_u32 v9, v6, v14, 2
	ds_bpermute_b32 v6, v9, v4
	ds_bpermute_b32 v7, v9, v5
	;; [unrolled: 1-line block ×4, first 2 shown]
	v_cmp_gt_u32_e64 s[0:1], 56, v15
	s_waitcnt lgkmcnt(2)
	v_add_f64 v[4:5], v[4:5], v[6:7]
	v_cndmask_b32_e64 v6, 0, 1, s[0:1]
	v_lshlrev_b32_e32 v6, 3, v6
	v_add_lshl_u32 v10, v6, v14, 2
	ds_bpermute_b32 v6, v10, v4
	ds_bpermute_b32 v7, v10, v5
	s_waitcnt lgkmcnt(2)
	v_add_f64 v[2:3], v[2:3], v[8:9]
	ds_bpermute_b32 v8, v10, v2
	ds_bpermute_b32 v9, v10, v3
	v_cmp_gt_u32_e64 s[0:1], 60, v15
	s_waitcnt lgkmcnt(2)
	v_add_f64 v[4:5], v[4:5], v[6:7]
	s_waitcnt lgkmcnt(0)
	v_add_f64 v[2:3], v[2:3], v[8:9]
	v_cndmask_b32_e64 v6, 0, 1, s[0:1]
	v_lshlrev_b32_e32 v6, 2, v6
	v_add_lshl_u32 v11, v6, v14, 2
	ds_bpermute_b32 v6, v11, v4
	ds_bpermute_b32 v7, v11, v5
	ds_bpermute_b32 v8, v11, v2
	ds_bpermute_b32 v9, v11, v3
	v_cmp_gt_u32_e64 s[0:1], 62, v15
	s_waitcnt lgkmcnt(2)
	v_add_f64 v[4:5], v[4:5], v[6:7]
	s_waitcnt lgkmcnt(0)
	v_add_f64 v[6:7], v[2:3], v[8:9]
	v_cndmask_b32_e64 v2, 0, 1, s[0:1]
	v_lshlrev_b32_e32 v2, 1, v2
	v_add_lshl_u32 v12, v2, v14, 2
	ds_bpermute_b32 v2, v12, v4
	ds_bpermute_b32 v3, v12, v5
	;; [unrolled: 1-line block ×4, first 2 shown]
	v_cmp_ne_u32_e64 s[0:1], 63, v15
	s_waitcnt lgkmcnt(2)
	v_add_f64 v[2:3], v[4:5], v[2:3]
	v_addc_co_u32_e64 v4, s[0:1], 0, v14, s[0:1]
	s_waitcnt lgkmcnt(0)
	v_add_f64 v[6:7], v[6:7], v[8:9]
	v_lshlrev_b32_e32 v14, 2, v4
	ds_bpermute_b32 v4, v14, v2
	ds_bpermute_b32 v5, v14, v3
	;; [unrolled: 1-line block ×4, first 2 shown]
	v_cmp_eq_u32_e64 s[0:1], 0, v13
	s_and_saveexec_b64 s[4:5], s[0:1]
	s_cbranch_execz .LBB377_26
; %bb.25:
	v_lshrrev_b32_e32 v13, 2, v0
	v_and_b32_e32 v13, 0xf0, v13
	s_waitcnt lgkmcnt(0)
	v_add_f64 v[6:7], v[6:7], v[8:9]
	v_add_f64 v[4:5], v[2:3], v[4:5]
	ds_write_b128 v13, v[4:7]
.LBB377_26:
	s_or_b64 exec, exec, s[4:5]
	s_waitcnt lgkmcnt(0)
	v_mov_b64_e32 v[8:9], 0
	v_cmp_gt_u32_e64 s[0:1], 16, v0
	v_mov_b64_e32 v[6:7], v[8:9]
	s_barrier
	s_and_saveexec_b64 s[4:5], s[0:1]
	s_cbranch_execz .LBB377_28
; %bb.27:
	ds_read_b128 v[6:9], v1
	s_or_b64 exec, exec, s[4:5]
	s_and_saveexec_b64 s[0:1], vcc
	s_cbranch_execz .LBB377_30
	s_branch .LBB377_29
.LBB377_28:
	s_or_b64 exec, exec, s[4:5]
	s_and_saveexec_b64 s[0:1], vcc
	s_cbranch_execz .LBB377_30
.LBB377_29:
	s_waitcnt lgkmcnt(0)
	ds_bpermute_b32 v2, v10, v6
	ds_bpermute_b32 v3, v10, v7
	;; [unrolled: 1-line block ×4, first 2 shown]
	s_waitcnt lgkmcnt(2)
	v_add_f64 v[2:3], v[6:7], v[2:3]
	ds_bpermute_b32 v6, v11, v2
	s_waitcnt lgkmcnt(1)
	v_add_f64 v[4:5], v[8:9], v[4:5]
	ds_bpermute_b32 v7, v11, v3
	ds_bpermute_b32 v8, v11, v4
	ds_bpermute_b32 v9, v11, v5
	s_waitcnt lgkmcnt(2)
	v_add_f64 v[2:3], v[2:3], v[6:7]
	ds_bpermute_b32 v6, v12, v2
	s_waitcnt lgkmcnt(1)
	v_add_f64 v[4:5], v[4:5], v[8:9]
	ds_bpermute_b32 v7, v12, v3
	ds_bpermute_b32 v8, v12, v4
	ds_bpermute_b32 v9, v12, v5
	;; [unrolled: 8-line block ×3, first 2 shown]
	s_waitcnt lgkmcnt(2)
	v_add_f64 v[6:7], v[2:3], v[6:7]
	s_waitcnt lgkmcnt(0)
	v_add_f64 v[8:9], v[4:5], v[8:9]
.LBB377_30:
	s_or_b64 exec, exec, s[0:1]
	v_cmp_eq_u32_e32 vcc, 0, v0
                                        ; implicit-def: $vgpr4_vgpr5
                                        ; implicit-def: $sgpr6_sgpr7
	s_and_saveexec_b64 s[0:1], vcc
	s_cbranch_execz .LBB377_34
; %bb.31:
	v_cmp_neq_f64_e64 s[4:5], s[12:13], 0
	v_cmp_neq_f64_e64 s[8:9], s[14:15], 0
	s_mul_i32 s6, s2, s19
	s_mul_hi_u32 s7, s2, s18
	s_waitcnt lgkmcnt(0)
	v_mul_f64 v[0:1], s[22:23], v[8:9]
	v_mul_f64 v[4:5], s[20:21], v[8:9]
	s_add_i32 s6, s7, s6
	s_mul_i32 s7, s34, s18
	s_or_b64 s[4:5], s[4:5], s[8:9]
	v_fma_f64 v[2:3], s[20:21], v[6:7], -v[0:1]
	v_fmac_f64_e32 v[4:5], s[22:23], v[6:7]
	s_add_i32 s7, s6, s7
	s_andn2_b64 vcc, exec, s[4:5]
	s_mul_i32 s6, s2, s18
	s_cbranch_vccnz .LBB377_33
; %bb.32:
	s_lshl_b64 s[4:5], s[6:7], 4
	s_add_u32 s4, s3, s4
	s_addc_u32 s5, s33, s5
	s_load_dwordx4 s[8:11], s[4:5], 0x0
	s_waitcnt lgkmcnt(0)
	v_mov_b64_e32 v[0:1], s[10:11]
	v_mov_b64_e32 v[6:7], s[8:9]
	v_mul_f64 v[8:9], s[14:15], v[0:1]
	v_mul_f64 v[0:1], s[12:13], v[0:1]
	v_fma_f64 v[8:9], s[12:13], v[6:7], -v[8:9]
	v_fmac_f64_e32 v[0:1], s[14:15], v[6:7]
	v_add_f64 v[2:3], v[2:3], v[8:9]
	v_add_f64 v[4:5], v[4:5], v[0:1]
.LBB377_33:
	s_or_b64 s[16:17], s[16:17], exec
.LBB377_34:
	s_or_b64 exec, exec, s[0:1]
	s_and_saveexec_b64 s[0:1], s[16:17]
	s_cbranch_execnz .LBB377_13
.LBB377_35:
	s_endpgm
	.section	.rodata,"a",@progbits
	.p2align	6, 0x0
	.amdhsa_kernel _ZL32rocblas_gemvt_warp_reduce_kernelILb1ELi1024ElPK19rocblas_complex_numIdES3_KPS1_EviiT3_lPKT2_lT1_lS9_lSA_lS6_lPT4_lSA_li
		.amdhsa_group_segment_fixed_size 1024
		.amdhsa_private_segment_fixed_size 0
		.amdhsa_kernarg_size 140
		.amdhsa_user_sgpr_count 2
		.amdhsa_user_sgpr_dispatch_ptr 0
		.amdhsa_user_sgpr_queue_ptr 0
		.amdhsa_user_sgpr_kernarg_segment_ptr 1
		.amdhsa_user_sgpr_dispatch_id 0
		.amdhsa_user_sgpr_kernarg_preload_length 0
		.amdhsa_user_sgpr_kernarg_preload_offset 0
		.amdhsa_user_sgpr_private_segment_size 0
		.amdhsa_uses_dynamic_stack 0
		.amdhsa_enable_private_segment 0
		.amdhsa_system_sgpr_workgroup_id_x 1
		.amdhsa_system_sgpr_workgroup_id_y 0
		.amdhsa_system_sgpr_workgroup_id_z 1
		.amdhsa_system_sgpr_workgroup_info 0
		.amdhsa_system_vgpr_workitem_id 0
		.amdhsa_next_free_vgpr 22
		.amdhsa_next_free_sgpr 40
		.amdhsa_accum_offset 24
		.amdhsa_reserve_vcc 1
		.amdhsa_float_round_mode_32 0
		.amdhsa_float_round_mode_16_64 0
		.amdhsa_float_denorm_mode_32 3
		.amdhsa_float_denorm_mode_16_64 3
		.amdhsa_dx10_clamp 1
		.amdhsa_ieee_mode 1
		.amdhsa_fp16_overflow 0
		.amdhsa_tg_split 0
		.amdhsa_exception_fp_ieee_invalid_op 0
		.amdhsa_exception_fp_denorm_src 0
		.amdhsa_exception_fp_ieee_div_zero 0
		.amdhsa_exception_fp_ieee_overflow 0
		.amdhsa_exception_fp_ieee_underflow 0
		.amdhsa_exception_fp_ieee_inexact 0
		.amdhsa_exception_int_div_zero 0
	.end_amdhsa_kernel
	.section	.text._ZL32rocblas_gemvt_warp_reduce_kernelILb1ELi1024ElPK19rocblas_complex_numIdES3_KPS1_EviiT3_lPKT2_lT1_lS9_lSA_lS6_lPT4_lSA_li,"axG",@progbits,_ZL32rocblas_gemvt_warp_reduce_kernelILb1ELi1024ElPK19rocblas_complex_numIdES3_KPS1_EviiT3_lPKT2_lT1_lS9_lSA_lS6_lPT4_lSA_li,comdat
.Lfunc_end377:
	.size	_ZL32rocblas_gemvt_warp_reduce_kernelILb1ELi1024ElPK19rocblas_complex_numIdES3_KPS1_EviiT3_lPKT2_lT1_lS9_lSA_lS6_lPT4_lSA_li, .Lfunc_end377-_ZL32rocblas_gemvt_warp_reduce_kernelILb1ELi1024ElPK19rocblas_complex_numIdES3_KPS1_EviiT3_lPKT2_lT1_lS9_lSA_lS6_lPT4_lSA_li
                                        ; -- End function
	.section	.AMDGPU.csdata,"",@progbits
; Kernel info:
; codeLenInByte = 2112
; NumSgprs: 46
; NumVgprs: 22
; NumAgprs: 0
; TotalNumVgprs: 22
; ScratchSize: 0
; MemoryBound: 0
; FloatMode: 240
; IeeeMode: 1
; LDSByteSize: 1024 bytes/workgroup (compile time only)
; SGPRBlocks: 5
; VGPRBlocks: 2
; NumSGPRsForWavesPerEU: 46
; NumVGPRsForWavesPerEU: 22
; AccumOffset: 24
; Occupancy: 8
; WaveLimiterHint : 1
; COMPUTE_PGM_RSRC2:SCRATCH_EN: 0
; COMPUTE_PGM_RSRC2:USER_SGPR: 2
; COMPUTE_PGM_RSRC2:TRAP_HANDLER: 0
; COMPUTE_PGM_RSRC2:TGID_X_EN: 1
; COMPUTE_PGM_RSRC2:TGID_Y_EN: 0
; COMPUTE_PGM_RSRC2:TGID_Z_EN: 1
; COMPUTE_PGM_RSRC2:TIDIG_COMP_CNT: 0
; COMPUTE_PGM_RSRC3_GFX90A:ACCUM_OFFSET: 5
; COMPUTE_PGM_RSRC3_GFX90A:TG_SPLIT: 0
	.section	.text._ZL32rocblas_gemvt_warp_reduce_kernelILb1ELi1024EiPK19rocblas_complex_numIdES1_KPS1_EviiT3_lPKT2_lT1_lS9_lSA_lS6_lPT4_lSA_li,"axG",@progbits,_ZL32rocblas_gemvt_warp_reduce_kernelILb1ELi1024EiPK19rocblas_complex_numIdES1_KPS1_EviiT3_lPKT2_lT1_lS9_lSA_lS6_lPT4_lSA_li,comdat
	.globl	_ZL32rocblas_gemvt_warp_reduce_kernelILb1ELi1024EiPK19rocblas_complex_numIdES1_KPS1_EviiT3_lPKT2_lT1_lS9_lSA_lS6_lPT4_lSA_li ; -- Begin function _ZL32rocblas_gemvt_warp_reduce_kernelILb1ELi1024EiPK19rocblas_complex_numIdES1_KPS1_EviiT3_lPKT2_lT1_lS9_lSA_lS6_lPT4_lSA_li
	.p2align	8
	.type	_ZL32rocblas_gemvt_warp_reduce_kernelILb1ELi1024EiPK19rocblas_complex_numIdES1_KPS1_EviiT3_lPKT2_lT1_lS9_lSA_lS6_lPT4_lSA_li,@function
_ZL32rocblas_gemvt_warp_reduce_kernelILb1ELi1024EiPK19rocblas_complex_numIdES1_KPS1_EviiT3_lPKT2_lT1_lS9_lSA_lS6_lPT4_lSA_li: ; @_ZL32rocblas_gemvt_warp_reduce_kernelILb1ELi1024EiPK19rocblas_complex_numIdES1_KPS1_EviiT3_lPKT2_lT1_lS9_lSA_lS6_lPT4_lSA_li
; %bb.0:
	s_load_dwordx4 s[12:15], s[0:1], 0x8
	s_load_dwordx4 s[8:11], s[0:1], 0x60
	s_mov_b32 s4, s3
	s_mov_b64 s[6:7], 0
	s_mov_b64 s[20:21], -1
	s_waitcnt lgkmcnt(0)
	v_cmp_neq_f64_e64 s[16:17], s[12:13], 0
	v_cmp_neq_f64_e64 s[18:19], s[14:15], 0
	s_or_b64 s[16:17], s[16:17], s[18:19]
	s_and_b64 vcc, exec, s[16:17]
	s_cbranch_vccnz .LBB378_3
; %bb.1:
	v_cmp_eq_f64_e64 s[6:7], s[8:9], 1.0
	v_cmp_eq_f64_e64 s[18:19], s[10:11], 0
	s_and_b64 s[6:7], s[6:7], s[18:19]
	s_andn2_b64 vcc, exec, s[6:7]
	s_mov_b64 s[20:21], 0
	s_cbranch_vccz .LBB378_13
; %bb.2:
	s_mov_b32 s5, 0
	s_mov_b64 s[6:7], -1
	s_mov_b64 s[18:19], 0
	s_and_b64 vcc, exec, s[20:21]
	s_cbranch_vccnz .LBB378_4
	s_branch .LBB378_5
.LBB378_3:
                                        ; implicit-def: $sgpr18_sgpr19
	s_and_b64 vcc, exec, s[20:21]
	s_cbranch_vccz .LBB378_5
.LBB378_4:
	s_load_dwordx4 s[20:23], s[0:1], 0x20
	s_mov_b32 s5, 0
	s_lshl_b64 s[6:7], s[4:5], 3
	s_waitcnt lgkmcnt(0)
	s_add_u32 s6, s20, s6
	s_addc_u32 s7, s21, s7
	s_load_dwordx2 s[6:7], s[6:7], 0x0
	s_lshl_b64 s[18:19], s[22:23], 4
	s_waitcnt lgkmcnt(0)
	s_add_u32 s18, s6, s18
	s_addc_u32 s19, s7, s19
	s_mov_b64 s[6:7], -1
.LBB378_5:
	s_andn2_b64 vcc, exec, s[6:7]
	s_cbranch_vccnz .LBB378_37
; %bb.6:
	s_xor_b64 s[20:21], s[16:17], -1
	s_mov_b64 s[6:7], 0
	s_andn2_b64 vcc, exec, s[16:17]
	s_mov_b64 s[16:17], 0
	s_cbranch_vccnz .LBB378_8
; %bb.7:
	s_load_dwordx4 s[24:27], s[0:1], 0x40
	s_lshl_b64 s[16:17], s[4:5], 3
	s_waitcnt lgkmcnt(0)
	s_add_u32 s16, s24, s16
	s_addc_u32 s17, s25, s17
	s_load_dwordx2 s[16:17], s[16:17], 0x0
	s_lshl_b64 s[22:23], s[26:27], 4
	s_waitcnt lgkmcnt(0)
	s_add_u32 s16, s16, s22
	s_addc_u32 s17, s17, s23
.LBB378_8:
	s_load_dwordx4 s[28:31], s[0:1], 0x78
	s_load_dword s27, s[0:1], 0x88
	s_lshl_b64 s[4:5], s[4:5], 3
	s_waitcnt lgkmcnt(0)
	s_add_u32 s4, s28, s4
	s_addc_u32 s5, s29, s5
	s_load_dwordx2 s[4:5], s[4:5], 0x0
	s_lshl_b64 s[22:23], s[30:31], 4
	s_waitcnt lgkmcnt(0)
	s_add_u32 s3, s4, s22
	s_addc_u32 s26, s5, s23
	s_andn2_b64 vcc, exec, s[20:21]
	v_cmp_eq_u32_e64 s[4:5], 0, v0
	s_cbranch_vccnz .LBB378_14
; %bb.9:
	s_mov_b64 s[22:23], 0
                                        ; implicit-def: $vgpr4_vgpr5
                                        ; implicit-def: $sgpr20_sgpr21
	s_and_saveexec_b64 s[24:25], s[4:5]
	s_cbranch_execz .LBB378_15
; %bb.10:
	v_cmp_neq_f64_e64 s[4:5], s[8:9], 0
	v_cmp_neq_f64_e64 s[6:7], s[10:11], 0
	v_mov_b64_e32 v[4:5], 0
	s_mul_i32 s20, s2, s27
	s_or_b64 s[4:5], s[4:5], s[6:7]
	s_ashr_i32 s21, s20, 31
	s_andn2_b64 vcc, exec, s[4:5]
	v_mov_b64_e32 v[2:3], v[4:5]
	s_cbranch_vccnz .LBB378_12
; %bb.11:
	s_lshl_b64 s[4:5], s[20:21], 4
	s_add_u32 s4, s3, s4
	s_addc_u32 s5, s26, s5
	s_load_dwordx4 s[4:7], s[4:5], 0x0
	s_waitcnt lgkmcnt(0)
	v_mov_b64_e32 v[2:3], s[6:7]
	v_mov_b64_e32 v[6:7], s[4:5]
	v_mul_f64 v[8:9], s[10:11], v[2:3]
	v_mul_f64 v[4:5], s[8:9], v[2:3]
	v_fma_f64 v[2:3], s[8:9], v[6:7], -v[8:9]
	v_fmac_f64_e32 v[4:5], s[10:11], v[6:7]
.LBB378_12:
	s_mov_b64 s[6:7], exec
	s_or_b64 exec, exec, s[24:25]
	s_and_b64 vcc, exec, s[22:23]
	s_cbranch_vccnz .LBB378_16
	s_branch .LBB378_35
.LBB378_13:
                                        ; implicit-def: $sgpr18_sgpr19
	s_mov_b64 s[6:7], 0
	s_and_b64 vcc, exec, s[20:21]
	s_cbranch_vccnz .LBB378_4
	s_branch .LBB378_5
.LBB378_14:
                                        ; implicit-def: $vgpr4_vgpr5
                                        ; implicit-def: $sgpr20_sgpr21
	s_cbranch_execnz .LBB378_16
	s_branch .LBB378_35
.LBB378_15:
	s_or_b64 exec, exec, s[24:25]
	s_and_b64 vcc, exec, s[22:23]
	s_cbranch_vccz .LBB378_35
.LBB378_16:
	s_load_dword s23, s[0:1], 0x0
	s_load_dword s4, s[0:1], 0x30
	;; [unrolled: 1-line block ×3, first 2 shown]
	v_mov_b32_e32 v3, 0
	s_waitcnt lgkmcnt(0)
	v_cmp_gt_i32_e32 vcc, s23, v0
	s_mul_i32 s0, s2, s4
	s_ashr_i32 s1, s0, 31
	s_lshl_b64 s[0:1], s[0:1], 4
	v_cndmask_b32_e32 v1, 0, v0, vcc
	s_add_u32 s0, s0, s18
	v_lshlrev_b32_e32 v2, 4, v1
	s_addc_u32 s1, s1, s19
	v_lshl_add_u64 v[6:7], s[0:1], 0, v[2:3]
	s_ashr_i32 s0, s23, 31
	s_lshr_b32 s0, s0, 22
	s_add_i32 s0, s23, s0
	s_and_b32 s0, s0, 0xfffffc00
	v_mov_b64_e32 v[2:3], 0
	v_cmp_gt_i32_e32 vcc, s0, v0
	v_mov_b64_e32 v[4:5], v[2:3]
	s_and_saveexec_b64 s[4:5], vcc
	s_cbranch_execz .LBB378_20
; %bb.17:
	v_mov_b64_e32 v[2:3], 0
	v_mul_lo_u32 v8, v0, s22
	s_lshl_b32 s1, s22, 10
	s_mov_b64 s[18:19], 0
	s_mov_b64 s[20:21], 0x4000
	v_mov_b64_e32 v[10:11], v[6:7]
	v_mov_b32_e32 v1, v0
	v_mov_b64_e32 v[4:5], v[2:3]
.LBB378_18:                             ; =>This Inner Loop Header: Depth=1
	v_ashrrev_i32_e32 v9, 31, v8
	v_lshl_add_u64 v[16:17], v[8:9], 4, s[16:17]
	flat_load_dwordx4 v[12:15], v[10:11]
	v_add_u32_e32 v1, 0x400, v1
	flat_load_dwordx4 v[16:19], v[16:17]
	v_cmp_le_i32_e32 vcc, s0, v1
	v_lshl_add_u64 v[10:11], v[10:11], 0, s[20:21]
	v_add_u32_e32 v8, s1, v8
	s_or_b64 s[18:19], vcc, s[18:19]
	s_waitcnt vmcnt(0) lgkmcnt(0)
	v_mul_f64 v[20:21], v[14:15], v[18:19]
	v_mul_f64 v[14:15], v[14:15], v[16:17]
	v_fmac_f64_e32 v[20:21], v[12:13], v[16:17]
	v_fma_f64 v[12:13], v[12:13], v[18:19], -v[14:15]
	v_add_f64 v[4:5], v[4:5], v[20:21]
	v_add_f64 v[2:3], v[2:3], v[12:13]
	s_andn2_b64 exec, exec, s[18:19]
	s_cbranch_execnz .LBB378_18
; %bb.19:
	s_or_b64 exec, exec, s[18:19]
.LBB378_20:
	s_or_b64 exec, exec, s[4:5]
	v_or_b32_e32 v1, s0, v0
	v_cmp_gt_i32_e32 vcc, s23, v1
	s_and_saveexec_b64 s[4:5], vcc
	s_cbranch_execz .LBB378_22
; %bb.21:
	v_mul_lo_u32 v10, v1, s22
	s_ashr_i32 s1, s0, 31
	v_ashrrev_i32_e32 v11, 31, v10
	v_lshl_add_u64 v[6:7], s[0:1], 4, v[6:7]
	v_lshl_add_u64 v[10:11], v[10:11], 4, s[16:17]
	flat_load_dwordx4 v[6:9], v[6:7]
	s_nop 0
	flat_load_dwordx4 v[10:13], v[10:11]
	s_waitcnt vmcnt(0) lgkmcnt(0)
	v_mul_f64 v[14:15], v[8:9], v[12:13]
	v_mul_f64 v[8:9], v[8:9], v[10:11]
	v_fmac_f64_e32 v[14:15], v[6:7], v[10:11]
	v_fma_f64 v[6:7], v[6:7], v[12:13], -v[8:9]
	v_add_f64 v[4:5], v[4:5], v[14:15]
	v_add_f64 v[2:3], v[2:3], v[6:7]
.LBB378_22:
	s_or_b64 exec, exec, s[4:5]
	v_and_b32_e32 v13, 63, v0
	v_cmp_gt_u32_e32 vcc, 64, v0
	v_lshlrev_b32_e32 v1, 4, v13
	s_and_saveexec_b64 s[0:1], vcc
	s_cbranch_execz .LBB378_24
; %bb.23:
	v_mov_b32_e32 v6, 0
	v_mov_b32_e32 v7, v6
	;; [unrolled: 1-line block ×4, first 2 shown]
	ds_write_b128 v1, v[6:9]
.LBB378_24:
	s_or_b64 exec, exec, s[0:1]
	v_mbcnt_lo_u32_b32 v6, -1, 0
	v_mbcnt_hi_u32_b32 v14, -1, v6
	v_and_b32_e32 v15, 63, v14
	v_cmp_gt_u32_e64 s[0:1], 32, v15
	s_waitcnt lgkmcnt(0)
	s_barrier
	v_cndmask_b32_e64 v6, 0, 1, s[0:1]
	v_lshlrev_b32_e32 v6, 5, v6
	v_add_lshl_u32 v9, v6, v14, 2
	ds_bpermute_b32 v6, v9, v4
	ds_bpermute_b32 v7, v9, v5
	;; [unrolled: 1-line block ×4, first 2 shown]
	v_cmp_gt_u32_e64 s[0:1], 48, v15
	s_waitcnt lgkmcnt(0)
	v_add_f64 v[4:5], v[4:5], v[6:7]
	v_cndmask_b32_e64 v6, 0, 1, s[0:1]
	v_lshlrev_b32_e32 v6, 4, v6
	v_add_f64 v[2:3], v[2:3], v[8:9]
	v_add_lshl_u32 v9, v6, v14, 2
	ds_bpermute_b32 v6, v9, v4
	ds_bpermute_b32 v7, v9, v5
	;; [unrolled: 1-line block ×4, first 2 shown]
	v_cmp_gt_u32_e64 s[0:1], 56, v15
	s_waitcnt lgkmcnt(2)
	v_add_f64 v[4:5], v[4:5], v[6:7]
	v_cndmask_b32_e64 v6, 0, 1, s[0:1]
	v_lshlrev_b32_e32 v6, 3, v6
	v_add_lshl_u32 v10, v6, v14, 2
	ds_bpermute_b32 v6, v10, v4
	ds_bpermute_b32 v7, v10, v5
	s_waitcnt lgkmcnt(2)
	v_add_f64 v[2:3], v[2:3], v[8:9]
	ds_bpermute_b32 v8, v10, v2
	ds_bpermute_b32 v9, v10, v3
	v_cmp_gt_u32_e64 s[0:1], 60, v15
	s_waitcnt lgkmcnt(2)
	v_add_f64 v[4:5], v[4:5], v[6:7]
	s_waitcnt lgkmcnt(0)
	v_add_f64 v[2:3], v[2:3], v[8:9]
	v_cndmask_b32_e64 v6, 0, 1, s[0:1]
	v_lshlrev_b32_e32 v6, 2, v6
	v_add_lshl_u32 v11, v6, v14, 2
	ds_bpermute_b32 v6, v11, v4
	ds_bpermute_b32 v7, v11, v5
	;; [unrolled: 1-line block ×4, first 2 shown]
	v_cmp_gt_u32_e64 s[0:1], 62, v15
	s_waitcnt lgkmcnt(2)
	v_add_f64 v[4:5], v[4:5], v[6:7]
	s_waitcnt lgkmcnt(0)
	v_add_f64 v[6:7], v[2:3], v[8:9]
	v_cndmask_b32_e64 v2, 0, 1, s[0:1]
	v_lshlrev_b32_e32 v2, 1, v2
	v_add_lshl_u32 v12, v2, v14, 2
	ds_bpermute_b32 v2, v12, v4
	ds_bpermute_b32 v3, v12, v5
	;; [unrolled: 1-line block ×4, first 2 shown]
	v_cmp_ne_u32_e64 s[0:1], 63, v15
	s_waitcnt lgkmcnt(2)
	v_add_f64 v[2:3], v[4:5], v[2:3]
	v_addc_co_u32_e64 v4, s[0:1], 0, v14, s[0:1]
	s_waitcnt lgkmcnt(0)
	v_add_f64 v[6:7], v[6:7], v[8:9]
	v_lshlrev_b32_e32 v14, 2, v4
	ds_bpermute_b32 v4, v14, v2
	ds_bpermute_b32 v5, v14, v3
	;; [unrolled: 1-line block ×4, first 2 shown]
	v_cmp_eq_u32_e64 s[0:1], 0, v13
	s_and_saveexec_b64 s[4:5], s[0:1]
	s_cbranch_execz .LBB378_26
; %bb.25:
	v_lshrrev_b32_e32 v13, 2, v0
	v_and_b32_e32 v13, 0xf0, v13
	s_waitcnt lgkmcnt(0)
	v_add_f64 v[6:7], v[6:7], v[8:9]
	v_add_f64 v[4:5], v[2:3], v[4:5]
	ds_write_b128 v13, v[4:7]
.LBB378_26:
	s_or_b64 exec, exec, s[4:5]
	s_waitcnt lgkmcnt(0)
	v_mov_b64_e32 v[8:9], 0
	v_cmp_gt_u32_e64 s[0:1], 16, v0
	v_mov_b64_e32 v[6:7], v[8:9]
	s_barrier
	s_and_saveexec_b64 s[4:5], s[0:1]
	s_cbranch_execz .LBB378_28
; %bb.27:
	ds_read_b128 v[6:9], v1
	s_or_b64 exec, exec, s[4:5]
	s_and_saveexec_b64 s[0:1], vcc
	s_cbranch_execz .LBB378_30
	s_branch .LBB378_29
.LBB378_28:
	s_or_b64 exec, exec, s[4:5]
	s_and_saveexec_b64 s[0:1], vcc
	s_cbranch_execz .LBB378_30
.LBB378_29:
	s_waitcnt lgkmcnt(0)
	ds_bpermute_b32 v2, v10, v6
	ds_bpermute_b32 v3, v10, v7
	;; [unrolled: 1-line block ×4, first 2 shown]
	s_waitcnt lgkmcnt(2)
	v_add_f64 v[2:3], v[6:7], v[2:3]
	ds_bpermute_b32 v6, v11, v2
	s_waitcnt lgkmcnt(1)
	v_add_f64 v[4:5], v[8:9], v[4:5]
	ds_bpermute_b32 v7, v11, v3
	ds_bpermute_b32 v8, v11, v4
	ds_bpermute_b32 v9, v11, v5
	s_waitcnt lgkmcnt(2)
	v_add_f64 v[2:3], v[2:3], v[6:7]
	ds_bpermute_b32 v6, v12, v2
	s_waitcnt lgkmcnt(1)
	v_add_f64 v[4:5], v[4:5], v[8:9]
	ds_bpermute_b32 v7, v12, v3
	ds_bpermute_b32 v8, v12, v4
	ds_bpermute_b32 v9, v12, v5
	;; [unrolled: 8-line block ×3, first 2 shown]
	s_waitcnt lgkmcnt(2)
	v_add_f64 v[6:7], v[2:3], v[6:7]
	s_waitcnt lgkmcnt(0)
	v_add_f64 v[8:9], v[4:5], v[8:9]
.LBB378_30:
	s_or_b64 exec, exec, s[0:1]
	v_cmp_eq_u32_e32 vcc, 0, v0
                                        ; implicit-def: $vgpr4_vgpr5
                                        ; implicit-def: $sgpr20_sgpr21
	s_and_saveexec_b64 s[0:1], vcc
	s_cbranch_execz .LBB378_34
; %bb.31:
	v_cmp_neq_f64_e64 s[4:5], s[8:9], 0
	v_cmp_neq_f64_e64 s[16:17], s[10:11], 0
	s_waitcnt lgkmcnt(0)
	v_mul_f64 v[0:1], s[14:15], v[8:9]
	v_mul_f64 v[4:5], s[12:13], v[8:9]
	s_mul_i32 s20, s2, s27
	s_or_b64 s[4:5], s[4:5], s[16:17]
	v_fma_f64 v[2:3], s[12:13], v[6:7], -v[0:1]
	v_fmac_f64_e32 v[4:5], s[14:15], v[6:7]
	s_andn2_b64 vcc, exec, s[4:5]
	s_ashr_i32 s21, s20, 31
	s_cbranch_vccnz .LBB378_33
; %bb.32:
	s_lshl_b64 s[4:5], s[20:21], 4
	s_add_u32 s4, s3, s4
	s_addc_u32 s5, s26, s5
	s_load_dwordx4 s[12:15], s[4:5], 0x0
	s_waitcnt lgkmcnt(0)
	v_mov_b64_e32 v[0:1], s[14:15]
	v_mov_b64_e32 v[6:7], s[12:13]
	v_mul_f64 v[8:9], s[10:11], v[0:1]
	v_mul_f64 v[0:1], s[8:9], v[0:1]
	v_fma_f64 v[8:9], s[8:9], v[6:7], -v[8:9]
	v_fmac_f64_e32 v[0:1], s[10:11], v[6:7]
	v_add_f64 v[2:3], v[2:3], v[8:9]
	v_add_f64 v[4:5], v[4:5], v[0:1]
.LBB378_33:
	s_or_b64 s[6:7], s[6:7], exec
.LBB378_34:
	s_or_b64 exec, exec, s[0:1]
.LBB378_35:
	s_and_saveexec_b64 s[0:1], s[6:7]
	s_cbranch_execz .LBB378_37
; %bb.36:
	s_lshl_b64 s[0:1], s[20:21], 4
	s_add_u32 s0, s3, s0
	s_addc_u32 s1, s26, s1
	v_mov_b32_e32 v0, 0
	global_store_dwordx4 v0, v[2:5], s[0:1]
.LBB378_37:
	s_endpgm
	.section	.rodata,"a",@progbits
	.p2align	6, 0x0
	.amdhsa_kernel _ZL32rocblas_gemvt_warp_reduce_kernelILb1ELi1024EiPK19rocblas_complex_numIdES1_KPS1_EviiT3_lPKT2_lT1_lS9_lSA_lS6_lPT4_lSA_li
		.amdhsa_group_segment_fixed_size 1024
		.amdhsa_private_segment_fixed_size 0
		.amdhsa_kernarg_size 156
		.amdhsa_user_sgpr_count 2
		.amdhsa_user_sgpr_dispatch_ptr 0
		.amdhsa_user_sgpr_queue_ptr 0
		.amdhsa_user_sgpr_kernarg_segment_ptr 1
		.amdhsa_user_sgpr_dispatch_id 0
		.amdhsa_user_sgpr_kernarg_preload_length 0
		.amdhsa_user_sgpr_kernarg_preload_offset 0
		.amdhsa_user_sgpr_private_segment_size 0
		.amdhsa_uses_dynamic_stack 0
		.amdhsa_enable_private_segment 0
		.amdhsa_system_sgpr_workgroup_id_x 1
		.amdhsa_system_sgpr_workgroup_id_y 0
		.amdhsa_system_sgpr_workgroup_id_z 1
		.amdhsa_system_sgpr_workgroup_info 0
		.amdhsa_system_vgpr_workitem_id 0
		.amdhsa_next_free_vgpr 22
		.amdhsa_next_free_sgpr 32
		.amdhsa_accum_offset 24
		.amdhsa_reserve_vcc 1
		.amdhsa_float_round_mode_32 0
		.amdhsa_float_round_mode_16_64 0
		.amdhsa_float_denorm_mode_32 3
		.amdhsa_float_denorm_mode_16_64 3
		.amdhsa_dx10_clamp 1
		.amdhsa_ieee_mode 1
		.amdhsa_fp16_overflow 0
		.amdhsa_tg_split 0
		.amdhsa_exception_fp_ieee_invalid_op 0
		.amdhsa_exception_fp_denorm_src 0
		.amdhsa_exception_fp_ieee_div_zero 0
		.amdhsa_exception_fp_ieee_overflow 0
		.amdhsa_exception_fp_ieee_underflow 0
		.amdhsa_exception_fp_ieee_inexact 0
		.amdhsa_exception_int_div_zero 0
	.end_amdhsa_kernel
	.section	.text._ZL32rocblas_gemvt_warp_reduce_kernelILb1ELi1024EiPK19rocblas_complex_numIdES1_KPS1_EviiT3_lPKT2_lT1_lS9_lSA_lS6_lPT4_lSA_li,"axG",@progbits,_ZL32rocblas_gemvt_warp_reduce_kernelILb1ELi1024EiPK19rocblas_complex_numIdES1_KPS1_EviiT3_lPKT2_lT1_lS9_lSA_lS6_lPT4_lSA_li,comdat
.Lfunc_end378:
	.size	_ZL32rocblas_gemvt_warp_reduce_kernelILb1ELi1024EiPK19rocblas_complex_numIdES1_KPS1_EviiT3_lPKT2_lT1_lS9_lSA_lS6_lPT4_lSA_li, .Lfunc_end378-_ZL32rocblas_gemvt_warp_reduce_kernelILb1ELi1024EiPK19rocblas_complex_numIdES1_KPS1_EviiT3_lPKT2_lT1_lS9_lSA_lS6_lPT4_lSA_li
                                        ; -- End function
	.section	.AMDGPU.csdata,"",@progbits
; Kernel info:
; codeLenInByte = 1996
; NumSgprs: 38
; NumVgprs: 22
; NumAgprs: 0
; TotalNumVgprs: 22
; ScratchSize: 0
; MemoryBound: 0
; FloatMode: 240
; IeeeMode: 1
; LDSByteSize: 1024 bytes/workgroup (compile time only)
; SGPRBlocks: 4
; VGPRBlocks: 2
; NumSGPRsForWavesPerEU: 38
; NumVGPRsForWavesPerEU: 22
; AccumOffset: 24
; Occupancy: 8
; WaveLimiterHint : 1
; COMPUTE_PGM_RSRC2:SCRATCH_EN: 0
; COMPUTE_PGM_RSRC2:USER_SGPR: 2
; COMPUTE_PGM_RSRC2:TRAP_HANDLER: 0
; COMPUTE_PGM_RSRC2:TGID_X_EN: 1
; COMPUTE_PGM_RSRC2:TGID_Y_EN: 0
; COMPUTE_PGM_RSRC2:TGID_Z_EN: 1
; COMPUTE_PGM_RSRC2:TIDIG_COMP_CNT: 0
; COMPUTE_PGM_RSRC3_GFX90A:ACCUM_OFFSET: 5
; COMPUTE_PGM_RSRC3_GFX90A:TG_SPLIT: 0
	.section	.text._ZL32rocblas_gemvt_warp_reduce_kernelILb1ELi1024ElPK19rocblas_complex_numIdES1_KPS1_EviiT3_lPKT2_lT1_lS9_lSA_lS6_lPT4_lSA_li,"axG",@progbits,_ZL32rocblas_gemvt_warp_reduce_kernelILb1ELi1024ElPK19rocblas_complex_numIdES1_KPS1_EviiT3_lPKT2_lT1_lS9_lSA_lS6_lPT4_lSA_li,comdat
	.globl	_ZL32rocblas_gemvt_warp_reduce_kernelILb1ELi1024ElPK19rocblas_complex_numIdES1_KPS1_EviiT3_lPKT2_lT1_lS9_lSA_lS6_lPT4_lSA_li ; -- Begin function _ZL32rocblas_gemvt_warp_reduce_kernelILb1ELi1024ElPK19rocblas_complex_numIdES1_KPS1_EviiT3_lPKT2_lT1_lS9_lSA_lS6_lPT4_lSA_li
	.p2align	8
	.type	_ZL32rocblas_gemvt_warp_reduce_kernelILb1ELi1024ElPK19rocblas_complex_numIdES1_KPS1_EviiT3_lPKT2_lT1_lS9_lSA_lS6_lPT4_lSA_li,@function
_ZL32rocblas_gemvt_warp_reduce_kernelILb1ELi1024ElPK19rocblas_complex_numIdES1_KPS1_EviiT3_lPKT2_lT1_lS9_lSA_lS6_lPT4_lSA_li: ; @_ZL32rocblas_gemvt_warp_reduce_kernelILb1ELi1024ElPK19rocblas_complex_numIdES1_KPS1_EviiT3_lPKT2_lT1_lS9_lSA_lS6_lPT4_lSA_li
; %bb.0:
	s_load_dwordx4 s[12:15], s[0:1], 0x8
	s_load_dwordx4 s[4:7], s[0:1], 0x20
	s_load_dwordx2 s[22:23], s[0:1], 0x30
	s_load_dwordx4 s[8:11], s[0:1], 0x60
	s_mov_b32 s26, s3
	s_waitcnt lgkmcnt(0)
	v_cmp_neq_f64_e64 s[18:19], s[12:13], 0
	v_cmp_neq_f64_e64 s[20:21], s[14:15], 0
	s_or_b64 s[20:21], s[18:19], s[20:21]
	s_mov_b64 s[16:17], 0
	s_mov_b64 s[18:19], -1
	s_and_b64 vcc, exec, s[20:21]
	s_cbranch_vccnz .LBB379_3
; %bb.1:
	v_cmp_eq_f64_e64 s[16:17], s[8:9], 1.0
	v_cmp_eq_f64_e64 s[18:19], s[10:11], 0
	s_and_b64 s[16:17], s[16:17], s[18:19]
	s_andn2_b64 vcc, exec, s[16:17]
	s_mov_b64 s[18:19], 0
	s_cbranch_vccz .LBB379_13
; %bb.2:
	s_mov_b32 s27, 0
	s_mov_b64 s[16:17], -1
	s_mov_b64 s[24:25], 0
	s_and_b64 vcc, exec, s[18:19]
	s_cbranch_vccnz .LBB379_4
	s_branch .LBB379_5
.LBB379_3:
                                        ; implicit-def: $sgpr24_sgpr25
	s_and_b64 vcc, exec, s[18:19]
	s_cbranch_vccz .LBB379_5
.LBB379_4:
	s_mov_b32 s27, 0
	s_lshl_b64 s[16:17], s[26:27], 3
	s_add_u32 s4, s4, s16
	s_addc_u32 s5, s5, s17
	s_load_dwordx2 s[4:5], s[4:5], 0x0
	s_lshl_b64 s[6:7], s[6:7], 4
	s_mov_b64 s[16:17], -1
	s_waitcnt lgkmcnt(0)
	s_add_u32 s24, s4, s6
	s_addc_u32 s25, s5, s7
.LBB379_5:
	s_andn2_b64 vcc, exec, s[16:17]
	s_cbranch_vccnz .LBB379_37
; %bb.6:
	s_load_dwordx4 s[4:7], s[0:1], 0x40
	s_load_dwordx2 s[18:19], s[0:1], 0x50
	s_xor_b64 s[28:29], s[20:21], -1
	s_mov_b64 s[16:17], 0
	s_andn2_b64 vcc, exec, s[20:21]
	s_mov_b64 s[20:21], 0
	s_cbranch_vccnz .LBB379_8
; %bb.7:
	s_lshl_b64 s[20:21], s[26:27], 3
	s_waitcnt lgkmcnt(0)
	s_add_u32 s4, s4, s20
	s_addc_u32 s5, s5, s21
	s_load_dwordx2 s[4:5], s[4:5], 0x0
	s_lshl_b64 s[6:7], s[6:7], 4
	s_waitcnt lgkmcnt(0)
	s_add_u32 s20, s4, s6
	s_addc_u32 s21, s5, s7
.LBB379_8:
	s_load_dwordx4 s[36:39], s[0:1], 0x78
	s_waitcnt lgkmcnt(0)
	s_load_dwordx2 s[6:7], s[0:1], 0x88
	s_lshl_b64 s[4:5], s[26:27], 3
	s_add_u32 s4, s36, s4
	s_addc_u32 s5, s37, s5
	s_load_dwordx2 s[4:5], s[4:5], 0x0
	s_lshl_b64 s[26:27], s[38:39], 4
	s_waitcnt lgkmcnt(0)
	s_add_u32 s3, s4, s26
	s_addc_u32 s33, s5, s27
	s_andn2_b64 vcc, exec, s[28:29]
	v_cmp_eq_u32_e64 s[4:5], 0, v0
	s_cbranch_vccnz .LBB379_14
; %bb.9:
	s_mov_b64 s[28:29], 0
                                        ; implicit-def: $vgpr4_vgpr5
                                        ; implicit-def: $sgpr26_sgpr27
	s_and_saveexec_b64 s[30:31], s[4:5]
	s_cbranch_execz .LBB379_15
; %bb.10:
	v_cmp_neq_f64_e64 s[4:5], s[8:9], 0
	v_cmp_neq_f64_e64 s[16:17], s[10:11], 0
	s_ashr_i32 s26, s2, 31
	s_mul_i32 s27, s2, s7
	s_mul_hi_u32 s34, s2, s6
	v_mov_b64_e32 v[4:5], 0
	s_add_i32 s27, s34, s27
	s_mul_i32 s26, s26, s6
	s_or_b64 s[4:5], s[4:5], s[16:17]
	s_add_i32 s27, s27, s26
	s_mul_i32 s26, s2, s6
	s_andn2_b64 vcc, exec, s[4:5]
	v_mov_b64_e32 v[2:3], v[4:5]
	s_cbranch_vccnz .LBB379_12
; %bb.11:
	s_lshl_b64 s[4:5], s[26:27], 4
	s_add_u32 s4, s3, s4
	s_addc_u32 s5, s33, s5
	s_load_dwordx4 s[36:39], s[4:5], 0x0
	s_waitcnt lgkmcnt(0)
	v_mov_b64_e32 v[2:3], s[38:39]
	v_mov_b64_e32 v[6:7], s[36:37]
	v_mul_f64 v[8:9], s[10:11], v[2:3]
	v_mul_f64 v[4:5], s[8:9], v[2:3]
	v_fma_f64 v[2:3], s[8:9], v[6:7], -v[8:9]
	v_fmac_f64_e32 v[4:5], s[10:11], v[6:7]
.LBB379_12:
	s_mov_b64 s[16:17], exec
	s_or_b64 exec, exec, s[30:31]
	s_and_b64 vcc, exec, s[28:29]
	s_cbranch_vccnz .LBB379_16
	s_branch .LBB379_35
.LBB379_13:
                                        ; implicit-def: $sgpr24_sgpr25
	s_mov_b64 s[16:17], 0
	s_and_b64 vcc, exec, s[18:19]
	s_cbranch_vccnz .LBB379_4
	s_branch .LBB379_5
.LBB379_14:
                                        ; implicit-def: $vgpr4_vgpr5
                                        ; implicit-def: $sgpr26_sgpr27
	s_cbranch_execnz .LBB379_16
	s_branch .LBB379_35
.LBB379_15:
	s_or_b64 exec, exec, s[30:31]
	s_and_b64 vcc, exec, s[28:29]
	s_cbranch_vccz .LBB379_35
.LBB379_16:
	s_load_dword s1, s[0:1], 0x0
	s_ashr_i32 s28, s2, 31
	s_mul_i32 s0, s2, s23
	s_mul_hi_u32 s4, s2, s22
	s_add_i32 s0, s4, s0
	s_mul_i32 s4, s28, s22
	s_add_i32 s5, s0, s4
	s_mul_i32 s4, s2, s22
	s_lshl_b64 s[4:5], s[4:5], 4
	s_add_u32 s4, s4, s24
	s_waitcnt lgkmcnt(0)
	v_cmp_gt_i32_e32 vcc, s1, v0
	s_addc_u32 s5, s5, s25
	s_ashr_i32 s0, s1, 31
	v_cndmask_b32_e32 v1, 0, v0, vcc
	s_lshr_b32 s0, s0, 22
	v_mov_b32_e32 v3, 0
	v_lshlrev_b32_e32 v2, 4, v1
	s_add_i32 s0, s1, s0
	v_lshl_add_u64 v[6:7], s[4:5], 0, v[2:3]
	s_and_b32 s0, s0, 0xfffffc00
	v_mov_b64_e32 v[2:3], 0
	v_cmp_gt_i32_e32 vcc, s0, v0
	v_mov_b64_e32 v[4:5], v[2:3]
	s_and_saveexec_b64 s[4:5], vcc
	s_cbranch_execz .LBB379_20
; %bb.17:
	v_mad_u64_u32 v[2:3], s[22:23], s18, v0, 0
	v_mov_b32_e32 v4, v3
	v_mad_u64_u32 v[4:5], s[22:23], s19, v0, v[4:5]
	v_mov_b32_e32 v3, v4
	v_lshl_add_u64 v[8:9], v[2:3], 4, s[20:21]
	v_mov_b64_e32 v[2:3], 0
	s_lshl_b64 s[24:25], s[18:19], 14
	s_mov_b64 s[22:23], 0
	s_mov_b64 s[26:27], 0x4000
	v_mov_b64_e32 v[10:11], v[6:7]
	v_mov_b32_e32 v1, v0
	v_mov_b64_e32 v[4:5], v[2:3]
.LBB379_18:                             ; =>This Inner Loop Header: Depth=1
	flat_load_dwordx4 v[12:15], v[10:11]
	flat_load_dwordx4 v[16:19], v[8:9]
	v_add_u32_e32 v1, 0x400, v1
	v_cmp_le_i32_e32 vcc, s0, v1
	v_lshl_add_u64 v[10:11], v[10:11], 0, s[26:27]
	v_lshl_add_u64 v[8:9], v[8:9], 0, s[24:25]
	s_or_b64 s[22:23], vcc, s[22:23]
	s_waitcnt vmcnt(0) lgkmcnt(0)
	v_mul_f64 v[20:21], v[14:15], v[18:19]
	v_mul_f64 v[14:15], v[14:15], v[16:17]
	v_fmac_f64_e32 v[20:21], v[12:13], v[16:17]
	v_fma_f64 v[12:13], v[12:13], v[18:19], -v[14:15]
	v_add_f64 v[4:5], v[4:5], v[20:21]
	v_add_f64 v[2:3], v[2:3], v[12:13]
	s_andn2_b64 exec, exec, s[22:23]
	s_cbranch_execnz .LBB379_18
; %bb.19:
	s_or_b64 exec, exec, s[22:23]
.LBB379_20:
	s_or_b64 exec, exec, s[4:5]
	v_or_b32_e32 v1, s0, v0
	v_cmp_gt_i32_e32 vcc, s1, v1
	s_and_saveexec_b64 s[4:5], vcc
	s_cbranch_execz .LBB379_22
; %bb.21:
	s_ashr_i32 s1, s0, 31
	v_ashrrev_i32_e32 v10, 31, v1
	v_lshl_add_u64 v[6:7], s[0:1], 4, v[6:7]
	v_mul_lo_u32 v12, v1, s19
	v_mul_lo_u32 v13, v10, s18
	v_mad_u64_u32 v[10:11], s[0:1], v1, s18, 0
	v_add3_u32 v11, v11, v12, v13
	v_lshl_add_u64 v[10:11], v[10:11], 4, s[20:21]
	flat_load_dwordx4 v[6:9], v[6:7]
	s_nop 0
	flat_load_dwordx4 v[10:13], v[10:11]
	s_waitcnt vmcnt(0) lgkmcnt(0)
	v_mul_f64 v[14:15], v[8:9], v[12:13]
	v_mul_f64 v[8:9], v[8:9], v[10:11]
	v_fmac_f64_e32 v[14:15], v[6:7], v[10:11]
	v_fma_f64 v[6:7], v[6:7], v[12:13], -v[8:9]
	v_add_f64 v[4:5], v[4:5], v[14:15]
	v_add_f64 v[2:3], v[2:3], v[6:7]
.LBB379_22:
	s_or_b64 exec, exec, s[4:5]
	v_and_b32_e32 v13, 63, v0
	v_cmp_gt_u32_e32 vcc, 64, v0
	v_lshlrev_b32_e32 v1, 4, v13
	s_and_saveexec_b64 s[0:1], vcc
	s_cbranch_execz .LBB379_24
; %bb.23:
	v_mov_b32_e32 v6, 0
	v_mov_b32_e32 v7, v6
	;; [unrolled: 1-line block ×4, first 2 shown]
	ds_write_b128 v1, v[6:9]
.LBB379_24:
	s_or_b64 exec, exec, s[0:1]
	v_mbcnt_lo_u32_b32 v6, -1, 0
	v_mbcnt_hi_u32_b32 v14, -1, v6
	v_and_b32_e32 v15, 63, v14
	v_cmp_gt_u32_e64 s[0:1], 32, v15
	s_waitcnt lgkmcnt(0)
	s_barrier
	v_cndmask_b32_e64 v6, 0, 1, s[0:1]
	v_lshlrev_b32_e32 v6, 5, v6
	v_add_lshl_u32 v9, v6, v14, 2
	ds_bpermute_b32 v6, v9, v4
	ds_bpermute_b32 v7, v9, v5
	;; [unrolled: 1-line block ×4, first 2 shown]
	v_cmp_gt_u32_e64 s[0:1], 48, v15
	s_waitcnt lgkmcnt(0)
	v_add_f64 v[4:5], v[4:5], v[6:7]
	v_cndmask_b32_e64 v6, 0, 1, s[0:1]
	v_lshlrev_b32_e32 v6, 4, v6
	v_add_f64 v[2:3], v[2:3], v[8:9]
	v_add_lshl_u32 v9, v6, v14, 2
	ds_bpermute_b32 v6, v9, v4
	ds_bpermute_b32 v7, v9, v5
	;; [unrolled: 1-line block ×4, first 2 shown]
	v_cmp_gt_u32_e64 s[0:1], 56, v15
	s_waitcnt lgkmcnt(2)
	v_add_f64 v[4:5], v[4:5], v[6:7]
	v_cndmask_b32_e64 v6, 0, 1, s[0:1]
	v_lshlrev_b32_e32 v6, 3, v6
	v_add_lshl_u32 v10, v6, v14, 2
	ds_bpermute_b32 v6, v10, v4
	ds_bpermute_b32 v7, v10, v5
	s_waitcnt lgkmcnt(2)
	v_add_f64 v[2:3], v[2:3], v[8:9]
	ds_bpermute_b32 v8, v10, v2
	ds_bpermute_b32 v9, v10, v3
	v_cmp_gt_u32_e64 s[0:1], 60, v15
	s_waitcnt lgkmcnt(2)
	v_add_f64 v[4:5], v[4:5], v[6:7]
	s_waitcnt lgkmcnt(0)
	v_add_f64 v[2:3], v[2:3], v[8:9]
	v_cndmask_b32_e64 v6, 0, 1, s[0:1]
	v_lshlrev_b32_e32 v6, 2, v6
	v_add_lshl_u32 v11, v6, v14, 2
	ds_bpermute_b32 v6, v11, v4
	ds_bpermute_b32 v7, v11, v5
	;; [unrolled: 1-line block ×4, first 2 shown]
	v_cmp_gt_u32_e64 s[0:1], 62, v15
	s_waitcnt lgkmcnt(2)
	v_add_f64 v[4:5], v[4:5], v[6:7]
	s_waitcnt lgkmcnt(0)
	v_add_f64 v[6:7], v[2:3], v[8:9]
	v_cndmask_b32_e64 v2, 0, 1, s[0:1]
	v_lshlrev_b32_e32 v2, 1, v2
	v_add_lshl_u32 v12, v2, v14, 2
	ds_bpermute_b32 v2, v12, v4
	ds_bpermute_b32 v3, v12, v5
	;; [unrolled: 1-line block ×4, first 2 shown]
	v_cmp_ne_u32_e64 s[0:1], 63, v15
	s_waitcnt lgkmcnt(2)
	v_add_f64 v[2:3], v[4:5], v[2:3]
	v_addc_co_u32_e64 v4, s[0:1], 0, v14, s[0:1]
	s_waitcnt lgkmcnt(0)
	v_add_f64 v[6:7], v[6:7], v[8:9]
	v_lshlrev_b32_e32 v14, 2, v4
	ds_bpermute_b32 v4, v14, v2
	ds_bpermute_b32 v5, v14, v3
	;; [unrolled: 1-line block ×4, first 2 shown]
	v_cmp_eq_u32_e64 s[0:1], 0, v13
	s_and_saveexec_b64 s[4:5], s[0:1]
	s_cbranch_execz .LBB379_26
; %bb.25:
	v_lshrrev_b32_e32 v13, 2, v0
	v_and_b32_e32 v13, 0xf0, v13
	s_waitcnt lgkmcnt(0)
	v_add_f64 v[6:7], v[6:7], v[8:9]
	v_add_f64 v[4:5], v[2:3], v[4:5]
	ds_write_b128 v13, v[4:7]
.LBB379_26:
	s_or_b64 exec, exec, s[4:5]
	s_waitcnt lgkmcnt(0)
	v_mov_b64_e32 v[8:9], 0
	v_cmp_gt_u32_e64 s[0:1], 16, v0
	v_mov_b64_e32 v[6:7], v[8:9]
	s_barrier
	s_and_saveexec_b64 s[4:5], s[0:1]
	s_cbranch_execz .LBB379_28
; %bb.27:
	ds_read_b128 v[6:9], v1
	s_or_b64 exec, exec, s[4:5]
	s_and_saveexec_b64 s[0:1], vcc
	s_cbranch_execz .LBB379_30
	s_branch .LBB379_29
.LBB379_28:
	s_or_b64 exec, exec, s[4:5]
	s_and_saveexec_b64 s[0:1], vcc
	s_cbranch_execz .LBB379_30
.LBB379_29:
	s_waitcnt lgkmcnt(0)
	ds_bpermute_b32 v2, v10, v6
	ds_bpermute_b32 v3, v10, v7
	;; [unrolled: 1-line block ×4, first 2 shown]
	s_waitcnt lgkmcnt(2)
	v_add_f64 v[2:3], v[6:7], v[2:3]
	ds_bpermute_b32 v6, v11, v2
	s_waitcnt lgkmcnt(1)
	v_add_f64 v[4:5], v[8:9], v[4:5]
	ds_bpermute_b32 v7, v11, v3
	ds_bpermute_b32 v8, v11, v4
	ds_bpermute_b32 v9, v11, v5
	s_waitcnt lgkmcnt(2)
	v_add_f64 v[2:3], v[2:3], v[6:7]
	ds_bpermute_b32 v6, v12, v2
	s_waitcnt lgkmcnt(1)
	v_add_f64 v[4:5], v[4:5], v[8:9]
	ds_bpermute_b32 v7, v12, v3
	ds_bpermute_b32 v8, v12, v4
	ds_bpermute_b32 v9, v12, v5
	;; [unrolled: 8-line block ×3, first 2 shown]
	s_waitcnt lgkmcnt(2)
	v_add_f64 v[6:7], v[2:3], v[6:7]
	s_waitcnt lgkmcnt(0)
	v_add_f64 v[8:9], v[4:5], v[8:9]
.LBB379_30:
	s_or_b64 exec, exec, s[0:1]
	v_cmp_eq_u32_e32 vcc, 0, v0
                                        ; implicit-def: $vgpr4_vgpr5
                                        ; implicit-def: $sgpr26_sgpr27
	s_and_saveexec_b64 s[0:1], vcc
	s_cbranch_execz .LBB379_34
; %bb.31:
	s_waitcnt lgkmcnt(0)
	v_mul_f64 v[0:1], s[14:15], v[8:9]
	v_cmp_neq_f64_e64 s[4:5], s[8:9], 0
	v_cmp_neq_f64_e64 s[18:19], s[10:11], 0
	v_fma_f64 v[2:3], s[12:13], v[6:7], -v[0:1]
	v_mul_f64 v[4:5], s[12:13], v[8:9]
	s_mul_i32 s7, s2, s7
	s_mul_hi_u32 s12, s2, s6
	s_add_i32 s7, s12, s7
	s_mul_i32 s12, s28, s6
	s_or_b64 s[4:5], s[4:5], s[18:19]
	v_fmac_f64_e32 v[4:5], s[14:15], v[6:7]
	s_add_i32 s27, s7, s12
	s_andn2_b64 vcc, exec, s[4:5]
	s_mul_i32 s26, s2, s6
	s_cbranch_vccnz .LBB379_33
; %bb.32:
	s_lshl_b64 s[4:5], s[26:27], 4
	s_add_u32 s4, s3, s4
	s_addc_u32 s5, s33, s5
	s_load_dwordx4 s[4:7], s[4:5], 0x0
	s_waitcnt lgkmcnt(0)
	v_mov_b64_e32 v[0:1], s[6:7]
	v_mov_b64_e32 v[6:7], s[4:5]
	v_mul_f64 v[8:9], s[10:11], v[0:1]
	v_mul_f64 v[0:1], s[8:9], v[0:1]
	v_fma_f64 v[8:9], s[8:9], v[6:7], -v[8:9]
	v_fmac_f64_e32 v[0:1], s[10:11], v[6:7]
	v_add_f64 v[2:3], v[2:3], v[8:9]
	v_add_f64 v[4:5], v[4:5], v[0:1]
.LBB379_33:
	s_or_b64 s[16:17], s[16:17], exec
.LBB379_34:
	s_or_b64 exec, exec, s[0:1]
.LBB379_35:
	s_and_saveexec_b64 s[0:1], s[16:17]
	s_cbranch_execz .LBB379_37
; %bb.36:
	s_lshl_b64 s[0:1], s[26:27], 4
	s_add_u32 s0, s3, s0
	s_addc_u32 s1, s33, s1
	v_mov_b32_e32 v0, 0
	global_store_dwordx4 v0, v[2:5], s[0:1]
.LBB379_37:
	s_endpgm
	.section	.rodata,"a",@progbits
	.p2align	6, 0x0
	.amdhsa_kernel _ZL32rocblas_gemvt_warp_reduce_kernelILb1ELi1024ElPK19rocblas_complex_numIdES1_KPS1_EviiT3_lPKT2_lT1_lS9_lSA_lS6_lPT4_lSA_li
		.amdhsa_group_segment_fixed_size 1024
		.amdhsa_private_segment_fixed_size 0
		.amdhsa_kernarg_size 156
		.amdhsa_user_sgpr_count 2
		.amdhsa_user_sgpr_dispatch_ptr 0
		.amdhsa_user_sgpr_queue_ptr 0
		.amdhsa_user_sgpr_kernarg_segment_ptr 1
		.amdhsa_user_sgpr_dispatch_id 0
		.amdhsa_user_sgpr_kernarg_preload_length 0
		.amdhsa_user_sgpr_kernarg_preload_offset 0
		.amdhsa_user_sgpr_private_segment_size 0
		.amdhsa_uses_dynamic_stack 0
		.amdhsa_enable_private_segment 0
		.amdhsa_system_sgpr_workgroup_id_x 1
		.amdhsa_system_sgpr_workgroup_id_y 0
		.amdhsa_system_sgpr_workgroup_id_z 1
		.amdhsa_system_sgpr_workgroup_info 0
		.amdhsa_system_vgpr_workitem_id 0
		.amdhsa_next_free_vgpr 22
		.amdhsa_next_free_sgpr 40
		.amdhsa_accum_offset 24
		.amdhsa_reserve_vcc 1
		.amdhsa_float_round_mode_32 0
		.amdhsa_float_round_mode_16_64 0
		.amdhsa_float_denorm_mode_32 3
		.amdhsa_float_denorm_mode_16_64 3
		.amdhsa_dx10_clamp 1
		.amdhsa_ieee_mode 1
		.amdhsa_fp16_overflow 0
		.amdhsa_tg_split 0
		.amdhsa_exception_fp_ieee_invalid_op 0
		.amdhsa_exception_fp_denorm_src 0
		.amdhsa_exception_fp_ieee_div_zero 0
		.amdhsa_exception_fp_ieee_overflow 0
		.amdhsa_exception_fp_ieee_underflow 0
		.amdhsa_exception_fp_ieee_inexact 0
		.amdhsa_exception_int_div_zero 0
	.end_amdhsa_kernel
	.section	.text._ZL32rocblas_gemvt_warp_reduce_kernelILb1ELi1024ElPK19rocblas_complex_numIdES1_KPS1_EviiT3_lPKT2_lT1_lS9_lSA_lS6_lPT4_lSA_li,"axG",@progbits,_ZL32rocblas_gemvt_warp_reduce_kernelILb1ELi1024ElPK19rocblas_complex_numIdES1_KPS1_EviiT3_lPKT2_lT1_lS9_lSA_lS6_lPT4_lSA_li,comdat
.Lfunc_end379:
	.size	_ZL32rocblas_gemvt_warp_reduce_kernelILb1ELi1024ElPK19rocblas_complex_numIdES1_KPS1_EviiT3_lPKT2_lT1_lS9_lSA_lS6_lPT4_lSA_li, .Lfunc_end379-_ZL32rocblas_gemvt_warp_reduce_kernelILb1ELi1024ElPK19rocblas_complex_numIdES1_KPS1_EviiT3_lPKT2_lT1_lS9_lSA_lS6_lPT4_lSA_li
                                        ; -- End function
	.section	.AMDGPU.csdata,"",@progbits
; Kernel info:
; codeLenInByte = 2088
; NumSgprs: 46
; NumVgprs: 22
; NumAgprs: 0
; TotalNumVgprs: 22
; ScratchSize: 0
; MemoryBound: 0
; FloatMode: 240
; IeeeMode: 1
; LDSByteSize: 1024 bytes/workgroup (compile time only)
; SGPRBlocks: 5
; VGPRBlocks: 2
; NumSGPRsForWavesPerEU: 46
; NumVGPRsForWavesPerEU: 22
; AccumOffset: 24
; Occupancy: 8
; WaveLimiterHint : 1
; COMPUTE_PGM_RSRC2:SCRATCH_EN: 0
; COMPUTE_PGM_RSRC2:USER_SGPR: 2
; COMPUTE_PGM_RSRC2:TRAP_HANDLER: 0
; COMPUTE_PGM_RSRC2:TGID_X_EN: 1
; COMPUTE_PGM_RSRC2:TGID_Y_EN: 0
; COMPUTE_PGM_RSRC2:TGID_Z_EN: 1
; COMPUTE_PGM_RSRC2:TIDIG_COMP_CNT: 0
; COMPUTE_PGM_RSRC3_GFX90A:ACCUM_OFFSET: 5
; COMPUTE_PGM_RSRC3_GFX90A:TG_SPLIT: 0
	.section	.text._ZL34rocblas_gemvn_sm_mn_batched_kernelILi32ELi24EDF16_PKfDF16_EviiT2_lPKT1_lilS5_lilS2_lPT3_lili,"axG",@progbits,_ZL34rocblas_gemvn_sm_mn_batched_kernelILi32ELi24EDF16_PKfDF16_EviiT2_lPKT1_lilS5_lilS2_lPT3_lili,comdat
	.globl	_ZL34rocblas_gemvn_sm_mn_batched_kernelILi32ELi24EDF16_PKfDF16_EviiT2_lPKT1_lilS5_lilS2_lPT3_lili ; -- Begin function _ZL34rocblas_gemvn_sm_mn_batched_kernelILi32ELi24EDF16_PKfDF16_EviiT2_lPKT1_lilS5_lilS2_lPT3_lili
	.p2align	8
	.type	_ZL34rocblas_gemvn_sm_mn_batched_kernelILi32ELi24EDF16_PKfDF16_EviiT2_lPKT1_lilS5_lilS2_lPT3_lili,@function
_ZL34rocblas_gemvn_sm_mn_batched_kernelILi32ELi24EDF16_PKfDF16_EviiT2_lPKT1_lilS5_lilS2_lPT3_lili: ; @_ZL34rocblas_gemvn_sm_mn_batched_kernelILi32ELi24EDF16_PKfDF16_EviiT2_lPKT1_lilS5_lilS2_lPT3_lili
; %bb.0:
	s_load_dword s3, s[0:1], 0x9c
	s_load_dword s4, s[0:1], 0x88
	v_bfe_u32 v7, v0, 10, 10
	s_waitcnt lgkmcnt(0)
	s_lshr_b32 s3, s3, 16
	s_mul_i32 s2, s2, s3
	v_add_u32_e32 v4, s2, v7
	v_cmp_gt_i32_e32 vcc, s4, v4
	s_and_saveexec_b64 s[2:3], vcc
	s_cbranch_execz .LBB380_117
; %bb.1:
	s_load_dwordx8 s[4:11], s[0:1], 0x8
	s_load_dwordx8 s[12:19], s[0:1], 0x50
	s_waitcnt lgkmcnt(0)
	v_mad_u64_u32 v[10:11], s[2:3], v4, s6, 0
	v_mov_b32_e32 v6, v11
	v_mad_u64_u32 v[12:13], s[2:3], v4, s7, v[6:7]
	v_mov_b32_e32 v2, s4
	v_mov_b32_e32 v3, s5
	;; [unrolled: 1-line block ×3, first 2 shown]
	v_lshl_add_u64 v[2:3], v[10:11], 2, v[2:3]
	global_load_dword v1, v[2:3], off
	v_mad_u64_u32 v[2:3], s[2:3], v4, s16, 0
	v_mov_b32_e32 v6, v3
	v_mad_u64_u32 v[10:11], s[2:3], v4, s17, v[6:7]
	v_mov_b32_e32 v8, s14
	v_mov_b32_e32 v9, s15
	;; [unrolled: 1-line block ×3, first 2 shown]
	v_lshl_add_u64 v[2:3], v[2:3], 2, v[8:9]
	global_load_dword v5, v[2:3], off
	s_waitcnt vmcnt(1)
	v_cmp_neq_f32_e32 vcc, 0, v1
	s_waitcnt vmcnt(0)
	v_cmp_neq_f32_e64 s[2:3], 1.0, v5
	s_or_b64 s[2:3], vcc, s[2:3]
	s_and_b64 exec, exec, s[2:3]
	s_cbranch_execz .LBB380_117
; %bb.2:
	s_load_dwordx2 s[2:3], s[0:1], 0x80
	s_load_dword s33, s[0:1], 0x78
	s_load_dwordx2 s[4:5], s[0:1], 0x70
	s_load_dwordx2 s[14:15], s[0:1], 0x0
	v_cmp_eq_f32_e32 vcc, 0, v1
	s_waitcnt lgkmcnt(0)
	v_mad_u64_u32 v[2:3], s[6:7], v4, s2, 0
	v_mov_b32_e32 v6, v3
	v_mad_u64_u32 v[8:9], s[2:3], v4, s3, v[6:7]
	s_lshl_b64 s[2:3], s[4:5], 1
	s_add_u32 s2, s2, s18
	v_mov_b32_e32 v3, v8
	s_addc_u32 s3, s3, s19
	v_lshl_add_u64 v[2:3], v[2:3], 1, s[2:3]
	v_and_b32_e32 v6, 0x3ff, v0
	s_and_saveexec_b64 s[2:3], vcc
	s_xor_b64 s[4:5], exec, s[2:3]
	s_cbranch_execz .LBB380_12
; %bb.3:
	v_cmp_eq_f32_e64 s[2:3], 0, v5
	v_cmp_gt_i32_e32 vcc, s14, v6
	s_and_saveexec_b64 s[6:7], s[2:3]
	s_xor_b64 s[2:3], exec, s[6:7]
	s_cbranch_execz .LBB380_7
; %bb.4:
	s_and_saveexec_b64 s[6:7], vcc
	s_cbranch_execz .LBB380_6
; %bb.5:
	v_mad_i64_i32 v[0:1], s[16:17], s33, v6, 0
	v_lshl_add_u64 v[0:1], v[0:1], 1, v[2:3]
	v_mov_b32_e32 v2, 0
	global_store_short v[0:1], v2, off
.LBB380_6:
	s_or_b64 exec, exec, s[6:7]
                                        ; implicit-def: $vgpr6
                                        ; implicit-def: $vgpr2_vgpr3
                                        ; implicit-def: $vgpr5
.LBB380_7:
	s_andn2_saveexec_b64 s[2:3], s[2:3]
	s_cbranch_execz .LBB380_11
; %bb.8:
	s_and_saveexec_b64 s[6:7], vcc
	s_cbranch_execz .LBB380_10
; %bb.9:
	v_mad_i64_i32 v[0:1], s[16:17], s33, v6, 0
	v_lshl_add_u64 v[0:1], v[0:1], 1, v[2:3]
	global_load_ushort v2, v[0:1], off
	s_waitcnt vmcnt(0)
	v_fma_mixlo_f16 v2, v5, v2, 0 op_sel_hi:[0,1,0]
	global_store_short v[0:1], v2, off
.LBB380_10:
	s_or_b64 exec, exec, s[6:7]
.LBB380_11:
	s_or_b64 exec, exec, s[2:3]
                                        ; implicit-def: $vgpr6
                                        ; implicit-def: $vgpr2_vgpr3
                                        ; implicit-def: $vgpr7
                                        ; implicit-def: $vgpr4
                                        ; implicit-def: $vgpr1
                                        ; implicit-def: $vgpr5
.LBB380_12:
	s_andn2_saveexec_b64 s[2:3], s[4:5]
	s_cbranch_execz .LBB380_117
; %bb.13:
	s_load_dwordx4 s[4:7], s[0:1], 0x30
	s_load_dwordx2 s[16:17], s[0:1], 0x40
	v_lshlrev_b32_e32 v7, 7, v7
	v_cmp_gt_i32_e32 vcc, s15, v6
	s_and_saveexec_b64 s[2:3], vcc
	s_cbranch_execz .LBB380_15
; %bb.14:
	v_mad_u64_u32 v[8:9], s[18:19], v4, s12, 0
	v_mov_b32_e32 v0, v9
	v_mad_u64_u32 v[10:11], s[12:13], v4, s13, v[0:1]
	s_waitcnt lgkmcnt(0)
	s_lshl_b64 s[12:13], s[16:17], 1
	s_load_dword s16, s[0:1], 0x48
	s_add_u32 s6, s12, s6
	v_mov_b32_e32 v9, v10
	s_addc_u32 s7, s13, s7
	v_lshl_add_u64 v[8:9], v[8:9], 1, s[6:7]
	s_waitcnt lgkmcnt(0)
	v_mad_i64_i32 v[10:11], s[6:7], s16, v6, 0
	v_lshl_add_u64 v[8:9], v[10:11], 1, v[8:9]
	global_load_ushort v0, v[8:9], off
	s_waitcnt vmcnt(0)
	v_cvt_f32_f16_e32 v0, v0
	v_mul_f32_e32 v0, v1, v0
	v_lshl_add_u32 v1, v6, 2, v7
	ds_write_b32 v1, v0
.LBB380_15:
	s_or_b64 exec, exec, s[2:3]
	v_cmp_gt_i32_e32 vcc, s14, v6
	s_waitcnt lgkmcnt(0)
	s_barrier
	s_and_saveexec_b64 s[2:3], vcc
	s_cbranch_execz .LBB380_117
; %bb.16:
	v_cmp_neq_f32_e32 vcc, 0, v5
	v_mov_b32_e32 v1, 0
	v_mov_b32_e32 v8, 0
	s_and_saveexec_b64 s[2:3], vcc
	s_cbranch_execz .LBB380_18
; %bb.17:
	v_mad_i64_i32 v[8:9], s[6:7], s33, v6, 0
	v_lshl_add_u64 v[8:9], v[8:9], 1, v[2:3]
	global_load_ushort v0, v[8:9], off
	s_waitcnt vmcnt(0)
	v_cvt_f32_f16_e32 v0, v0
	v_mul_f32_e32 v8, v5, v0
.LBB380_18:
	s_or_b64 exec, exec, s[2:3]
	v_mad_u64_u32 v[10:11], s[2:3], v4, s4, 0
	v_mov_b32_e32 v0, v11
	v_mad_u64_u32 v[4:5], s[2:3], v4, s5, v[0:1]
	s_lshl_b64 s[2:3], s[10:11], 1
	s_add_u32 s2, s2, s8
	v_mov_b32_e32 v11, v4
	s_addc_u32 s3, s3, s9
	v_lshl_add_u64 v[4:5], v[10:11], 1, s[2:3]
	v_lshlrev_b32_e32 v0, 1, v6
	s_cmp_gt_i32 s15, 0
	s_cselect_b64 s[2:3], -1, 0
	s_cmp_lt_i32 s15, 1
	v_lshl_add_u64 v[4:5], v[4:5], 0, v[0:1]
	s_cbranch_scc1 .LBB380_20
; %bb.19:
	global_load_ushort v0, v[4:5], off
	s_waitcnt vmcnt(0)
	v_cvt_f32_f16_e32 v1, v0
.LBB380_20:
	s_load_dword s36, s[0:1], 0x28
	v_mov_b32_e32 v0, 0
	v_mov_b32_e32 v15, 0
	s_waitcnt lgkmcnt(0)
	s_ashr_i32 s37, s36, 31
	s_cmp_gt_i32 s15, 1
	s_cselect_b64 s[0:1], -1, 0
	s_cmp_lt_i32 s15, 2
	s_cbranch_scc1 .LBB380_22
; %bb.21:
	v_lshl_add_u64 v[10:11], s[36:37], 1, v[4:5]
	global_load_ushort v9, v[10:11], off
	s_waitcnt vmcnt(0)
	v_cvt_f32_f16_e32 v15, v9
.LBB380_22:
	s_cmp_gt_i32 s15, 2
	s_cselect_b64 s[4:5], -1, 0
	s_cmp_lt_i32 s15, 3
	s_cbranch_scc1 .LBB380_24
; %bb.23:
	v_lshl_add_u64 v[10:11], s[36:37], 2, v[4:5]
	global_load_ushort v0, v[10:11], off
	s_waitcnt vmcnt(0)
	v_cvt_f32_f16_e32 v0, v0
.LBB380_24:
	s_cmp_gt_i32 s15, 3
	s_cselect_b64 s[6:7], -1, 0
	s_cmp_lt_i32 s15, 4
	v_mov_b32_e32 v9, 0
	v_mov_b32_e32 v16, 0
	s_cbranch_scc1 .LBB380_26
; %bb.25:
	v_mad_i64_i32 v[10:11], s[8:9], s36, 6, v[4:5]
	global_load_ushort v10, v[10:11], off
	s_waitcnt vmcnt(0)
	v_cvt_f32_f16_e32 v16, v10
.LBB380_26:
	s_cmp_gt_i32 s15, 4
	s_cselect_b64 s[8:9], -1, 0
	s_cmp_lt_i32 s15, 5
	s_cbranch_scc1 .LBB380_28
; %bb.27:
	v_lshl_add_u64 v[10:11], s[36:37], 3, v[4:5]
	global_load_ushort v9, v[10:11], off
	s_waitcnt vmcnt(0)
	v_cvt_f32_f16_e32 v9, v9
.LBB380_28:
	s_cmp_gt_i32 s15, 5
	s_cselect_b64 s[10:11], -1, 0
	s_cmp_lt_i32 s15, 6
	v_mov_b32_e32 v10, 0
	v_mov_b32_e32 v18, 0
	s_cbranch_scc1 .LBB380_30
; %bb.29:
	v_mad_i64_i32 v[12:13], s[12:13], s36, 10, v[4:5]
	global_load_ushort v11, v[12:13], off
	s_waitcnt vmcnt(0)
	v_cvt_f32_f16_e32 v18, v11
.LBB380_30:
	s_cmp_gt_i32 s15, 6
	s_cselect_b64 s[12:13], -1, 0
	s_cmp_lt_i32 s15, 7
	s_cbranch_scc1 .LBB380_32
; %bb.31:
	v_mad_i64_i32 v[10:11], s[16:17], s36, 12, v[4:5]
	global_load_ushort v10, v[10:11], off
	s_waitcnt vmcnt(0)
	v_cvt_f32_f16_e32 v10, v10
.LBB380_32:
	s_cmp_gt_i32 s15, 7
	s_cselect_b64 s[16:17], -1, 0
	s_cmp_lt_i32 s15, 8
	v_mov_b32_e32 v11, 0
	v_mov_b32_e32 v20, 0
	s_cbranch_scc1 .LBB380_34
; %bb.33:
	v_mad_i64_i32 v[12:13], s[18:19], s36, 14, v[4:5]
	global_load_ushort v12, v[12:13], off
	s_waitcnt vmcnt(0)
	v_cvt_f32_f16_e32 v20, v12
.LBB380_34:
	s_cmp_gt_i32 s15, 8
	s_cselect_b64 s[18:19], -1, 0
	s_cmp_lt_i32 s15, 9
	s_cbranch_scc1 .LBB380_36
; %bb.35:
	v_lshl_add_u64 v[12:13], s[36:37], 4, v[4:5]
	global_load_ushort v11, v[12:13], off
	s_waitcnt vmcnt(0)
	v_cvt_f32_f16_e32 v11, v11
.LBB380_36:
	s_cmp_gt_i32 s15, 9
	s_cselect_b64 s[20:21], -1, 0
	s_cmp_lt_i32 s15, 10
	v_mov_b32_e32 v12, 0
	v_mov_b32_e32 v22, 0
	s_cbranch_scc1 .LBB380_38
; %bb.37:
	v_mad_i64_i32 v[22:23], s[22:23], s36, 18, v[4:5]
	global_load_ushort v13, v[22:23], off
	s_waitcnt vmcnt(0)
	v_cvt_f32_f16_e32 v22, v13
.LBB380_38:
	s_cmp_gt_i32 s15, 10
	s_cselect_b64 s[22:23], -1, 0
	s_cmp_lt_i32 s15, 11
	s_cbranch_scc1 .LBB380_40
; %bb.39:
	v_mad_i64_i32 v[12:13], s[24:25], s36, 20, v[4:5]
	global_load_ushort v12, v[12:13], off
	s_waitcnt vmcnt(0)
	v_cvt_f32_f16_e32 v12, v12
.LBB380_40:
	s_cmp_gt_i32 s15, 11
	s_cselect_b64 s[24:25], -1, 0
	s_cmp_lt_i32 s15, 12
	v_mov_b32_e32 v13, 0
	v_mov_b32_e32 v24, 0
	s_cbranch_scc1 .LBB380_42
; %bb.41:
	v_mad_i64_i32 v[24:25], s[26:27], s36, 22, v[4:5]
	global_load_ushort v14, v[24:25], off
	s_waitcnt vmcnt(0)
	v_cvt_f32_f16_e32 v24, v14
.LBB380_42:
	s_cmp_gt_i32 s15, 12
	s_cselect_b64 s[26:27], -1, 0
	s_cmp_lt_i32 s15, 13
	s_cbranch_scc1 .LBB380_44
; %bb.43:
	v_mad_i64_i32 v[26:27], s[28:29], s36, 24, v[4:5]
	global_load_ushort v13, v[26:27], off
	s_waitcnt vmcnt(0)
	v_cvt_f32_f16_e32 v13, v13
.LBB380_44:
	;; [unrolled: 22-line block ×3, first 2 shown]
	s_cmp_gt_i32 s15, 15
	s_cselect_b64 s[34:35], -1, 0
	s_cmp_lt_i32 s15, 16
	v_mov_b32_e32 v17, 0
	v_mov_b32_e32 v28, 0
	s_cbranch_scc1 .LBB380_50
; %bb.49:
	v_mad_i64_i32 v[28:29], s[38:39], s36, 30, v[4:5]
	global_load_ushort v19, v[28:29], off
	s_waitcnt vmcnt(0)
	v_cvt_f32_f16_e32 v28, v19
.LBB380_50:
	s_cmp_gt_i32 s15, 16
	s_cselect_b64 s[38:39], -1, 0
	s_cmp_lt_i32 s15, 17
	s_cbranch_scc1 .LBB380_52
; %bb.51:
	s_lshl_b64 s[40:41], s[36:37], 5
	v_lshl_add_u64 v[30:31], v[4:5], 0, s[40:41]
	global_load_ushort v17, v[30:31], off
	s_waitcnt vmcnt(0)
	v_cvt_f32_f16_e32 v17, v17
.LBB380_52:
	s_cmp_gt_i32 s15, 17
	s_cselect_b64 s[40:41], -1, 0
	s_cmp_lt_i32 s15, 18
	v_mov_b32_e32 v19, 0
	v_mov_b32_e32 v31, 0
	s_cbranch_scc1 .LBB380_54
; %bb.53:
	v_mad_i64_i32 v[30:31], s[42:43], s36, 34, v[4:5]
	global_load_ushort v21, v[30:31], off
	s_waitcnt vmcnt(0)
	v_cvt_f32_f16_e32 v31, v21
.LBB380_54:
	s_cmp_gt_i32 s15, 18
	s_cselect_b64 s[42:43], -1, 0
	s_cmp_lt_i32 s15, 19
	s_cbranch_scc1 .LBB380_56
; %bb.55:
	v_mad_i64_i32 v[32:33], s[44:45], s36, 36, v[4:5]
	global_load_ushort v19, v[32:33], off
	s_waitcnt vmcnt(0)
	v_cvt_f32_f16_e32 v19, v19
.LBB380_56:
	s_cmp_gt_i32 s15, 19
	s_cselect_b64 s[44:45], -1, 0
	s_cmp_lt_i32 s15, 20
	v_mov_b32_e32 v21, 0
	v_mov_b32_e32 v32, 0
	s_cbranch_scc1 .LBB380_58
; %bb.57:
	v_mad_i64_i32 v[32:33], s[46:47], s36, 38, v[4:5]
	global_load_ushort v23, v[32:33], off
	s_waitcnt vmcnt(0)
	v_cvt_f32_f16_e32 v32, v23
.LBB380_58:
	s_cmp_gt_i32 s15, 20
	s_cselect_b64 s[46:47], -1, 0
	s_cmp_lt_i32 s15, 21
	s_cbranch_scc1 .LBB380_60
; %bb.59:
	v_mad_i64_i32 v[34:35], s[48:49], s36, 40, v[4:5]
	global_load_ushort v21, v[34:35], off
	s_waitcnt vmcnt(0)
	v_cvt_f32_f16_e32 v21, v21
.LBB380_60:
	;; [unrolled: 22-line block ×7, first 2 shown]
	s_cmp_gt_i32 s15, 31
	s_cselect_b64 s[68:69], -1, 0
	s_cmp_lt_i32 s15, 32
	v_mov_b32_e32 v36, 0
	v_mov_b32_e32 v39, 0
	s_cbranch_scc1 .LBB380_82
; %bb.81:
	v_mad_i64_i32 v[4:5], s[14:15], s36, 62, v[4:5]
	global_load_ushort v4, v[4:5], off
	s_waitcnt vmcnt(0)
	v_cvt_f32_f16_e32 v39, v4
.LBB380_82:
	s_andn2_b64 vcc, exec, s[2:3]
	s_cbranch_vccnz .LBB380_84
; %bb.83:
	ds_read_b32 v4, v7
	s_waitcnt lgkmcnt(0)
	v_mul_f32_e32 v36, v1, v4
.LBB380_84:
	s_andn2_b64 vcc, exec, s[0:1]
	v_mov_b32_e32 v1, 0
	v_mov_b32_e32 v4, 0
	s_cbranch_vccz .LBB380_118
; %bb.85:
	s_andn2_b64 vcc, exec, s[4:5]
	s_cbranch_vccz .LBB380_119
.LBB380_86:
	s_andn2_b64 vcc, exec, s[6:7]
	v_mov_b32_e32 v0, 0
	v_mov_b32_e32 v5, 0
	s_cbranch_vccz .LBB380_120
.LBB380_87:
	s_andn2_b64 vcc, exec, s[8:9]
	s_cbranch_vccz .LBB380_121
.LBB380_88:
	s_andn2_b64 vcc, exec, s[10:11]
	v_mov_b32_e32 v9, 0
	v_mov_b32_e32 v15, 0
	s_cbranch_vccz .LBB380_122
.LBB380_89:
	s_andn2_b64 vcc, exec, s[12:13]
	s_cbranch_vccz .LBB380_123
.LBB380_90:
	s_andn2_b64 vcc, exec, s[16:17]
	v_mov_b32_e32 v10, 0
	v_mov_b32_e32 v16, 0
	s_cbranch_vccz .LBB380_124
.LBB380_91:
	s_andn2_b64 vcc, exec, s[18:19]
	s_cbranch_vccz .LBB380_125
.LBB380_92:
	s_andn2_b64 vcc, exec, s[20:21]
	v_mov_b32_e32 v11, 0
	v_mov_b32_e32 v18, 0
	s_cbranch_vccz .LBB380_126
.LBB380_93:
	s_andn2_b64 vcc, exec, s[22:23]
	s_cbranch_vccz .LBB380_127
.LBB380_94:
	s_andn2_b64 vcc, exec, s[24:25]
	v_mov_b32_e32 v12, 0
	v_mov_b32_e32 v20, 0
	s_cbranch_vccz .LBB380_128
.LBB380_95:
	s_andn2_b64 vcc, exec, s[26:27]
	s_cbranch_vccz .LBB380_129
.LBB380_96:
	s_andn2_b64 vcc, exec, s[28:29]
	v_mov_b32_e32 v13, 0
	v_mov_b32_e32 v22, 0
	s_cbranch_vccz .LBB380_130
.LBB380_97:
	s_andn2_b64 vcc, exec, s[30:31]
	s_cbranch_vccz .LBB380_131
.LBB380_98:
	s_andn2_b64 vcc, exec, s[34:35]
	v_mov_b32_e32 v14, 0
	v_mov_b32_e32 v24, 0
	s_cbranch_vccz .LBB380_132
.LBB380_99:
	s_andn2_b64 vcc, exec, s[38:39]
	s_cbranch_vccz .LBB380_133
.LBB380_100:
	s_andn2_b64 vcc, exec, s[40:41]
	v_mov_b32_e32 v17, 0
	v_mov_b32_e32 v26, 0
	s_cbranch_vccz .LBB380_134
.LBB380_101:
	s_andn2_b64 vcc, exec, s[42:43]
	s_cbranch_vccz .LBB380_135
.LBB380_102:
	s_andn2_b64 vcc, exec, s[44:45]
	v_mov_b32_e32 v19, 0
	v_mov_b32_e32 v28, 0
	s_cbranch_vccz .LBB380_136
.LBB380_103:
	s_andn2_b64 vcc, exec, s[46:47]
	s_cbranch_vccz .LBB380_137
.LBB380_104:
	s_andn2_b64 vcc, exec, s[48:49]
	v_mov_b32_e32 v21, 0
	v_mov_b32_e32 v31, 0
	s_cbranch_vccz .LBB380_138
.LBB380_105:
	s_andn2_b64 vcc, exec, s[50:51]
	s_cbranch_vccz .LBB380_139
.LBB380_106:
	s_andn2_b64 vcc, exec, s[52:53]
	v_mov_b32_e32 v23, 0
	v_mov_b32_e32 v32, 0
	s_cbranch_vccz .LBB380_140
.LBB380_107:
	s_andn2_b64 vcc, exec, s[54:55]
	s_cbranch_vccz .LBB380_141
.LBB380_108:
	s_andn2_b64 vcc, exec, s[56:57]
	v_mov_b32_e32 v25, 0
	v_mov_b32_e32 v33, 0
	s_cbranch_vccz .LBB380_142
.LBB380_109:
	s_andn2_b64 vcc, exec, s[58:59]
	s_cbranch_vccz .LBB380_143
.LBB380_110:
	s_andn2_b64 vcc, exec, s[60:61]
	v_mov_b32_e32 v27, 0
	v_mov_b32_e32 v34, 0
	s_cbranch_vccz .LBB380_144
.LBB380_111:
	s_andn2_b64 vcc, exec, s[62:63]
	s_cbranch_vccz .LBB380_145
.LBB380_112:
	s_andn2_b64 vcc, exec, s[64:65]
	v_mov_b32_e32 v29, 0
	v_mov_b32_e32 v35, 0
	s_cbranch_vccz .LBB380_146
.LBB380_113:
	s_andn2_b64 vcc, exec, s[66:67]
	s_cbranch_vccz .LBB380_147
.LBB380_114:
	s_andn2_b64 vcc, exec, s[68:69]
	v_mov_b32_e32 v30, 0
	s_cbranch_vccnz .LBB380_116
.LBB380_115:
	ds_read_b32 v7, v7 offset:124
	s_waitcnt lgkmcnt(0)
	v_mul_f32_e32 v30, v39, v7
.LBB380_116:
	v_add_f32_e32 v7, v8, v36
	v_add_f32_e32 v4, v7, v4
	;; [unrolled: 1-line block ×32, first 2 shown]
	v_cvt_f16_f32_e32 v4, v0
	v_mad_i64_i32 v[0:1], s[0:1], s33, v6, 0
	v_lshl_add_u64 v[0:1], v[0:1], 1, v[2:3]
	global_store_short v[0:1], v4, off
.LBB380_117:
	s_endpgm
.LBB380_118:
	ds_read_b32 v4, v7 offset:4
	s_waitcnt lgkmcnt(0)
	v_mul_f32_e32 v4, v15, v4
	s_andn2_b64 vcc, exec, s[4:5]
	s_cbranch_vccnz .LBB380_86
.LBB380_119:
	ds_read_b32 v1, v7 offset:8
	s_waitcnt lgkmcnt(0)
	v_mul_f32_e32 v1, v0, v1
	s_andn2_b64 vcc, exec, s[6:7]
	v_mov_b32_e32 v0, 0
	v_mov_b32_e32 v5, 0
	s_cbranch_vccnz .LBB380_87
.LBB380_120:
	ds_read_b32 v5, v7 offset:12
	s_waitcnt lgkmcnt(0)
	v_mul_f32_e32 v5, v16, v5
	s_andn2_b64 vcc, exec, s[8:9]
	s_cbranch_vccnz .LBB380_88
.LBB380_121:
	ds_read_b32 v0, v7 offset:16
	s_waitcnt lgkmcnt(0)
	v_mul_f32_e32 v0, v9, v0
	s_andn2_b64 vcc, exec, s[10:11]
	v_mov_b32_e32 v9, 0
	v_mov_b32_e32 v15, 0
	s_cbranch_vccnz .LBB380_89
.LBB380_122:
	ds_read_b32 v15, v7 offset:20
	s_waitcnt lgkmcnt(0)
	v_mul_f32_e32 v15, v18, v15
	s_andn2_b64 vcc, exec, s[12:13]
	s_cbranch_vccnz .LBB380_90
.LBB380_123:
	ds_read_b32 v9, v7 offset:24
	s_waitcnt lgkmcnt(0)
	v_mul_f32_e32 v9, v10, v9
	s_andn2_b64 vcc, exec, s[16:17]
	v_mov_b32_e32 v10, 0
	v_mov_b32_e32 v16, 0
	s_cbranch_vccnz .LBB380_91
.LBB380_124:
	ds_read_b32 v16, v7 offset:28
	s_waitcnt lgkmcnt(0)
	v_mul_f32_e32 v16, v20, v16
	s_andn2_b64 vcc, exec, s[18:19]
	s_cbranch_vccnz .LBB380_92
.LBB380_125:
	ds_read_b32 v10, v7 offset:32
	s_waitcnt lgkmcnt(0)
	v_mul_f32_e32 v10, v11, v10
	s_andn2_b64 vcc, exec, s[20:21]
	v_mov_b32_e32 v11, 0
	v_mov_b32_e32 v18, 0
	s_cbranch_vccnz .LBB380_93
.LBB380_126:
	ds_read_b32 v18, v7 offset:36
	s_waitcnt lgkmcnt(0)
	v_mul_f32_e32 v18, v22, v18
	s_andn2_b64 vcc, exec, s[22:23]
	s_cbranch_vccnz .LBB380_94
.LBB380_127:
	ds_read_b32 v11, v7 offset:40
	s_waitcnt lgkmcnt(0)
	v_mul_f32_e32 v11, v12, v11
	s_andn2_b64 vcc, exec, s[24:25]
	v_mov_b32_e32 v12, 0
	v_mov_b32_e32 v20, 0
	s_cbranch_vccnz .LBB380_95
.LBB380_128:
	ds_read_b32 v20, v7 offset:44
	s_waitcnt lgkmcnt(0)
	v_mul_f32_e32 v20, v24, v20
	s_andn2_b64 vcc, exec, s[26:27]
	s_cbranch_vccnz .LBB380_96
.LBB380_129:
	ds_read_b32 v12, v7 offset:48
	s_waitcnt lgkmcnt(0)
	v_mul_f32_e32 v12, v13, v12
	s_andn2_b64 vcc, exec, s[28:29]
	v_mov_b32_e32 v13, 0
	v_mov_b32_e32 v22, 0
	s_cbranch_vccnz .LBB380_97
.LBB380_130:
	ds_read_b32 v22, v7 offset:52
	s_waitcnt lgkmcnt(0)
	v_mul_f32_e32 v22, v26, v22
	s_andn2_b64 vcc, exec, s[30:31]
	s_cbranch_vccnz .LBB380_98
.LBB380_131:
	ds_read_b32 v13, v7 offset:56
	s_waitcnt lgkmcnt(0)
	v_mul_f32_e32 v13, v14, v13
	s_andn2_b64 vcc, exec, s[34:35]
	v_mov_b32_e32 v14, 0
	v_mov_b32_e32 v24, 0
	s_cbranch_vccnz .LBB380_99
.LBB380_132:
	ds_read_b32 v24, v7 offset:60
	s_waitcnt lgkmcnt(0)
	v_mul_f32_e32 v24, v28, v24
	s_andn2_b64 vcc, exec, s[38:39]
	s_cbranch_vccnz .LBB380_100
.LBB380_133:
	ds_read_b32 v14, v7 offset:64
	s_waitcnt lgkmcnt(0)
	v_mul_f32_e32 v14, v17, v14
	s_andn2_b64 vcc, exec, s[40:41]
	v_mov_b32_e32 v17, 0
	v_mov_b32_e32 v26, 0
	s_cbranch_vccnz .LBB380_101
.LBB380_134:
	ds_read_b32 v26, v7 offset:68
	s_waitcnt lgkmcnt(0)
	v_mul_f32_e32 v26, v31, v26
	s_andn2_b64 vcc, exec, s[42:43]
	s_cbranch_vccnz .LBB380_102
.LBB380_135:
	ds_read_b32 v17, v7 offset:72
	s_waitcnt lgkmcnt(0)
	v_mul_f32_e32 v17, v19, v17
	s_andn2_b64 vcc, exec, s[44:45]
	v_mov_b32_e32 v19, 0
	v_mov_b32_e32 v28, 0
	s_cbranch_vccnz .LBB380_103
.LBB380_136:
	ds_read_b32 v28, v7 offset:76
	s_waitcnt lgkmcnt(0)
	v_mul_f32_e32 v28, v32, v28
	s_andn2_b64 vcc, exec, s[46:47]
	s_cbranch_vccnz .LBB380_104
.LBB380_137:
	ds_read_b32 v19, v7 offset:80
	s_waitcnt lgkmcnt(0)
	v_mul_f32_e32 v19, v21, v19
	s_andn2_b64 vcc, exec, s[48:49]
	v_mov_b32_e32 v21, 0
	v_mov_b32_e32 v31, 0
	s_cbranch_vccnz .LBB380_105
.LBB380_138:
	ds_read_b32 v31, v7 offset:84
	s_waitcnt lgkmcnt(0)
	v_mul_f32_e32 v31, v33, v31
	s_andn2_b64 vcc, exec, s[50:51]
	s_cbranch_vccnz .LBB380_106
.LBB380_139:
	ds_read_b32 v21, v7 offset:88
	s_waitcnt lgkmcnt(0)
	v_mul_f32_e32 v21, v23, v21
	s_andn2_b64 vcc, exec, s[52:53]
	v_mov_b32_e32 v23, 0
	v_mov_b32_e32 v32, 0
	s_cbranch_vccnz .LBB380_107
.LBB380_140:
	ds_read_b32 v32, v7 offset:92
	s_waitcnt lgkmcnt(0)
	v_mul_f32_e32 v32, v34, v32
	s_andn2_b64 vcc, exec, s[54:55]
	s_cbranch_vccnz .LBB380_108
.LBB380_141:
	ds_read_b32 v23, v7 offset:96
	s_waitcnt lgkmcnt(0)
	v_mul_f32_e32 v23, v25, v23
	s_andn2_b64 vcc, exec, s[56:57]
	v_mov_b32_e32 v25, 0
	v_mov_b32_e32 v33, 0
	s_cbranch_vccnz .LBB380_109
.LBB380_142:
	ds_read_b32 v33, v7 offset:100
	s_waitcnt lgkmcnt(0)
	v_mul_f32_e32 v33, v35, v33
	s_andn2_b64 vcc, exec, s[58:59]
	s_cbranch_vccnz .LBB380_110
.LBB380_143:
	ds_read_b32 v25, v7 offset:104
	s_waitcnt lgkmcnt(0)
	v_mul_f32_e32 v25, v27, v25
	s_andn2_b64 vcc, exec, s[60:61]
	v_mov_b32_e32 v27, 0
	v_mov_b32_e32 v34, 0
	s_cbranch_vccnz .LBB380_111
.LBB380_144:
	ds_read_b32 v34, v7 offset:108
	s_waitcnt lgkmcnt(0)
	v_mul_f32_e32 v34, v37, v34
	s_andn2_b64 vcc, exec, s[62:63]
	s_cbranch_vccnz .LBB380_112
.LBB380_145:
	ds_read_b32 v27, v7 offset:112
	s_waitcnt lgkmcnt(0)
	v_mul_f32_e32 v27, v29, v27
	s_andn2_b64 vcc, exec, s[64:65]
	v_mov_b32_e32 v29, 0
	v_mov_b32_e32 v35, 0
	s_cbranch_vccnz .LBB380_113
.LBB380_146:
	ds_read_b32 v35, v7 offset:116
	s_waitcnt lgkmcnt(0)
	v_mul_f32_e32 v35, v38, v35
	s_andn2_b64 vcc, exec, s[66:67]
	s_cbranch_vccnz .LBB380_114
.LBB380_147:
	ds_read_b32 v29, v7 offset:120
	s_waitcnt lgkmcnt(0)
	v_mul_f32_e32 v29, v30, v29
	s_andn2_b64 vcc, exec, s[68:69]
	v_mov_b32_e32 v30, 0
	s_cbranch_vccz .LBB380_115
	s_branch .LBB380_116
	.section	.rodata,"a",@progbits
	.p2align	6, 0x0
	.amdhsa_kernel _ZL34rocblas_gemvn_sm_mn_batched_kernelILi32ELi24EDF16_PKfDF16_EviiT2_lPKT1_lilS5_lilS2_lPT3_lili
		.amdhsa_group_segment_fixed_size 3072
		.amdhsa_private_segment_fixed_size 0
		.amdhsa_kernarg_size 400
		.amdhsa_user_sgpr_count 2
		.amdhsa_user_sgpr_dispatch_ptr 0
		.amdhsa_user_sgpr_queue_ptr 0
		.amdhsa_user_sgpr_kernarg_segment_ptr 1
		.amdhsa_user_sgpr_dispatch_id 0
		.amdhsa_user_sgpr_kernarg_preload_length 0
		.amdhsa_user_sgpr_kernarg_preload_offset 0
		.amdhsa_user_sgpr_private_segment_size 0
		.amdhsa_uses_dynamic_stack 0
		.amdhsa_enable_private_segment 0
		.amdhsa_system_sgpr_workgroup_id_x 1
		.amdhsa_system_sgpr_workgroup_id_y 0
		.amdhsa_system_sgpr_workgroup_id_z 0
		.amdhsa_system_sgpr_workgroup_info 0
		.amdhsa_system_vgpr_workitem_id 1
		.amdhsa_next_free_vgpr 42
		.amdhsa_next_free_sgpr 70
		.amdhsa_accum_offset 44
		.amdhsa_reserve_vcc 1
		.amdhsa_float_round_mode_32 0
		.amdhsa_float_round_mode_16_64 0
		.amdhsa_float_denorm_mode_32 3
		.amdhsa_float_denorm_mode_16_64 3
		.amdhsa_dx10_clamp 1
		.amdhsa_ieee_mode 1
		.amdhsa_fp16_overflow 0
		.amdhsa_tg_split 0
		.amdhsa_exception_fp_ieee_invalid_op 0
		.amdhsa_exception_fp_denorm_src 0
		.amdhsa_exception_fp_ieee_div_zero 0
		.amdhsa_exception_fp_ieee_overflow 0
		.amdhsa_exception_fp_ieee_underflow 0
		.amdhsa_exception_fp_ieee_inexact 0
		.amdhsa_exception_int_div_zero 0
	.end_amdhsa_kernel
	.section	.text._ZL34rocblas_gemvn_sm_mn_batched_kernelILi32ELi24EDF16_PKfDF16_EviiT2_lPKT1_lilS5_lilS2_lPT3_lili,"axG",@progbits,_ZL34rocblas_gemvn_sm_mn_batched_kernelILi32ELi24EDF16_PKfDF16_EviiT2_lPKT1_lilS5_lilS2_lPT3_lili,comdat
.Lfunc_end380:
	.size	_ZL34rocblas_gemvn_sm_mn_batched_kernelILi32ELi24EDF16_PKfDF16_EviiT2_lPKT1_lilS5_lilS2_lPT3_lili, .Lfunc_end380-_ZL34rocblas_gemvn_sm_mn_batched_kernelILi32ELi24EDF16_PKfDF16_EviiT2_lPKT1_lilS5_lilS2_lPT3_lili
                                        ; -- End function
	.section	.AMDGPU.csdata,"",@progbits
; Kernel info:
; codeLenInByte = 3560
; NumSgprs: 76
; NumVgprs: 42
; NumAgprs: 0
; TotalNumVgprs: 42
; ScratchSize: 0
; MemoryBound: 0
; FloatMode: 240
; IeeeMode: 1
; LDSByteSize: 3072 bytes/workgroup (compile time only)
; SGPRBlocks: 9
; VGPRBlocks: 5
; NumSGPRsForWavesPerEU: 76
; NumVGPRsForWavesPerEU: 42
; AccumOffset: 44
; Occupancy: 6
; WaveLimiterHint : 1
; COMPUTE_PGM_RSRC2:SCRATCH_EN: 0
; COMPUTE_PGM_RSRC2:USER_SGPR: 2
; COMPUTE_PGM_RSRC2:TRAP_HANDLER: 0
; COMPUTE_PGM_RSRC2:TGID_X_EN: 1
; COMPUTE_PGM_RSRC2:TGID_Y_EN: 0
; COMPUTE_PGM_RSRC2:TGID_Z_EN: 0
; COMPUTE_PGM_RSRC2:TIDIG_COMP_CNT: 1
; COMPUTE_PGM_RSRC3_GFX90A:ACCUM_OFFSET: 10
; COMPUTE_PGM_RSRC3_GFX90A:TG_SPLIT: 0
	.section	.text._ZL34rocblas_gemvn_sm_mn_batched_kernelILi32ELi24EDF16_fDF16_EviiT2_lPKT1_lilS3_lilS0_lPT3_lili,"axG",@progbits,_ZL34rocblas_gemvn_sm_mn_batched_kernelILi32ELi24EDF16_fDF16_EviiT2_lPKT1_lilS3_lilS0_lPT3_lili,comdat
	.globl	_ZL34rocblas_gemvn_sm_mn_batched_kernelILi32ELi24EDF16_fDF16_EviiT2_lPKT1_lilS3_lilS0_lPT3_lili ; -- Begin function _ZL34rocblas_gemvn_sm_mn_batched_kernelILi32ELi24EDF16_fDF16_EviiT2_lPKT1_lilS3_lilS0_lPT3_lili
	.p2align	8
	.type	_ZL34rocblas_gemvn_sm_mn_batched_kernelILi32ELi24EDF16_fDF16_EviiT2_lPKT1_lilS3_lilS0_lPT3_lili,@function
_ZL34rocblas_gemvn_sm_mn_batched_kernelILi32ELi24EDF16_fDF16_EviiT2_lPKT1_lilS3_lilS0_lPT3_lili: ; @_ZL34rocblas_gemvn_sm_mn_batched_kernelILi32ELi24EDF16_fDF16_EviiT2_lPKT1_lilS3_lilS0_lPT3_lili
; %bb.0:
	s_load_dword s3, s[0:1], 0x9c
	s_load_dword s4, s[0:1], 0x88
	v_bfe_u32 v1, v0, 10, 10
	s_waitcnt lgkmcnt(0)
	s_lshr_b32 s3, s3, 16
	s_mul_i32 s2, s2, s3
	v_add_u32_e32 v4, s2, v1
	v_cmp_gt_i32_e32 vcc, s4, v4
	s_and_saveexec_b64 s[2:3], vcc
	s_cbranch_execz .LBB381_8
; %bb.1:
	s_load_dwordx4 s[4:7], s[0:1], 0x0
	s_waitcnt lgkmcnt(0)
	s_load_dword s7, s[0:1], 0x58
	v_cmp_eq_f32_e64 s[2:3], s6, 0
	s_waitcnt lgkmcnt(0)
	v_cmp_eq_f32_e64 s[8:9], s7, 1.0
	s_and_b64 s[2:3], s[2:3], s[8:9]
	s_and_b64 vcc, exec, s[2:3]
	s_cbranch_vccnz .LBB381_8
; %bb.2:
	s_load_dwordx2 s[2:3], s[0:1], 0x80
	s_load_dwordx4 s[8:11], s[0:1], 0x68
	s_load_dword s33, s[0:1], 0x78
	s_waitcnt lgkmcnt(0)
	v_mad_u64_u32 v[2:3], s[12:13], v4, s2, 0
	v_mov_b32_e32 v6, v3
	v_mad_u64_u32 v[6:7], s[2:3], v4, s3, v[6:7]
	s_lshl_b64 s[2:3], s[10:11], 1
	s_add_u32 s2, s2, s8
	v_mov_b32_e32 v3, v6
	s_addc_u32 s3, s3, s9
	v_lshl_add_u64 v[2:3], v[2:3], 1, s[2:3]
	v_and_b32_e32 v6, 0x3ff, v0
	v_cmp_neq_f32_e64 s[2:3], s6, 0
	s_and_b64 vcc, exec, s[2:3]
	v_cmp_gt_i32_e64 s[2:3], s4, v6
	s_cbranch_vccnz .LBB381_7
; %bb.3:
	v_cmp_eq_f32_e64 s[8:9], s7, 0
	s_and_b64 vcc, exec, s[8:9]
	s_cbranch_vccz .LBB381_9
; %bb.4:
	s_and_saveexec_b64 s[8:9], s[2:3]
	s_cbranch_execz .LBB381_6
; %bb.5:
	v_mad_i64_i32 v[8:9], s[10:11], s33, v6, 0
	v_lshl_add_u64 v[8:9], v[8:9], 1, v[2:3]
	v_mov_b32_e32 v0, 0
	global_store_short v[8:9], v0, off
.LBB381_6:
	s_or_b64 exec, exec, s[8:9]
	s_cbranch_execz .LBB381_10
	s_branch .LBB381_13
.LBB381_7:
	s_branch .LBB381_14
.LBB381_8:
	s_endpgm
.LBB381_9:
.LBB381_10:
	s_and_saveexec_b64 s[8:9], s[2:3]
	s_cbranch_execz .LBB381_12
; %bb.11:
	v_mad_i64_i32 v[8:9], s[2:3], s33, v6, 0
	v_lshl_add_u64 v[8:9], v[8:9], 1, v[2:3]
	global_load_ushort v0, v[8:9], off
	s_waitcnt vmcnt(0)
	v_fma_mixlo_f16 v0, v0, s7, 0 op_sel_hi:[1,0,0]
	global_store_short v[8:9], v0, off
.LBB381_12:
	s_or_b64 exec, exec, s[8:9]
.LBB381_13:
	s_cbranch_execnz .LBB381_8
.LBB381_14:
	s_load_dwordx4 s[8:11], s[0:1], 0x30
	s_load_dwordx2 s[12:13], s[0:1], 0x40
	v_lshlrev_b32_e32 v7, 7, v1
	v_cmp_gt_i32_e32 vcc, s5, v6
	s_and_saveexec_b64 s[2:3], vcc
	s_cbranch_execz .LBB381_16
; %bb.15:
	s_load_dwordx2 s[14:15], s[0:1], 0x50
	s_load_dword s18, s[0:1], 0x48
	s_waitcnt lgkmcnt(0)
	s_lshl_b64 s[12:13], s[12:13], 1
	s_add_u32 s10, s12, s10
	s_addc_u32 s11, s13, s11
	v_mad_u64_u32 v[0:1], s[16:17], v4, s14, 0
	v_mov_b32_e32 v8, v1
	v_mad_u64_u32 v[8:9], s[14:15], v4, s15, v[8:9]
	v_mov_b32_e32 v1, v8
	v_lshl_add_u64 v[0:1], v[0:1], 1, s[10:11]
	v_mad_i64_i32 v[8:9], s[10:11], s18, v6, 0
	v_lshl_add_u64 v[0:1], v[8:9], 1, v[0:1]
	global_load_ushort v0, v[0:1], off
	v_lshl_add_u32 v1, v6, 2, v7
	s_waitcnt vmcnt(0)
	v_cvt_f32_f16_e32 v0, v0
	v_mul_f32_e32 v0, s6, v0
	ds_write_b32 v1, v0
.LBB381_16:
	s_or_b64 exec, exec, s[2:3]
	v_cmp_gt_i32_e32 vcc, s4, v6
	s_waitcnt lgkmcnt(0)
	s_barrier
	s_and_b64 exec, exec, vcc
	s_cbranch_execz .LBB381_8
; %bb.17:
	v_cmp_eq_f32_e64 s[2:3], s7, 0
	v_mov_b32_e32 v8, 0
	v_mov_b32_e32 v1, 0
	s_and_b64 vcc, exec, s[2:3]
	s_cbranch_vccnz .LBB381_19
; %bb.18:
	v_mad_i64_i32 v[8:9], s[2:3], s33, v6, 0
	v_lshl_add_u64 v[8:9], v[8:9], 1, v[2:3]
	global_load_ushort v0, v[8:9], off
	s_waitcnt vmcnt(0)
	v_cvt_f32_f16_e32 v0, v0
	v_mul_f32_e32 v8, s7, v0
.LBB381_19:
	s_load_dwordx4 s[12:15], s[0:1], 0x18
	v_mad_u64_u32 v[10:11], s[2:3], v4, s8, 0
	v_mov_b32_e32 v0, v11
	v_mad_u64_u32 v[4:5], s[2:3], v4, s9, v[0:1]
	s_waitcnt lgkmcnt(0)
	s_lshl_b64 s[2:3], s[14:15], 1
	s_add_u32 s2, s2, s12
	v_mov_b32_e32 v11, v4
	s_addc_u32 s3, s3, s13
	v_lshl_add_u64 v[4:5], v[10:11], 1, s[2:3]
	v_lshlrev_b32_e32 v0, 1, v6
	s_cmp_gt_i32 s5, 0
	s_cselect_b64 s[2:3], -1, 0
	s_cmp_lt_i32 s5, 1
	v_lshl_add_u64 v[4:5], v[4:5], 0, v[0:1]
	s_cbranch_scc1 .LBB381_21
; %bb.20:
	global_load_ushort v0, v[4:5], off
	s_waitcnt vmcnt(0)
	v_cvt_f32_f16_e32 v1, v0
.LBB381_21:
	s_load_dword s36, s[0:1], 0x28
	v_mov_b32_e32 v0, 0
	v_mov_b32_e32 v15, 0
	s_waitcnt lgkmcnt(0)
	s_ashr_i32 s37, s36, 31
	s_cmp_gt_i32 s5, 1
	s_cselect_b64 s[0:1], -1, 0
	s_cmp_lt_i32 s5, 2
	s_cbranch_scc1 .LBB381_23
; %bb.22:
	v_lshl_add_u64 v[10:11], s[36:37], 1, v[4:5]
	global_load_ushort v9, v[10:11], off
	s_waitcnt vmcnt(0)
	v_cvt_f32_f16_e32 v15, v9
.LBB381_23:
	s_cmp_gt_i32 s5, 2
	s_cselect_b64 s[6:7], -1, 0
	s_cmp_lt_i32 s5, 3
	s_cbranch_scc1 .LBB381_25
; %bb.24:
	v_lshl_add_u64 v[10:11], s[36:37], 2, v[4:5]
	global_load_ushort v0, v[10:11], off
	s_waitcnt vmcnt(0)
	v_cvt_f32_f16_e32 v0, v0
.LBB381_25:
	s_cmp_gt_i32 s5, 3
	s_cselect_b64 s[8:9], -1, 0
	s_cmp_lt_i32 s5, 4
	v_mov_b32_e32 v9, 0
	v_mov_b32_e32 v16, 0
	s_cbranch_scc1 .LBB381_27
; %bb.26:
	v_mad_i64_i32 v[10:11], s[10:11], s36, 6, v[4:5]
	global_load_ushort v10, v[10:11], off
	s_waitcnt vmcnt(0)
	v_cvt_f32_f16_e32 v16, v10
.LBB381_27:
	s_cmp_gt_i32 s5, 4
	s_cselect_b64 s[10:11], -1, 0
	s_cmp_lt_i32 s5, 5
	s_cbranch_scc1 .LBB381_29
; %bb.28:
	v_lshl_add_u64 v[10:11], s[36:37], 3, v[4:5]
	global_load_ushort v9, v[10:11], off
	s_waitcnt vmcnt(0)
	v_cvt_f32_f16_e32 v9, v9
.LBB381_29:
	s_cmp_gt_i32 s5, 5
	s_cselect_b64 s[12:13], -1, 0
	s_cmp_lt_i32 s5, 6
	v_mov_b32_e32 v10, 0
	v_mov_b32_e32 v18, 0
	s_cbranch_scc1 .LBB381_31
; %bb.30:
	v_mad_i64_i32 v[12:13], s[14:15], s36, 10, v[4:5]
	global_load_ushort v11, v[12:13], off
	s_waitcnt vmcnt(0)
	v_cvt_f32_f16_e32 v18, v11
.LBB381_31:
	s_cmp_gt_i32 s5, 6
	s_cselect_b64 s[14:15], -1, 0
	s_cmp_lt_i32 s5, 7
	s_cbranch_scc1 .LBB381_33
; %bb.32:
	v_mad_i64_i32 v[10:11], s[16:17], s36, 12, v[4:5]
	global_load_ushort v10, v[10:11], off
	s_waitcnt vmcnt(0)
	v_cvt_f32_f16_e32 v10, v10
.LBB381_33:
	s_cmp_gt_i32 s5, 7
	s_cselect_b64 s[16:17], -1, 0
	s_cmp_lt_i32 s5, 8
	v_mov_b32_e32 v11, 0
	v_mov_b32_e32 v20, 0
	s_cbranch_scc1 .LBB381_35
; %bb.34:
	v_mad_i64_i32 v[12:13], s[18:19], s36, 14, v[4:5]
	global_load_ushort v12, v[12:13], off
	s_waitcnt vmcnt(0)
	v_cvt_f32_f16_e32 v20, v12
.LBB381_35:
	s_cmp_gt_i32 s5, 8
	s_cselect_b64 s[18:19], -1, 0
	s_cmp_lt_i32 s5, 9
	s_cbranch_scc1 .LBB381_37
; %bb.36:
	v_lshl_add_u64 v[12:13], s[36:37], 4, v[4:5]
	global_load_ushort v11, v[12:13], off
	s_waitcnt vmcnt(0)
	v_cvt_f32_f16_e32 v11, v11
.LBB381_37:
	s_cmp_gt_i32 s5, 9
	s_cselect_b64 s[20:21], -1, 0
	s_cmp_lt_i32 s5, 10
	v_mov_b32_e32 v12, 0
	v_mov_b32_e32 v22, 0
	s_cbranch_scc1 .LBB381_39
; %bb.38:
	v_mad_i64_i32 v[22:23], s[22:23], s36, 18, v[4:5]
	global_load_ushort v13, v[22:23], off
	s_waitcnt vmcnt(0)
	v_cvt_f32_f16_e32 v22, v13
.LBB381_39:
	s_cmp_gt_i32 s5, 10
	s_cselect_b64 s[22:23], -1, 0
	s_cmp_lt_i32 s5, 11
	s_cbranch_scc1 .LBB381_41
; %bb.40:
	v_mad_i64_i32 v[12:13], s[24:25], s36, 20, v[4:5]
	global_load_ushort v12, v[12:13], off
	s_waitcnt vmcnt(0)
	v_cvt_f32_f16_e32 v12, v12
.LBB381_41:
	s_cmp_gt_i32 s5, 11
	s_cselect_b64 s[24:25], -1, 0
	s_cmp_lt_i32 s5, 12
	v_mov_b32_e32 v13, 0
	v_mov_b32_e32 v24, 0
	s_cbranch_scc1 .LBB381_43
; %bb.42:
	v_mad_i64_i32 v[24:25], s[26:27], s36, 22, v[4:5]
	global_load_ushort v14, v[24:25], off
	s_waitcnt vmcnt(0)
	v_cvt_f32_f16_e32 v24, v14
.LBB381_43:
	s_cmp_gt_i32 s5, 12
	s_cselect_b64 s[26:27], -1, 0
	s_cmp_lt_i32 s5, 13
	s_cbranch_scc1 .LBB381_45
; %bb.44:
	v_mad_i64_i32 v[26:27], s[28:29], s36, 24, v[4:5]
	global_load_ushort v13, v[26:27], off
	s_waitcnt vmcnt(0)
	v_cvt_f32_f16_e32 v13, v13
.LBB381_45:
	;; [unrolled: 22-line block ×3, first 2 shown]
	s_cmp_gt_i32 s5, 15
	s_cselect_b64 s[34:35], -1, 0
	s_cmp_lt_i32 s5, 16
	v_mov_b32_e32 v17, 0
	v_mov_b32_e32 v28, 0
	s_cbranch_scc1 .LBB381_51
; %bb.50:
	v_mad_i64_i32 v[28:29], s[38:39], s36, 30, v[4:5]
	global_load_ushort v19, v[28:29], off
	s_waitcnt vmcnt(0)
	v_cvt_f32_f16_e32 v28, v19
.LBB381_51:
	s_cmp_gt_i32 s5, 16
	s_cselect_b64 s[38:39], -1, 0
	s_cmp_lt_i32 s5, 17
	s_cbranch_scc1 .LBB381_53
; %bb.52:
	s_lshl_b64 s[40:41], s[36:37], 5
	v_lshl_add_u64 v[30:31], v[4:5], 0, s[40:41]
	global_load_ushort v17, v[30:31], off
	s_waitcnt vmcnt(0)
	v_cvt_f32_f16_e32 v17, v17
.LBB381_53:
	s_cmp_gt_i32 s5, 17
	s_cselect_b64 s[40:41], -1, 0
	s_cmp_lt_i32 s5, 18
	v_mov_b32_e32 v19, 0
	v_mov_b32_e32 v31, 0
	s_cbranch_scc1 .LBB381_55
; %bb.54:
	v_mad_i64_i32 v[30:31], s[42:43], s36, 34, v[4:5]
	global_load_ushort v21, v[30:31], off
	s_waitcnt vmcnt(0)
	v_cvt_f32_f16_e32 v31, v21
.LBB381_55:
	s_cmp_gt_i32 s5, 18
	s_cselect_b64 s[42:43], -1, 0
	s_cmp_lt_i32 s5, 19
	s_cbranch_scc1 .LBB381_57
; %bb.56:
	v_mad_i64_i32 v[32:33], s[44:45], s36, 36, v[4:5]
	global_load_ushort v19, v[32:33], off
	s_waitcnt vmcnt(0)
	v_cvt_f32_f16_e32 v19, v19
.LBB381_57:
	s_cmp_gt_i32 s5, 19
	s_cselect_b64 s[44:45], -1, 0
	s_cmp_lt_i32 s5, 20
	v_mov_b32_e32 v21, 0
	v_mov_b32_e32 v32, 0
	s_cbranch_scc1 .LBB381_59
; %bb.58:
	v_mad_i64_i32 v[32:33], s[46:47], s36, 38, v[4:5]
	global_load_ushort v23, v[32:33], off
	s_waitcnt vmcnt(0)
	v_cvt_f32_f16_e32 v32, v23
.LBB381_59:
	s_cmp_gt_i32 s5, 20
	s_cselect_b64 s[46:47], -1, 0
	s_cmp_lt_i32 s5, 21
	s_cbranch_scc1 .LBB381_61
; %bb.60:
	v_mad_i64_i32 v[34:35], s[48:49], s36, 40, v[4:5]
	global_load_ushort v21, v[34:35], off
	s_waitcnt vmcnt(0)
	v_cvt_f32_f16_e32 v21, v21
.LBB381_61:
	;; [unrolled: 22-line block ×7, first 2 shown]
	s_cmp_gt_i32 s5, 31
	s_cselect_b64 s[68:69], -1, 0
	s_cmp_lt_i32 s5, 32
	v_mov_b32_e32 v36, 0
	v_mov_b32_e32 v39, 0
	s_cbranch_scc1 .LBB381_83
; %bb.82:
	v_mad_i64_i32 v[4:5], s[4:5], s36, 62, v[4:5]
	global_load_ushort v4, v[4:5], off
	s_waitcnt vmcnt(0)
	v_cvt_f32_f16_e32 v39, v4
.LBB381_83:
	s_andn2_b64 vcc, exec, s[2:3]
	s_cbranch_vccnz .LBB381_85
; %bb.84:
	ds_read_b32 v4, v7
	s_waitcnt lgkmcnt(0)
	v_mul_f32_e32 v36, v1, v4
.LBB381_85:
	s_andn2_b64 vcc, exec, s[0:1]
	v_mov_b32_e32 v1, 0
	v_mov_b32_e32 v4, 0
	s_cbranch_vccz .LBB381_118
; %bb.86:
	s_andn2_b64 vcc, exec, s[6:7]
	s_cbranch_vccz .LBB381_119
.LBB381_87:
	s_andn2_b64 vcc, exec, s[8:9]
	v_mov_b32_e32 v0, 0
	v_mov_b32_e32 v5, 0
	s_cbranch_vccz .LBB381_120
.LBB381_88:
	s_andn2_b64 vcc, exec, s[10:11]
	s_cbranch_vccz .LBB381_121
.LBB381_89:
	s_andn2_b64 vcc, exec, s[12:13]
	v_mov_b32_e32 v9, 0
	v_mov_b32_e32 v15, 0
	s_cbranch_vccz .LBB381_122
.LBB381_90:
	s_andn2_b64 vcc, exec, s[14:15]
	s_cbranch_vccz .LBB381_123
.LBB381_91:
	s_andn2_b64 vcc, exec, s[16:17]
	v_mov_b32_e32 v10, 0
	v_mov_b32_e32 v16, 0
	s_cbranch_vccz .LBB381_124
.LBB381_92:
	s_andn2_b64 vcc, exec, s[18:19]
	s_cbranch_vccz .LBB381_125
.LBB381_93:
	s_andn2_b64 vcc, exec, s[20:21]
	v_mov_b32_e32 v11, 0
	v_mov_b32_e32 v18, 0
	s_cbranch_vccz .LBB381_126
.LBB381_94:
	s_andn2_b64 vcc, exec, s[22:23]
	s_cbranch_vccz .LBB381_127
.LBB381_95:
	s_andn2_b64 vcc, exec, s[24:25]
	v_mov_b32_e32 v12, 0
	v_mov_b32_e32 v20, 0
	s_cbranch_vccz .LBB381_128
.LBB381_96:
	s_andn2_b64 vcc, exec, s[26:27]
	s_cbranch_vccz .LBB381_129
.LBB381_97:
	s_andn2_b64 vcc, exec, s[28:29]
	v_mov_b32_e32 v13, 0
	v_mov_b32_e32 v22, 0
	s_cbranch_vccz .LBB381_130
.LBB381_98:
	s_andn2_b64 vcc, exec, s[30:31]
	s_cbranch_vccz .LBB381_131
.LBB381_99:
	s_andn2_b64 vcc, exec, s[34:35]
	v_mov_b32_e32 v14, 0
	v_mov_b32_e32 v24, 0
	s_cbranch_vccz .LBB381_132
.LBB381_100:
	s_andn2_b64 vcc, exec, s[38:39]
	s_cbranch_vccz .LBB381_133
.LBB381_101:
	s_andn2_b64 vcc, exec, s[40:41]
	v_mov_b32_e32 v17, 0
	v_mov_b32_e32 v26, 0
	s_cbranch_vccz .LBB381_134
.LBB381_102:
	s_andn2_b64 vcc, exec, s[42:43]
	s_cbranch_vccz .LBB381_135
.LBB381_103:
	s_andn2_b64 vcc, exec, s[44:45]
	v_mov_b32_e32 v19, 0
	v_mov_b32_e32 v28, 0
	s_cbranch_vccz .LBB381_136
.LBB381_104:
	s_andn2_b64 vcc, exec, s[46:47]
	s_cbranch_vccz .LBB381_137
.LBB381_105:
	s_andn2_b64 vcc, exec, s[48:49]
	v_mov_b32_e32 v21, 0
	v_mov_b32_e32 v31, 0
	s_cbranch_vccz .LBB381_138
.LBB381_106:
	s_andn2_b64 vcc, exec, s[50:51]
	s_cbranch_vccz .LBB381_139
.LBB381_107:
	s_andn2_b64 vcc, exec, s[52:53]
	v_mov_b32_e32 v23, 0
	v_mov_b32_e32 v32, 0
	s_cbranch_vccz .LBB381_140
.LBB381_108:
	s_andn2_b64 vcc, exec, s[54:55]
	s_cbranch_vccz .LBB381_141
.LBB381_109:
	s_andn2_b64 vcc, exec, s[56:57]
	v_mov_b32_e32 v25, 0
	v_mov_b32_e32 v33, 0
	s_cbranch_vccz .LBB381_142
.LBB381_110:
	s_andn2_b64 vcc, exec, s[58:59]
	s_cbranch_vccz .LBB381_143
.LBB381_111:
	s_andn2_b64 vcc, exec, s[60:61]
	v_mov_b32_e32 v27, 0
	v_mov_b32_e32 v34, 0
	s_cbranch_vccz .LBB381_144
.LBB381_112:
	s_andn2_b64 vcc, exec, s[62:63]
	s_cbranch_vccz .LBB381_145
.LBB381_113:
	s_andn2_b64 vcc, exec, s[64:65]
	v_mov_b32_e32 v29, 0
	v_mov_b32_e32 v35, 0
	s_cbranch_vccz .LBB381_146
.LBB381_114:
	s_andn2_b64 vcc, exec, s[66:67]
	s_cbranch_vccz .LBB381_147
.LBB381_115:
	s_andn2_b64 vcc, exec, s[68:69]
	v_mov_b32_e32 v30, 0
	s_cbranch_vccnz .LBB381_117
.LBB381_116:
	ds_read_b32 v7, v7 offset:124
	s_waitcnt lgkmcnt(0)
	v_mul_f32_e32 v30, v39, v7
.LBB381_117:
	v_add_f32_e32 v7, v8, v36
	v_add_f32_e32 v4, v7, v4
	;; [unrolled: 1-line block ×32, first 2 shown]
	v_cvt_f16_f32_e32 v4, v0
	v_mad_i64_i32 v[0:1], s[0:1], s33, v6, 0
	v_lshl_add_u64 v[0:1], v[0:1], 1, v[2:3]
	global_store_short v[0:1], v4, off
	s_endpgm
.LBB381_118:
	ds_read_b32 v4, v7 offset:4
	s_waitcnt lgkmcnt(0)
	v_mul_f32_e32 v4, v15, v4
	s_andn2_b64 vcc, exec, s[6:7]
	s_cbranch_vccnz .LBB381_87
.LBB381_119:
	ds_read_b32 v1, v7 offset:8
	s_waitcnt lgkmcnt(0)
	v_mul_f32_e32 v1, v0, v1
	s_andn2_b64 vcc, exec, s[8:9]
	v_mov_b32_e32 v0, 0
	v_mov_b32_e32 v5, 0
	s_cbranch_vccnz .LBB381_88
.LBB381_120:
	ds_read_b32 v5, v7 offset:12
	s_waitcnt lgkmcnt(0)
	v_mul_f32_e32 v5, v16, v5
	s_andn2_b64 vcc, exec, s[10:11]
	s_cbranch_vccnz .LBB381_89
.LBB381_121:
	ds_read_b32 v0, v7 offset:16
	s_waitcnt lgkmcnt(0)
	v_mul_f32_e32 v0, v9, v0
	s_andn2_b64 vcc, exec, s[12:13]
	v_mov_b32_e32 v9, 0
	v_mov_b32_e32 v15, 0
	s_cbranch_vccnz .LBB381_90
.LBB381_122:
	ds_read_b32 v15, v7 offset:20
	s_waitcnt lgkmcnt(0)
	v_mul_f32_e32 v15, v18, v15
	s_andn2_b64 vcc, exec, s[14:15]
	s_cbranch_vccnz .LBB381_91
.LBB381_123:
	ds_read_b32 v9, v7 offset:24
	s_waitcnt lgkmcnt(0)
	v_mul_f32_e32 v9, v10, v9
	s_andn2_b64 vcc, exec, s[16:17]
	v_mov_b32_e32 v10, 0
	v_mov_b32_e32 v16, 0
	s_cbranch_vccnz .LBB381_92
.LBB381_124:
	ds_read_b32 v16, v7 offset:28
	s_waitcnt lgkmcnt(0)
	v_mul_f32_e32 v16, v20, v16
	s_andn2_b64 vcc, exec, s[18:19]
	s_cbranch_vccnz .LBB381_93
.LBB381_125:
	ds_read_b32 v10, v7 offset:32
	s_waitcnt lgkmcnt(0)
	v_mul_f32_e32 v10, v11, v10
	s_andn2_b64 vcc, exec, s[20:21]
	v_mov_b32_e32 v11, 0
	v_mov_b32_e32 v18, 0
	s_cbranch_vccnz .LBB381_94
.LBB381_126:
	ds_read_b32 v18, v7 offset:36
	s_waitcnt lgkmcnt(0)
	v_mul_f32_e32 v18, v22, v18
	s_andn2_b64 vcc, exec, s[22:23]
	s_cbranch_vccnz .LBB381_95
.LBB381_127:
	ds_read_b32 v11, v7 offset:40
	s_waitcnt lgkmcnt(0)
	v_mul_f32_e32 v11, v12, v11
	s_andn2_b64 vcc, exec, s[24:25]
	v_mov_b32_e32 v12, 0
	v_mov_b32_e32 v20, 0
	s_cbranch_vccnz .LBB381_96
.LBB381_128:
	ds_read_b32 v20, v7 offset:44
	s_waitcnt lgkmcnt(0)
	v_mul_f32_e32 v20, v24, v20
	s_andn2_b64 vcc, exec, s[26:27]
	s_cbranch_vccnz .LBB381_97
.LBB381_129:
	ds_read_b32 v12, v7 offset:48
	s_waitcnt lgkmcnt(0)
	v_mul_f32_e32 v12, v13, v12
	s_andn2_b64 vcc, exec, s[28:29]
	v_mov_b32_e32 v13, 0
	v_mov_b32_e32 v22, 0
	s_cbranch_vccnz .LBB381_98
.LBB381_130:
	ds_read_b32 v22, v7 offset:52
	s_waitcnt lgkmcnt(0)
	v_mul_f32_e32 v22, v26, v22
	s_andn2_b64 vcc, exec, s[30:31]
	s_cbranch_vccnz .LBB381_99
.LBB381_131:
	ds_read_b32 v13, v7 offset:56
	s_waitcnt lgkmcnt(0)
	v_mul_f32_e32 v13, v14, v13
	s_andn2_b64 vcc, exec, s[34:35]
	v_mov_b32_e32 v14, 0
	v_mov_b32_e32 v24, 0
	s_cbranch_vccnz .LBB381_100
.LBB381_132:
	ds_read_b32 v24, v7 offset:60
	s_waitcnt lgkmcnt(0)
	v_mul_f32_e32 v24, v28, v24
	s_andn2_b64 vcc, exec, s[38:39]
	s_cbranch_vccnz .LBB381_101
.LBB381_133:
	ds_read_b32 v14, v7 offset:64
	s_waitcnt lgkmcnt(0)
	v_mul_f32_e32 v14, v17, v14
	s_andn2_b64 vcc, exec, s[40:41]
	v_mov_b32_e32 v17, 0
	v_mov_b32_e32 v26, 0
	s_cbranch_vccnz .LBB381_102
.LBB381_134:
	ds_read_b32 v26, v7 offset:68
	s_waitcnt lgkmcnt(0)
	v_mul_f32_e32 v26, v31, v26
	s_andn2_b64 vcc, exec, s[42:43]
	s_cbranch_vccnz .LBB381_103
.LBB381_135:
	ds_read_b32 v17, v7 offset:72
	s_waitcnt lgkmcnt(0)
	v_mul_f32_e32 v17, v19, v17
	s_andn2_b64 vcc, exec, s[44:45]
	v_mov_b32_e32 v19, 0
	v_mov_b32_e32 v28, 0
	s_cbranch_vccnz .LBB381_104
.LBB381_136:
	ds_read_b32 v28, v7 offset:76
	s_waitcnt lgkmcnt(0)
	v_mul_f32_e32 v28, v32, v28
	s_andn2_b64 vcc, exec, s[46:47]
	s_cbranch_vccnz .LBB381_105
.LBB381_137:
	ds_read_b32 v19, v7 offset:80
	s_waitcnt lgkmcnt(0)
	v_mul_f32_e32 v19, v21, v19
	s_andn2_b64 vcc, exec, s[48:49]
	v_mov_b32_e32 v21, 0
	v_mov_b32_e32 v31, 0
	s_cbranch_vccnz .LBB381_106
.LBB381_138:
	ds_read_b32 v31, v7 offset:84
	s_waitcnt lgkmcnt(0)
	v_mul_f32_e32 v31, v33, v31
	s_andn2_b64 vcc, exec, s[50:51]
	s_cbranch_vccnz .LBB381_107
.LBB381_139:
	ds_read_b32 v21, v7 offset:88
	s_waitcnt lgkmcnt(0)
	v_mul_f32_e32 v21, v23, v21
	s_andn2_b64 vcc, exec, s[52:53]
	v_mov_b32_e32 v23, 0
	v_mov_b32_e32 v32, 0
	s_cbranch_vccnz .LBB381_108
.LBB381_140:
	ds_read_b32 v32, v7 offset:92
	s_waitcnt lgkmcnt(0)
	v_mul_f32_e32 v32, v34, v32
	s_andn2_b64 vcc, exec, s[54:55]
	s_cbranch_vccnz .LBB381_109
.LBB381_141:
	ds_read_b32 v23, v7 offset:96
	s_waitcnt lgkmcnt(0)
	v_mul_f32_e32 v23, v25, v23
	s_andn2_b64 vcc, exec, s[56:57]
	v_mov_b32_e32 v25, 0
	v_mov_b32_e32 v33, 0
	s_cbranch_vccnz .LBB381_110
.LBB381_142:
	ds_read_b32 v33, v7 offset:100
	s_waitcnt lgkmcnt(0)
	v_mul_f32_e32 v33, v35, v33
	s_andn2_b64 vcc, exec, s[58:59]
	s_cbranch_vccnz .LBB381_111
.LBB381_143:
	ds_read_b32 v25, v7 offset:104
	s_waitcnt lgkmcnt(0)
	v_mul_f32_e32 v25, v27, v25
	s_andn2_b64 vcc, exec, s[60:61]
	v_mov_b32_e32 v27, 0
	v_mov_b32_e32 v34, 0
	s_cbranch_vccnz .LBB381_112
.LBB381_144:
	ds_read_b32 v34, v7 offset:108
	s_waitcnt lgkmcnt(0)
	v_mul_f32_e32 v34, v37, v34
	s_andn2_b64 vcc, exec, s[62:63]
	s_cbranch_vccnz .LBB381_113
.LBB381_145:
	ds_read_b32 v27, v7 offset:112
	s_waitcnt lgkmcnt(0)
	v_mul_f32_e32 v27, v29, v27
	s_andn2_b64 vcc, exec, s[64:65]
	v_mov_b32_e32 v29, 0
	v_mov_b32_e32 v35, 0
	s_cbranch_vccnz .LBB381_114
.LBB381_146:
	ds_read_b32 v35, v7 offset:116
	s_waitcnt lgkmcnt(0)
	v_mul_f32_e32 v35, v38, v35
	s_andn2_b64 vcc, exec, s[66:67]
	s_cbranch_vccnz .LBB381_115
.LBB381_147:
	ds_read_b32 v29, v7 offset:120
	s_waitcnt lgkmcnt(0)
	v_mul_f32_e32 v29, v30, v29
	s_andn2_b64 vcc, exec, s[68:69]
	v_mov_b32_e32 v30, 0
	s_cbranch_vccz .LBB381_116
	s_branch .LBB381_117
	.section	.rodata,"a",@progbits
	.p2align	6, 0x0
	.amdhsa_kernel _ZL34rocblas_gemvn_sm_mn_batched_kernelILi32ELi24EDF16_fDF16_EviiT2_lPKT1_lilS3_lilS0_lPT3_lili
		.amdhsa_group_segment_fixed_size 3072
		.amdhsa_private_segment_fixed_size 0
		.amdhsa_kernarg_size 400
		.amdhsa_user_sgpr_count 2
		.amdhsa_user_sgpr_dispatch_ptr 0
		.amdhsa_user_sgpr_queue_ptr 0
		.amdhsa_user_sgpr_kernarg_segment_ptr 1
		.amdhsa_user_sgpr_dispatch_id 0
		.amdhsa_user_sgpr_kernarg_preload_length 0
		.amdhsa_user_sgpr_kernarg_preload_offset 0
		.amdhsa_user_sgpr_private_segment_size 0
		.amdhsa_uses_dynamic_stack 0
		.amdhsa_enable_private_segment 0
		.amdhsa_system_sgpr_workgroup_id_x 1
		.amdhsa_system_sgpr_workgroup_id_y 0
		.amdhsa_system_sgpr_workgroup_id_z 0
		.amdhsa_system_sgpr_workgroup_info 0
		.amdhsa_system_vgpr_workitem_id 1
		.amdhsa_next_free_vgpr 42
		.amdhsa_next_free_sgpr 70
		.amdhsa_accum_offset 44
		.amdhsa_reserve_vcc 1
		.amdhsa_float_round_mode_32 0
		.amdhsa_float_round_mode_16_64 0
		.amdhsa_float_denorm_mode_32 3
		.amdhsa_float_denorm_mode_16_64 3
		.amdhsa_dx10_clamp 1
		.amdhsa_ieee_mode 1
		.amdhsa_fp16_overflow 0
		.amdhsa_tg_split 0
		.amdhsa_exception_fp_ieee_invalid_op 0
		.amdhsa_exception_fp_denorm_src 0
		.amdhsa_exception_fp_ieee_div_zero 0
		.amdhsa_exception_fp_ieee_overflow 0
		.amdhsa_exception_fp_ieee_underflow 0
		.amdhsa_exception_fp_ieee_inexact 0
		.amdhsa_exception_int_div_zero 0
	.end_amdhsa_kernel
	.section	.text._ZL34rocblas_gemvn_sm_mn_batched_kernelILi32ELi24EDF16_fDF16_EviiT2_lPKT1_lilS3_lilS0_lPT3_lili,"axG",@progbits,_ZL34rocblas_gemvn_sm_mn_batched_kernelILi32ELi24EDF16_fDF16_EviiT2_lPKT1_lilS3_lilS0_lPT3_lili,comdat
.Lfunc_end381:
	.size	_ZL34rocblas_gemvn_sm_mn_batched_kernelILi32ELi24EDF16_fDF16_EviiT2_lPKT1_lilS3_lilS0_lPT3_lili, .Lfunc_end381-_ZL34rocblas_gemvn_sm_mn_batched_kernelILi32ELi24EDF16_fDF16_EviiT2_lPKT1_lilS3_lilS0_lPT3_lili
                                        ; -- End function
	.section	.AMDGPU.csdata,"",@progbits
; Kernel info:
; codeLenInByte = 3472
; NumSgprs: 76
; NumVgprs: 42
; NumAgprs: 0
; TotalNumVgprs: 42
; ScratchSize: 0
; MemoryBound: 0
; FloatMode: 240
; IeeeMode: 1
; LDSByteSize: 3072 bytes/workgroup (compile time only)
; SGPRBlocks: 9
; VGPRBlocks: 5
; NumSGPRsForWavesPerEU: 76
; NumVGPRsForWavesPerEU: 42
; AccumOffset: 44
; Occupancy: 6
; WaveLimiterHint : 1
; COMPUTE_PGM_RSRC2:SCRATCH_EN: 0
; COMPUTE_PGM_RSRC2:USER_SGPR: 2
; COMPUTE_PGM_RSRC2:TRAP_HANDLER: 0
; COMPUTE_PGM_RSRC2:TGID_X_EN: 1
; COMPUTE_PGM_RSRC2:TGID_Y_EN: 0
; COMPUTE_PGM_RSRC2:TGID_Z_EN: 0
; COMPUTE_PGM_RSRC2:TIDIG_COMP_CNT: 1
; COMPUTE_PGM_RSRC3_GFX90A:ACCUM_OFFSET: 10
; COMPUTE_PGM_RSRC3_GFX90A:TG_SPLIT: 0
	.section	.text._ZL20rocblas_gemvn_kernelILi64ELi4EiDF16_PKfDF16_EviiT3_lPKT2_lT1_lS5_lS6_lS2_lPT4_lS6_li,"axG",@progbits,_ZL20rocblas_gemvn_kernelILi64ELi4EiDF16_PKfDF16_EviiT3_lPKT2_lT1_lS5_lS6_lS2_lPT4_lS6_li,comdat
	.globl	_ZL20rocblas_gemvn_kernelILi64ELi4EiDF16_PKfDF16_EviiT3_lPKT2_lT1_lS5_lS6_lS2_lPT4_lS6_li ; -- Begin function _ZL20rocblas_gemvn_kernelILi64ELi4EiDF16_PKfDF16_EviiT3_lPKT2_lT1_lS5_lS6_lS2_lPT4_lS6_li
	.p2align	8
	.type	_ZL20rocblas_gemvn_kernelILi64ELi4EiDF16_PKfDF16_EviiT3_lPKT2_lT1_lS5_lS6_lS2_lPT4_lS6_li,@function
_ZL20rocblas_gemvn_kernelILi64ELi4EiDF16_PKfDF16_EviiT3_lPKT2_lT1_lS5_lS6_lS2_lPT4_lS6_li: ; @_ZL20rocblas_gemvn_kernelILi64ELi4EiDF16_PKfDF16_EviiT3_lPKT2_lT1_lS5_lS6_lS2_lPT4_lS6_li
; %bb.0:
	s_load_dwordx2 s[4:5], s[0:1], 0x9c
	s_waitcnt lgkmcnt(0)
	s_lshr_b32 s6, s4, 16
	s_and_b32 s4, s4, 0xffff
	s_and_b32 s5, s5, 0xffff
	s_mul_i32 s4, s6, s4
	s_mul_i32 s4, s4, s5
	s_cmpk_lg_i32 s4, 0x100
	s_cbranch_scc1 .LBB382_50
; %bb.1:
	s_load_dwordx8 s[12:19], s[0:1], 0x8
	s_load_dwordx8 s[4:11], s[0:1], 0x50
	s_waitcnt lgkmcnt(0)
	s_mul_i32 s15, s3, s15
	s_mul_hi_u32 s20, s3, s14
	s_mul_i32 s14, s3, s14
	s_add_i32 s15, s20, s15
	s_lshl_b64 s[14:15], s[14:15], 2
	s_add_u32 s12, s12, s14
	s_addc_u32 s13, s13, s15
	s_mul_i32 s9, s3, s9
	s_load_dword s28, s[12:13], 0x0
	s_mul_hi_u32 s12, s3, s8
	s_add_i32 s9, s12, s9
	s_mul_i32 s8, s3, s8
	s_lshl_b64 s[8:9], s[8:9], 2
	s_add_u32 s6, s6, s8
	s_addc_u32 s7, s7, s9
	s_load_dword s29, s[6:7], 0x0
	s_waitcnt lgkmcnt(0)
	v_cmp_eq_f32_e64 s[6:7], s28, 0
	v_cmp_eq_f32_e64 s[8:9], s29, 1.0
	s_and_b64 s[6:7], s[6:7], s[8:9]
	s_and_b64 vcc, exec, s[6:7]
	s_cbranch_vccnz .LBB382_50
; %bb.2:
	s_load_dwordx2 s[6:7], s[0:1], 0x80
	s_load_dword s30, s[0:1], 0x78
	s_load_dwordx2 s[8:9], s[0:1], 0x70
	s_load_dwordx2 s[12:13], s[0:1], 0x0
	v_and_b32_e32 v2, 0x3ff, v0
	s_waitcnt lgkmcnt(0)
	s_mul_i32 s7, s3, s7
	s_mul_hi_u32 s14, s3, s6
	s_add_i32 s7, s14, s7
	s_mul_i32 s6, s3, s6
	s_lshl_b64 s[6:7], s[6:7], 1
	s_add_u32 s10, s10, s6
	s_addc_u32 s11, s11, s7
	s_lshl_b64 s[6:7], s[8:9], 1
	s_add_u32 s8, s10, s6
	s_addc_u32 s9, s11, s7
	v_bfe_u32 v14, v0, 10, 10
	v_cmp_neq_f32_e64 s[6:7], s28, 0
	v_lshl_add_u32 v3, v14, 6, v2
	s_and_b64 vcc, exec, s[6:7]
	s_cbranch_vccnz .LBB382_9
; %bb.3:
	s_movk_i32 s6, 0x100
	v_cmp_gt_u32_e32 vcc, s6, v3
	s_mov_b64 s[6:7], 0
	s_mov_b64 s[10:11], 0
                                        ; implicit-def: $vgpr5
                                        ; implicit-def: $vgpr0_vgpr1
	s_and_saveexec_b64 s[14:15], vcc
	s_cbranch_execz .LBB382_10
; %bb.4:
	v_lshl_or_b32 v4, s2, 8, v3
	v_mov_b32_e32 v5, 0
	s_ashr_i32 s11, s12, 31
	s_mov_b32 s10, s12
	v_cmp_gt_i64_e32 vcc, s[10:11], v[4:5]
	s_mov_b64 s[20:21], 0
                                        ; implicit-def: $vgpr0_vgpr1
	s_and_saveexec_b64 s[10:11], vcc
	s_cbranch_execz .LBB382_8
; %bb.5:
	v_mad_u64_u32 v[0:1], s[22:23], s30, v4, 0
	s_ashr_i32 s24, s30, 31
	v_mov_b32_e32 v6, v1
	v_cmp_eq_f32_e64 s[20:21], s29, 0
	v_mad_u64_u32 v[6:7], s[22:23], s24, v4, v[6:7]
	v_mov_b32_e32 v1, v6
	s_and_b64 vcc, exec, s[20:21]
	s_cbranch_vccnz .LBB382_7
; %bb.6:
	v_lshl_add_u64 v[4:5], v[0:1], 1, s[8:9]
	global_load_ushort v4, v[4:5], off
	s_waitcnt vmcnt(0)
	v_fma_mixlo_f16 v5, s29, v4, 0 op_sel_hi:[0,1,0]
.LBB382_7:
	s_mov_b64 s[20:21], exec
.LBB382_8:
	s_or_b64 exec, exec, s[10:11]
	s_and_b64 s[10:11], s[20:21], exec
	s_or_b64 exec, exec, s[14:15]
	s_and_b64 vcc, exec, s[6:7]
	s_cbranch_vccnz .LBB382_11
	s_branch .LBB382_48
.LBB382_9:
	s_mov_b64 s[10:11], 0
                                        ; implicit-def: $vgpr5
                                        ; implicit-def: $vgpr0_vgpr1
	s_cbranch_execnz .LBB382_11
	s_branch .LBB382_48
.LBB382_10:
	s_or_b64 exec, exec, s[14:15]
	s_and_b64 vcc, exec, s[6:7]
	s_cbranch_vccz .LBB382_48
.LBB382_11:
	s_load_dwordx4 s[20:23], s[0:1], 0x30
	s_load_dword s33, s[0:1], 0x28
	s_load_dwordx2 s[6:7], s[0:1], 0x40
	s_load_dword s34, s[0:1], 0x48
	v_lshlrev_b32_e32 v20, 2, v14
	s_waitcnt lgkmcnt(0)
	s_mul_i32 s0, s3, s21
	s_mul_hi_u32 s1, s3, s20
	s_add_i32 s1, s1, s0
	s_mul_i32 s0, s3, s20
	s_lshl_b64 s[0:1], s[0:1], 1
	s_add_u32 s14, s16, s0
	s_addc_u32 s15, s17, s1
	s_lshl_b64 s[0:1], s[18:19], 1
	s_add_u32 s14, s14, s0
	s_addc_u32 s15, s15, s1
	s_mul_i32 s0, s3, s5
	s_mul_hi_u32 s1, s3, s4
	s_add_i32 s1, s1, s0
	s_mul_i32 s0, s3, s4
	s_lshl_b64 s[0:1], s[0:1], 1
	s_add_u32 s3, s22, s0
	s_addc_u32 s4, s23, s1
	s_lshl_b64 s[0:1], s[6:7], 1
	s_add_u32 s16, s3, s0
	s_addc_u32 s17, s4, s1
	s_ashr_i32 s0, s13, 31
	s_lshr_b32 s0, s0, 28
	s_add_i32 s0, s13, s0
	s_lshl_b32 s31, s2, 8
	s_and_b32 s35, s0, -16
	v_add_u32_e32 v16, s31, v2
	v_cmp_gt_i32_e32 vcc, s35, v20
	v_mov_b32_e32 v19, 0
	v_mov_b32_e32 v18, 0
	;; [unrolled: 1-line block ×4, first 2 shown]
	s_and_saveexec_b64 s[18:19], vcc
	s_cbranch_execz .LBB382_23
; %bb.12:
	v_add_u32_e32 v0, 64, v16
	v_cmp_gt_i32_e64 s[0:1], s12, v0
	v_add_u32_e32 v0, 0x80, v16
	v_cmp_gt_i32_e64 s[2:3], s12, v0
	;; [unrolled: 2-line block ×3, first 2 shown]
	v_mul_lo_u32 v0, s33, v20
	v_add_u32_e32 v6, 2, v20
	v_add_u32_e32 v7, 3, v20
	v_add3_u32 v21, v0, s33, v2
	v_mad_u64_u32 v[0:1], s[6:7], s33, v6, v[2:3]
	v_mad_u64_u32 v[4:5], s[6:7], s33, v7, v[2:3]
	v_mul_lo_u32 v1, v14, s33
	v_mul_lo_u32 v5, s34, v20
	v_mul_lo_u32 v22, s34, v6
	v_mul_lo_u32 v6, v14, s34
	v_cmp_gt_i32_e32 vcc, s12, v16
	s_lshl_b32 s36, s33, 4
	v_lshl_add_u32 v1, v1, 2, v2
	v_add_u32_e32 v5, s34, v5
	s_lshl_b32 s37, s34, 4
	v_mul_lo_u32 v23, s34, v7
	v_lshlrev_b32_e32 v24, 2, v6
	s_mov_b32 s38, 0
	s_mov_b64 s[20:21], 0
	v_mov_b32_e32 v19, 0
	v_mov_b32_e32 v18, 0
	;; [unrolled: 1-line block ×4, first 2 shown]
	s_branch .LBB382_17
.LBB382_13:                             ;   in Loop: Header=BB382_17 Depth=1
	s_or_b64 exec, exec, s[26:27]
	s_waitcnt vmcnt(3)
	v_fma_mix_f32 v6, v37, v41, v17 op_sel_hi:[0,1,0]
	s_waitcnt vmcnt(2)
	v_fma_mix_f32 v6, v38, v42, v6 op_sel_hi:[0,1,0]
	;; [unrolled: 2-line block ×4, first 2 shown]
.LBB382_14:                             ;   in Loop: Header=BB382_17 Depth=1
	s_or_b64 exec, exec, s[24:25]
	s_waitcnt vmcnt(3)
	v_fma_mix_f32 v6, v37, v33, v18 op_sel_hi:[0,1,0]
	s_waitcnt vmcnt(2)
	v_fma_mix_f32 v6, v38, v34, v6 op_sel_hi:[0,1,0]
	;; [unrolled: 2-line block ×4, first 2 shown]
.LBB382_15:                             ;   in Loop: Header=BB382_17 Depth=1
	s_or_b64 exec, exec, s[22:23]
	s_waitcnt vmcnt(3)
	v_fma_mix_f32 v6, v25, v29, v19 op_sel_hi:[1,1,0]
	s_waitcnt vmcnt(2)
	v_fma_mix_f32 v6, v26, v30, v6 op_sel_hi:[1,1,0]
	;; [unrolled: 2-line block ×4, first 2 shown]
.LBB382_16:                             ;   in Loop: Header=BB382_17 Depth=1
	s_or_b64 exec, exec, s[6:7]
	v_add_u32_e32 v20, 16, v20
	s_add_i32 s38, s38, s37
	v_cmp_le_i32_e64 s[6:7], s35, v20
	v_add_u32_e32 v21, s36, v21
	v_add_u32_e32 v0, s36, v0
	;; [unrolled: 1-line block ×3, first 2 shown]
	s_or_b64 s[20:21], s[6:7], s[20:21]
	v_add_u32_e32 v1, s36, v1
	s_andn2_b64 exec, exec, s[20:21]
	s_cbranch_execz .LBB382_22
.LBB382_17:                             ; =>This Inner Loop Header: Depth=1
	s_and_saveexec_b64 s[6:7], vcc
	s_cbranch_execz .LBB382_16
; %bb.18:                               ;   in Loop: Header=BB382_17 Depth=1
	v_add_u32_e32 v6, s38, v24
	v_ashrrev_i32_e32 v7, 31, v6
	v_add_u32_e32 v8, s38, v5
	v_add_u32_e32 v10, s38, v22
	v_add_u32_e32 v12, s38, v23
	v_lshl_add_u64 v[6:7], v[6:7], 1, s[16:17]
	v_ashrrev_i32_e32 v9, 31, v8
	v_ashrrev_i32_e32 v11, 31, v10
	;; [unrolled: 1-line block ×3, first 2 shown]
	v_lshl_add_u64 v[8:9], v[8:9], 1, s[16:17]
	v_lshl_add_u64 v[10:11], v[10:11], 1, s[16:17]
	;; [unrolled: 1-line block ×3, first 2 shown]
	global_load_ushort v25, v[6:7], off
	global_load_ushort v26, v[8:9], off
	;; [unrolled: 1-line block ×4, first 2 shown]
	v_add_u32_e32 v6, s31, v1
	v_ashrrev_i32_e32 v7, 31, v6
	v_add_u32_e32 v8, s31, v21
	v_add_u32_e32 v10, s31, v0
	;; [unrolled: 1-line block ×3, first 2 shown]
	v_lshl_add_u64 v[6:7], v[6:7], 1, s[14:15]
	v_ashrrev_i32_e32 v9, 31, v8
	v_ashrrev_i32_e32 v11, 31, v10
	;; [unrolled: 1-line block ×3, first 2 shown]
	v_lshl_add_u64 v[8:9], v[8:9], 1, s[14:15]
	v_lshl_add_u64 v[10:11], v[10:11], 1, s[14:15]
	v_lshl_add_u64 v[12:13], v[12:13], 1, s[14:15]
	global_load_ushort v29, v[6:7], off
	global_load_ushort v30, v[8:9], off
	;; [unrolled: 1-line block ×4, first 2 shown]
	s_and_saveexec_b64 s[22:23], s[0:1]
	s_cbranch_execz .LBB382_15
; %bb.19:                               ;   in Loop: Header=BB382_17 Depth=1
	global_load_ushort v33, v[6:7], off offset:128
	global_load_ushort v34, v[8:9], off offset:128
	;; [unrolled: 1-line block ×4, first 2 shown]
	s_waitcnt vmcnt(11)
	v_cvt_f32_f16_e32 v37, v25
	s_waitcnt vmcnt(10)
	v_cvt_f32_f16_e32 v38, v26
	;; [unrolled: 2-line block ×4, first 2 shown]
	s_and_saveexec_b64 s[24:25], s[2:3]
	s_cbranch_execz .LBB382_14
; %bb.20:                               ;   in Loop: Header=BB382_17 Depth=1
	global_load_ushort v41, v[6:7], off offset:256
	global_load_ushort v42, v[8:9], off offset:256
	;; [unrolled: 1-line block ×4, first 2 shown]
	s_and_saveexec_b64 s[26:27], s[4:5]
	s_cbranch_execz .LBB382_13
; %bb.21:                               ;   in Loop: Header=BB382_17 Depth=1
	global_load_ushort v45, v[6:7], off offset:384
	global_load_ushort v46, v[8:9], off offset:384
	;; [unrolled: 1-line block ×4, first 2 shown]
	s_waitcnt vmcnt(3)
	v_fma_mix_f32 v6, v37, v45, v15 op_sel_hi:[0,1,0]
	s_waitcnt vmcnt(2)
	v_fma_mix_f32 v6, v38, v46, v6 op_sel_hi:[0,1,0]
	;; [unrolled: 2-line block ×4, first 2 shown]
	s_branch .LBB382_13
.LBB382_22:
	s_or_b64 exec, exec, s[20:21]
.LBB382_23:
	s_or_b64 exec, exec, s[18:19]
	s_sub_i32 s0, s13, s35
	s_cmp_lt_i32 s0, 1
	s_cbranch_scc1 .LBB382_41
; %bb.24:
	v_cmp_gt_i32_e32 vcc, s13, v20
	v_mov_b32_e32 v10, 0
	v_or_b32_e32 v4, 1, v20
	v_mov_b32_e32 v11, 0
	v_mov_b32_e32 v12, 0
	;; [unrolled: 1-line block ×3, first 2 shown]
	s_and_saveexec_b64 s[2:3], vcc
	s_cbranch_execz .LBB382_32
; %bb.25:
	v_mul_lo_u32 v0, v20, s34
	v_ashrrev_i32_e32 v1, 31, v0
	v_lshl_add_u64 v[0:1], v[0:1], 1, s[16:17]
	global_load_ushort v0, v[0:1], off
	v_cmp_gt_i32_e64 s[0:1], s13, v4
	v_mov_b32_e32 v12, 0
	v_mov_b32_e32 v11, 0
	;; [unrolled: 1-line block ×3, first 2 shown]
	s_and_saveexec_b64 s[4:5], s[0:1]
	s_cbranch_execz .LBB382_31
; %bb.26:
	v_mul_lo_u32 v6, v4, s34
	v_ashrrev_i32_e32 v7, 31, v6
	v_lshl_add_u64 v[6:7], v[6:7], 1, s[16:17]
	global_load_ushort v1, v[6:7], off
	v_or_b32_e32 v5, 2, v20
	v_cmp_gt_i32_e64 s[0:1], s13, v5
	v_mov_b32_e32 v11, 0
	v_mov_b32_e32 v10, 0
	s_and_saveexec_b64 s[6:7], s[0:1]
	s_cbranch_execz .LBB382_30
; %bb.27:
	v_mul_lo_u32 v6, v5, s34
	v_ashrrev_i32_e32 v7, 31, v6
	v_lshl_add_u64 v[6:7], v[6:7], 1, s[16:17]
	global_load_ushort v5, v[6:7], off
	v_or_b32_e32 v6, 3, v20
	v_cmp_gt_i32_e64 s[0:1], s13, v6
	v_mov_b32_e32 v10, 0
	s_and_saveexec_b64 s[18:19], s[0:1]
	s_cbranch_execz .LBB382_29
; %bb.28:
	v_mul_lo_u32 v6, v6, s34
	v_ashrrev_i32_e32 v7, 31, v6
	v_lshl_add_u64 v[6:7], v[6:7], 1, s[16:17]
	global_load_ushort v6, v[6:7], off
	s_waitcnt vmcnt(0)
	v_cvt_f32_f16_e32 v10, v6
.LBB382_29:
	s_or_b64 exec, exec, s[18:19]
	s_waitcnt vmcnt(0)
	v_cvt_f32_f16_e32 v11, v5
.LBB382_30:
	s_or_b64 exec, exec, s[6:7]
	s_waitcnt vmcnt(0)
	v_cvt_f32_f16_e32 v12, v1
.LBB382_31:
	s_or_b64 exec, exec, s[4:5]
	s_waitcnt vmcnt(0)
	v_cvt_f32_f16_e32 v13, v0
.LBB382_32:
	s_or_b64 exec, exec, s[2:3]
	v_cmp_gt_i32_e64 s[0:1], s12, v16
	s_and_saveexec_b64 s[2:3], s[0:1]
	s_cbranch_execz .LBB382_40
; %bb.33:
	v_mul_lo_u32 v0, v20, s33
	v_cndmask_b32_e32 v0, 0, v0, vcc
	v_mul_lo_u32 v5, v4, s33
	v_cmp_gt_i32_e32 vcc, s13, v4
	v_or_b32_e32 v6, 2, v20
	v_mul_lo_u32 v7, v6, s33
	v_cndmask_b32_e32 v4, 0, v5, vcc
	v_cmp_gt_i32_e32 vcc, s13, v6
	v_or_b32_e32 v8, 3, v20
	v_mul_lo_u32 v9, v8, s33
	v_cndmask_b32_e32 v6, 0, v7, vcc
	v_cmp_gt_i32_e32 vcc, s13, v8
	v_add_u32_e32 v0, v0, v16
	v_ashrrev_i32_e32 v1, 31, v0
	v_cndmask_b32_e32 v8, 0, v9, vcc
	v_add_u32_e32 v4, v4, v16
	v_add_u32_e32 v6, v6, v16
	;; [unrolled: 1-line block ×3, first 2 shown]
	v_lshl_add_u64 v[0:1], v[0:1], 1, s[14:15]
	v_ashrrev_i32_e32 v5, 31, v4
	v_ashrrev_i32_e32 v7, 31, v6
	;; [unrolled: 1-line block ×3, first 2 shown]
	v_lshl_add_u64 v[4:5], v[4:5], 1, s[14:15]
	v_lshl_add_u64 v[6:7], v[6:7], 1, s[14:15]
	global_load_ushort v21, v[0:1], off
	global_load_ushort v22, v[4:5], off
	;; [unrolled: 1-line block ×3, first 2 shown]
	v_lshl_add_u64 v[8:9], v[8:9], 1, s[14:15]
	global_load_ushort v20, v[8:9], off
	v_add_u32_e32 v24, 64, v16
	v_cmp_gt_i32_e32 vcc, s12, v24
	s_waitcnt vmcnt(3)
	v_fma_mix_f32 v19, v13, v21, v19 op_sel_hi:[0,1,0]
	s_waitcnt vmcnt(2)
	v_fma_mix_f32 v19, v12, v22, v19 op_sel_hi:[0,1,0]
	s_waitcnt vmcnt(1)
	v_fma_mix_f32 v19, v11, v23, v19 op_sel_hi:[0,1,0]
	s_and_saveexec_b64 s[0:1], vcc
	s_cbranch_execz .LBB382_39
; %bb.34:
	global_load_ushort v22, v[0:1], off offset:128
	global_load_ushort v23, v[4:5], off offset:128
	global_load_ushort v24, v[6:7], off offset:128
	global_load_ushort v21, v[8:9], off offset:128
	v_add_u32_e32 v25, 0x80, v16
	v_cmp_gt_i32_e32 vcc, s12, v25
	s_waitcnt vmcnt(3)
	v_fma_mix_f32 v18, v13, v22, v18 op_sel_hi:[0,1,0]
	s_waitcnt vmcnt(2)
	v_fma_mix_f32 v18, v12, v23, v18 op_sel_hi:[0,1,0]
	s_waitcnt vmcnt(1)
	v_fma_mix_f32 v18, v11, v24, v18 op_sel_hi:[0,1,0]
	s_and_saveexec_b64 s[4:5], vcc
	s_cbranch_execz .LBB382_38
; %bb.35:
	global_load_ushort v23, v[0:1], off offset:256
	global_load_ushort v24, v[4:5], off offset:256
	global_load_ushort v25, v[6:7], off offset:256
	global_load_ushort v22, v[8:9], off offset:256
	;; [unrolled: 15-line block ×3, first 2 shown]
	s_waitcnt vmcnt(3)
	v_fma_mix_f32 v0, v13, v17, v15 op_sel_hi:[0,1,0]
	s_waitcnt vmcnt(2)
	v_fma_mix_f32 v0, v12, v23, v0 op_sel_hi:[0,1,0]
	;; [unrolled: 2-line block ×4, first 2 shown]
.LBB382_37:
	s_or_b64 exec, exec, s[6:7]
	s_waitcnt vmcnt(0)
	v_fma_mix_f32 v17, v10, v22, v16 op_sel_hi:[0,1,0]
.LBB382_38:
	s_or_b64 exec, exec, s[4:5]
	s_waitcnt vmcnt(0)
	v_fma_mix_f32 v18, v10, v21, v18 op_sel_hi:[0,1,0]
.LBB382_39:
	s_or_b64 exec, exec, s[0:1]
	s_waitcnt vmcnt(0)
	v_fma_mix_f32 v19, v10, v20, v19 op_sel_hi:[0,1,0]
.LBB382_40:
	s_or_b64 exec, exec, s[2:3]
.LBB382_41:
	v_lshlrev_b32_e32 v0, 8, v14
	s_movk_i32 s0, 0x100
	v_add_lshl_u32 v0, v0, v2, 2
	v_cmp_gt_u32_e32 vcc, s0, v3
	ds_write2st64_b32 v0, v19, v18 offset1:1
	ds_write2st64_b32 v0, v17, v15 offset0:2 offset1:3
	s_waitcnt lgkmcnt(0)
	s_barrier
	s_waitcnt lgkmcnt(0)
                                        ; implicit-def: $vgpr5
                                        ; implicit-def: $vgpr0_vgpr1
	s_and_saveexec_b64 s[0:1], vcc
	s_cbranch_execz .LBB382_47
; %bb.42:
	v_lshlrev_b32_e32 v6, 2, v3
	ds_read2st64_b32 v[0:1], v6 offset1:4
	ds_read2st64_b32 v[4:5], v6 offset0:8 offset1:12
	v_or_b32_e32 v3, s31, v3
	v_cmp_gt_i32_e32 vcc, s12, v3
	s_mov_b64 s[4:5], s[10:11]
	s_waitcnt lgkmcnt(1)
	v_add_f32_e32 v0, v0, v1
	s_waitcnt lgkmcnt(0)
	v_add_f32_e32 v0, v4, v0
	v_add_f32_e32 v2, v5, v0
	ds_write_b32 v6, v2
                                        ; implicit-def: $vgpr5
                                        ; implicit-def: $vgpr0_vgpr1
	s_and_saveexec_b64 s[2:3], vcc
	s_cbranch_execz .LBB382_46
; %bb.43:
	v_cmp_eq_f32_e64 s[4:5], s29, 0
	v_mul_lo_u32 v0, v3, s30
	v_mul_f32_e32 v2, s28, v2
	v_ashrrev_i32_e32 v1, 31, v0
	s_and_b64 vcc, exec, s[4:5]
	s_cbranch_vccnz .LBB382_45
; %bb.44:
	v_lshl_add_u64 v[4:5], v[0:1], 1, s[8:9]
	global_load_ushort v3, v[4:5], off
	s_waitcnt vmcnt(0)
	v_fma_mix_f32 v2, s29, v3, v2 op_sel_hi:[0,1,0]
.LBB382_45:
	v_cvt_f16_f32_e32 v5, v2
	s_or_b64 s[4:5], s[10:11], exec
.LBB382_46:
	s_or_b64 exec, exec, s[2:3]
	s_andn2_b64 s[2:3], s[10:11], exec
	s_and_b64 s[4:5], s[4:5], exec
	s_or_b64 s[10:11], s[2:3], s[4:5]
.LBB382_47:
	s_or_b64 exec, exec, s[0:1]
.LBB382_48:
	s_and_saveexec_b64 s[0:1], s[10:11]
	s_cbranch_execz .LBB382_50
; %bb.49:
	v_lshl_add_u64 v[0:1], v[0:1], 1, s[8:9]
	global_store_short v[0:1], v5, off
.LBB382_50:
	s_endpgm
	.section	.rodata,"a",@progbits
	.p2align	6, 0x0
	.amdhsa_kernel _ZL20rocblas_gemvn_kernelILi64ELi4EiDF16_PKfDF16_EviiT3_lPKT2_lT1_lS5_lS6_lS2_lPT4_lS6_li
		.amdhsa_group_segment_fixed_size 4096
		.amdhsa_private_segment_fixed_size 0
		.amdhsa_kernarg_size 400
		.amdhsa_user_sgpr_count 2
		.amdhsa_user_sgpr_dispatch_ptr 0
		.amdhsa_user_sgpr_queue_ptr 0
		.amdhsa_user_sgpr_kernarg_segment_ptr 1
		.amdhsa_user_sgpr_dispatch_id 0
		.amdhsa_user_sgpr_kernarg_preload_length 0
		.amdhsa_user_sgpr_kernarg_preload_offset 0
		.amdhsa_user_sgpr_private_segment_size 0
		.amdhsa_uses_dynamic_stack 0
		.amdhsa_enable_private_segment 0
		.amdhsa_system_sgpr_workgroup_id_x 1
		.amdhsa_system_sgpr_workgroup_id_y 0
		.amdhsa_system_sgpr_workgroup_id_z 1
		.amdhsa_system_sgpr_workgroup_info 0
		.amdhsa_system_vgpr_workitem_id 1
		.amdhsa_next_free_vgpr 49
		.amdhsa_next_free_sgpr 39
		.amdhsa_accum_offset 52
		.amdhsa_reserve_vcc 1
		.amdhsa_float_round_mode_32 0
		.amdhsa_float_round_mode_16_64 0
		.amdhsa_float_denorm_mode_32 3
		.amdhsa_float_denorm_mode_16_64 3
		.amdhsa_dx10_clamp 1
		.amdhsa_ieee_mode 1
		.amdhsa_fp16_overflow 0
		.amdhsa_tg_split 0
		.amdhsa_exception_fp_ieee_invalid_op 0
		.amdhsa_exception_fp_denorm_src 0
		.amdhsa_exception_fp_ieee_div_zero 0
		.amdhsa_exception_fp_ieee_overflow 0
		.amdhsa_exception_fp_ieee_underflow 0
		.amdhsa_exception_fp_ieee_inexact 0
		.amdhsa_exception_int_div_zero 0
	.end_amdhsa_kernel
	.section	.text._ZL20rocblas_gemvn_kernelILi64ELi4EiDF16_PKfDF16_EviiT3_lPKT2_lT1_lS5_lS6_lS2_lPT4_lS6_li,"axG",@progbits,_ZL20rocblas_gemvn_kernelILi64ELi4EiDF16_PKfDF16_EviiT3_lPKT2_lT1_lS5_lS6_lS2_lPT4_lS6_li,comdat
.Lfunc_end382:
	.size	_ZL20rocblas_gemvn_kernelILi64ELi4EiDF16_PKfDF16_EviiT3_lPKT2_lT1_lS5_lS6_lS2_lPT4_lS6_li, .Lfunc_end382-_ZL20rocblas_gemvn_kernelILi64ELi4EiDF16_PKfDF16_EviiT3_lPKT2_lT1_lS5_lS6_lS2_lPT4_lS6_li
                                        ; -- End function
	.section	.AMDGPU.csdata,"",@progbits
; Kernel info:
; codeLenInByte = 2504
; NumSgprs: 45
; NumVgprs: 49
; NumAgprs: 0
; TotalNumVgprs: 49
; ScratchSize: 0
; MemoryBound: 0
; FloatMode: 240
; IeeeMode: 1
; LDSByteSize: 4096 bytes/workgroup (compile time only)
; SGPRBlocks: 5
; VGPRBlocks: 6
; NumSGPRsForWavesPerEU: 45
; NumVGPRsForWavesPerEU: 49
; AccumOffset: 52
; Occupancy: 8
; WaveLimiterHint : 1
; COMPUTE_PGM_RSRC2:SCRATCH_EN: 0
; COMPUTE_PGM_RSRC2:USER_SGPR: 2
; COMPUTE_PGM_RSRC2:TRAP_HANDLER: 0
; COMPUTE_PGM_RSRC2:TGID_X_EN: 1
; COMPUTE_PGM_RSRC2:TGID_Y_EN: 0
; COMPUTE_PGM_RSRC2:TGID_Z_EN: 1
; COMPUTE_PGM_RSRC2:TIDIG_COMP_CNT: 1
; COMPUTE_PGM_RSRC3_GFX90A:ACCUM_OFFSET: 12
; COMPUTE_PGM_RSRC3_GFX90A:TG_SPLIT: 0
	.section	.text._ZL20rocblas_gemvn_kernelILi64ELi4ElDF16_PKfDF16_EviiT3_lPKT2_lT1_lS5_lS6_lS2_lPT4_lS6_li,"axG",@progbits,_ZL20rocblas_gemvn_kernelILi64ELi4ElDF16_PKfDF16_EviiT3_lPKT2_lT1_lS5_lS6_lS2_lPT4_lS6_li,comdat
	.globl	_ZL20rocblas_gemvn_kernelILi64ELi4ElDF16_PKfDF16_EviiT3_lPKT2_lT1_lS5_lS6_lS2_lPT4_lS6_li ; -- Begin function _ZL20rocblas_gemvn_kernelILi64ELi4ElDF16_PKfDF16_EviiT3_lPKT2_lT1_lS5_lS6_lS2_lPT4_lS6_li
	.p2align	8
	.type	_ZL20rocblas_gemvn_kernelILi64ELi4ElDF16_PKfDF16_EviiT3_lPKT2_lT1_lS5_lS6_lS2_lPT4_lS6_li,@function
_ZL20rocblas_gemvn_kernelILi64ELi4ElDF16_PKfDF16_EviiT3_lPKT2_lT1_lS5_lS6_lS2_lPT4_lS6_li: ; @_ZL20rocblas_gemvn_kernelILi64ELi4ElDF16_PKfDF16_EviiT3_lPKT2_lT1_lS5_lS6_lS2_lPT4_lS6_li
; %bb.0:
	s_load_dwordx2 s[4:5], s[0:1], 0x9c
	s_waitcnt lgkmcnt(0)
	s_lshr_b32 s6, s4, 16
	s_and_b32 s4, s4, 0xffff
	s_and_b32 s5, s5, 0xffff
	s_mul_i32 s4, s6, s4
	s_mul_i32 s4, s4, s5
	s_cmpk_lg_i32 s4, 0x100
	s_cbranch_scc1 .LBB383_50
; %bb.1:
	s_load_dwordx16 s[36:51], s[0:1], 0x8
	s_load_dwordx16 s[8:23], s[0:1], 0x48
	s_waitcnt lgkmcnt(0)
	s_mul_i32 s5, s3, s39
	s_mul_hi_u32 s6, s3, s38
	s_mul_i32 s4, s3, s38
	s_add_i32 s5, s6, s5
	s_lshl_b64 s[4:5], s[4:5], 2
	s_add_u32 s4, s36, s4
	s_addc_u32 s5, s37, s5
	s_mul_i32 s7, s3, s15
	s_load_dword s52, s[4:5], 0x0
	s_mul_hi_u32 s4, s3, s14
	s_add_i32 s5, s4, s7
	s_mul_i32 s4, s3, s14
	s_lshl_b64 s[4:5], s[4:5], 2
	s_add_u32 s4, s12, s4
	s_addc_u32 s5, s13, s5
	s_load_dword s33, s[4:5], 0x0
	s_waitcnt lgkmcnt(0)
	v_cmp_eq_f32_e64 s[4:5], s52, 0
	v_cmp_eq_f32_e64 s[6:7], s33, 1.0
	s_and_b64 s[4:5], s[4:5], s[6:7]
	s_and_b64 vcc, exec, s[4:5]
	s_cbranch_vccnz .LBB383_50
; %bb.2:
	s_load_dwordx2 s[14:15], s[0:1], 0x0
	s_mul_i32 s0, s3, s23
	s_mul_hi_u32 s1, s3, s22
	s_add_i32 s1, s1, s0
	s_mul_i32 s0, s3, s22
	s_lshl_b64 s[0:1], s[0:1], 1
	s_add_u32 s4, s16, s0
	s_addc_u32 s5, s17, s1
	s_lshl_b64 s[0:1], s[18:19], 1
	s_add_u32 s12, s4, s0
	s_addc_u32 s13, s5, s1
	v_and_b32_e32 v29, 0x3ff, v0
	v_bfe_u32 v30, v0, 10, 10
	v_cmp_neq_f32_e64 s[0:1], s52, 0
	v_lshl_add_u32 v28, v30, 6, v29
	s_and_b64 vcc, exec, s[0:1]
	s_cbranch_vccnz .LBB383_9
; %bb.3:
	s_movk_i32 s0, 0x100
	v_cmp_gt_u32_e32 vcc, s0, v28
	s_mov_b64 s[0:1], 0
	s_mov_b64 s[16:17], 0
                                        ; implicit-def: $vgpr3
                                        ; implicit-def: $vgpr0_vgpr1
	s_and_saveexec_b64 s[4:5], vcc
	s_cbranch_execz .LBB383_10
; %bb.4:
	v_lshl_or_b32 v2, s2, 8, v28
	v_mov_b32_e32 v3, 0
	s_waitcnt lgkmcnt(0)
	s_ashr_i32 s7, s14, 31
	s_mov_b32 s6, s14
	v_cmp_gt_i64_e32 vcc, s[6:7], v[2:3]
                                        ; implicit-def: $vgpr0_vgpr1
	s_and_saveexec_b64 s[6:7], vcc
	s_cbranch_execz .LBB383_8
; %bb.5:
	v_mad_u64_u32 v[0:1], s[18:19], v2, s20, 0
	v_mov_b32_e32 v4, v1
	v_cmp_eq_f32_e64 s[16:17], s33, 0
	v_mad_u64_u32 v[4:5], s[18:19], v2, s21, v[4:5]
	v_mov_b32_e32 v1, v4
	s_and_b64 vcc, exec, s[16:17]
	s_cbranch_vccnz .LBB383_7
; %bb.6:
	v_lshl_add_u64 v[2:3], v[0:1], 1, s[12:13]
	global_load_ushort v2, v[2:3], off
	s_waitcnt vmcnt(0)
	v_fma_mixlo_f16 v3, s33, v2, 0 op_sel_hi:[0,1,0]
.LBB383_7:
	s_mov_b64 s[16:17], exec
.LBB383_8:
	s_or_b64 exec, exec, s[6:7]
	s_and_b64 s[16:17], s[16:17], exec
	s_or_b64 exec, exec, s[4:5]
	s_and_b64 vcc, exec, s[0:1]
	s_cbranch_vccnz .LBB383_11
	s_branch .LBB383_48
.LBB383_9:
	s_mov_b64 s[16:17], 0
                                        ; implicit-def: $vgpr3
                                        ; implicit-def: $vgpr0_vgpr1
	s_cbranch_execnz .LBB383_11
	s_branch .LBB383_48
.LBB383_10:
	s_or_b64 exec, exec, s[4:5]
	s_and_b64 vcc, exec, s[0:1]
	s_cbranch_vccz .LBB383_48
.LBB383_11:
	s_mul_i32 s0, s3, s47
	s_mul_hi_u32 s1, s3, s46
	s_add_i32 s19, s1, s0
	s_mul_i32 s0, s3, s11
	s_mul_hi_u32 s1, s3, s10
	s_add_i32 s11, s1, s0
	s_waitcnt lgkmcnt(0)
	s_ashr_i32 s0, s15, 31
	s_lshr_b32 s0, s0, 28
	s_add_i32 s0, s15, s0
	s_mul_i32 s18, s3, s46
	s_lshl_b32 s46, s2, 8
	s_and_b32 s47, s0, -16
	v_lshlrev_b32_e32 v33, 2, v30
	s_mul_i32 s10, s3, s10
	v_add_u32_e32 v0, s46, v29
	v_cmp_gt_i32_e32 vcc, s47, v33
	v_mov_b32_e32 v35, 0
	v_mov_b32_e32 v34, 0
	;; [unrolled: 1-line block ×4, first 2 shown]
	s_and_saveexec_b64 s[22:23], vcc
	s_cbranch_execz .LBB383_23
; %bb.12:
	v_add_u32_e32 v2, 64, v0
	v_cmp_gt_i32_e64 s[0:1], s14, v2
	v_add_u32_e32 v2, 0x80, v0
	v_cmp_gt_i32_e64 s[2:3], s14, v2
	;; [unrolled: 2-line block ×3, first 2 shown]
	v_mad_u64_u32 v[2:3], s[6:7], s8, v30, 0
	v_mov_b32_e32 v4, v3
	v_ashrrev_i32_e32 v1, 31, v0
	v_mad_u64_u32 v[4:5], s[6:7], s9, v30, v[4:5]
	v_mov_b32_e32 v3, v4
	v_lshlrev_b64 v[4:5], 1, v[0:1]
	v_lshlrev_b32_e32 v1, 2, v30
	v_or_b32_e32 v11, 3, v1
	v_mad_u64_u32 v[6:7], s[28:29], s44, v11, 0
	v_mov_b32_e32 v8, v7
	v_mad_u64_u32 v[8:9], s[28:29], s45, v11, v[8:9]
	v_mov_b32_e32 v7, v8
	;; [unrolled: 2-line block ×5, first 2 shown]
	v_mad_u64_u32 v[12:13], s[34:35], s45, v30, v[12:13]
	v_or_b32_e32 v17, 2, v1
	v_mov_b32_e32 v11, v12
	v_mad_u64_u32 v[12:13], s[34:35], s44, v17, 0
	v_mov_b32_e32 v14, v13
	v_mad_u64_u32 v[14:15], s[34:35], s45, v17, v[14:15]
	;; [unrolled: 2-line block ×4, first 2 shown]
	v_mov_b32_e32 v15, v16
	v_mov_b64_e32 v[16:17], s[8:9]
	v_mad_u64_u32 v[16:17], s[34:35], s8, v1, v[16:17]
	s_lshl_b64 s[24:25], s[50:51], 1
	s_lshl_b64 s[6:7], s[10:11], 1
	v_mov_b32_e32 v18, v17
	s_add_u32 s6, s48, s6
	v_mad_u64_u32 v[18:19], s[34:35], s9, v1, v[18:19]
	s_addc_u32 s7, s49, s7
	s_lshl_b64 s[26:27], s[8:9], 5
	s_lshl_b64 s[28:29], s[18:19], 1
	;; [unrolled: 1-line block ×3, first 2 shown]
	v_mov_b32_e32 v17, v18
	v_mov_b64_e32 v[18:19], s[44:45]
	v_lshl_add_u64 v[2:3], v[2:3], 3, s[6:7]
	s_add_u32 s30, s40, s30
	v_lshl_add_u64 v[8:9], v[8:9], 1, s[6:7]
	v_lshl_add_u64 v[14:15], v[14:15], 1, s[6:7]
	;; [unrolled: 1-line block ×3, first 2 shown]
	v_mad_u64_u32 v[18:19], s[6:7], s44, v1, v[18:19]
	s_addc_u32 s31, s41, s31
	v_mov_b32_e32 v20, v19
	s_add_u32 s30, s30, s28
	v_mad_u64_u32 v[20:21], s[6:7], s45, v1, v[20:21]
	s_addc_u32 s31, s31, s29
	v_mov_b32_e32 v19, v20
	v_cmp_gt_i32_e32 vcc, s14, v0
	v_lshl_add_u64 v[6:7], v[6:7], 1, s[30:31]
	s_lshl_b64 s[28:29], s[44:45], 5
	v_lshl_add_u64 v[10:11], v[10:11], 3, s[30:31]
	v_lshl_add_u64 v[12:13], v[12:13], 1, s[30:31]
	;; [unrolled: 1-line block ×3, first 2 shown]
	s_mov_b64 s[30:31], 0
	v_mov_b32_e32 v35, 0
	v_mov_b32_e32 v34, 0
	;; [unrolled: 1-line block ×4, first 2 shown]
	s_branch .LBB383_17
.LBB383_13:                             ;   in Loop: Header=BB383_17 Depth=1
	s_or_b64 exec, exec, s[38:39]
	s_waitcnt vmcnt(3)
	v_fma_mix_f32 v20, v47, v51, v32 op_sel_hi:[0,1,0]
	s_waitcnt vmcnt(2)
	v_fma_mix_f32 v20, v48, v52, v20 op_sel_hi:[0,1,0]
	;; [unrolled: 2-line block ×4, first 2 shown]
.LBB383_14:                             ;   in Loop: Header=BB383_17 Depth=1
	s_or_b64 exec, exec, s[36:37]
	s_waitcnt vmcnt(3)
	v_fma_mix_f32 v20, v47, v43, v34 op_sel_hi:[0,1,0]
	s_waitcnt vmcnt(2)
	v_fma_mix_f32 v20, v48, v44, v20 op_sel_hi:[0,1,0]
	;; [unrolled: 2-line block ×4, first 2 shown]
.LBB383_15:                             ;   in Loop: Header=BB383_17 Depth=1
	s_or_b64 exec, exec, s[34:35]
	s_waitcnt vmcnt(3)
	v_fma_mix_f32 v1, v1, v39, v35 op_sel_hi:[1,1,0]
	s_waitcnt vmcnt(2)
	v_fma_mix_f32 v1, v36, v40, v1 op_sel_hi:[1,1,0]
	;; [unrolled: 2-line block ×4, first 2 shown]
.LBB383_16:                             ;   in Loop: Header=BB383_17 Depth=1
	s_or_b64 exec, exec, s[6:7]
	v_add_u32_e32 v33, 16, v33
	v_cmp_le_i32_e64 s[6:7], s47, v33
	v_lshl_add_u64 v[2:3], v[2:3], 0, s[26:27]
	v_lshl_add_u64 v[6:7], v[6:7], 0, s[28:29]
	;; [unrolled: 1-line block ×7, first 2 shown]
	s_or_b64 s[30:31], s[6:7], s[30:31]
	v_lshl_add_u64 v[18:19], v[18:19], 0, s[28:29]
	s_andn2_b64 exec, exec, s[30:31]
	s_cbranch_execz .LBB383_22
.LBB383_17:                             ; =>This Inner Loop Header: Depth=1
	s_and_saveexec_b64 s[6:7], vcc
	s_cbranch_execz .LBB383_16
; %bb.18:                               ;   in Loop: Header=BB383_17 Depth=1
	v_lshl_add_u64 v[20:21], v[2:3], 0, s[24:25]
	global_load_ushort v1, v[20:21], off
	v_lshl_add_u64 v[20:21], v[16:17], 0, s[24:25]
	global_load_ushort v36, v[20:21], off
	;; [unrolled: 2-line block ×4, first 2 shown]
	v_lshl_add_u64 v[20:21], v[10:11], 0, v[4:5]
	v_lshl_add_u64 v[22:23], v[18:19], 0, v[4:5]
	;; [unrolled: 1-line block ×4, first 2 shown]
	global_load_ushort v39, v[20:21], off
	global_load_ushort v40, v[22:23], off
	;; [unrolled: 1-line block ×4, first 2 shown]
	s_and_saveexec_b64 s[34:35], s[0:1]
	s_cbranch_execz .LBB383_15
; %bb.19:                               ;   in Loop: Header=BB383_17 Depth=1
	global_load_ushort v43, v[20:21], off offset:128
	global_load_ushort v44, v[22:23], off offset:128
	;; [unrolled: 1-line block ×4, first 2 shown]
	s_waitcnt vmcnt(11)
	v_cvt_f32_f16_e32 v47, v1
	s_waitcnt vmcnt(10)
	v_cvt_f32_f16_e32 v48, v36
	;; [unrolled: 2-line block ×4, first 2 shown]
	s_and_saveexec_b64 s[36:37], s[2:3]
	s_cbranch_execz .LBB383_14
; %bb.20:                               ;   in Loop: Header=BB383_17 Depth=1
	global_load_ushort v51, v[20:21], off offset:256
	global_load_ushort v52, v[22:23], off offset:256
	;; [unrolled: 1-line block ×4, first 2 shown]
	s_and_saveexec_b64 s[38:39], s[4:5]
	s_cbranch_execz .LBB383_13
; %bb.21:                               ;   in Loop: Header=BB383_17 Depth=1
	global_load_ushort v20, v[20:21], off offset:384
	s_nop 0
	global_load_ushort v21, v[22:23], off offset:384
	s_nop 0
	global_load_ushort v22, v[24:25], off offset:384
	global_load_ushort v23, v[26:27], off offset:384
	s_waitcnt vmcnt(3)
	v_fma_mix_f32 v20, v47, v20, v31 op_sel_hi:[0,1,0]
	s_waitcnt vmcnt(2)
	v_fma_mix_f32 v20, v48, v21, v20 op_sel_hi:[0,1,0]
	;; [unrolled: 2-line block ×4, first 2 shown]
	s_branch .LBB383_13
.LBB383_22:
	s_or_b64 exec, exec, s[30:31]
.LBB383_23:
	s_or_b64 exec, exec, s[22:23]
	s_sub_i32 s0, s15, s47
	s_cmp_lt_i32 s0, 1
	s_cbranch_scc1 .LBB383_41
; %bb.24:
	v_cmp_gt_i32_e32 vcc, s15, v33
	v_mov_b32_e32 v10, 0
	v_or_b32_e32 v4, 1, v33
	v_mov_b32_e32 v11, 0
	v_mov_b32_e32 v12, 0
	;; [unrolled: 1-line block ×3, first 2 shown]
	s_and_saveexec_b64 s[2:3], vcc
	s_cbranch_execz .LBB383_32
; %bb.25:
	s_lshl_b64 s[0:1], s[10:11], 1
	s_add_u32 s4, s48, s0
	s_addc_u32 s5, s49, s1
	s_lshl_b64 s[0:1], s[50:51], 1
	s_add_u32 s6, s4, s0
	s_addc_u32 s7, s5, s1
	v_mad_u64_u32 v[2:3], s[0:1], v33, s8, 0
	v_mov_b32_e32 v6, v3
	v_mad_u64_u32 v[6:7], s[0:1], v33, s9, v[6:7]
	v_mov_b32_e32 v3, v6
	v_lshl_add_u64 v[2:3], v[2:3], 1, s[6:7]
	global_load_ushort v1, v[2:3], off
	v_cmp_gt_i32_e64 s[0:1], s15, v4
	v_mov_b32_e32 v12, 0
	v_mov_b32_e32 v11, 0
	;; [unrolled: 1-line block ×3, first 2 shown]
	s_and_saveexec_b64 s[4:5], s[0:1]
	s_cbranch_execz .LBB383_31
; %bb.26:
	v_mad_u64_u32 v[2:3], s[0:1], v4, s8, 0
	v_mov_b32_e32 v6, v3
	v_mad_u64_u32 v[6:7], s[0:1], v4, s9, v[6:7]
	v_mov_b32_e32 v3, v6
	v_lshl_add_u64 v[2:3], v[2:3], 1, s[6:7]
	global_load_ushort v2, v[2:3], off
	v_or_b32_e32 v3, 2, v33
	v_cmp_gt_i32_e64 s[0:1], s15, v3
	v_mov_b32_e32 v11, 0
	v_mov_b32_e32 v10, 0
	s_and_saveexec_b64 s[10:11], s[0:1]
	s_cbranch_execz .LBB383_30
; %bb.27:
	v_mad_u64_u32 v[6:7], s[0:1], v3, s8, 0
	v_mov_b32_e32 v8, v7
	v_mad_u64_u32 v[8:9], s[0:1], v3, s9, v[8:9]
	v_mov_b32_e32 v7, v8
	v_lshl_add_u64 v[6:7], v[6:7], 1, s[6:7]
	global_load_ushort v3, v[6:7], off
	v_or_b32_e32 v5, 3, v33
	v_cmp_gt_i32_e64 s[0:1], s15, v5
	v_mov_b32_e32 v10, 0
	s_and_saveexec_b64 s[22:23], s[0:1]
	s_cbranch_execz .LBB383_29
; %bb.28:
	v_mad_u64_u32 v[6:7], s[0:1], v5, s8, 0
	v_mov_b32_e32 v8, v7
	v_mad_u64_u32 v[8:9], s[0:1], v5, s9, v[8:9]
	v_mov_b32_e32 v7, v8
	v_lshl_add_u64 v[6:7], v[6:7], 1, s[6:7]
	global_load_ushort v5, v[6:7], off
	s_waitcnt vmcnt(0)
	v_cvt_f32_f16_e32 v10, v5
.LBB383_29:
	s_or_b64 exec, exec, s[22:23]
	s_waitcnt vmcnt(0)
	v_cvt_f32_f16_e32 v11, v3
.LBB383_30:
	s_or_b64 exec, exec, s[10:11]
	s_waitcnt vmcnt(0)
	v_cvt_f32_f16_e32 v12, v2
.LBB383_31:
	s_or_b64 exec, exec, s[4:5]
	s_waitcnt vmcnt(0)
	v_cvt_f32_f16_e32 v13, v1
.LBB383_32:
	s_or_b64 exec, exec, s[2:3]
	v_cmp_gt_i32_e64 s[0:1], s14, v0
	s_and_saveexec_b64 s[2:3], s[0:1]
	s_cbranch_execz .LBB383_40
; %bb.33:
	s_lshl_b64 s[0:1], s[18:19], 1
	s_add_u32 s4, s40, s0
	s_addc_u32 s5, s41, s1
	s_lshl_b64 s[0:1], s[42:43], 1
	s_add_u32 s0, s4, s0
	s_addc_u32 s1, s5, s1
	v_mad_u64_u32 v[2:3], s[4:5], v33, s44, 0
	v_mov_b32_e32 v6, v3
	v_mad_u64_u32 v[6:7], s[4:5], v33, s45, v[6:7]
	v_ashrrev_i32_e32 v1, 31, v0
	v_cndmask_b32_e32 v3, 0, v6, vcc
	v_mad_u64_u32 v[6:7], s[4:5], v4, s44, 0
	v_cndmask_b32_e32 v2, 0, v2, vcc
	v_lshlrev_b64 v[8:9], 1, v[0:1]
	v_mov_b32_e32 v14, v7
	v_cmp_gt_i32_e32 vcc, s15, v4
	v_or_b32_e32 v1, 2, v33
	v_mad_u64_u32 v[14:15], s[4:5], v4, s45, v[14:15]
	v_cndmask_b32_e32 v4, 0, v6, vcc
	v_mad_u64_u32 v[6:7], s[4:5], v1, s44, 0
	v_cndmask_b32_e32 v5, 0, v14, vcc
	v_mov_b32_e32 v14, v7
	v_mad_u64_u32 v[14:15], s[4:5], v1, s45, v[14:15]
	v_cmp_gt_i32_e32 vcc, s15, v1
	v_or_b32_e32 v1, 3, v33
	v_lshl_add_u64 v[2:3], v[2:3], 1, s[0:1]
	v_cndmask_b32_e32 v7, 0, v14, vcc
	v_mad_u64_u32 v[14:15], s[4:5], v1, s44, 0
	v_mov_b32_e32 v16, v15
	v_cndmask_b32_e32 v6, 0, v6, vcc
	v_mad_u64_u32 v[16:17], s[4:5], v1, s45, v[16:17]
	v_cmp_gt_i32_e32 vcc, s15, v1
	v_lshl_add_u64 v[2:3], v[2:3], 0, v[8:9]
	v_lshl_add_u64 v[4:5], v[4:5], 1, s[0:1]
	v_cndmask_b32_e32 v14, 0, v14, vcc
	v_cndmask_b32_e32 v15, 0, v16, vcc
	v_lshl_add_u64 v[6:7], v[6:7], 1, s[0:1]
	v_lshl_add_u64 v[14:15], v[14:15], 1, s[0:1]
	;; [unrolled: 1-line block ×4, first 2 shown]
	global_load_ushort v16, v[2:3], off
	global_load_ushort v17, v[4:5], off
	global_load_ushort v18, v[6:7], off
	v_lshl_add_u64 v[8:9], v[14:15], 0, v[8:9]
	global_load_ushort v1, v[8:9], off
	v_add_u32_e32 v15, 64, v0
	v_cmp_gt_i32_e32 vcc, s14, v15
	s_waitcnt vmcnt(3)
	v_fma_mix_f32 v14, v13, v16, v35 op_sel_hi:[0,1,0]
	s_waitcnt vmcnt(2)
	v_fma_mix_f32 v14, v12, v17, v14 op_sel_hi:[0,1,0]
	s_waitcnt vmcnt(1)
	v_fma_mix_f32 v14, v11, v18, v14 op_sel_hi:[0,1,0]
	s_and_saveexec_b64 s[0:1], vcc
	s_cbranch_execz .LBB383_39
; %bb.34:
	global_load_ushort v16, v[2:3], off offset:128
	global_load_ushort v17, v[4:5], off offset:128
	global_load_ushort v18, v[6:7], off offset:128
	global_load_ushort v15, v[8:9], off offset:128
	v_add_u32_e32 v19, 0x80, v0
	v_cmp_gt_i32_e32 vcc, s14, v19
	s_waitcnt vmcnt(3)
	v_fma_mix_f32 v16, v13, v16, v34 op_sel_hi:[0,1,0]
	s_waitcnt vmcnt(2)
	v_fma_mix_f32 v16, v12, v17, v16 op_sel_hi:[0,1,0]
	s_waitcnt vmcnt(1)
	v_fma_mix_f32 v16, v11, v18, v16 op_sel_hi:[0,1,0]
	s_and_saveexec_b64 s[4:5], vcc
	s_cbranch_execz .LBB383_38
; %bb.35:
	global_load_ushort v18, v[2:3], off offset:256
	global_load_ushort v19, v[4:5], off offset:256
	global_load_ushort v20, v[6:7], off offset:256
	global_load_ushort v17, v[8:9], off offset:256
	;; [unrolled: 15-line block ×3, first 2 shown]
	s_waitcnt vmcnt(3)
	v_fma_mix_f32 v2, v13, v18, v31 op_sel_hi:[0,1,0]
	s_waitcnt vmcnt(2)
	v_fma_mix_f32 v2, v12, v19, v2 op_sel_hi:[0,1,0]
	;; [unrolled: 2-line block ×4, first 2 shown]
.LBB383_37:
	s_or_b64 exec, exec, s[6:7]
	s_waitcnt vmcnt(0)
	v_fma_mix_f32 v32, v10, v17, v0 op_sel_hi:[0,1,0]
.LBB383_38:
	s_or_b64 exec, exec, s[4:5]
	s_waitcnt vmcnt(0)
	v_fma_mix_f32 v34, v10, v15, v16 op_sel_hi:[0,1,0]
.LBB383_39:
	s_or_b64 exec, exec, s[0:1]
	s_waitcnt vmcnt(0)
	v_fma_mix_f32 v35, v10, v1, v14 op_sel_hi:[0,1,0]
.LBB383_40:
	s_or_b64 exec, exec, s[2:3]
.LBB383_41:
	v_lshlrev_b32_e32 v0, 8, v30
	s_movk_i32 s0, 0x100
	v_add_lshl_u32 v0, v0, v29, 2
	v_cmp_gt_u32_e32 vcc, s0, v28
	ds_write2st64_b32 v0, v35, v34 offset1:1
	ds_write2st64_b32 v0, v32, v31 offset0:2 offset1:3
	s_waitcnt lgkmcnt(0)
	s_barrier
	s_waitcnt lgkmcnt(0)
                                        ; implicit-def: $vgpr3
                                        ; implicit-def: $vgpr0_vgpr1
	s_and_saveexec_b64 s[0:1], vcc
	s_cbranch_execz .LBB383_47
; %bb.42:
	v_lshlrev_b32_e32 v5, 2, v28
	ds_read2st64_b32 v[0:1], v5 offset1:4
	ds_read2st64_b32 v[2:3], v5 offset0:8 offset1:12
	v_or_b32_e32 v4, s46, v28
	v_cmp_gt_i32_e32 vcc, s14, v4
	s_mov_b64 s[4:5], s[16:17]
	s_waitcnt lgkmcnt(1)
	v_add_f32_e32 v0, v0, v1
	s_waitcnt lgkmcnt(0)
	v_add_f32_e32 v0, v2, v0
	v_add_f32_e32 v2, v3, v0
	ds_write_b32 v5, v2
                                        ; implicit-def: $vgpr3
                                        ; implicit-def: $vgpr0_vgpr1
	s_and_saveexec_b64 s[2:3], vcc
	s_cbranch_execz .LBB383_46
; %bb.43:
	v_ashrrev_i32_e32 v0, 31, v4
	v_cmp_eq_f32_e64 s[4:5], s33, 0
	v_mul_lo_u32 v3, v4, s21
	v_mul_lo_u32 v5, v0, s20
	v_mad_u64_u32 v[0:1], s[6:7], v4, s20, 0
	v_mul_f32_e32 v2, s52, v2
	v_add3_u32 v1, v1, v3, v5
	s_and_b64 vcc, exec, s[4:5]
	s_cbranch_vccnz .LBB383_45
; %bb.44:
	v_lshl_add_u64 v[4:5], v[0:1], 1, s[12:13]
	global_load_ushort v3, v[4:5], off
	s_waitcnt vmcnt(0)
	v_fma_mix_f32 v2, s33, v3, v2 op_sel_hi:[0,1,0]
.LBB383_45:
	v_cvt_f16_f32_e32 v3, v2
	s_or_b64 s[4:5], s[16:17], exec
.LBB383_46:
	s_or_b64 exec, exec, s[2:3]
	s_andn2_b64 s[2:3], s[16:17], exec
	s_and_b64 s[4:5], s[4:5], exec
	s_or_b64 s[16:17], s[2:3], s[4:5]
.LBB383_47:
	s_or_b64 exec, exec, s[0:1]
.LBB383_48:
	s_and_saveexec_b64 s[0:1], s[16:17]
	s_cbranch_execz .LBB383_50
; %bb.49:
	v_lshl_add_u64 v[0:1], v[0:1], 1, s[12:13]
	global_store_short v[0:1], v3, off
.LBB383_50:
	s_endpgm
	.section	.rodata,"a",@progbits
	.p2align	6, 0x0
	.amdhsa_kernel _ZL20rocblas_gemvn_kernelILi64ELi4ElDF16_PKfDF16_EviiT3_lPKT2_lT1_lS5_lS6_lS2_lPT4_lS6_li
		.amdhsa_group_segment_fixed_size 4096
		.amdhsa_private_segment_fixed_size 0
		.amdhsa_kernarg_size 400
		.amdhsa_user_sgpr_count 2
		.amdhsa_user_sgpr_dispatch_ptr 0
		.amdhsa_user_sgpr_queue_ptr 0
		.amdhsa_user_sgpr_kernarg_segment_ptr 1
		.amdhsa_user_sgpr_dispatch_id 0
		.amdhsa_user_sgpr_kernarg_preload_length 0
		.amdhsa_user_sgpr_kernarg_preload_offset 0
		.amdhsa_user_sgpr_private_segment_size 0
		.amdhsa_uses_dynamic_stack 0
		.amdhsa_enable_private_segment 0
		.amdhsa_system_sgpr_workgroup_id_x 1
		.amdhsa_system_sgpr_workgroup_id_y 0
		.amdhsa_system_sgpr_workgroup_id_z 1
		.amdhsa_system_sgpr_workgroup_info 0
		.amdhsa_system_vgpr_workitem_id 1
		.amdhsa_next_free_vgpr 55
		.amdhsa_next_free_sgpr 53
		.amdhsa_accum_offset 56
		.amdhsa_reserve_vcc 1
		.amdhsa_float_round_mode_32 0
		.amdhsa_float_round_mode_16_64 0
		.amdhsa_float_denorm_mode_32 3
		.amdhsa_float_denorm_mode_16_64 3
		.amdhsa_dx10_clamp 1
		.amdhsa_ieee_mode 1
		.amdhsa_fp16_overflow 0
		.amdhsa_tg_split 0
		.amdhsa_exception_fp_ieee_invalid_op 0
		.amdhsa_exception_fp_denorm_src 0
		.amdhsa_exception_fp_ieee_div_zero 0
		.amdhsa_exception_fp_ieee_overflow 0
		.amdhsa_exception_fp_ieee_underflow 0
		.amdhsa_exception_fp_ieee_inexact 0
		.amdhsa_exception_int_div_zero 0
	.end_amdhsa_kernel
	.section	.text._ZL20rocblas_gemvn_kernelILi64ELi4ElDF16_PKfDF16_EviiT3_lPKT2_lT1_lS5_lS6_lS2_lPT4_lS6_li,"axG",@progbits,_ZL20rocblas_gemvn_kernelILi64ELi4ElDF16_PKfDF16_EviiT3_lPKT2_lT1_lS5_lS6_lS2_lPT4_lS6_li,comdat
.Lfunc_end383:
	.size	_ZL20rocblas_gemvn_kernelILi64ELi4ElDF16_PKfDF16_EviiT3_lPKT2_lT1_lS5_lS6_lS2_lPT4_lS6_li, .Lfunc_end383-_ZL20rocblas_gemvn_kernelILi64ELi4ElDF16_PKfDF16_EviiT3_lPKT2_lT1_lS5_lS6_lS2_lPT4_lS6_li
                                        ; -- End function
	.section	.AMDGPU.csdata,"",@progbits
; Kernel info:
; codeLenInByte = 2804
; NumSgprs: 59
; NumVgprs: 55
; NumAgprs: 0
; TotalNumVgprs: 55
; ScratchSize: 0
; MemoryBound: 0
; FloatMode: 240
; IeeeMode: 1
; LDSByteSize: 4096 bytes/workgroup (compile time only)
; SGPRBlocks: 7
; VGPRBlocks: 6
; NumSGPRsForWavesPerEU: 59
; NumVGPRsForWavesPerEU: 55
; AccumOffset: 56
; Occupancy: 8
; WaveLimiterHint : 0
; COMPUTE_PGM_RSRC2:SCRATCH_EN: 0
; COMPUTE_PGM_RSRC2:USER_SGPR: 2
; COMPUTE_PGM_RSRC2:TRAP_HANDLER: 0
; COMPUTE_PGM_RSRC2:TGID_X_EN: 1
; COMPUTE_PGM_RSRC2:TGID_Y_EN: 0
; COMPUTE_PGM_RSRC2:TGID_Z_EN: 1
; COMPUTE_PGM_RSRC2:TIDIG_COMP_CNT: 1
; COMPUTE_PGM_RSRC3_GFX90A:ACCUM_OFFSET: 13
; COMPUTE_PGM_RSRC3_GFX90A:TG_SPLIT: 0
	.section	.text._ZL20rocblas_gemvn_kernelILi64ELi4EiDF16_fDF16_EviiT3_lPKT2_lT1_lS3_lS4_lS0_lPT4_lS4_li,"axG",@progbits,_ZL20rocblas_gemvn_kernelILi64ELi4EiDF16_fDF16_EviiT3_lPKT2_lT1_lS3_lS4_lS0_lPT4_lS4_li,comdat
	.globl	_ZL20rocblas_gemvn_kernelILi64ELi4EiDF16_fDF16_EviiT3_lPKT2_lT1_lS3_lS4_lS0_lPT4_lS4_li ; -- Begin function _ZL20rocblas_gemvn_kernelILi64ELi4EiDF16_fDF16_EviiT3_lPKT2_lT1_lS3_lS4_lS0_lPT4_lS4_li
	.p2align	8
	.type	_ZL20rocblas_gemvn_kernelILi64ELi4EiDF16_fDF16_EviiT3_lPKT2_lT1_lS3_lS4_lS0_lPT4_lS4_li,@function
_ZL20rocblas_gemvn_kernelILi64ELi4EiDF16_fDF16_EviiT3_lPKT2_lT1_lS3_lS4_lS0_lPT4_lS4_li: ; @_ZL20rocblas_gemvn_kernelILi64ELi4EiDF16_fDF16_EviiT3_lPKT2_lT1_lS3_lS4_lS0_lPT4_lS4_li
; %bb.0:
	s_load_dwordx2 s[4:5], s[0:1], 0x9c
	s_waitcnt lgkmcnt(0)
	s_lshr_b32 s6, s4, 16
	s_and_b32 s4, s4, 0xffff
	s_and_b32 s5, s5, 0xffff
	s_mul_i32 s4, s6, s4
	s_mul_i32 s4, s4, s5
	s_cmpk_lg_i32 s4, 0x100
	s_cbranch_scc1 .LBB384_50
; %bb.1:
	s_load_dwordx4 s[8:11], s[0:1], 0x0
	s_waitcnt lgkmcnt(0)
	s_load_dword s11, s[0:1], 0x58
	v_cmp_eq_f32_e64 s[4:5], s10, 0
	s_waitcnt lgkmcnt(0)
	v_cmp_eq_f32_e64 s[6:7], s11, 1.0
	s_and_b64 s[4:5], s[4:5], s[6:7]
	s_and_b64 vcc, exec, s[4:5]
	s_cbranch_vccnz .LBB384_50
; %bb.2:
	s_load_dwordx2 s[12:13], s[0:1], 0x80
	s_load_dwordx4 s[4:7], s[0:1], 0x68
	s_load_dword s30, s[0:1], 0x78
	v_and_b32_e32 v2, 0x3ff, v0
	v_bfe_u32 v14, v0, 10, 10
	s_waitcnt lgkmcnt(0)
	s_mul_i32 s13, s3, s13
	s_mul_hi_u32 s14, s3, s12
	s_mul_i32 s12, s3, s12
	s_add_i32 s13, s14, s13
	s_lshl_b64 s[12:13], s[12:13], 1
	s_add_u32 s12, s4, s12
	s_addc_u32 s13, s5, s13
	s_lshl_b64 s[4:5], s[6:7], 1
	s_add_u32 s12, s12, s4
	s_addc_u32 s13, s13, s5
	v_cmp_neq_f32_e64 s[4:5], s10, 0
	v_lshl_add_u32 v3, v14, 6, v2
	s_and_b64 vcc, exec, s[4:5]
	s_cbranch_vccnz .LBB384_9
; %bb.3:
	s_movk_i32 s4, 0x100
	v_cmp_gt_u32_e32 vcc, s4, v3
	s_mov_b64 s[4:5], 0
	s_mov_b64 s[14:15], 0
                                        ; implicit-def: $vgpr5
                                        ; implicit-def: $vgpr0_vgpr1
	s_and_saveexec_b64 s[6:7], vcc
	s_cbranch_execz .LBB384_10
; %bb.4:
	v_lshl_or_b32 v4, s2, 8, v3
	v_mov_b32_e32 v5, 0
	s_ashr_i32 s15, s8, 31
	s_mov_b32 s14, s8
	v_cmp_gt_i64_e32 vcc, s[14:15], v[4:5]
	s_mov_b64 s[16:17], 0
                                        ; implicit-def: $vgpr0_vgpr1
	s_and_saveexec_b64 s[14:15], vcc
	s_cbranch_execz .LBB384_8
; %bb.5:
	v_mad_u64_u32 v[0:1], s[18:19], s30, v4, 0
	s_ashr_i32 s20, s30, 31
	v_mov_b32_e32 v6, v1
	v_cmp_eq_f32_e64 s[16:17], s11, 0
	v_mad_u64_u32 v[6:7], s[18:19], s20, v4, v[6:7]
	v_mov_b32_e32 v1, v6
	s_and_b64 vcc, exec, s[16:17]
	s_cbranch_vccnz .LBB384_7
; %bb.6:
	v_lshl_add_u64 v[4:5], v[0:1], 1, s[12:13]
	global_load_ushort v4, v[4:5], off
	s_waitcnt vmcnt(0)
	v_fma_mixlo_f16 v5, v4, s11, 0 op_sel_hi:[1,0,0]
.LBB384_7:
	s_mov_b64 s[16:17], exec
.LBB384_8:
	s_or_b64 exec, exec, s[14:15]
	s_and_b64 s[14:15], s[16:17], exec
	s_or_b64 exec, exec, s[6:7]
	s_and_b64 vcc, exec, s[4:5]
	s_cbranch_vccnz .LBB384_11
	s_branch .LBB384_48
.LBB384_9:
	s_mov_b64 s[14:15], 0
                                        ; implicit-def: $vgpr5
                                        ; implicit-def: $vgpr0_vgpr1
	s_cbranch_execnz .LBB384_11
	s_branch .LBB384_48
.LBB384_10:
	s_or_b64 exec, exec, s[6:7]
	s_and_b64 vcc, exec, s[4:5]
	s_cbranch_vccz .LBB384_48
.LBB384_11:
	s_load_dwordx4 s[4:7], s[0:1], 0x30
	s_load_dwordx4 s[16:19], s[0:1], 0x18
	s_load_dword s33, s[0:1], 0x28
	s_load_dwordx2 s[20:21], s[0:1], 0x40
	s_load_dword s34, s[0:1], 0x48
	s_load_dwordx2 s[22:23], s[0:1], 0x50
	s_waitcnt lgkmcnt(0)
	s_mul_i32 s0, s3, s5
	s_mul_hi_u32 s1, s3, s4
	s_add_i32 s1, s1, s0
	s_mul_i32 s0, s3, s4
	s_lshl_b64 s[0:1], s[0:1], 1
	s_add_u32 s4, s16, s0
	s_addc_u32 s5, s17, s1
	s_lshl_b64 s[0:1], s[18:19], 1
	s_add_u32 s16, s4, s0
	s_addc_u32 s17, s5, s1
	s_mul_i32 s0, s3, s23
	s_mul_hi_u32 s1, s3, s22
	s_add_i32 s1, s1, s0
	s_mul_i32 s0, s3, s22
	s_lshl_b64 s[0:1], s[0:1], 1
	s_add_u32 s3, s6, s0
	s_addc_u32 s4, s7, s1
	s_lshl_b64 s[0:1], s[20:21], 1
	s_add_u32 s18, s3, s0
	s_addc_u32 s19, s4, s1
	s_ashr_i32 s0, s9, 31
	s_lshr_b32 s0, s0, 28
	s_add_i32 s0, s9, s0
	s_lshl_b32 s31, s2, 8
	s_and_b32 s35, s0, -16
	v_lshlrev_b32_e32 v20, 2, v14
	v_add_u32_e32 v16, s31, v2
	v_cmp_gt_i32_e32 vcc, s35, v20
	v_mov_b32_e32 v19, 0
	v_mov_b32_e32 v18, 0
	;; [unrolled: 1-line block ×4, first 2 shown]
	s_and_saveexec_b64 s[20:21], vcc
	s_cbranch_execz .LBB384_23
; %bb.12:
	v_add_u32_e32 v0, 64, v16
	v_cmp_gt_i32_e64 s[0:1], s8, v0
	v_add_u32_e32 v0, 0x80, v16
	v_cmp_gt_i32_e64 s[2:3], s8, v0
	v_add_u32_e32 v0, 0xc0, v16
	v_cmp_gt_i32_e64 s[4:5], s8, v0
	v_mul_lo_u32 v0, s33, v20
	v_add_u32_e32 v6, 2, v20
	v_add_u32_e32 v7, 3, v20
	v_add3_u32 v21, v0, s33, v2
	v_mad_u64_u32 v[0:1], s[6:7], s33, v6, v[2:3]
	v_mad_u64_u32 v[4:5], s[6:7], s33, v7, v[2:3]
	v_mul_lo_u32 v1, v14, s33
	v_mul_lo_u32 v5, s34, v20
	;; [unrolled: 1-line block ×4, first 2 shown]
	v_cmp_gt_i32_e32 vcc, s8, v16
	s_lshl_b32 s36, s33, 4
	v_lshl_add_u32 v1, v1, 2, v2
	v_add_u32_e32 v5, s34, v5
	s_lshl_b32 s37, s34, 4
	v_mul_lo_u32 v23, s34, v7
	v_lshlrev_b32_e32 v24, 2, v6
	s_mov_b32 s38, 0
	s_mov_b64 s[22:23], 0
	v_mov_b32_e32 v19, 0
	v_mov_b32_e32 v18, 0
	;; [unrolled: 1-line block ×4, first 2 shown]
	s_branch .LBB384_17
.LBB384_13:                             ;   in Loop: Header=BB384_17 Depth=1
	s_or_b64 exec, exec, s[28:29]
	s_waitcnt vmcnt(3)
	v_fma_mix_f32 v6, v37, v41, v17 op_sel_hi:[0,1,0]
	s_waitcnt vmcnt(2)
	v_fma_mix_f32 v6, v38, v42, v6 op_sel_hi:[0,1,0]
	;; [unrolled: 2-line block ×4, first 2 shown]
.LBB384_14:                             ;   in Loop: Header=BB384_17 Depth=1
	s_or_b64 exec, exec, s[26:27]
	s_waitcnt vmcnt(3)
	v_fma_mix_f32 v6, v37, v33, v18 op_sel_hi:[0,1,0]
	s_waitcnt vmcnt(2)
	v_fma_mix_f32 v6, v38, v34, v6 op_sel_hi:[0,1,0]
	;; [unrolled: 2-line block ×4, first 2 shown]
.LBB384_15:                             ;   in Loop: Header=BB384_17 Depth=1
	s_or_b64 exec, exec, s[24:25]
	s_waitcnt vmcnt(3)
	v_fma_mix_f32 v6, v25, v29, v19 op_sel_hi:[1,1,0]
	s_waitcnt vmcnt(2)
	v_fma_mix_f32 v6, v26, v30, v6 op_sel_hi:[1,1,0]
	;; [unrolled: 2-line block ×4, first 2 shown]
.LBB384_16:                             ;   in Loop: Header=BB384_17 Depth=1
	s_or_b64 exec, exec, s[6:7]
	v_add_u32_e32 v20, 16, v20
	s_add_i32 s38, s38, s37
	v_cmp_le_i32_e64 s[6:7], s35, v20
	v_add_u32_e32 v21, s36, v21
	v_add_u32_e32 v0, s36, v0
	;; [unrolled: 1-line block ×3, first 2 shown]
	s_or_b64 s[22:23], s[6:7], s[22:23]
	v_add_u32_e32 v1, s36, v1
	s_andn2_b64 exec, exec, s[22:23]
	s_cbranch_execz .LBB384_22
.LBB384_17:                             ; =>This Inner Loop Header: Depth=1
	s_and_saveexec_b64 s[6:7], vcc
	s_cbranch_execz .LBB384_16
; %bb.18:                               ;   in Loop: Header=BB384_17 Depth=1
	v_add_u32_e32 v6, s38, v24
	v_ashrrev_i32_e32 v7, 31, v6
	v_add_u32_e32 v8, s38, v5
	v_add_u32_e32 v10, s38, v22
	;; [unrolled: 1-line block ×3, first 2 shown]
	v_lshl_add_u64 v[6:7], v[6:7], 1, s[18:19]
	v_ashrrev_i32_e32 v9, 31, v8
	v_ashrrev_i32_e32 v11, 31, v10
	;; [unrolled: 1-line block ×3, first 2 shown]
	v_lshl_add_u64 v[8:9], v[8:9], 1, s[18:19]
	v_lshl_add_u64 v[10:11], v[10:11], 1, s[18:19]
	v_lshl_add_u64 v[12:13], v[12:13], 1, s[18:19]
	global_load_ushort v25, v[6:7], off
	global_load_ushort v26, v[8:9], off
	global_load_ushort v27, v[10:11], off
	global_load_ushort v28, v[12:13], off
	v_add_u32_e32 v6, s31, v1
	v_ashrrev_i32_e32 v7, 31, v6
	v_add_u32_e32 v8, s31, v21
	v_add_u32_e32 v10, s31, v0
	v_add_u32_e32 v12, s31, v4
	v_lshl_add_u64 v[6:7], v[6:7], 1, s[16:17]
	v_ashrrev_i32_e32 v9, 31, v8
	v_ashrrev_i32_e32 v11, 31, v10
	;; [unrolled: 1-line block ×3, first 2 shown]
	v_lshl_add_u64 v[8:9], v[8:9], 1, s[16:17]
	v_lshl_add_u64 v[10:11], v[10:11], 1, s[16:17]
	;; [unrolled: 1-line block ×3, first 2 shown]
	global_load_ushort v29, v[6:7], off
	global_load_ushort v30, v[8:9], off
	;; [unrolled: 1-line block ×4, first 2 shown]
	s_and_saveexec_b64 s[24:25], s[0:1]
	s_cbranch_execz .LBB384_15
; %bb.19:                               ;   in Loop: Header=BB384_17 Depth=1
	global_load_ushort v33, v[6:7], off offset:128
	global_load_ushort v34, v[8:9], off offset:128
	;; [unrolled: 1-line block ×4, first 2 shown]
	s_waitcnt vmcnt(11)
	v_cvt_f32_f16_e32 v37, v25
	s_waitcnt vmcnt(10)
	v_cvt_f32_f16_e32 v38, v26
	;; [unrolled: 2-line block ×4, first 2 shown]
	s_and_saveexec_b64 s[26:27], s[2:3]
	s_cbranch_execz .LBB384_14
; %bb.20:                               ;   in Loop: Header=BB384_17 Depth=1
	global_load_ushort v41, v[6:7], off offset:256
	global_load_ushort v42, v[8:9], off offset:256
	;; [unrolled: 1-line block ×4, first 2 shown]
	s_and_saveexec_b64 s[28:29], s[4:5]
	s_cbranch_execz .LBB384_13
; %bb.21:                               ;   in Loop: Header=BB384_17 Depth=1
	global_load_ushort v45, v[6:7], off offset:384
	global_load_ushort v46, v[8:9], off offset:384
	;; [unrolled: 1-line block ×4, first 2 shown]
	s_waitcnt vmcnt(3)
	v_fma_mix_f32 v6, v37, v45, v15 op_sel_hi:[0,1,0]
	s_waitcnt vmcnt(2)
	v_fma_mix_f32 v6, v38, v46, v6 op_sel_hi:[0,1,0]
	;; [unrolled: 2-line block ×4, first 2 shown]
	s_branch .LBB384_13
.LBB384_22:
	s_or_b64 exec, exec, s[22:23]
.LBB384_23:
	s_or_b64 exec, exec, s[20:21]
	s_sub_i32 s0, s9, s35
	s_cmp_lt_i32 s0, 1
	s_cbranch_scc1 .LBB384_41
; %bb.24:
	v_cmp_gt_i32_e32 vcc, s9, v20
	v_mov_b32_e32 v10, 0
	v_or_b32_e32 v4, 1, v20
	v_mov_b32_e32 v11, 0
	v_mov_b32_e32 v12, 0
	v_mov_b32_e32 v13, 0
	s_and_saveexec_b64 s[2:3], vcc
	s_cbranch_execz .LBB384_32
; %bb.25:
	v_mul_lo_u32 v0, v20, s34
	v_ashrrev_i32_e32 v1, 31, v0
	v_lshl_add_u64 v[0:1], v[0:1], 1, s[18:19]
	global_load_ushort v0, v[0:1], off
	v_cmp_gt_i32_e64 s[0:1], s9, v4
	v_mov_b32_e32 v12, 0
	v_mov_b32_e32 v11, 0
	;; [unrolled: 1-line block ×3, first 2 shown]
	s_and_saveexec_b64 s[4:5], s[0:1]
	s_cbranch_execz .LBB384_31
; %bb.26:
	v_mul_lo_u32 v6, v4, s34
	v_ashrrev_i32_e32 v7, 31, v6
	v_lshl_add_u64 v[6:7], v[6:7], 1, s[18:19]
	global_load_ushort v1, v[6:7], off
	v_or_b32_e32 v5, 2, v20
	v_cmp_gt_i32_e64 s[0:1], s9, v5
	v_mov_b32_e32 v11, 0
	v_mov_b32_e32 v10, 0
	s_and_saveexec_b64 s[6:7], s[0:1]
	s_cbranch_execz .LBB384_30
; %bb.27:
	v_mul_lo_u32 v6, v5, s34
	v_ashrrev_i32_e32 v7, 31, v6
	v_lshl_add_u64 v[6:7], v[6:7], 1, s[18:19]
	global_load_ushort v5, v[6:7], off
	v_or_b32_e32 v6, 3, v20
	v_cmp_gt_i32_e64 s[0:1], s9, v6
	v_mov_b32_e32 v10, 0
	s_and_saveexec_b64 s[20:21], s[0:1]
	s_cbranch_execz .LBB384_29
; %bb.28:
	v_mul_lo_u32 v6, v6, s34
	v_ashrrev_i32_e32 v7, 31, v6
	v_lshl_add_u64 v[6:7], v[6:7], 1, s[18:19]
	global_load_ushort v6, v[6:7], off
	s_waitcnt vmcnt(0)
	v_cvt_f32_f16_e32 v10, v6
.LBB384_29:
	s_or_b64 exec, exec, s[20:21]
	s_waitcnt vmcnt(0)
	v_cvt_f32_f16_e32 v11, v5
.LBB384_30:
	s_or_b64 exec, exec, s[6:7]
	s_waitcnt vmcnt(0)
	v_cvt_f32_f16_e32 v12, v1
.LBB384_31:
	s_or_b64 exec, exec, s[4:5]
	s_waitcnt vmcnt(0)
	v_cvt_f32_f16_e32 v13, v0
.LBB384_32:
	s_or_b64 exec, exec, s[2:3]
	v_cmp_gt_i32_e64 s[0:1], s8, v16
	s_and_saveexec_b64 s[2:3], s[0:1]
	s_cbranch_execz .LBB384_40
; %bb.33:
	v_mul_lo_u32 v0, v20, s33
	v_cndmask_b32_e32 v0, 0, v0, vcc
	v_mul_lo_u32 v5, v4, s33
	v_cmp_gt_i32_e32 vcc, s9, v4
	v_or_b32_e32 v6, 2, v20
	v_mul_lo_u32 v7, v6, s33
	v_cndmask_b32_e32 v4, 0, v5, vcc
	v_cmp_gt_i32_e32 vcc, s9, v6
	v_or_b32_e32 v8, 3, v20
	v_mul_lo_u32 v9, v8, s33
	v_cndmask_b32_e32 v6, 0, v7, vcc
	v_cmp_gt_i32_e32 vcc, s9, v8
	v_add_u32_e32 v0, v0, v16
	v_ashrrev_i32_e32 v1, 31, v0
	v_cndmask_b32_e32 v8, 0, v9, vcc
	v_add_u32_e32 v4, v4, v16
	v_add_u32_e32 v6, v6, v16
	;; [unrolled: 1-line block ×3, first 2 shown]
	v_lshl_add_u64 v[0:1], v[0:1], 1, s[16:17]
	v_ashrrev_i32_e32 v5, 31, v4
	v_ashrrev_i32_e32 v7, 31, v6
	;; [unrolled: 1-line block ×3, first 2 shown]
	v_lshl_add_u64 v[4:5], v[4:5], 1, s[16:17]
	v_lshl_add_u64 v[6:7], v[6:7], 1, s[16:17]
	global_load_ushort v21, v[0:1], off
	global_load_ushort v22, v[4:5], off
	;; [unrolled: 1-line block ×3, first 2 shown]
	v_lshl_add_u64 v[8:9], v[8:9], 1, s[16:17]
	global_load_ushort v20, v[8:9], off
	v_add_u32_e32 v24, 64, v16
	v_cmp_gt_i32_e32 vcc, s8, v24
	s_waitcnt vmcnt(3)
	v_fma_mix_f32 v19, v13, v21, v19 op_sel_hi:[0,1,0]
	s_waitcnt vmcnt(2)
	v_fma_mix_f32 v19, v12, v22, v19 op_sel_hi:[0,1,0]
	s_waitcnt vmcnt(1)
	v_fma_mix_f32 v19, v11, v23, v19 op_sel_hi:[0,1,0]
	s_and_saveexec_b64 s[0:1], vcc
	s_cbranch_execz .LBB384_39
; %bb.34:
	global_load_ushort v22, v[0:1], off offset:128
	global_load_ushort v23, v[4:5], off offset:128
	global_load_ushort v24, v[6:7], off offset:128
	global_load_ushort v21, v[8:9], off offset:128
	v_add_u32_e32 v25, 0x80, v16
	v_cmp_gt_i32_e32 vcc, s8, v25
	s_waitcnt vmcnt(3)
	v_fma_mix_f32 v18, v13, v22, v18 op_sel_hi:[0,1,0]
	s_waitcnt vmcnt(2)
	v_fma_mix_f32 v18, v12, v23, v18 op_sel_hi:[0,1,0]
	s_waitcnt vmcnt(1)
	v_fma_mix_f32 v18, v11, v24, v18 op_sel_hi:[0,1,0]
	s_and_saveexec_b64 s[4:5], vcc
	s_cbranch_execz .LBB384_38
; %bb.35:
	global_load_ushort v23, v[0:1], off offset:256
	global_load_ushort v24, v[4:5], off offset:256
	global_load_ushort v25, v[6:7], off offset:256
	global_load_ushort v22, v[8:9], off offset:256
	;; [unrolled: 15-line block ×3, first 2 shown]
	s_waitcnt vmcnt(3)
	v_fma_mix_f32 v0, v13, v17, v15 op_sel_hi:[0,1,0]
	s_waitcnt vmcnt(2)
	v_fma_mix_f32 v0, v12, v23, v0 op_sel_hi:[0,1,0]
	;; [unrolled: 2-line block ×4, first 2 shown]
.LBB384_37:
	s_or_b64 exec, exec, s[6:7]
	s_waitcnt vmcnt(0)
	v_fma_mix_f32 v17, v10, v22, v16 op_sel_hi:[0,1,0]
.LBB384_38:
	s_or_b64 exec, exec, s[4:5]
	s_waitcnt vmcnt(0)
	v_fma_mix_f32 v18, v10, v21, v18 op_sel_hi:[0,1,0]
.LBB384_39:
	s_or_b64 exec, exec, s[0:1]
	s_waitcnt vmcnt(0)
	v_fma_mix_f32 v19, v10, v20, v19 op_sel_hi:[0,1,0]
.LBB384_40:
	s_or_b64 exec, exec, s[2:3]
.LBB384_41:
	v_lshlrev_b32_e32 v0, 8, v14
	s_movk_i32 s0, 0x100
	v_add_lshl_u32 v0, v0, v2, 2
	v_cmp_gt_u32_e32 vcc, s0, v3
	ds_write2st64_b32 v0, v19, v18 offset1:1
	ds_write2st64_b32 v0, v17, v15 offset0:2 offset1:3
	s_waitcnt lgkmcnt(0)
	s_barrier
	s_waitcnt lgkmcnt(0)
                                        ; implicit-def: $vgpr5
                                        ; implicit-def: $vgpr0_vgpr1
	s_and_saveexec_b64 s[0:1], vcc
	s_cbranch_execz .LBB384_47
; %bb.42:
	v_lshlrev_b32_e32 v6, 2, v3
	ds_read2st64_b32 v[0:1], v6 offset1:4
	ds_read2st64_b32 v[4:5], v6 offset0:8 offset1:12
	v_or_b32_e32 v3, s31, v3
	v_cmp_gt_i32_e32 vcc, s8, v3
	s_mov_b64 s[4:5], s[14:15]
	s_waitcnt lgkmcnt(1)
	v_add_f32_e32 v0, v0, v1
	s_waitcnt lgkmcnt(0)
	v_add_f32_e32 v0, v4, v0
	v_add_f32_e32 v2, v5, v0
	ds_write_b32 v6, v2
                                        ; implicit-def: $vgpr5
                                        ; implicit-def: $vgpr0_vgpr1
	s_and_saveexec_b64 s[2:3], vcc
	s_cbranch_execz .LBB384_46
; %bb.43:
	v_cmp_eq_f32_e64 s[4:5], s11, 0
	v_mul_lo_u32 v0, v3, s30
	v_mul_f32_e32 v2, s10, v2
	v_ashrrev_i32_e32 v1, 31, v0
	s_and_b64 vcc, exec, s[4:5]
	s_cbranch_vccnz .LBB384_45
; %bb.44:
	v_lshl_add_u64 v[4:5], v[0:1], 1, s[12:13]
	global_load_ushort v3, v[4:5], off
	s_waitcnt vmcnt(0)
	v_fma_mix_f32 v2, v3, s11, v2 op_sel_hi:[1,0,0]
.LBB384_45:
	s_nop 0
	v_cvt_f16_f32_e32 v5, v2
	s_or_b64 s[4:5], s[14:15], exec
.LBB384_46:
	s_or_b64 exec, exec, s[2:3]
	s_andn2_b64 s[2:3], s[14:15], exec
	s_and_b64 s[4:5], s[4:5], exec
	s_or_b64 s[14:15], s[2:3], s[4:5]
.LBB384_47:
	s_or_b64 exec, exec, s[0:1]
.LBB384_48:
	s_and_saveexec_b64 s[0:1], s[14:15]
	s_cbranch_execz .LBB384_50
; %bb.49:
	v_lshl_add_u64 v[0:1], v[0:1], 1, s[12:13]
	global_store_short v[0:1], v5, off
.LBB384_50:
	s_endpgm
	.section	.rodata,"a",@progbits
	.p2align	6, 0x0
	.amdhsa_kernel _ZL20rocblas_gemvn_kernelILi64ELi4EiDF16_fDF16_EviiT3_lPKT2_lT1_lS3_lS4_lS0_lPT4_lS4_li
		.amdhsa_group_segment_fixed_size 4096
		.amdhsa_private_segment_fixed_size 0
		.amdhsa_kernarg_size 400
		.amdhsa_user_sgpr_count 2
		.amdhsa_user_sgpr_dispatch_ptr 0
		.amdhsa_user_sgpr_queue_ptr 0
		.amdhsa_user_sgpr_kernarg_segment_ptr 1
		.amdhsa_user_sgpr_dispatch_id 0
		.amdhsa_user_sgpr_kernarg_preload_length 0
		.amdhsa_user_sgpr_kernarg_preload_offset 0
		.amdhsa_user_sgpr_private_segment_size 0
		.amdhsa_uses_dynamic_stack 0
		.amdhsa_enable_private_segment 0
		.amdhsa_system_sgpr_workgroup_id_x 1
		.amdhsa_system_sgpr_workgroup_id_y 0
		.amdhsa_system_sgpr_workgroup_id_z 1
		.amdhsa_system_sgpr_workgroup_info 0
		.amdhsa_system_vgpr_workitem_id 1
		.amdhsa_next_free_vgpr 49
		.amdhsa_next_free_sgpr 39
		.amdhsa_accum_offset 52
		.amdhsa_reserve_vcc 1
		.amdhsa_float_round_mode_32 0
		.amdhsa_float_round_mode_16_64 0
		.amdhsa_float_denorm_mode_32 3
		.amdhsa_float_denorm_mode_16_64 3
		.amdhsa_dx10_clamp 1
		.amdhsa_ieee_mode 1
		.amdhsa_fp16_overflow 0
		.amdhsa_tg_split 0
		.amdhsa_exception_fp_ieee_invalid_op 0
		.amdhsa_exception_fp_denorm_src 0
		.amdhsa_exception_fp_ieee_div_zero 0
		.amdhsa_exception_fp_ieee_overflow 0
		.amdhsa_exception_fp_ieee_underflow 0
		.amdhsa_exception_fp_ieee_inexact 0
		.amdhsa_exception_int_div_zero 0
	.end_amdhsa_kernel
	.section	.text._ZL20rocblas_gemvn_kernelILi64ELi4EiDF16_fDF16_EviiT3_lPKT2_lT1_lS3_lS4_lS0_lPT4_lS4_li,"axG",@progbits,_ZL20rocblas_gemvn_kernelILi64ELi4EiDF16_fDF16_EviiT3_lPKT2_lT1_lS3_lS4_lS0_lPT4_lS4_li,comdat
.Lfunc_end384:
	.size	_ZL20rocblas_gemvn_kernelILi64ELi4EiDF16_fDF16_EviiT3_lPKT2_lT1_lS3_lS4_lS0_lPT4_lS4_li, .Lfunc_end384-_ZL20rocblas_gemvn_kernelILi64ELi4EiDF16_fDF16_EviiT3_lPKT2_lT1_lS3_lS4_lS0_lPT4_lS4_li
                                        ; -- End function
	.section	.AMDGPU.csdata,"",@progbits
; Kernel info:
; codeLenInByte = 2444
; NumSgprs: 45
; NumVgprs: 49
; NumAgprs: 0
; TotalNumVgprs: 49
; ScratchSize: 0
; MemoryBound: 0
; FloatMode: 240
; IeeeMode: 1
; LDSByteSize: 4096 bytes/workgroup (compile time only)
; SGPRBlocks: 5
; VGPRBlocks: 6
; NumSGPRsForWavesPerEU: 45
; NumVGPRsForWavesPerEU: 49
; AccumOffset: 52
; Occupancy: 8
; WaveLimiterHint : 1
; COMPUTE_PGM_RSRC2:SCRATCH_EN: 0
; COMPUTE_PGM_RSRC2:USER_SGPR: 2
; COMPUTE_PGM_RSRC2:TRAP_HANDLER: 0
; COMPUTE_PGM_RSRC2:TGID_X_EN: 1
; COMPUTE_PGM_RSRC2:TGID_Y_EN: 0
; COMPUTE_PGM_RSRC2:TGID_Z_EN: 1
; COMPUTE_PGM_RSRC2:TIDIG_COMP_CNT: 1
; COMPUTE_PGM_RSRC3_GFX90A:ACCUM_OFFSET: 12
; COMPUTE_PGM_RSRC3_GFX90A:TG_SPLIT: 0
	.section	.text._ZL20rocblas_gemvn_kernelILi64ELi4ElDF16_fDF16_EviiT3_lPKT2_lT1_lS3_lS4_lS0_lPT4_lS4_li,"axG",@progbits,_ZL20rocblas_gemvn_kernelILi64ELi4ElDF16_fDF16_EviiT3_lPKT2_lT1_lS3_lS4_lS0_lPT4_lS4_li,comdat
	.globl	_ZL20rocblas_gemvn_kernelILi64ELi4ElDF16_fDF16_EviiT3_lPKT2_lT1_lS3_lS4_lS0_lPT4_lS4_li ; -- Begin function _ZL20rocblas_gemvn_kernelILi64ELi4ElDF16_fDF16_EviiT3_lPKT2_lT1_lS3_lS4_lS0_lPT4_lS4_li
	.p2align	8
	.type	_ZL20rocblas_gemvn_kernelILi64ELi4ElDF16_fDF16_EviiT3_lPKT2_lT1_lS3_lS4_lS0_lPT4_lS4_li,@function
_ZL20rocblas_gemvn_kernelILi64ELi4ElDF16_fDF16_EviiT3_lPKT2_lT1_lS3_lS4_lS0_lPT4_lS4_li: ; @_ZL20rocblas_gemvn_kernelILi64ELi4ElDF16_fDF16_EviiT3_lPKT2_lT1_lS3_lS4_lS0_lPT4_lS4_li
; %bb.0:
	s_load_dwordx2 s[4:5], s[0:1], 0x9c
	s_waitcnt lgkmcnt(0)
	s_lshr_b32 s6, s4, 16
	s_and_b32 s4, s4, 0xffff
	s_and_b32 s5, s5, 0xffff
	s_mul_i32 s4, s6, s4
	s_mul_i32 s4, s4, s5
	s_cmpk_lg_i32 s4, 0x100
	s_cbranch_scc1 .LBB385_50
; %bb.1:
	s_load_dwordx4 s[28:31], s[0:1], 0x0
	s_waitcnt lgkmcnt(0)
	s_load_dword s31, s[0:1], 0x58
	v_cmp_eq_f32_e64 s[4:5], s30, 0
	s_waitcnt lgkmcnt(0)
	v_cmp_eq_f32_e64 s[6:7], s31, 1.0
	s_and_b64 s[4:5], s[4:5], s[6:7]
	s_and_b64 vcc, exec, s[4:5]
	s_cbranch_vccnz .LBB385_50
; %bb.2:
	s_load_dwordx8 s[20:27], s[0:1], 0x68
	v_and_b32_e32 v29, 0x3ff, v0
	v_bfe_u32 v30, v0, 10, 10
	v_lshl_add_u32 v28, v30, 6, v29
	s_waitcnt lgkmcnt(0)
	s_mul_i32 s5, s3, s27
	s_mul_hi_u32 s6, s3, s26
	s_mul_i32 s4, s3, s26
	s_add_i32 s5, s6, s5
	s_lshl_b64 s[4:5], s[4:5], 1
	s_add_u32 s6, s20, s4
	s_addc_u32 s7, s21, s5
	s_lshl_b64 s[4:5], s[22:23], 1
	s_add_u32 s26, s6, s4
	s_addc_u32 s27, s7, s5
	v_cmp_neq_f32_e64 s[4:5], s30, 0
	s_and_b64 vcc, exec, s[4:5]
	s_cbranch_vccnz .LBB385_9
; %bb.3:
	s_movk_i32 s4, 0x100
	v_cmp_gt_u32_e32 vcc, s4, v28
	s_mov_b64 s[4:5], 0
	s_mov_b64 s[34:35], 0
                                        ; implicit-def: $vgpr3
                                        ; implicit-def: $vgpr0_vgpr1
	s_and_saveexec_b64 s[6:7], vcc
	s_cbranch_execz .LBB385_10
; %bb.4:
	v_lshl_or_b32 v2, s2, 8, v28
	v_mov_b32_e32 v3, 0
	s_ashr_i32 s9, s28, 31
	s_mov_b32 s8, s28
	v_cmp_gt_i64_e32 vcc, s[8:9], v[2:3]
	s_mov_b64 s[10:11], 0
                                        ; implicit-def: $vgpr0_vgpr1
	s_and_saveexec_b64 s[8:9], vcc
	s_cbranch_execz .LBB385_8
; %bb.5:
	v_mad_u64_u32 v[0:1], s[12:13], v2, s24, 0
	v_mov_b32_e32 v4, v1
	v_cmp_eq_f32_e64 s[10:11], s31, 0
	v_mad_u64_u32 v[4:5], s[12:13], v2, s25, v[4:5]
	v_mov_b32_e32 v1, v4
	s_and_b64 vcc, exec, s[10:11]
	s_cbranch_vccnz .LBB385_7
; %bb.6:
	v_lshl_add_u64 v[2:3], v[0:1], 1, s[26:27]
	global_load_ushort v2, v[2:3], off
	s_waitcnt vmcnt(0)
	v_fma_mixlo_f16 v3, v2, s31, 0 op_sel_hi:[1,0,0]
.LBB385_7:
	s_mov_b64 s[10:11], exec
.LBB385_8:
	s_or_b64 exec, exec, s[8:9]
	s_and_b64 s[34:35], s[10:11], exec
	s_or_b64 exec, exec, s[6:7]
	s_and_b64 vcc, exec, s[4:5]
	s_cbranch_vccnz .LBB385_11
	s_branch .LBB385_48
.LBB385_9:
	s_mov_b64 s[34:35], 0
                                        ; implicit-def: $vgpr3
                                        ; implicit-def: $vgpr0_vgpr1
	s_cbranch_execnz .LBB385_11
	s_branch .LBB385_48
.LBB385_10:
	s_or_b64 exec, exec, s[6:7]
	s_and_b64 vcc, exec, s[4:5]
	s_cbranch_vccz .LBB385_48
.LBB385_11:
	s_load_dwordx16 s[8:23], s[0:1], 0x18
	s_lshl_b32 s33, s2, 8
	v_lshlrev_b32_e32 v33, 2, v30
	v_add_u32_e32 v0, s33, v29
	v_mov_b32_e32 v35, 0
	s_waitcnt lgkmcnt(0)
	s_mul_i32 s0, s3, s15
	s_mul_hi_u32 s1, s3, s14
	s_add_i32 s15, s1, s0
	s_ashr_i32 s0, s29, 31
	s_lshr_b32 s0, s0, 28
	s_add_i32 s0, s29, s0
	s_mul_i32 s4, s3, s23
	s_mul_hi_u32 s5, s3, s22
	s_and_b32 s52, s0, -16
	s_mul_i32 s14, s3, s14
	s_add_i32 s23, s5, s4
	s_mul_i32 s22, s3, s22
	v_cmp_gt_i32_e32 vcc, s52, v33
	v_mov_b32_e32 v34, 0
	v_mov_b32_e32 v32, 0
	v_mov_b32_e32 v31, 0
	s_and_saveexec_b64 s[36:37], vcc
	s_cbranch_execz .LBB385_23
; %bb.12:
	v_add_u32_e32 v2, 64, v0
	v_cmp_gt_i32_e64 s[0:1], s28, v2
	v_add_u32_e32 v2, 0x80, v0
	v_cmp_gt_i32_e64 s[2:3], s28, v2
	;; [unrolled: 2-line block ×3, first 2 shown]
	v_mad_u64_u32 v[2:3], s[6:7], s20, v30, 0
	v_mov_b32_e32 v4, v3
	v_ashrrev_i32_e32 v1, 31, v0
	v_mad_u64_u32 v[4:5], s[6:7], s21, v30, v[4:5]
	v_mov_b32_e32 v3, v4
	v_lshlrev_b64 v[4:5], 1, v[0:1]
	v_lshlrev_b32_e32 v1, 2, v30
	v_or_b32_e32 v11, 3, v1
	v_mad_u64_u32 v[6:7], s[42:43], s12, v11, 0
	v_mov_b32_e32 v8, v7
	v_mad_u64_u32 v[8:9], s[42:43], s13, v11, v[8:9]
	v_mov_b32_e32 v7, v8
	;; [unrolled: 2-line block ×5, first 2 shown]
	v_mad_u64_u32 v[12:13], s[46:47], s13, v30, v[12:13]
	v_or_b32_e32 v17, 2, v1
	v_mov_b32_e32 v11, v12
	v_mad_u64_u32 v[12:13], s[46:47], s12, v17, 0
	v_mov_b32_e32 v14, v13
	v_mad_u64_u32 v[14:15], s[46:47], s13, v17, v[14:15]
	;; [unrolled: 2-line block ×4, first 2 shown]
	v_mov_b32_e32 v15, v16
	v_mov_b64_e32 v[16:17], s[20:21]
	v_mad_u64_u32 v[16:17], s[46:47], s20, v1, v[16:17]
	s_lshl_b64 s[38:39], s[18:19], 1
	s_lshl_b64 s[6:7], s[22:23], 1
	v_mov_b32_e32 v18, v17
	s_add_u32 s6, s16, s6
	v_mad_u64_u32 v[18:19], s[46:47], s21, v1, v[18:19]
	s_addc_u32 s7, s17, s7
	s_lshl_b64 s[40:41], s[20:21], 5
	s_lshl_b64 s[42:43], s[14:15], 1
	;; [unrolled: 1-line block ×3, first 2 shown]
	v_mov_b32_e32 v17, v18
	v_mov_b64_e32 v[18:19], s[12:13]
	v_lshl_add_u64 v[2:3], v[2:3], 3, s[6:7]
	s_add_u32 s44, s8, s44
	v_lshl_add_u64 v[8:9], v[8:9], 1, s[6:7]
	v_lshl_add_u64 v[14:15], v[14:15], 1, s[6:7]
	;; [unrolled: 1-line block ×3, first 2 shown]
	v_mad_u64_u32 v[18:19], s[6:7], s12, v1, v[18:19]
	s_addc_u32 s45, s9, s45
	v_mov_b32_e32 v20, v19
	s_add_u32 s44, s44, s42
	v_mad_u64_u32 v[20:21], s[6:7], s13, v1, v[20:21]
	s_addc_u32 s45, s45, s43
	v_mov_b32_e32 v19, v20
	v_cmp_gt_i32_e32 vcc, s28, v0
	v_lshl_add_u64 v[6:7], v[6:7], 1, s[44:45]
	s_lshl_b64 s[42:43], s[12:13], 5
	v_lshl_add_u64 v[10:11], v[10:11], 3, s[44:45]
	v_lshl_add_u64 v[12:13], v[12:13], 1, s[44:45]
	;; [unrolled: 1-line block ×3, first 2 shown]
	s_mov_b64 s[44:45], 0
	v_mov_b32_e32 v35, 0
	v_mov_b32_e32 v34, 0
	;; [unrolled: 1-line block ×4, first 2 shown]
	s_branch .LBB385_17
.LBB385_13:                             ;   in Loop: Header=BB385_17 Depth=1
	s_or_b64 exec, exec, s[50:51]
	s_waitcnt vmcnt(3)
	v_fma_mix_f32 v20, v47, v51, v32 op_sel_hi:[0,1,0]
	s_waitcnt vmcnt(2)
	v_fma_mix_f32 v20, v48, v52, v20 op_sel_hi:[0,1,0]
	;; [unrolled: 2-line block ×4, first 2 shown]
.LBB385_14:                             ;   in Loop: Header=BB385_17 Depth=1
	s_or_b64 exec, exec, s[48:49]
	s_waitcnt vmcnt(3)
	v_fma_mix_f32 v20, v47, v43, v34 op_sel_hi:[0,1,0]
	s_waitcnt vmcnt(2)
	v_fma_mix_f32 v20, v48, v44, v20 op_sel_hi:[0,1,0]
	;; [unrolled: 2-line block ×4, first 2 shown]
.LBB385_15:                             ;   in Loop: Header=BB385_17 Depth=1
	s_or_b64 exec, exec, s[46:47]
	s_waitcnt vmcnt(3)
	v_fma_mix_f32 v1, v1, v39, v35 op_sel_hi:[1,1,0]
	s_waitcnt vmcnt(2)
	v_fma_mix_f32 v1, v36, v40, v1 op_sel_hi:[1,1,0]
	;; [unrolled: 2-line block ×4, first 2 shown]
.LBB385_16:                             ;   in Loop: Header=BB385_17 Depth=1
	s_or_b64 exec, exec, s[6:7]
	v_add_u32_e32 v33, 16, v33
	v_cmp_le_i32_e64 s[6:7], s52, v33
	v_lshl_add_u64 v[2:3], v[2:3], 0, s[40:41]
	v_lshl_add_u64 v[6:7], v[6:7], 0, s[42:43]
	;; [unrolled: 1-line block ×7, first 2 shown]
	s_or_b64 s[44:45], s[6:7], s[44:45]
	v_lshl_add_u64 v[18:19], v[18:19], 0, s[42:43]
	s_andn2_b64 exec, exec, s[44:45]
	s_cbranch_execz .LBB385_22
.LBB385_17:                             ; =>This Inner Loop Header: Depth=1
	s_and_saveexec_b64 s[6:7], vcc
	s_cbranch_execz .LBB385_16
; %bb.18:                               ;   in Loop: Header=BB385_17 Depth=1
	v_lshl_add_u64 v[20:21], v[2:3], 0, s[38:39]
	global_load_ushort v1, v[20:21], off
	v_lshl_add_u64 v[20:21], v[16:17], 0, s[38:39]
	global_load_ushort v36, v[20:21], off
	;; [unrolled: 2-line block ×4, first 2 shown]
	v_lshl_add_u64 v[20:21], v[10:11], 0, v[4:5]
	v_lshl_add_u64 v[22:23], v[18:19], 0, v[4:5]
	;; [unrolled: 1-line block ×4, first 2 shown]
	global_load_ushort v39, v[20:21], off
	global_load_ushort v40, v[22:23], off
	;; [unrolled: 1-line block ×4, first 2 shown]
	s_and_saveexec_b64 s[46:47], s[0:1]
	s_cbranch_execz .LBB385_15
; %bb.19:                               ;   in Loop: Header=BB385_17 Depth=1
	global_load_ushort v43, v[20:21], off offset:128
	global_load_ushort v44, v[22:23], off offset:128
	;; [unrolled: 1-line block ×4, first 2 shown]
	s_waitcnt vmcnt(11)
	v_cvt_f32_f16_e32 v47, v1
	s_waitcnt vmcnt(10)
	v_cvt_f32_f16_e32 v48, v36
	;; [unrolled: 2-line block ×4, first 2 shown]
	s_and_saveexec_b64 s[48:49], s[2:3]
	s_cbranch_execz .LBB385_14
; %bb.20:                               ;   in Loop: Header=BB385_17 Depth=1
	global_load_ushort v51, v[20:21], off offset:256
	global_load_ushort v52, v[22:23], off offset:256
	;; [unrolled: 1-line block ×4, first 2 shown]
	s_and_saveexec_b64 s[50:51], s[4:5]
	s_cbranch_execz .LBB385_13
; %bb.21:                               ;   in Loop: Header=BB385_17 Depth=1
	global_load_ushort v20, v[20:21], off offset:384
	s_nop 0
	global_load_ushort v21, v[22:23], off offset:384
	s_nop 0
	global_load_ushort v22, v[24:25], off offset:384
	global_load_ushort v23, v[26:27], off offset:384
	s_waitcnt vmcnt(3)
	v_fma_mix_f32 v20, v47, v20, v31 op_sel_hi:[0,1,0]
	s_waitcnt vmcnt(2)
	v_fma_mix_f32 v20, v48, v21, v20 op_sel_hi:[0,1,0]
	;; [unrolled: 2-line block ×4, first 2 shown]
	s_branch .LBB385_13
.LBB385_22:
	s_or_b64 exec, exec, s[44:45]
.LBB385_23:
	s_or_b64 exec, exec, s[36:37]
	s_sub_i32 s0, s29, s52
	s_cmp_lt_i32 s0, 1
	s_cbranch_scc1 .LBB385_41
; %bb.24:
	v_cmp_gt_i32_e32 vcc, s29, v33
	v_mov_b32_e32 v10, 0
	v_or_b32_e32 v4, 1, v33
	v_mov_b32_e32 v11, 0
	v_mov_b32_e32 v12, 0
	;; [unrolled: 1-line block ×3, first 2 shown]
	s_and_saveexec_b64 s[2:3], vcc
	s_cbranch_execz .LBB385_32
; %bb.25:
	s_lshl_b64 s[0:1], s[22:23], 1
	s_add_u32 s4, s16, s0
	s_addc_u32 s5, s17, s1
	s_lshl_b64 s[0:1], s[18:19], 1
	s_add_u32 s6, s4, s0
	s_addc_u32 s7, s5, s1
	v_mad_u64_u32 v[2:3], s[0:1], v33, s20, 0
	v_mov_b32_e32 v6, v3
	v_mad_u64_u32 v[6:7], s[0:1], v33, s21, v[6:7]
	v_mov_b32_e32 v3, v6
	v_lshl_add_u64 v[2:3], v[2:3], 1, s[6:7]
	global_load_ushort v1, v[2:3], off
	v_cmp_gt_i32_e64 s[0:1], s29, v4
	v_mov_b32_e32 v12, 0
	v_mov_b32_e32 v11, 0
	;; [unrolled: 1-line block ×3, first 2 shown]
	s_and_saveexec_b64 s[4:5], s[0:1]
	s_cbranch_execz .LBB385_31
; %bb.26:
	v_mad_u64_u32 v[2:3], s[0:1], v4, s20, 0
	v_mov_b32_e32 v6, v3
	v_mad_u64_u32 v[6:7], s[0:1], v4, s21, v[6:7]
	v_mov_b32_e32 v3, v6
	v_lshl_add_u64 v[2:3], v[2:3], 1, s[6:7]
	global_load_ushort v2, v[2:3], off
	v_or_b32_e32 v3, 2, v33
	v_cmp_gt_i32_e64 s[0:1], s29, v3
	v_mov_b32_e32 v11, 0
	v_mov_b32_e32 v10, 0
	s_and_saveexec_b64 s[16:17], s[0:1]
	s_cbranch_execz .LBB385_30
; %bb.27:
	v_mad_u64_u32 v[6:7], s[0:1], v3, s20, 0
	v_mov_b32_e32 v8, v7
	v_mad_u64_u32 v[8:9], s[0:1], v3, s21, v[8:9]
	v_mov_b32_e32 v7, v8
	v_lshl_add_u64 v[6:7], v[6:7], 1, s[6:7]
	global_load_ushort v3, v[6:7], off
	v_or_b32_e32 v5, 3, v33
	v_cmp_gt_i32_e64 s[0:1], s29, v5
	v_mov_b32_e32 v10, 0
	s_and_saveexec_b64 s[18:19], s[0:1]
	s_cbranch_execz .LBB385_29
; %bb.28:
	v_mad_u64_u32 v[6:7], s[0:1], v5, s20, 0
	v_mov_b32_e32 v8, v7
	v_mad_u64_u32 v[8:9], s[0:1], v5, s21, v[8:9]
	v_mov_b32_e32 v7, v8
	v_lshl_add_u64 v[6:7], v[6:7], 1, s[6:7]
	global_load_ushort v5, v[6:7], off
	s_waitcnt vmcnt(0)
	v_cvt_f32_f16_e32 v10, v5
.LBB385_29:
	s_or_b64 exec, exec, s[18:19]
	s_waitcnt vmcnt(0)
	v_cvt_f32_f16_e32 v11, v3
.LBB385_30:
	s_or_b64 exec, exec, s[16:17]
	s_waitcnt vmcnt(0)
	v_cvt_f32_f16_e32 v12, v2
.LBB385_31:
	s_or_b64 exec, exec, s[4:5]
	s_waitcnt vmcnt(0)
	v_cvt_f32_f16_e32 v13, v1
.LBB385_32:
	s_or_b64 exec, exec, s[2:3]
	v_cmp_gt_i32_e64 s[0:1], s28, v0
	s_and_saveexec_b64 s[2:3], s[0:1]
	s_cbranch_execz .LBB385_40
; %bb.33:
	s_lshl_b64 s[0:1], s[14:15], 1
	s_add_u32 s4, s8, s0
	s_addc_u32 s5, s9, s1
	s_lshl_b64 s[0:1], s[10:11], 1
	s_add_u32 s0, s4, s0
	s_addc_u32 s1, s5, s1
	v_mad_u64_u32 v[2:3], s[4:5], v33, s12, 0
	v_mov_b32_e32 v6, v3
	v_mad_u64_u32 v[6:7], s[4:5], v33, s13, v[6:7]
	v_ashrrev_i32_e32 v1, 31, v0
	v_cndmask_b32_e32 v3, 0, v6, vcc
	v_mad_u64_u32 v[6:7], s[4:5], v4, s12, 0
	v_cndmask_b32_e32 v2, 0, v2, vcc
	v_lshlrev_b64 v[8:9], 1, v[0:1]
	v_mov_b32_e32 v14, v7
	v_cmp_gt_i32_e32 vcc, s29, v4
	v_or_b32_e32 v1, 2, v33
	v_mad_u64_u32 v[14:15], s[4:5], v4, s13, v[14:15]
	v_cndmask_b32_e32 v4, 0, v6, vcc
	v_mad_u64_u32 v[6:7], s[4:5], v1, s12, 0
	v_cndmask_b32_e32 v5, 0, v14, vcc
	v_mov_b32_e32 v14, v7
	v_mad_u64_u32 v[14:15], s[4:5], v1, s13, v[14:15]
	v_cmp_gt_i32_e32 vcc, s29, v1
	v_or_b32_e32 v1, 3, v33
	v_lshl_add_u64 v[2:3], v[2:3], 1, s[0:1]
	v_cndmask_b32_e32 v7, 0, v14, vcc
	v_mad_u64_u32 v[14:15], s[4:5], v1, s12, 0
	v_mov_b32_e32 v16, v15
	v_cndmask_b32_e32 v6, 0, v6, vcc
	v_mad_u64_u32 v[16:17], s[4:5], v1, s13, v[16:17]
	v_cmp_gt_i32_e32 vcc, s29, v1
	v_lshl_add_u64 v[2:3], v[2:3], 0, v[8:9]
	v_lshl_add_u64 v[4:5], v[4:5], 1, s[0:1]
	v_cndmask_b32_e32 v14, 0, v14, vcc
	v_cndmask_b32_e32 v15, 0, v16, vcc
	v_lshl_add_u64 v[6:7], v[6:7], 1, s[0:1]
	v_lshl_add_u64 v[14:15], v[14:15], 1, s[0:1]
	;; [unrolled: 1-line block ×4, first 2 shown]
	global_load_ushort v16, v[2:3], off
	global_load_ushort v17, v[4:5], off
	global_load_ushort v18, v[6:7], off
	v_lshl_add_u64 v[8:9], v[14:15], 0, v[8:9]
	global_load_ushort v1, v[8:9], off
	v_add_u32_e32 v15, 64, v0
	v_cmp_gt_i32_e32 vcc, s28, v15
	s_waitcnt vmcnt(3)
	v_fma_mix_f32 v14, v13, v16, v35 op_sel_hi:[0,1,0]
	s_waitcnt vmcnt(2)
	v_fma_mix_f32 v14, v12, v17, v14 op_sel_hi:[0,1,0]
	s_waitcnt vmcnt(1)
	v_fma_mix_f32 v14, v11, v18, v14 op_sel_hi:[0,1,0]
	s_and_saveexec_b64 s[0:1], vcc
	s_cbranch_execz .LBB385_39
; %bb.34:
	global_load_ushort v16, v[2:3], off offset:128
	global_load_ushort v17, v[4:5], off offset:128
	global_load_ushort v18, v[6:7], off offset:128
	global_load_ushort v15, v[8:9], off offset:128
	v_add_u32_e32 v19, 0x80, v0
	v_cmp_gt_i32_e32 vcc, s28, v19
	s_waitcnt vmcnt(3)
	v_fma_mix_f32 v16, v13, v16, v34 op_sel_hi:[0,1,0]
	s_waitcnt vmcnt(2)
	v_fma_mix_f32 v16, v12, v17, v16 op_sel_hi:[0,1,0]
	s_waitcnt vmcnt(1)
	v_fma_mix_f32 v16, v11, v18, v16 op_sel_hi:[0,1,0]
	s_and_saveexec_b64 s[4:5], vcc
	s_cbranch_execz .LBB385_38
; %bb.35:
	global_load_ushort v18, v[2:3], off offset:256
	global_load_ushort v19, v[4:5], off offset:256
	global_load_ushort v20, v[6:7], off offset:256
	global_load_ushort v17, v[8:9], off offset:256
	;; [unrolled: 15-line block ×3, first 2 shown]
	s_waitcnt vmcnt(3)
	v_fma_mix_f32 v2, v13, v18, v31 op_sel_hi:[0,1,0]
	s_waitcnt vmcnt(2)
	v_fma_mix_f32 v2, v12, v19, v2 op_sel_hi:[0,1,0]
	;; [unrolled: 2-line block ×4, first 2 shown]
.LBB385_37:
	s_or_b64 exec, exec, s[6:7]
	s_waitcnt vmcnt(0)
	v_fma_mix_f32 v32, v10, v17, v0 op_sel_hi:[0,1,0]
.LBB385_38:
	s_or_b64 exec, exec, s[4:5]
	s_waitcnt vmcnt(0)
	v_fma_mix_f32 v34, v10, v15, v16 op_sel_hi:[0,1,0]
.LBB385_39:
	s_or_b64 exec, exec, s[0:1]
	s_waitcnt vmcnt(0)
	v_fma_mix_f32 v35, v10, v1, v14 op_sel_hi:[0,1,0]
.LBB385_40:
	s_or_b64 exec, exec, s[2:3]
.LBB385_41:
	v_lshlrev_b32_e32 v0, 8, v30
	s_movk_i32 s0, 0x100
	v_add_lshl_u32 v0, v0, v29, 2
	v_cmp_gt_u32_e32 vcc, s0, v28
	ds_write2st64_b32 v0, v35, v34 offset1:1
	ds_write2st64_b32 v0, v32, v31 offset0:2 offset1:3
	s_waitcnt lgkmcnt(0)
	s_barrier
	s_waitcnt lgkmcnt(0)
                                        ; implicit-def: $vgpr3
                                        ; implicit-def: $vgpr0_vgpr1
	s_and_saveexec_b64 s[0:1], vcc
	s_cbranch_execz .LBB385_47
; %bb.42:
	v_lshlrev_b32_e32 v5, 2, v28
	ds_read2st64_b32 v[0:1], v5 offset1:4
	ds_read2st64_b32 v[2:3], v5 offset0:8 offset1:12
	v_or_b32_e32 v4, s33, v28
	v_cmp_gt_i32_e32 vcc, s28, v4
	s_mov_b64 s[4:5], s[34:35]
	s_waitcnt lgkmcnt(1)
	v_add_f32_e32 v0, v0, v1
	s_waitcnt lgkmcnt(0)
	v_add_f32_e32 v0, v2, v0
	v_add_f32_e32 v2, v3, v0
	ds_write_b32 v5, v2
                                        ; implicit-def: $vgpr3
                                        ; implicit-def: $vgpr0_vgpr1
	s_and_saveexec_b64 s[2:3], vcc
	s_cbranch_execz .LBB385_46
; %bb.43:
	v_ashrrev_i32_e32 v0, 31, v4
	v_cmp_eq_f32_e64 s[4:5], s31, 0
	v_mul_lo_u32 v3, v4, s25
	v_mul_lo_u32 v5, v0, s24
	v_mad_u64_u32 v[0:1], s[6:7], v4, s24, 0
	v_mul_f32_e32 v2, s30, v2
	v_add3_u32 v1, v1, v3, v5
	s_and_b64 vcc, exec, s[4:5]
	s_cbranch_vccnz .LBB385_45
; %bb.44:
	v_lshl_add_u64 v[4:5], v[0:1], 1, s[26:27]
	global_load_ushort v3, v[4:5], off
	s_waitcnt vmcnt(0)
	v_fma_mix_f32 v2, v3, s31, v2 op_sel_hi:[1,0,0]
.LBB385_45:
	s_nop 0
	v_cvt_f16_f32_e32 v3, v2
	s_or_b64 s[4:5], s[34:35], exec
.LBB385_46:
	s_or_b64 exec, exec, s[2:3]
	s_andn2_b64 s[2:3], s[34:35], exec
	s_and_b64 s[4:5], s[4:5], exec
	s_or_b64 s[34:35], s[2:3], s[4:5]
.LBB385_47:
	s_or_b64 exec, exec, s[0:1]
.LBB385_48:
	s_and_saveexec_b64 s[0:1], s[34:35]
	s_cbranch_execz .LBB385_50
; %bb.49:
	v_lshl_add_u64 v[0:1], v[0:1], 1, s[26:27]
	global_store_short v[0:1], v3, off
.LBB385_50:
	s_endpgm
	.section	.rodata,"a",@progbits
	.p2align	6, 0x0
	.amdhsa_kernel _ZL20rocblas_gemvn_kernelILi64ELi4ElDF16_fDF16_EviiT3_lPKT2_lT1_lS3_lS4_lS0_lPT4_lS4_li
		.amdhsa_group_segment_fixed_size 4096
		.amdhsa_private_segment_fixed_size 0
		.amdhsa_kernarg_size 400
		.amdhsa_user_sgpr_count 2
		.amdhsa_user_sgpr_dispatch_ptr 0
		.amdhsa_user_sgpr_queue_ptr 0
		.amdhsa_user_sgpr_kernarg_segment_ptr 1
		.amdhsa_user_sgpr_dispatch_id 0
		.amdhsa_user_sgpr_kernarg_preload_length 0
		.amdhsa_user_sgpr_kernarg_preload_offset 0
		.amdhsa_user_sgpr_private_segment_size 0
		.amdhsa_uses_dynamic_stack 0
		.amdhsa_enable_private_segment 0
		.amdhsa_system_sgpr_workgroup_id_x 1
		.amdhsa_system_sgpr_workgroup_id_y 0
		.amdhsa_system_sgpr_workgroup_id_z 1
		.amdhsa_system_sgpr_workgroup_info 0
		.amdhsa_system_vgpr_workitem_id 1
		.amdhsa_next_free_vgpr 55
		.amdhsa_next_free_sgpr 53
		.amdhsa_accum_offset 56
		.amdhsa_reserve_vcc 1
		.amdhsa_float_round_mode_32 0
		.amdhsa_float_round_mode_16_64 0
		.amdhsa_float_denorm_mode_32 3
		.amdhsa_float_denorm_mode_16_64 3
		.amdhsa_dx10_clamp 1
		.amdhsa_ieee_mode 1
		.amdhsa_fp16_overflow 0
		.amdhsa_tg_split 0
		.amdhsa_exception_fp_ieee_invalid_op 0
		.amdhsa_exception_fp_denorm_src 0
		.amdhsa_exception_fp_ieee_div_zero 0
		.amdhsa_exception_fp_ieee_overflow 0
		.amdhsa_exception_fp_ieee_underflow 0
		.amdhsa_exception_fp_ieee_inexact 0
		.amdhsa_exception_int_div_zero 0
	.end_amdhsa_kernel
	.section	.text._ZL20rocblas_gemvn_kernelILi64ELi4ElDF16_fDF16_EviiT3_lPKT2_lT1_lS3_lS4_lS0_lPT4_lS4_li,"axG",@progbits,_ZL20rocblas_gemvn_kernelILi64ELi4ElDF16_fDF16_EviiT3_lPKT2_lT1_lS3_lS4_lS0_lPT4_lS4_li,comdat
.Lfunc_end385:
	.size	_ZL20rocblas_gemvn_kernelILi64ELi4ElDF16_fDF16_EviiT3_lPKT2_lT1_lS3_lS4_lS0_lPT4_lS4_li, .Lfunc_end385-_ZL20rocblas_gemvn_kernelILi64ELi4ElDF16_fDF16_EviiT3_lPKT2_lT1_lS3_lS4_lS0_lPT4_lS4_li
                                        ; -- End function
	.section	.AMDGPU.csdata,"",@progbits
; Kernel info:
; codeLenInByte = 2748
; NumSgprs: 59
; NumVgprs: 55
; NumAgprs: 0
; TotalNumVgprs: 55
; ScratchSize: 0
; MemoryBound: 0
; FloatMode: 240
; IeeeMode: 1
; LDSByteSize: 4096 bytes/workgroup (compile time only)
; SGPRBlocks: 7
; VGPRBlocks: 6
; NumSGPRsForWavesPerEU: 59
; NumVGPRsForWavesPerEU: 55
; AccumOffset: 56
; Occupancy: 8
; WaveLimiterHint : 1
; COMPUTE_PGM_RSRC2:SCRATCH_EN: 0
; COMPUTE_PGM_RSRC2:USER_SGPR: 2
; COMPUTE_PGM_RSRC2:TRAP_HANDLER: 0
; COMPUTE_PGM_RSRC2:TGID_X_EN: 1
; COMPUTE_PGM_RSRC2:TGID_Y_EN: 0
; COMPUTE_PGM_RSRC2:TGID_Z_EN: 1
; COMPUTE_PGM_RSRC2:TIDIG_COMP_CNT: 1
; COMPUTE_PGM_RSRC3_GFX90A:ACCUM_OFFSET: 13
; COMPUTE_PGM_RSRC3_GFX90A:TG_SPLIT: 0
	.section	.text._ZL20rocblas_gemvn_kernelILi32ELi16EiDF16_PKfDF16_EviiT3_lPKT2_lT1_lS5_lS6_lS2_lPT4_lS6_li,"axG",@progbits,_ZL20rocblas_gemvn_kernelILi32ELi16EiDF16_PKfDF16_EviiT3_lPKT2_lT1_lS5_lS6_lS2_lPT4_lS6_li,comdat
	.globl	_ZL20rocblas_gemvn_kernelILi32ELi16EiDF16_PKfDF16_EviiT3_lPKT2_lT1_lS5_lS6_lS2_lPT4_lS6_li ; -- Begin function _ZL20rocblas_gemvn_kernelILi32ELi16EiDF16_PKfDF16_EviiT3_lPKT2_lT1_lS5_lS6_lS2_lPT4_lS6_li
	.p2align	8
	.type	_ZL20rocblas_gemvn_kernelILi32ELi16EiDF16_PKfDF16_EviiT3_lPKT2_lT1_lS5_lS6_lS2_lPT4_lS6_li,@function
_ZL20rocblas_gemvn_kernelILi32ELi16EiDF16_PKfDF16_EviiT3_lPKT2_lT1_lS5_lS6_lS2_lPT4_lS6_li: ; @_ZL20rocblas_gemvn_kernelILi32ELi16EiDF16_PKfDF16_EviiT3_lPKT2_lT1_lS5_lS6_lS2_lPT4_lS6_li
; %bb.0:
	s_load_dwordx2 s[4:5], s[0:1], 0x9c
	s_waitcnt lgkmcnt(0)
	s_lshr_b32 s6, s4, 16
	s_and_b32 s4, s4, 0xffff
	s_and_b32 s5, s5, 0xffff
	s_mul_i32 s4, s6, s4
	s_mul_i32 s4, s4, s5
	s_cmpk_lg_i32 s4, 0x200
	s_cbranch_scc1 .LBB386_50
; %bb.1:
	s_load_dwordx8 s[12:19], s[0:1], 0x8
	s_load_dwordx8 s[4:11], s[0:1], 0x50
	s_waitcnt lgkmcnt(0)
	s_mul_i32 s15, s3, s15
	s_mul_hi_u32 s20, s3, s14
	s_mul_i32 s14, s3, s14
	s_add_i32 s15, s20, s15
	s_lshl_b64 s[14:15], s[14:15], 2
	s_add_u32 s12, s12, s14
	s_addc_u32 s13, s13, s15
	s_mul_i32 s9, s3, s9
	s_load_dword s28, s[12:13], 0x0
	s_mul_hi_u32 s12, s3, s8
	s_add_i32 s9, s12, s9
	s_mul_i32 s8, s3, s8
	s_lshl_b64 s[8:9], s[8:9], 2
	s_add_u32 s6, s6, s8
	s_addc_u32 s7, s7, s9
	s_load_dword s29, s[6:7], 0x0
	s_waitcnt lgkmcnt(0)
	v_cmp_eq_f32_e64 s[6:7], s28, 0
	v_cmp_eq_f32_e64 s[8:9], s29, 1.0
	s_and_b64 s[6:7], s[6:7], s[8:9]
	s_and_b64 vcc, exec, s[6:7]
	s_cbranch_vccnz .LBB386_50
; %bb.2:
	s_load_dwordx2 s[6:7], s[0:1], 0x80
	s_load_dword s30, s[0:1], 0x78
	s_load_dwordx2 s[8:9], s[0:1], 0x70
	s_load_dwordx2 s[12:13], s[0:1], 0x0
	v_and_b32_e32 v2, 0x3ff, v0
	s_waitcnt lgkmcnt(0)
	s_mul_i32 s7, s3, s7
	s_mul_hi_u32 s14, s3, s6
	s_add_i32 s7, s14, s7
	s_mul_i32 s6, s3, s6
	s_lshl_b64 s[6:7], s[6:7], 1
	s_add_u32 s10, s10, s6
	s_addc_u32 s11, s11, s7
	s_lshl_b64 s[6:7], s[8:9], 1
	s_add_u32 s8, s10, s6
	s_addc_u32 s9, s11, s7
	v_bfe_u32 v14, v0, 10, 10
	v_cmp_neq_f32_e64 s[6:7], s28, 0
	v_lshl_add_u32 v3, v14, 5, v2
	s_and_b64 vcc, exec, s[6:7]
	s_cbranch_vccnz .LBB386_9
; %bb.3:
	s_movk_i32 s6, 0x80
	v_cmp_gt_u32_e32 vcc, s6, v3
	s_mov_b64 s[6:7], 0
	s_mov_b64 s[10:11], 0
                                        ; implicit-def: $vgpr5
                                        ; implicit-def: $vgpr0_vgpr1
	s_and_saveexec_b64 s[14:15], vcc
	s_cbranch_execz .LBB386_10
; %bb.4:
	v_lshl_or_b32 v4, s2, 7, v3
	v_mov_b32_e32 v5, 0
	s_ashr_i32 s11, s12, 31
	s_mov_b32 s10, s12
	v_cmp_gt_i64_e32 vcc, s[10:11], v[4:5]
	s_mov_b64 s[20:21], 0
                                        ; implicit-def: $vgpr0_vgpr1
	s_and_saveexec_b64 s[10:11], vcc
	s_cbranch_execz .LBB386_8
; %bb.5:
	v_mad_u64_u32 v[0:1], s[22:23], s30, v4, 0
	s_ashr_i32 s24, s30, 31
	v_mov_b32_e32 v6, v1
	v_cmp_eq_f32_e64 s[20:21], s29, 0
	v_mad_u64_u32 v[6:7], s[22:23], s24, v4, v[6:7]
	v_mov_b32_e32 v1, v6
	s_and_b64 vcc, exec, s[20:21]
	s_cbranch_vccnz .LBB386_7
; %bb.6:
	v_lshl_add_u64 v[4:5], v[0:1], 1, s[8:9]
	global_load_ushort v4, v[4:5], off
	s_waitcnt vmcnt(0)
	v_fma_mixlo_f16 v5, s29, v4, 0 op_sel_hi:[0,1,0]
.LBB386_7:
	s_mov_b64 s[20:21], exec
.LBB386_8:
	s_or_b64 exec, exec, s[10:11]
	s_and_b64 s[10:11], s[20:21], exec
	s_or_b64 exec, exec, s[14:15]
	s_and_b64 vcc, exec, s[6:7]
	s_cbranch_vccnz .LBB386_11
	s_branch .LBB386_48
.LBB386_9:
	s_mov_b64 s[10:11], 0
                                        ; implicit-def: $vgpr5
                                        ; implicit-def: $vgpr0_vgpr1
	s_cbranch_execnz .LBB386_11
	s_branch .LBB386_48
.LBB386_10:
	s_or_b64 exec, exec, s[14:15]
	s_and_b64 vcc, exec, s[6:7]
	s_cbranch_vccz .LBB386_48
.LBB386_11:
	s_load_dwordx4 s[20:23], s[0:1], 0x30
	s_load_dword s33, s[0:1], 0x28
	s_load_dwordx2 s[6:7], s[0:1], 0x40
	s_load_dword s34, s[0:1], 0x48
	v_lshlrev_b32_e32 v20, 2, v14
	s_waitcnt lgkmcnt(0)
	s_mul_i32 s0, s3, s21
	s_mul_hi_u32 s1, s3, s20
	s_add_i32 s1, s1, s0
	s_mul_i32 s0, s3, s20
	s_lshl_b64 s[0:1], s[0:1], 1
	s_add_u32 s14, s16, s0
	s_addc_u32 s15, s17, s1
	s_lshl_b64 s[0:1], s[18:19], 1
	s_add_u32 s14, s14, s0
	s_addc_u32 s15, s15, s1
	s_mul_i32 s0, s3, s5
	s_mul_hi_u32 s1, s3, s4
	s_add_i32 s1, s1, s0
	s_mul_i32 s0, s3, s4
	s_lshl_b64 s[0:1], s[0:1], 1
	s_add_u32 s3, s22, s0
	s_addc_u32 s4, s23, s1
	s_lshl_b64 s[0:1], s[6:7], 1
	s_add_u32 s16, s3, s0
	s_addc_u32 s17, s4, s1
	s_ashr_i32 s0, s13, 31
	s_lshr_b32 s0, s0, 26
	s_add_i32 s35, s13, s0
	s_lshl_b32 s31, s2, 7
	s_andn2_b32 s35, s35, 63
	v_add_u32_e32 v16, s31, v2
	v_cmp_gt_i32_e32 vcc, s35, v20
	v_mov_b32_e32 v19, 0
	v_mov_b32_e32 v18, 0
	;; [unrolled: 1-line block ×4, first 2 shown]
	s_and_saveexec_b64 s[18:19], vcc
	s_cbranch_execz .LBB386_23
; %bb.12:
	v_add_u32_e32 v0, 32, v16
	v_cmp_gt_i32_e64 s[0:1], s12, v0
	v_add_u32_e32 v0, 64, v16
	v_cmp_gt_i32_e64 s[2:3], s12, v0
	;; [unrolled: 2-line block ×3, first 2 shown]
	v_mul_lo_u32 v0, s33, v20
	v_add_u32_e32 v6, 2, v20
	v_add_u32_e32 v7, 3, v20
	v_add3_u32 v21, v0, s33, v2
	v_mad_u64_u32 v[0:1], s[6:7], s33, v6, v[2:3]
	v_mad_u64_u32 v[4:5], s[6:7], s33, v7, v[2:3]
	v_mul_lo_u32 v1, v14, s33
	v_mul_lo_u32 v5, s34, v20
	;; [unrolled: 1-line block ×4, first 2 shown]
	v_cmp_gt_i32_e32 vcc, s12, v16
	s_lshl_b32 s36, s33, 6
	v_lshl_add_u32 v1, v1, 2, v2
	v_add_u32_e32 v5, s34, v5
	s_lshl_b32 s37, s34, 6
	v_mul_lo_u32 v23, s34, v7
	v_lshlrev_b32_e32 v24, 2, v6
	s_mov_b32 s38, 0
	s_mov_b64 s[20:21], 0
	v_mov_b32_e32 v19, 0
	v_mov_b32_e32 v18, 0
	;; [unrolled: 1-line block ×4, first 2 shown]
	s_branch .LBB386_17
.LBB386_13:                             ;   in Loop: Header=BB386_17 Depth=1
	s_or_b64 exec, exec, s[26:27]
	s_waitcnt vmcnt(3)
	v_fma_mix_f32 v6, v37, v41, v17 op_sel_hi:[0,1,0]
	s_waitcnt vmcnt(2)
	v_fma_mix_f32 v6, v38, v42, v6 op_sel_hi:[0,1,0]
	;; [unrolled: 2-line block ×4, first 2 shown]
.LBB386_14:                             ;   in Loop: Header=BB386_17 Depth=1
	s_or_b64 exec, exec, s[24:25]
	s_waitcnt vmcnt(3)
	v_fma_mix_f32 v6, v37, v33, v18 op_sel_hi:[0,1,0]
	s_waitcnt vmcnt(2)
	v_fma_mix_f32 v6, v38, v34, v6 op_sel_hi:[0,1,0]
	;; [unrolled: 2-line block ×4, first 2 shown]
.LBB386_15:                             ;   in Loop: Header=BB386_17 Depth=1
	s_or_b64 exec, exec, s[22:23]
	s_waitcnt vmcnt(3)
	v_fma_mix_f32 v6, v25, v29, v19 op_sel_hi:[1,1,0]
	s_waitcnt vmcnt(2)
	v_fma_mix_f32 v6, v26, v30, v6 op_sel_hi:[1,1,0]
	;; [unrolled: 2-line block ×4, first 2 shown]
.LBB386_16:                             ;   in Loop: Header=BB386_17 Depth=1
	s_or_b64 exec, exec, s[6:7]
	v_add_u32_e32 v20, 64, v20
	s_add_i32 s38, s38, s37
	v_cmp_le_i32_e64 s[6:7], s35, v20
	v_add_u32_e32 v21, s36, v21
	v_add_u32_e32 v0, s36, v0
	v_add_u32_e32 v4, s36, v4
	s_or_b64 s[20:21], s[6:7], s[20:21]
	v_add_u32_e32 v1, s36, v1
	s_andn2_b64 exec, exec, s[20:21]
	s_cbranch_execz .LBB386_22
.LBB386_17:                             ; =>This Inner Loop Header: Depth=1
	s_and_saveexec_b64 s[6:7], vcc
	s_cbranch_execz .LBB386_16
; %bb.18:                               ;   in Loop: Header=BB386_17 Depth=1
	v_add_u32_e32 v6, s38, v24
	v_ashrrev_i32_e32 v7, 31, v6
	v_add_u32_e32 v8, s38, v5
	v_add_u32_e32 v10, s38, v22
	;; [unrolled: 1-line block ×3, first 2 shown]
	v_lshl_add_u64 v[6:7], v[6:7], 1, s[16:17]
	v_ashrrev_i32_e32 v9, 31, v8
	v_ashrrev_i32_e32 v11, 31, v10
	;; [unrolled: 1-line block ×3, first 2 shown]
	v_lshl_add_u64 v[8:9], v[8:9], 1, s[16:17]
	v_lshl_add_u64 v[10:11], v[10:11], 1, s[16:17]
	;; [unrolled: 1-line block ×3, first 2 shown]
	global_load_ushort v25, v[6:7], off
	global_load_ushort v26, v[8:9], off
	;; [unrolled: 1-line block ×4, first 2 shown]
	v_add_u32_e32 v6, s31, v1
	v_ashrrev_i32_e32 v7, 31, v6
	v_add_u32_e32 v8, s31, v21
	v_add_u32_e32 v10, s31, v0
	;; [unrolled: 1-line block ×3, first 2 shown]
	v_lshl_add_u64 v[6:7], v[6:7], 1, s[14:15]
	v_ashrrev_i32_e32 v9, 31, v8
	v_ashrrev_i32_e32 v11, 31, v10
	;; [unrolled: 1-line block ×3, first 2 shown]
	v_lshl_add_u64 v[8:9], v[8:9], 1, s[14:15]
	v_lshl_add_u64 v[10:11], v[10:11], 1, s[14:15]
	;; [unrolled: 1-line block ×3, first 2 shown]
	global_load_ushort v29, v[6:7], off
	global_load_ushort v30, v[8:9], off
	;; [unrolled: 1-line block ×4, first 2 shown]
	s_and_saveexec_b64 s[22:23], s[0:1]
	s_cbranch_execz .LBB386_15
; %bb.19:                               ;   in Loop: Header=BB386_17 Depth=1
	global_load_ushort v33, v[6:7], off offset:64
	global_load_ushort v34, v[8:9], off offset:64
	;; [unrolled: 1-line block ×4, first 2 shown]
	s_waitcnt vmcnt(11)
	v_cvt_f32_f16_e32 v37, v25
	s_waitcnt vmcnt(10)
	v_cvt_f32_f16_e32 v38, v26
	;; [unrolled: 2-line block ×4, first 2 shown]
	s_and_saveexec_b64 s[24:25], s[2:3]
	s_cbranch_execz .LBB386_14
; %bb.20:                               ;   in Loop: Header=BB386_17 Depth=1
	global_load_ushort v41, v[6:7], off offset:128
	global_load_ushort v42, v[8:9], off offset:128
	;; [unrolled: 1-line block ×4, first 2 shown]
	s_and_saveexec_b64 s[26:27], s[4:5]
	s_cbranch_execz .LBB386_13
; %bb.21:                               ;   in Loop: Header=BB386_17 Depth=1
	global_load_ushort v45, v[6:7], off offset:192
	global_load_ushort v46, v[8:9], off offset:192
	global_load_ushort v47, v[10:11], off offset:192
	global_load_ushort v48, v[12:13], off offset:192
	s_waitcnt vmcnt(3)
	v_fma_mix_f32 v6, v37, v45, v15 op_sel_hi:[0,1,0]
	s_waitcnt vmcnt(2)
	v_fma_mix_f32 v6, v38, v46, v6 op_sel_hi:[0,1,0]
	;; [unrolled: 2-line block ×4, first 2 shown]
	s_branch .LBB386_13
.LBB386_22:
	s_or_b64 exec, exec, s[20:21]
.LBB386_23:
	s_or_b64 exec, exec, s[18:19]
	s_sub_i32 s0, s13, s35
	s_cmp_lt_i32 s0, 1
	s_cbranch_scc1 .LBB386_41
; %bb.24:
	v_cmp_gt_i32_e32 vcc, s13, v20
	v_mov_b32_e32 v10, 0
	v_or_b32_e32 v4, 1, v20
	v_mov_b32_e32 v11, 0
	v_mov_b32_e32 v12, 0
	;; [unrolled: 1-line block ×3, first 2 shown]
	s_and_saveexec_b64 s[2:3], vcc
	s_cbranch_execz .LBB386_32
; %bb.25:
	v_mul_lo_u32 v0, v20, s34
	v_ashrrev_i32_e32 v1, 31, v0
	v_lshl_add_u64 v[0:1], v[0:1], 1, s[16:17]
	global_load_ushort v0, v[0:1], off
	v_cmp_gt_i32_e64 s[0:1], s13, v4
	v_mov_b32_e32 v12, 0
	v_mov_b32_e32 v11, 0
	;; [unrolled: 1-line block ×3, first 2 shown]
	s_and_saveexec_b64 s[4:5], s[0:1]
	s_cbranch_execz .LBB386_31
; %bb.26:
	v_mul_lo_u32 v6, v4, s34
	v_ashrrev_i32_e32 v7, 31, v6
	v_lshl_add_u64 v[6:7], v[6:7], 1, s[16:17]
	global_load_ushort v1, v[6:7], off
	v_or_b32_e32 v5, 2, v20
	v_cmp_gt_i32_e64 s[0:1], s13, v5
	v_mov_b32_e32 v11, 0
	v_mov_b32_e32 v10, 0
	s_and_saveexec_b64 s[6:7], s[0:1]
	s_cbranch_execz .LBB386_30
; %bb.27:
	v_mul_lo_u32 v6, v5, s34
	v_ashrrev_i32_e32 v7, 31, v6
	v_lshl_add_u64 v[6:7], v[6:7], 1, s[16:17]
	global_load_ushort v5, v[6:7], off
	v_or_b32_e32 v6, 3, v20
	v_cmp_gt_i32_e64 s[0:1], s13, v6
	v_mov_b32_e32 v10, 0
	s_and_saveexec_b64 s[18:19], s[0:1]
	s_cbranch_execz .LBB386_29
; %bb.28:
	v_mul_lo_u32 v6, v6, s34
	v_ashrrev_i32_e32 v7, 31, v6
	v_lshl_add_u64 v[6:7], v[6:7], 1, s[16:17]
	global_load_ushort v6, v[6:7], off
	s_waitcnt vmcnt(0)
	v_cvt_f32_f16_e32 v10, v6
.LBB386_29:
	s_or_b64 exec, exec, s[18:19]
	s_waitcnt vmcnt(0)
	v_cvt_f32_f16_e32 v11, v5
.LBB386_30:
	s_or_b64 exec, exec, s[6:7]
	s_waitcnt vmcnt(0)
	v_cvt_f32_f16_e32 v12, v1
.LBB386_31:
	s_or_b64 exec, exec, s[4:5]
	s_waitcnt vmcnt(0)
	v_cvt_f32_f16_e32 v13, v0
.LBB386_32:
	s_or_b64 exec, exec, s[2:3]
	v_cmp_gt_i32_e64 s[0:1], s12, v16
	s_and_saveexec_b64 s[2:3], s[0:1]
	s_cbranch_execz .LBB386_40
; %bb.33:
	v_mul_lo_u32 v0, v20, s33
	v_cndmask_b32_e32 v0, 0, v0, vcc
	v_mul_lo_u32 v5, v4, s33
	v_cmp_gt_i32_e32 vcc, s13, v4
	v_or_b32_e32 v6, 2, v20
	v_mul_lo_u32 v7, v6, s33
	v_cndmask_b32_e32 v4, 0, v5, vcc
	v_cmp_gt_i32_e32 vcc, s13, v6
	v_or_b32_e32 v8, 3, v20
	v_mul_lo_u32 v9, v8, s33
	v_cndmask_b32_e32 v6, 0, v7, vcc
	v_cmp_gt_i32_e32 vcc, s13, v8
	v_add_u32_e32 v0, v0, v16
	v_ashrrev_i32_e32 v1, 31, v0
	v_cndmask_b32_e32 v8, 0, v9, vcc
	v_add_u32_e32 v4, v4, v16
	v_add_u32_e32 v6, v6, v16
	;; [unrolled: 1-line block ×3, first 2 shown]
	v_lshl_add_u64 v[0:1], v[0:1], 1, s[14:15]
	v_ashrrev_i32_e32 v5, 31, v4
	v_ashrrev_i32_e32 v7, 31, v6
	;; [unrolled: 1-line block ×3, first 2 shown]
	v_lshl_add_u64 v[4:5], v[4:5], 1, s[14:15]
	v_lshl_add_u64 v[6:7], v[6:7], 1, s[14:15]
	global_load_ushort v21, v[0:1], off
	global_load_ushort v22, v[4:5], off
	;; [unrolled: 1-line block ×3, first 2 shown]
	v_lshl_add_u64 v[8:9], v[8:9], 1, s[14:15]
	global_load_ushort v20, v[8:9], off
	v_add_u32_e32 v24, 32, v16
	v_cmp_gt_i32_e32 vcc, s12, v24
	s_waitcnt vmcnt(3)
	v_fma_mix_f32 v19, v13, v21, v19 op_sel_hi:[0,1,0]
	s_waitcnt vmcnt(2)
	v_fma_mix_f32 v19, v12, v22, v19 op_sel_hi:[0,1,0]
	s_waitcnt vmcnt(1)
	v_fma_mix_f32 v19, v11, v23, v19 op_sel_hi:[0,1,0]
	s_and_saveexec_b64 s[0:1], vcc
	s_cbranch_execz .LBB386_39
; %bb.34:
	global_load_ushort v22, v[0:1], off offset:64
	global_load_ushort v23, v[4:5], off offset:64
	global_load_ushort v24, v[6:7], off offset:64
	global_load_ushort v21, v[8:9], off offset:64
	v_add_u32_e32 v25, 64, v16
	v_cmp_gt_i32_e32 vcc, s12, v25
	s_waitcnt vmcnt(3)
	v_fma_mix_f32 v18, v13, v22, v18 op_sel_hi:[0,1,0]
	s_waitcnt vmcnt(2)
	v_fma_mix_f32 v18, v12, v23, v18 op_sel_hi:[0,1,0]
	s_waitcnt vmcnt(1)
	v_fma_mix_f32 v18, v11, v24, v18 op_sel_hi:[0,1,0]
	s_and_saveexec_b64 s[4:5], vcc
	s_cbranch_execz .LBB386_38
; %bb.35:
	global_load_ushort v23, v[0:1], off offset:128
	global_load_ushort v24, v[4:5], off offset:128
	global_load_ushort v25, v[6:7], off offset:128
	global_load_ushort v22, v[8:9], off offset:128
	;; [unrolled: 15-line block ×3, first 2 shown]
	s_waitcnt vmcnt(3)
	v_fma_mix_f32 v0, v13, v17, v15 op_sel_hi:[0,1,0]
	s_waitcnt vmcnt(2)
	v_fma_mix_f32 v0, v12, v23, v0 op_sel_hi:[0,1,0]
	;; [unrolled: 2-line block ×4, first 2 shown]
.LBB386_37:
	s_or_b64 exec, exec, s[6:7]
	s_waitcnt vmcnt(0)
	v_fma_mix_f32 v17, v10, v22, v16 op_sel_hi:[0,1,0]
.LBB386_38:
	s_or_b64 exec, exec, s[4:5]
	s_waitcnt vmcnt(0)
	v_fma_mix_f32 v18, v10, v21, v18 op_sel_hi:[0,1,0]
.LBB386_39:
	s_or_b64 exec, exec, s[0:1]
	s_waitcnt vmcnt(0)
	v_fma_mix_f32 v19, v10, v20, v19 op_sel_hi:[0,1,0]
.LBB386_40:
	s_or_b64 exec, exec, s[2:3]
.LBB386_41:
	v_lshlrev_b32_e32 v0, 7, v14
	s_movk_i32 s0, 0x80
	v_add_lshl_u32 v0, v0, v2, 2
	v_cmp_gt_u32_e32 vcc, s0, v3
	ds_write2_b32 v0, v19, v18 offset1:32
	ds_write2_b32 v0, v17, v15 offset0:64 offset1:96
	s_waitcnt lgkmcnt(0)
	s_barrier
	s_waitcnt lgkmcnt(0)
                                        ; implicit-def: $vgpr5
                                        ; implicit-def: $vgpr0_vgpr1
	s_and_saveexec_b64 s[0:1], vcc
	s_cbranch_execz .LBB386_47
; %bb.42:
	v_lshlrev_b32_e32 v12, 2, v3
	ds_read2st64_b32 v[0:1], v12 offset1:2
	ds_read2st64_b32 v[4:5], v12 offset0:4 offset1:6
	ds_read2st64_b32 v[6:7], v12 offset0:8 offset1:10
	;; [unrolled: 1-line block ×4, first 2 shown]
	s_waitcnt lgkmcnt(4)
	v_add_f32_e32 v0, v0, v1
	s_waitcnt lgkmcnt(3)
	v_add_f32_e32 v0, v4, v0
	v_add_f32_e32 v0, v5, v0
	s_waitcnt lgkmcnt(2)
	v_add_f32_e32 v0, v6, v0
	;; [unrolled: 3-line block ×3, first 2 shown]
	v_add_f32_e32 v2, v9, v0
	ds_read2st64_b32 v[0:1], v12 offset0:20 offset1:22
	ds_read2st64_b32 v[4:5], v12 offset0:24 offset1:26
	s_waitcnt lgkmcnt(2)
	v_add_f32_e32 v2, v10, v2
	v_add_f32_e32 v2, v11, v2
	ds_read2st64_b32 v[6:7], v12 offset0:28 offset1:30
	s_waitcnt lgkmcnt(2)
	v_add_f32_e32 v0, v0, v2
	v_add_f32_e32 v0, v1, v0
	s_waitcnt lgkmcnt(1)
	v_add_f32_e32 v0, v4, v0
	v_add_f32_e32 v0, v5, v0
	s_waitcnt lgkmcnt(0)
	v_add_f32_e32 v0, v6, v0
	v_or_b32_e32 v3, s31, v3
	v_add_f32_e32 v2, v7, v0
	v_cmp_gt_i32_e32 vcc, s12, v3
	s_mov_b64 s[4:5], s[10:11]
	ds_write_b32 v12, v2
                                        ; implicit-def: $vgpr5
                                        ; implicit-def: $vgpr0_vgpr1
	s_and_saveexec_b64 s[2:3], vcc
	s_cbranch_execz .LBB386_46
; %bb.43:
	v_cmp_eq_f32_e64 s[4:5], s29, 0
	v_mul_lo_u32 v0, v3, s30
	v_mul_f32_e32 v2, s28, v2
	v_ashrrev_i32_e32 v1, 31, v0
	s_and_b64 vcc, exec, s[4:5]
	s_cbranch_vccnz .LBB386_45
; %bb.44:
	v_lshl_add_u64 v[4:5], v[0:1], 1, s[8:9]
	global_load_ushort v3, v[4:5], off
	s_waitcnt vmcnt(0)
	v_fma_mix_f32 v2, s29, v3, v2 op_sel_hi:[0,1,0]
.LBB386_45:
	v_cvt_f16_f32_e32 v5, v2
	s_or_b64 s[4:5], s[10:11], exec
.LBB386_46:
	s_or_b64 exec, exec, s[2:3]
	s_andn2_b64 s[2:3], s[10:11], exec
	s_and_b64 s[4:5], s[4:5], exec
	s_or_b64 s[10:11], s[2:3], s[4:5]
.LBB386_47:
	s_or_b64 exec, exec, s[0:1]
.LBB386_48:
	s_and_saveexec_b64 s[0:1], s[10:11]
	s_cbranch_execz .LBB386_50
; %bb.49:
	v_lshl_add_u64 v[0:1], v[0:1], 1, s[8:9]
	global_store_short v[0:1], v5, off
.LBB386_50:
	s_endpgm
	.section	.rodata,"a",@progbits
	.p2align	6, 0x0
	.amdhsa_kernel _ZL20rocblas_gemvn_kernelILi32ELi16EiDF16_PKfDF16_EviiT3_lPKT2_lT1_lS5_lS6_lS2_lPT4_lS6_li
		.amdhsa_group_segment_fixed_size 8192
		.amdhsa_private_segment_fixed_size 0
		.amdhsa_kernarg_size 400
		.amdhsa_user_sgpr_count 2
		.amdhsa_user_sgpr_dispatch_ptr 0
		.amdhsa_user_sgpr_queue_ptr 0
		.amdhsa_user_sgpr_kernarg_segment_ptr 1
		.amdhsa_user_sgpr_dispatch_id 0
		.amdhsa_user_sgpr_kernarg_preload_length 0
		.amdhsa_user_sgpr_kernarg_preload_offset 0
		.amdhsa_user_sgpr_private_segment_size 0
		.amdhsa_uses_dynamic_stack 0
		.amdhsa_enable_private_segment 0
		.amdhsa_system_sgpr_workgroup_id_x 1
		.amdhsa_system_sgpr_workgroup_id_y 0
		.amdhsa_system_sgpr_workgroup_id_z 1
		.amdhsa_system_sgpr_workgroup_info 0
		.amdhsa_system_vgpr_workitem_id 1
		.amdhsa_next_free_vgpr 49
		.amdhsa_next_free_sgpr 39
		.amdhsa_accum_offset 52
		.amdhsa_reserve_vcc 1
		.amdhsa_float_round_mode_32 0
		.amdhsa_float_round_mode_16_64 0
		.amdhsa_float_denorm_mode_32 3
		.amdhsa_float_denorm_mode_16_64 3
		.amdhsa_dx10_clamp 1
		.amdhsa_ieee_mode 1
		.amdhsa_fp16_overflow 0
		.amdhsa_tg_split 0
		.amdhsa_exception_fp_ieee_invalid_op 0
		.amdhsa_exception_fp_denorm_src 0
		.amdhsa_exception_fp_ieee_div_zero 0
		.amdhsa_exception_fp_ieee_overflow 0
		.amdhsa_exception_fp_ieee_underflow 0
		.amdhsa_exception_fp_ieee_inexact 0
		.amdhsa_exception_int_div_zero 0
	.end_amdhsa_kernel
	.section	.text._ZL20rocblas_gemvn_kernelILi32ELi16EiDF16_PKfDF16_EviiT3_lPKT2_lT1_lS5_lS6_lS2_lPT4_lS6_li,"axG",@progbits,_ZL20rocblas_gemvn_kernelILi32ELi16EiDF16_PKfDF16_EviiT3_lPKT2_lT1_lS5_lS6_lS2_lPT4_lS6_li,comdat
.Lfunc_end386:
	.size	_ZL20rocblas_gemvn_kernelILi32ELi16EiDF16_PKfDF16_EviiT3_lPKT2_lT1_lS5_lS6_lS2_lPT4_lS6_li, .Lfunc_end386-_ZL20rocblas_gemvn_kernelILi32ELi16EiDF16_PKfDF16_EviiT3_lPKT2_lT1_lS5_lS6_lS2_lPT4_lS6_li
                                        ; -- End function
	.section	.AMDGPU.csdata,"",@progbits
; Kernel info:
; codeLenInByte = 2616
; NumSgprs: 45
; NumVgprs: 49
; NumAgprs: 0
; TotalNumVgprs: 49
; ScratchSize: 0
; MemoryBound: 0
; FloatMode: 240
; IeeeMode: 1
; LDSByteSize: 8192 bytes/workgroup (compile time only)
; SGPRBlocks: 5
; VGPRBlocks: 6
; NumSGPRsForWavesPerEU: 45
; NumVGPRsForWavesPerEU: 49
; AccumOffset: 52
; Occupancy: 8
; WaveLimiterHint : 1
; COMPUTE_PGM_RSRC2:SCRATCH_EN: 0
; COMPUTE_PGM_RSRC2:USER_SGPR: 2
; COMPUTE_PGM_RSRC2:TRAP_HANDLER: 0
; COMPUTE_PGM_RSRC2:TGID_X_EN: 1
; COMPUTE_PGM_RSRC2:TGID_Y_EN: 0
; COMPUTE_PGM_RSRC2:TGID_Z_EN: 1
; COMPUTE_PGM_RSRC2:TIDIG_COMP_CNT: 1
; COMPUTE_PGM_RSRC3_GFX90A:ACCUM_OFFSET: 12
; COMPUTE_PGM_RSRC3_GFX90A:TG_SPLIT: 0
	.section	.text._ZL20rocblas_gemvn_kernelILi32ELi16ElDF16_PKfDF16_EviiT3_lPKT2_lT1_lS5_lS6_lS2_lPT4_lS6_li,"axG",@progbits,_ZL20rocblas_gemvn_kernelILi32ELi16ElDF16_PKfDF16_EviiT3_lPKT2_lT1_lS5_lS6_lS2_lPT4_lS6_li,comdat
	.globl	_ZL20rocblas_gemvn_kernelILi32ELi16ElDF16_PKfDF16_EviiT3_lPKT2_lT1_lS5_lS6_lS2_lPT4_lS6_li ; -- Begin function _ZL20rocblas_gemvn_kernelILi32ELi16ElDF16_PKfDF16_EviiT3_lPKT2_lT1_lS5_lS6_lS2_lPT4_lS6_li
	.p2align	8
	.type	_ZL20rocblas_gemvn_kernelILi32ELi16ElDF16_PKfDF16_EviiT3_lPKT2_lT1_lS5_lS6_lS2_lPT4_lS6_li,@function
_ZL20rocblas_gemvn_kernelILi32ELi16ElDF16_PKfDF16_EviiT3_lPKT2_lT1_lS5_lS6_lS2_lPT4_lS6_li: ; @_ZL20rocblas_gemvn_kernelILi32ELi16ElDF16_PKfDF16_EviiT3_lPKT2_lT1_lS5_lS6_lS2_lPT4_lS6_li
; %bb.0:
	s_load_dwordx2 s[4:5], s[0:1], 0x9c
	s_waitcnt lgkmcnt(0)
	s_lshr_b32 s6, s4, 16
	s_and_b32 s4, s4, 0xffff
	s_and_b32 s5, s5, 0xffff
	s_mul_i32 s4, s6, s4
	s_mul_i32 s4, s4, s5
	s_cmpk_lg_i32 s4, 0x200
	s_cbranch_scc1 .LBB387_50
; %bb.1:
	s_load_dwordx16 s[36:51], s[0:1], 0x8
	s_load_dwordx16 s[8:23], s[0:1], 0x48
	s_waitcnt lgkmcnt(0)
	s_mul_i32 s5, s3, s39
	s_mul_hi_u32 s6, s3, s38
	s_mul_i32 s4, s3, s38
	s_add_i32 s5, s6, s5
	s_lshl_b64 s[4:5], s[4:5], 2
	s_add_u32 s4, s36, s4
	s_addc_u32 s5, s37, s5
	s_mul_i32 s7, s3, s15
	s_load_dword s52, s[4:5], 0x0
	s_mul_hi_u32 s4, s3, s14
	s_add_i32 s5, s4, s7
	s_mul_i32 s4, s3, s14
	s_lshl_b64 s[4:5], s[4:5], 2
	s_add_u32 s4, s12, s4
	s_addc_u32 s5, s13, s5
	s_load_dword s33, s[4:5], 0x0
	s_waitcnt lgkmcnt(0)
	v_cmp_eq_f32_e64 s[4:5], s52, 0
	v_cmp_eq_f32_e64 s[6:7], s33, 1.0
	s_and_b64 s[4:5], s[4:5], s[6:7]
	s_and_b64 vcc, exec, s[4:5]
	s_cbranch_vccnz .LBB387_50
; %bb.2:
	s_load_dwordx2 s[14:15], s[0:1], 0x0
	s_mul_i32 s0, s3, s23
	s_mul_hi_u32 s1, s3, s22
	s_add_i32 s1, s1, s0
	s_mul_i32 s0, s3, s22
	s_lshl_b64 s[0:1], s[0:1], 1
	s_add_u32 s4, s16, s0
	s_addc_u32 s5, s17, s1
	s_lshl_b64 s[0:1], s[18:19], 1
	s_add_u32 s12, s4, s0
	s_addc_u32 s13, s5, s1
	v_and_b32_e32 v29, 0x3ff, v0
	v_bfe_u32 v30, v0, 10, 10
	v_cmp_neq_f32_e64 s[0:1], s52, 0
	v_lshl_add_u32 v28, v30, 5, v29
	s_and_b64 vcc, exec, s[0:1]
	s_cbranch_vccnz .LBB387_9
; %bb.3:
	s_movk_i32 s0, 0x80
	v_cmp_gt_u32_e32 vcc, s0, v28
	s_mov_b64 s[0:1], 0
	s_mov_b64 s[16:17], 0
                                        ; implicit-def: $vgpr3
                                        ; implicit-def: $vgpr0_vgpr1
	s_and_saveexec_b64 s[4:5], vcc
	s_cbranch_execz .LBB387_10
; %bb.4:
	v_lshl_or_b32 v2, s2, 7, v28
	v_mov_b32_e32 v3, 0
	s_waitcnt lgkmcnt(0)
	s_ashr_i32 s7, s14, 31
	s_mov_b32 s6, s14
	v_cmp_gt_i64_e32 vcc, s[6:7], v[2:3]
                                        ; implicit-def: $vgpr0_vgpr1
	s_and_saveexec_b64 s[6:7], vcc
	s_cbranch_execz .LBB387_8
; %bb.5:
	v_mad_u64_u32 v[0:1], s[18:19], v2, s20, 0
	v_mov_b32_e32 v4, v1
	v_cmp_eq_f32_e64 s[16:17], s33, 0
	v_mad_u64_u32 v[4:5], s[18:19], v2, s21, v[4:5]
	v_mov_b32_e32 v1, v4
	s_and_b64 vcc, exec, s[16:17]
	s_cbranch_vccnz .LBB387_7
; %bb.6:
	v_lshl_add_u64 v[2:3], v[0:1], 1, s[12:13]
	global_load_ushort v2, v[2:3], off
	s_waitcnt vmcnt(0)
	v_fma_mixlo_f16 v3, s33, v2, 0 op_sel_hi:[0,1,0]
.LBB387_7:
	s_mov_b64 s[16:17], exec
.LBB387_8:
	s_or_b64 exec, exec, s[6:7]
	s_and_b64 s[16:17], s[16:17], exec
	s_or_b64 exec, exec, s[4:5]
	s_and_b64 vcc, exec, s[0:1]
	s_cbranch_vccnz .LBB387_11
	s_branch .LBB387_48
.LBB387_9:
	s_mov_b64 s[16:17], 0
                                        ; implicit-def: $vgpr3
                                        ; implicit-def: $vgpr0_vgpr1
	s_cbranch_execnz .LBB387_11
	s_branch .LBB387_48
.LBB387_10:
	s_or_b64 exec, exec, s[4:5]
	s_and_b64 vcc, exec, s[0:1]
	s_cbranch_vccz .LBB387_48
.LBB387_11:
	s_mul_i32 s0, s3, s47
	s_mul_hi_u32 s1, s3, s46
	s_add_i32 s19, s1, s0
	s_mul_i32 s0, s3, s11
	s_mul_hi_u32 s1, s3, s10
	s_add_i32 s11, s1, s0
	s_waitcnt lgkmcnt(0)
	s_ashr_i32 s0, s15, 31
	s_lshr_b32 s0, s0, 26
	s_add_i32 s47, s15, s0
	s_mul_i32 s18, s3, s46
	s_lshl_b32 s46, s2, 7
	s_andn2_b32 s47, s47, 63
	v_lshlrev_b32_e32 v33, 2, v30
	s_mul_i32 s10, s3, s10
	v_add_u32_e32 v0, s46, v29
	v_cmp_gt_i32_e32 vcc, s47, v33
	v_mov_b32_e32 v35, 0
	v_mov_b32_e32 v34, 0
	v_mov_b32_e32 v32, 0
	v_mov_b32_e32 v31, 0
	s_and_saveexec_b64 s[22:23], vcc
	s_cbranch_execz .LBB387_23
; %bb.12:
	v_add_u32_e32 v2, 32, v0
	v_cmp_gt_i32_e64 s[0:1], s14, v2
	v_add_u32_e32 v2, 64, v0
	v_cmp_gt_i32_e64 s[2:3], s14, v2
	;; [unrolled: 2-line block ×3, first 2 shown]
	v_mad_u64_u32 v[2:3], s[6:7], s8, v30, 0
	v_mov_b32_e32 v4, v3
	v_ashrrev_i32_e32 v1, 31, v0
	v_mad_u64_u32 v[4:5], s[6:7], s9, v30, v[4:5]
	v_mov_b32_e32 v3, v4
	v_lshlrev_b64 v[4:5], 1, v[0:1]
	v_lshlrev_b32_e32 v1, 2, v30
	v_or_b32_e32 v11, 3, v1
	v_mad_u64_u32 v[6:7], s[28:29], s44, v11, 0
	v_mov_b32_e32 v8, v7
	v_mad_u64_u32 v[8:9], s[28:29], s45, v11, v[8:9]
	v_mov_b32_e32 v7, v8
	;; [unrolled: 2-line block ×5, first 2 shown]
	v_mad_u64_u32 v[12:13], s[34:35], s45, v30, v[12:13]
	v_or_b32_e32 v17, 2, v1
	v_mov_b32_e32 v11, v12
	v_mad_u64_u32 v[12:13], s[34:35], s44, v17, 0
	v_mov_b32_e32 v14, v13
	v_mad_u64_u32 v[14:15], s[34:35], s45, v17, v[14:15]
	;; [unrolled: 2-line block ×4, first 2 shown]
	v_mov_b32_e32 v15, v16
	v_mov_b64_e32 v[16:17], s[8:9]
	v_mad_u64_u32 v[16:17], s[34:35], s8, v1, v[16:17]
	s_lshl_b64 s[24:25], s[50:51], 1
	s_lshl_b64 s[6:7], s[10:11], 1
	v_mov_b32_e32 v18, v17
	s_add_u32 s6, s48, s6
	v_mad_u64_u32 v[18:19], s[34:35], s9, v1, v[18:19]
	s_addc_u32 s7, s49, s7
	s_lshl_b64 s[26:27], s[8:9], 7
	s_lshl_b64 s[28:29], s[18:19], 1
	;; [unrolled: 1-line block ×3, first 2 shown]
	v_mov_b32_e32 v17, v18
	v_mov_b64_e32 v[18:19], s[44:45]
	v_lshl_add_u64 v[2:3], v[2:3], 3, s[6:7]
	s_add_u32 s30, s40, s30
	v_lshl_add_u64 v[8:9], v[8:9], 1, s[6:7]
	v_lshl_add_u64 v[14:15], v[14:15], 1, s[6:7]
	;; [unrolled: 1-line block ×3, first 2 shown]
	v_mad_u64_u32 v[18:19], s[6:7], s44, v1, v[18:19]
	s_addc_u32 s31, s41, s31
	v_mov_b32_e32 v20, v19
	s_add_u32 s30, s30, s28
	v_mad_u64_u32 v[20:21], s[6:7], s45, v1, v[20:21]
	s_addc_u32 s31, s31, s29
	v_mov_b32_e32 v19, v20
	v_cmp_gt_i32_e32 vcc, s14, v0
	v_lshl_add_u64 v[6:7], v[6:7], 1, s[30:31]
	s_lshl_b64 s[28:29], s[44:45], 7
	v_lshl_add_u64 v[10:11], v[10:11], 3, s[30:31]
	v_lshl_add_u64 v[12:13], v[12:13], 1, s[30:31]
	;; [unrolled: 1-line block ×3, first 2 shown]
	s_mov_b64 s[30:31], 0
	v_mov_b32_e32 v35, 0
	v_mov_b32_e32 v34, 0
	;; [unrolled: 1-line block ×4, first 2 shown]
	s_branch .LBB387_17
.LBB387_13:                             ;   in Loop: Header=BB387_17 Depth=1
	s_or_b64 exec, exec, s[38:39]
	s_waitcnt vmcnt(3)
	v_fma_mix_f32 v20, v47, v51, v32 op_sel_hi:[0,1,0]
	s_waitcnt vmcnt(2)
	v_fma_mix_f32 v20, v48, v52, v20 op_sel_hi:[0,1,0]
	;; [unrolled: 2-line block ×4, first 2 shown]
.LBB387_14:                             ;   in Loop: Header=BB387_17 Depth=1
	s_or_b64 exec, exec, s[36:37]
	s_waitcnt vmcnt(3)
	v_fma_mix_f32 v20, v47, v43, v34 op_sel_hi:[0,1,0]
	s_waitcnt vmcnt(2)
	v_fma_mix_f32 v20, v48, v44, v20 op_sel_hi:[0,1,0]
	;; [unrolled: 2-line block ×4, first 2 shown]
.LBB387_15:                             ;   in Loop: Header=BB387_17 Depth=1
	s_or_b64 exec, exec, s[34:35]
	s_waitcnt vmcnt(3)
	v_fma_mix_f32 v1, v1, v39, v35 op_sel_hi:[1,1,0]
	s_waitcnt vmcnt(2)
	v_fma_mix_f32 v1, v36, v40, v1 op_sel_hi:[1,1,0]
	;; [unrolled: 2-line block ×4, first 2 shown]
.LBB387_16:                             ;   in Loop: Header=BB387_17 Depth=1
	s_or_b64 exec, exec, s[6:7]
	v_add_u32_e32 v33, 64, v33
	v_cmp_le_i32_e64 s[6:7], s47, v33
	v_lshl_add_u64 v[2:3], v[2:3], 0, s[26:27]
	v_lshl_add_u64 v[6:7], v[6:7], 0, s[28:29]
	;; [unrolled: 1-line block ×7, first 2 shown]
	s_or_b64 s[30:31], s[6:7], s[30:31]
	v_lshl_add_u64 v[18:19], v[18:19], 0, s[28:29]
	s_andn2_b64 exec, exec, s[30:31]
	s_cbranch_execz .LBB387_22
.LBB387_17:                             ; =>This Inner Loop Header: Depth=1
	s_and_saveexec_b64 s[6:7], vcc
	s_cbranch_execz .LBB387_16
; %bb.18:                               ;   in Loop: Header=BB387_17 Depth=1
	v_lshl_add_u64 v[20:21], v[2:3], 0, s[24:25]
	global_load_ushort v1, v[20:21], off
	v_lshl_add_u64 v[20:21], v[16:17], 0, s[24:25]
	global_load_ushort v36, v[20:21], off
	;; [unrolled: 2-line block ×4, first 2 shown]
	v_lshl_add_u64 v[20:21], v[10:11], 0, v[4:5]
	v_lshl_add_u64 v[22:23], v[18:19], 0, v[4:5]
	;; [unrolled: 1-line block ×4, first 2 shown]
	global_load_ushort v39, v[20:21], off
	global_load_ushort v40, v[22:23], off
	;; [unrolled: 1-line block ×4, first 2 shown]
	s_and_saveexec_b64 s[34:35], s[0:1]
	s_cbranch_execz .LBB387_15
; %bb.19:                               ;   in Loop: Header=BB387_17 Depth=1
	global_load_ushort v43, v[20:21], off offset:64
	global_load_ushort v44, v[22:23], off offset:64
	;; [unrolled: 1-line block ×4, first 2 shown]
	s_waitcnt vmcnt(11)
	v_cvt_f32_f16_e32 v47, v1
	s_waitcnt vmcnt(10)
	v_cvt_f32_f16_e32 v48, v36
	;; [unrolled: 2-line block ×4, first 2 shown]
	s_and_saveexec_b64 s[36:37], s[2:3]
	s_cbranch_execz .LBB387_14
; %bb.20:                               ;   in Loop: Header=BB387_17 Depth=1
	global_load_ushort v51, v[20:21], off offset:128
	global_load_ushort v52, v[22:23], off offset:128
	;; [unrolled: 1-line block ×4, first 2 shown]
	s_and_saveexec_b64 s[38:39], s[4:5]
	s_cbranch_execz .LBB387_13
; %bb.21:                               ;   in Loop: Header=BB387_17 Depth=1
	global_load_ushort v20, v[20:21], off offset:192
	s_nop 0
	global_load_ushort v21, v[22:23], off offset:192
	s_nop 0
	global_load_ushort v22, v[24:25], off offset:192
	global_load_ushort v23, v[26:27], off offset:192
	s_waitcnt vmcnt(3)
	v_fma_mix_f32 v20, v47, v20, v31 op_sel_hi:[0,1,0]
	s_waitcnt vmcnt(2)
	v_fma_mix_f32 v20, v48, v21, v20 op_sel_hi:[0,1,0]
	;; [unrolled: 2-line block ×4, first 2 shown]
	s_branch .LBB387_13
.LBB387_22:
	s_or_b64 exec, exec, s[30:31]
.LBB387_23:
	s_or_b64 exec, exec, s[22:23]
	s_sub_i32 s0, s15, s47
	s_cmp_lt_i32 s0, 1
	s_cbranch_scc1 .LBB387_41
; %bb.24:
	v_cmp_gt_i32_e32 vcc, s15, v33
	v_mov_b32_e32 v10, 0
	v_or_b32_e32 v4, 1, v33
	v_mov_b32_e32 v11, 0
	v_mov_b32_e32 v12, 0
	;; [unrolled: 1-line block ×3, first 2 shown]
	s_and_saveexec_b64 s[2:3], vcc
	s_cbranch_execz .LBB387_32
; %bb.25:
	s_lshl_b64 s[0:1], s[10:11], 1
	s_add_u32 s4, s48, s0
	s_addc_u32 s5, s49, s1
	s_lshl_b64 s[0:1], s[50:51], 1
	s_add_u32 s6, s4, s0
	s_addc_u32 s7, s5, s1
	v_mad_u64_u32 v[2:3], s[0:1], v33, s8, 0
	v_mov_b32_e32 v6, v3
	v_mad_u64_u32 v[6:7], s[0:1], v33, s9, v[6:7]
	v_mov_b32_e32 v3, v6
	v_lshl_add_u64 v[2:3], v[2:3], 1, s[6:7]
	global_load_ushort v1, v[2:3], off
	v_cmp_gt_i32_e64 s[0:1], s15, v4
	v_mov_b32_e32 v12, 0
	v_mov_b32_e32 v11, 0
	;; [unrolled: 1-line block ×3, first 2 shown]
	s_and_saveexec_b64 s[4:5], s[0:1]
	s_cbranch_execz .LBB387_31
; %bb.26:
	v_mad_u64_u32 v[2:3], s[0:1], v4, s8, 0
	v_mov_b32_e32 v6, v3
	v_mad_u64_u32 v[6:7], s[0:1], v4, s9, v[6:7]
	v_mov_b32_e32 v3, v6
	v_lshl_add_u64 v[2:3], v[2:3], 1, s[6:7]
	global_load_ushort v2, v[2:3], off
	v_or_b32_e32 v3, 2, v33
	v_cmp_gt_i32_e64 s[0:1], s15, v3
	v_mov_b32_e32 v11, 0
	v_mov_b32_e32 v10, 0
	s_and_saveexec_b64 s[10:11], s[0:1]
	s_cbranch_execz .LBB387_30
; %bb.27:
	v_mad_u64_u32 v[6:7], s[0:1], v3, s8, 0
	v_mov_b32_e32 v8, v7
	v_mad_u64_u32 v[8:9], s[0:1], v3, s9, v[8:9]
	v_mov_b32_e32 v7, v8
	v_lshl_add_u64 v[6:7], v[6:7], 1, s[6:7]
	global_load_ushort v3, v[6:7], off
	v_or_b32_e32 v5, 3, v33
	v_cmp_gt_i32_e64 s[0:1], s15, v5
	v_mov_b32_e32 v10, 0
	s_and_saveexec_b64 s[22:23], s[0:1]
	s_cbranch_execz .LBB387_29
; %bb.28:
	v_mad_u64_u32 v[6:7], s[0:1], v5, s8, 0
	v_mov_b32_e32 v8, v7
	v_mad_u64_u32 v[8:9], s[0:1], v5, s9, v[8:9]
	v_mov_b32_e32 v7, v8
	v_lshl_add_u64 v[6:7], v[6:7], 1, s[6:7]
	global_load_ushort v5, v[6:7], off
	s_waitcnt vmcnt(0)
	v_cvt_f32_f16_e32 v10, v5
.LBB387_29:
	s_or_b64 exec, exec, s[22:23]
	s_waitcnt vmcnt(0)
	v_cvt_f32_f16_e32 v11, v3
.LBB387_30:
	s_or_b64 exec, exec, s[10:11]
	s_waitcnt vmcnt(0)
	v_cvt_f32_f16_e32 v12, v2
.LBB387_31:
	s_or_b64 exec, exec, s[4:5]
	s_waitcnt vmcnt(0)
	v_cvt_f32_f16_e32 v13, v1
.LBB387_32:
	s_or_b64 exec, exec, s[2:3]
	v_cmp_gt_i32_e64 s[0:1], s14, v0
	s_and_saveexec_b64 s[2:3], s[0:1]
	s_cbranch_execz .LBB387_40
; %bb.33:
	s_lshl_b64 s[0:1], s[18:19], 1
	s_add_u32 s4, s40, s0
	s_addc_u32 s5, s41, s1
	s_lshl_b64 s[0:1], s[42:43], 1
	s_add_u32 s0, s4, s0
	s_addc_u32 s1, s5, s1
	v_mad_u64_u32 v[2:3], s[4:5], v33, s44, 0
	v_mov_b32_e32 v6, v3
	v_mad_u64_u32 v[6:7], s[4:5], v33, s45, v[6:7]
	v_ashrrev_i32_e32 v1, 31, v0
	v_cndmask_b32_e32 v3, 0, v6, vcc
	v_mad_u64_u32 v[6:7], s[4:5], v4, s44, 0
	v_cndmask_b32_e32 v2, 0, v2, vcc
	v_lshlrev_b64 v[8:9], 1, v[0:1]
	v_mov_b32_e32 v14, v7
	v_cmp_gt_i32_e32 vcc, s15, v4
	v_or_b32_e32 v1, 2, v33
	v_mad_u64_u32 v[14:15], s[4:5], v4, s45, v[14:15]
	v_cndmask_b32_e32 v4, 0, v6, vcc
	v_mad_u64_u32 v[6:7], s[4:5], v1, s44, 0
	v_cndmask_b32_e32 v5, 0, v14, vcc
	v_mov_b32_e32 v14, v7
	v_mad_u64_u32 v[14:15], s[4:5], v1, s45, v[14:15]
	v_cmp_gt_i32_e32 vcc, s15, v1
	v_or_b32_e32 v1, 3, v33
	v_lshl_add_u64 v[2:3], v[2:3], 1, s[0:1]
	v_cndmask_b32_e32 v7, 0, v14, vcc
	v_mad_u64_u32 v[14:15], s[4:5], v1, s44, 0
	v_mov_b32_e32 v16, v15
	v_cndmask_b32_e32 v6, 0, v6, vcc
	v_mad_u64_u32 v[16:17], s[4:5], v1, s45, v[16:17]
	v_cmp_gt_i32_e32 vcc, s15, v1
	v_lshl_add_u64 v[2:3], v[2:3], 0, v[8:9]
	v_lshl_add_u64 v[4:5], v[4:5], 1, s[0:1]
	v_cndmask_b32_e32 v14, 0, v14, vcc
	v_cndmask_b32_e32 v15, 0, v16, vcc
	v_lshl_add_u64 v[6:7], v[6:7], 1, s[0:1]
	v_lshl_add_u64 v[14:15], v[14:15], 1, s[0:1]
	;; [unrolled: 1-line block ×4, first 2 shown]
	global_load_ushort v16, v[2:3], off
	global_load_ushort v17, v[4:5], off
	;; [unrolled: 1-line block ×3, first 2 shown]
	v_lshl_add_u64 v[8:9], v[14:15], 0, v[8:9]
	global_load_ushort v1, v[8:9], off
	v_add_u32_e32 v15, 32, v0
	v_cmp_gt_i32_e32 vcc, s14, v15
	s_waitcnt vmcnt(3)
	v_fma_mix_f32 v14, v13, v16, v35 op_sel_hi:[0,1,0]
	s_waitcnt vmcnt(2)
	v_fma_mix_f32 v14, v12, v17, v14 op_sel_hi:[0,1,0]
	s_waitcnt vmcnt(1)
	v_fma_mix_f32 v14, v11, v18, v14 op_sel_hi:[0,1,0]
	s_and_saveexec_b64 s[0:1], vcc
	s_cbranch_execz .LBB387_39
; %bb.34:
	global_load_ushort v16, v[2:3], off offset:64
	global_load_ushort v17, v[4:5], off offset:64
	global_load_ushort v18, v[6:7], off offset:64
	global_load_ushort v15, v[8:9], off offset:64
	v_add_u32_e32 v19, 64, v0
	v_cmp_gt_i32_e32 vcc, s14, v19
	s_waitcnt vmcnt(3)
	v_fma_mix_f32 v16, v13, v16, v34 op_sel_hi:[0,1,0]
	s_waitcnt vmcnt(2)
	v_fma_mix_f32 v16, v12, v17, v16 op_sel_hi:[0,1,0]
	s_waitcnt vmcnt(1)
	v_fma_mix_f32 v16, v11, v18, v16 op_sel_hi:[0,1,0]
	s_and_saveexec_b64 s[4:5], vcc
	s_cbranch_execz .LBB387_38
; %bb.35:
	global_load_ushort v18, v[2:3], off offset:128
	global_load_ushort v19, v[4:5], off offset:128
	global_load_ushort v20, v[6:7], off offset:128
	global_load_ushort v17, v[8:9], off offset:128
	;; [unrolled: 15-line block ×3, first 2 shown]
	s_waitcnt vmcnt(3)
	v_fma_mix_f32 v2, v13, v18, v31 op_sel_hi:[0,1,0]
	s_waitcnt vmcnt(2)
	v_fma_mix_f32 v2, v12, v19, v2 op_sel_hi:[0,1,0]
	;; [unrolled: 2-line block ×4, first 2 shown]
.LBB387_37:
	s_or_b64 exec, exec, s[6:7]
	s_waitcnt vmcnt(0)
	v_fma_mix_f32 v32, v10, v17, v0 op_sel_hi:[0,1,0]
.LBB387_38:
	s_or_b64 exec, exec, s[4:5]
	s_waitcnt vmcnt(0)
	v_fma_mix_f32 v34, v10, v15, v16 op_sel_hi:[0,1,0]
.LBB387_39:
	s_or_b64 exec, exec, s[0:1]
	s_waitcnt vmcnt(0)
	v_fma_mix_f32 v35, v10, v1, v14 op_sel_hi:[0,1,0]
.LBB387_40:
	s_or_b64 exec, exec, s[2:3]
.LBB387_41:
	v_lshlrev_b32_e32 v0, 7, v30
	s_movk_i32 s0, 0x80
	v_add_lshl_u32 v0, v0, v29, 2
	v_cmp_gt_u32_e32 vcc, s0, v28
	ds_write2_b32 v0, v35, v34 offset1:32
	ds_write2_b32 v0, v32, v31 offset0:64 offset1:96
	s_waitcnt lgkmcnt(0)
	s_barrier
	s_waitcnt lgkmcnt(0)
                                        ; implicit-def: $vgpr3
                                        ; implicit-def: $vgpr0_vgpr1
	s_and_saveexec_b64 s[0:1], vcc
	s_cbranch_execz .LBB387_47
; %bb.42:
	v_lshlrev_b32_e32 v10, 2, v28
	ds_read2st64_b32 v[0:1], v10 offset1:2
	ds_read2st64_b32 v[2:3], v10 offset0:4 offset1:6
	ds_read2st64_b32 v[4:5], v10 offset0:8 offset1:10
	;; [unrolled: 1-line block ×4, first 2 shown]
	s_waitcnt lgkmcnt(4)
	v_add_f32_e32 v0, v0, v1
	s_waitcnt lgkmcnt(3)
	v_add_f32_e32 v0, v2, v0
	v_add_f32_e32 v0, v3, v0
	s_waitcnt lgkmcnt(2)
	v_add_f32_e32 v0, v4, v0
	;; [unrolled: 3-line block ×3, first 2 shown]
	v_add_f32_e32 v2, v7, v0
	ds_read2st64_b32 v[0:1], v10 offset0:20 offset1:22
	s_waitcnt lgkmcnt(1)
	v_add_f32_e32 v4, v8, v2
	ds_read2st64_b32 v[2:3], v10 offset0:24 offset1:26
	v_add_f32_e32 v6, v9, v4
	ds_read2st64_b32 v[4:5], v10 offset0:28 offset1:30
	s_waitcnt lgkmcnt(2)
	v_add_f32_e32 v0, v0, v6
	v_add_f32_e32 v0, v1, v0
	s_waitcnt lgkmcnt(1)
	v_add_f32_e32 v0, v2, v0
	v_add_f32_e32 v0, v3, v0
	s_waitcnt lgkmcnt(0)
	v_add_f32_e32 v0, v4, v0
	v_or_b32_e32 v4, s46, v28
	v_add_f32_e32 v2, v5, v0
	v_cmp_gt_i32_e32 vcc, s14, v4
	s_mov_b64 s[4:5], s[16:17]
	ds_write_b32 v10, v2
                                        ; implicit-def: $vgpr3
                                        ; implicit-def: $vgpr0_vgpr1
	s_and_saveexec_b64 s[2:3], vcc
	s_cbranch_execz .LBB387_46
; %bb.43:
	v_ashrrev_i32_e32 v0, 31, v4
	v_cmp_eq_f32_e64 s[4:5], s33, 0
	v_mul_lo_u32 v3, v4, s21
	v_mul_lo_u32 v5, v0, s20
	v_mad_u64_u32 v[0:1], s[6:7], v4, s20, 0
	v_mul_f32_e32 v2, s52, v2
	v_add3_u32 v1, v1, v3, v5
	s_and_b64 vcc, exec, s[4:5]
	s_cbranch_vccnz .LBB387_45
; %bb.44:
	v_lshl_add_u64 v[4:5], v[0:1], 1, s[12:13]
	global_load_ushort v3, v[4:5], off
	s_waitcnt vmcnt(0)
	v_fma_mix_f32 v2, s33, v3, v2 op_sel_hi:[0,1,0]
.LBB387_45:
	v_cvt_f16_f32_e32 v3, v2
	s_or_b64 s[4:5], s[16:17], exec
.LBB387_46:
	s_or_b64 exec, exec, s[2:3]
	s_andn2_b64 s[2:3], s[16:17], exec
	s_and_b64 s[4:5], s[4:5], exec
	s_or_b64 s[16:17], s[2:3], s[4:5]
.LBB387_47:
	s_or_b64 exec, exec, s[0:1]
.LBB387_48:
	s_and_saveexec_b64 s[0:1], s[16:17]
	s_cbranch_execz .LBB387_50
; %bb.49:
	v_lshl_add_u64 v[0:1], v[0:1], 1, s[12:13]
	global_store_short v[0:1], v3, off
.LBB387_50:
	s_endpgm
	.section	.rodata,"a",@progbits
	.p2align	6, 0x0
	.amdhsa_kernel _ZL20rocblas_gemvn_kernelILi32ELi16ElDF16_PKfDF16_EviiT3_lPKT2_lT1_lS5_lS6_lS2_lPT4_lS6_li
		.amdhsa_group_segment_fixed_size 8192
		.amdhsa_private_segment_fixed_size 0
		.amdhsa_kernarg_size 400
		.amdhsa_user_sgpr_count 2
		.amdhsa_user_sgpr_dispatch_ptr 0
		.amdhsa_user_sgpr_queue_ptr 0
		.amdhsa_user_sgpr_kernarg_segment_ptr 1
		.amdhsa_user_sgpr_dispatch_id 0
		.amdhsa_user_sgpr_kernarg_preload_length 0
		.amdhsa_user_sgpr_kernarg_preload_offset 0
		.amdhsa_user_sgpr_private_segment_size 0
		.amdhsa_uses_dynamic_stack 0
		.amdhsa_enable_private_segment 0
		.amdhsa_system_sgpr_workgroup_id_x 1
		.amdhsa_system_sgpr_workgroup_id_y 0
		.amdhsa_system_sgpr_workgroup_id_z 1
		.amdhsa_system_sgpr_workgroup_info 0
		.amdhsa_system_vgpr_workitem_id 1
		.amdhsa_next_free_vgpr 55
		.amdhsa_next_free_sgpr 53
		.amdhsa_accum_offset 56
		.amdhsa_reserve_vcc 1
		.amdhsa_float_round_mode_32 0
		.amdhsa_float_round_mode_16_64 0
		.amdhsa_float_denorm_mode_32 3
		.amdhsa_float_denorm_mode_16_64 3
		.amdhsa_dx10_clamp 1
		.amdhsa_ieee_mode 1
		.amdhsa_fp16_overflow 0
		.amdhsa_tg_split 0
		.amdhsa_exception_fp_ieee_invalid_op 0
		.amdhsa_exception_fp_denorm_src 0
		.amdhsa_exception_fp_ieee_div_zero 0
		.amdhsa_exception_fp_ieee_overflow 0
		.amdhsa_exception_fp_ieee_underflow 0
		.amdhsa_exception_fp_ieee_inexact 0
		.amdhsa_exception_int_div_zero 0
	.end_amdhsa_kernel
	.section	.text._ZL20rocblas_gemvn_kernelILi32ELi16ElDF16_PKfDF16_EviiT3_lPKT2_lT1_lS5_lS6_lS2_lPT4_lS6_li,"axG",@progbits,_ZL20rocblas_gemvn_kernelILi32ELi16ElDF16_PKfDF16_EviiT3_lPKT2_lT1_lS5_lS6_lS2_lPT4_lS6_li,comdat
.Lfunc_end387:
	.size	_ZL20rocblas_gemvn_kernelILi32ELi16ElDF16_PKfDF16_EviiT3_lPKT2_lT1_lS5_lS6_lS2_lPT4_lS6_li, .Lfunc_end387-_ZL20rocblas_gemvn_kernelILi32ELi16ElDF16_PKfDF16_EviiT3_lPKT2_lT1_lS5_lS6_lS2_lPT4_lS6_li
                                        ; -- End function
	.section	.AMDGPU.csdata,"",@progbits
; Kernel info:
; codeLenInByte = 2916
; NumSgprs: 59
; NumVgprs: 55
; NumAgprs: 0
; TotalNumVgprs: 55
; ScratchSize: 0
; MemoryBound: 0
; FloatMode: 240
; IeeeMode: 1
; LDSByteSize: 8192 bytes/workgroup (compile time only)
; SGPRBlocks: 7
; VGPRBlocks: 6
; NumSGPRsForWavesPerEU: 59
; NumVGPRsForWavesPerEU: 55
; AccumOffset: 56
; Occupancy: 8
; WaveLimiterHint : 0
; COMPUTE_PGM_RSRC2:SCRATCH_EN: 0
; COMPUTE_PGM_RSRC2:USER_SGPR: 2
; COMPUTE_PGM_RSRC2:TRAP_HANDLER: 0
; COMPUTE_PGM_RSRC2:TGID_X_EN: 1
; COMPUTE_PGM_RSRC2:TGID_Y_EN: 0
; COMPUTE_PGM_RSRC2:TGID_Z_EN: 1
; COMPUTE_PGM_RSRC2:TIDIG_COMP_CNT: 1
; COMPUTE_PGM_RSRC3_GFX90A:ACCUM_OFFSET: 13
; COMPUTE_PGM_RSRC3_GFX90A:TG_SPLIT: 0
	.section	.text._ZL20rocblas_gemvn_kernelILi32ELi16EiDF16_fDF16_EviiT3_lPKT2_lT1_lS3_lS4_lS0_lPT4_lS4_li,"axG",@progbits,_ZL20rocblas_gemvn_kernelILi32ELi16EiDF16_fDF16_EviiT3_lPKT2_lT1_lS3_lS4_lS0_lPT4_lS4_li,comdat
	.globl	_ZL20rocblas_gemvn_kernelILi32ELi16EiDF16_fDF16_EviiT3_lPKT2_lT1_lS3_lS4_lS0_lPT4_lS4_li ; -- Begin function _ZL20rocblas_gemvn_kernelILi32ELi16EiDF16_fDF16_EviiT3_lPKT2_lT1_lS3_lS4_lS0_lPT4_lS4_li
	.p2align	8
	.type	_ZL20rocblas_gemvn_kernelILi32ELi16EiDF16_fDF16_EviiT3_lPKT2_lT1_lS3_lS4_lS0_lPT4_lS4_li,@function
_ZL20rocblas_gemvn_kernelILi32ELi16EiDF16_fDF16_EviiT3_lPKT2_lT1_lS3_lS4_lS0_lPT4_lS4_li: ; @_ZL20rocblas_gemvn_kernelILi32ELi16EiDF16_fDF16_EviiT3_lPKT2_lT1_lS3_lS4_lS0_lPT4_lS4_li
; %bb.0:
	s_load_dwordx2 s[4:5], s[0:1], 0x9c
	s_waitcnt lgkmcnt(0)
	s_lshr_b32 s6, s4, 16
	s_and_b32 s4, s4, 0xffff
	s_and_b32 s5, s5, 0xffff
	s_mul_i32 s4, s6, s4
	s_mul_i32 s4, s4, s5
	s_cmpk_lg_i32 s4, 0x200
	s_cbranch_scc1 .LBB388_50
; %bb.1:
	s_load_dwordx4 s[8:11], s[0:1], 0x0
	s_waitcnt lgkmcnt(0)
	s_load_dword s11, s[0:1], 0x58
	v_cmp_eq_f32_e64 s[4:5], s10, 0
	s_waitcnt lgkmcnt(0)
	v_cmp_eq_f32_e64 s[6:7], s11, 1.0
	s_and_b64 s[4:5], s[4:5], s[6:7]
	s_and_b64 vcc, exec, s[4:5]
	s_cbranch_vccnz .LBB388_50
; %bb.2:
	s_load_dwordx2 s[12:13], s[0:1], 0x80
	s_load_dwordx4 s[4:7], s[0:1], 0x68
	s_load_dword s30, s[0:1], 0x78
	v_and_b32_e32 v2, 0x3ff, v0
	v_bfe_u32 v14, v0, 10, 10
	s_waitcnt lgkmcnt(0)
	s_mul_i32 s13, s3, s13
	s_mul_hi_u32 s14, s3, s12
	s_mul_i32 s12, s3, s12
	s_add_i32 s13, s14, s13
	s_lshl_b64 s[12:13], s[12:13], 1
	s_add_u32 s12, s4, s12
	s_addc_u32 s13, s5, s13
	s_lshl_b64 s[4:5], s[6:7], 1
	s_add_u32 s12, s12, s4
	s_addc_u32 s13, s13, s5
	v_cmp_neq_f32_e64 s[4:5], s10, 0
	v_lshl_add_u32 v3, v14, 5, v2
	s_and_b64 vcc, exec, s[4:5]
	s_cbranch_vccnz .LBB388_9
; %bb.3:
	s_movk_i32 s4, 0x80
	v_cmp_gt_u32_e32 vcc, s4, v3
	s_mov_b64 s[4:5], 0
	s_mov_b64 s[14:15], 0
                                        ; implicit-def: $vgpr5
                                        ; implicit-def: $vgpr0_vgpr1
	s_and_saveexec_b64 s[6:7], vcc
	s_cbranch_execz .LBB388_10
; %bb.4:
	v_lshl_or_b32 v4, s2, 7, v3
	v_mov_b32_e32 v5, 0
	s_ashr_i32 s15, s8, 31
	s_mov_b32 s14, s8
	v_cmp_gt_i64_e32 vcc, s[14:15], v[4:5]
	s_mov_b64 s[16:17], 0
                                        ; implicit-def: $vgpr0_vgpr1
	s_and_saveexec_b64 s[14:15], vcc
	s_cbranch_execz .LBB388_8
; %bb.5:
	v_mad_u64_u32 v[0:1], s[18:19], s30, v4, 0
	s_ashr_i32 s20, s30, 31
	v_mov_b32_e32 v6, v1
	v_cmp_eq_f32_e64 s[16:17], s11, 0
	v_mad_u64_u32 v[6:7], s[18:19], s20, v4, v[6:7]
	v_mov_b32_e32 v1, v6
	s_and_b64 vcc, exec, s[16:17]
	s_cbranch_vccnz .LBB388_7
; %bb.6:
	v_lshl_add_u64 v[4:5], v[0:1], 1, s[12:13]
	global_load_ushort v4, v[4:5], off
	s_waitcnt vmcnt(0)
	v_fma_mixlo_f16 v5, v4, s11, 0 op_sel_hi:[1,0,0]
.LBB388_7:
	s_mov_b64 s[16:17], exec
.LBB388_8:
	s_or_b64 exec, exec, s[14:15]
	s_and_b64 s[14:15], s[16:17], exec
	s_or_b64 exec, exec, s[6:7]
	s_and_b64 vcc, exec, s[4:5]
	s_cbranch_vccnz .LBB388_11
	s_branch .LBB388_48
.LBB388_9:
	s_mov_b64 s[14:15], 0
                                        ; implicit-def: $vgpr5
                                        ; implicit-def: $vgpr0_vgpr1
	s_cbranch_execnz .LBB388_11
	s_branch .LBB388_48
.LBB388_10:
	s_or_b64 exec, exec, s[6:7]
	s_and_b64 vcc, exec, s[4:5]
	s_cbranch_vccz .LBB388_48
.LBB388_11:
	s_load_dwordx4 s[4:7], s[0:1], 0x30
	s_load_dwordx4 s[16:19], s[0:1], 0x18
	s_load_dword s33, s[0:1], 0x28
	s_load_dwordx2 s[20:21], s[0:1], 0x40
	s_load_dword s34, s[0:1], 0x48
	s_load_dwordx2 s[22:23], s[0:1], 0x50
	s_waitcnt lgkmcnt(0)
	s_mul_i32 s0, s3, s5
	s_mul_hi_u32 s1, s3, s4
	s_add_i32 s1, s1, s0
	s_mul_i32 s0, s3, s4
	s_lshl_b64 s[0:1], s[0:1], 1
	s_add_u32 s4, s16, s0
	s_addc_u32 s5, s17, s1
	s_lshl_b64 s[0:1], s[18:19], 1
	s_add_u32 s16, s4, s0
	s_addc_u32 s17, s5, s1
	s_mul_i32 s0, s3, s23
	s_mul_hi_u32 s1, s3, s22
	s_add_i32 s1, s1, s0
	s_mul_i32 s0, s3, s22
	s_lshl_b64 s[0:1], s[0:1], 1
	s_add_u32 s3, s6, s0
	s_addc_u32 s4, s7, s1
	s_lshl_b64 s[0:1], s[20:21], 1
	s_add_u32 s18, s3, s0
	s_addc_u32 s19, s4, s1
	s_ashr_i32 s0, s9, 31
	s_lshr_b32 s0, s0, 26
	s_add_i32 s35, s9, s0
	s_lshl_b32 s31, s2, 7
	s_andn2_b32 s35, s35, 63
	v_lshlrev_b32_e32 v20, 2, v14
	v_add_u32_e32 v16, s31, v2
	v_cmp_gt_i32_e32 vcc, s35, v20
	v_mov_b32_e32 v19, 0
	v_mov_b32_e32 v18, 0
	;; [unrolled: 1-line block ×4, first 2 shown]
	s_and_saveexec_b64 s[20:21], vcc
	s_cbranch_execz .LBB388_23
; %bb.12:
	v_add_u32_e32 v0, 32, v16
	v_cmp_gt_i32_e64 s[0:1], s8, v0
	v_add_u32_e32 v0, 64, v16
	v_cmp_gt_i32_e64 s[2:3], s8, v0
	;; [unrolled: 2-line block ×3, first 2 shown]
	v_mul_lo_u32 v0, s33, v20
	v_add_u32_e32 v6, 2, v20
	v_add_u32_e32 v7, 3, v20
	v_add3_u32 v21, v0, s33, v2
	v_mad_u64_u32 v[0:1], s[6:7], s33, v6, v[2:3]
	v_mad_u64_u32 v[4:5], s[6:7], s33, v7, v[2:3]
	v_mul_lo_u32 v1, v14, s33
	v_mul_lo_u32 v5, s34, v20
	;; [unrolled: 1-line block ×4, first 2 shown]
	v_cmp_gt_i32_e32 vcc, s8, v16
	s_lshl_b32 s36, s33, 6
	v_lshl_add_u32 v1, v1, 2, v2
	v_add_u32_e32 v5, s34, v5
	s_lshl_b32 s37, s34, 6
	v_mul_lo_u32 v23, s34, v7
	v_lshlrev_b32_e32 v24, 2, v6
	s_mov_b32 s38, 0
	s_mov_b64 s[22:23], 0
	v_mov_b32_e32 v19, 0
	v_mov_b32_e32 v18, 0
	;; [unrolled: 1-line block ×4, first 2 shown]
	s_branch .LBB388_17
.LBB388_13:                             ;   in Loop: Header=BB388_17 Depth=1
	s_or_b64 exec, exec, s[28:29]
	s_waitcnt vmcnt(3)
	v_fma_mix_f32 v6, v37, v41, v17 op_sel_hi:[0,1,0]
	s_waitcnt vmcnt(2)
	v_fma_mix_f32 v6, v38, v42, v6 op_sel_hi:[0,1,0]
	s_waitcnt vmcnt(1)
	v_fma_mix_f32 v6, v39, v43, v6 op_sel_hi:[0,1,0]
	s_waitcnt vmcnt(0)
	v_fma_mix_f32 v17, v40, v44, v6 op_sel_hi:[0,1,0]
.LBB388_14:                             ;   in Loop: Header=BB388_17 Depth=1
	s_or_b64 exec, exec, s[26:27]
	s_waitcnt vmcnt(3)
	v_fma_mix_f32 v6, v37, v33, v18 op_sel_hi:[0,1,0]
	s_waitcnt vmcnt(2)
	v_fma_mix_f32 v6, v38, v34, v6 op_sel_hi:[0,1,0]
	;; [unrolled: 2-line block ×4, first 2 shown]
.LBB388_15:                             ;   in Loop: Header=BB388_17 Depth=1
	s_or_b64 exec, exec, s[24:25]
	s_waitcnt vmcnt(3)
	v_fma_mix_f32 v6, v25, v29, v19 op_sel_hi:[1,1,0]
	s_waitcnt vmcnt(2)
	v_fma_mix_f32 v6, v26, v30, v6 op_sel_hi:[1,1,0]
	;; [unrolled: 2-line block ×4, first 2 shown]
.LBB388_16:                             ;   in Loop: Header=BB388_17 Depth=1
	s_or_b64 exec, exec, s[6:7]
	v_add_u32_e32 v20, 64, v20
	s_add_i32 s38, s38, s37
	v_cmp_le_i32_e64 s[6:7], s35, v20
	v_add_u32_e32 v21, s36, v21
	v_add_u32_e32 v0, s36, v0
	;; [unrolled: 1-line block ×3, first 2 shown]
	s_or_b64 s[22:23], s[6:7], s[22:23]
	v_add_u32_e32 v1, s36, v1
	s_andn2_b64 exec, exec, s[22:23]
	s_cbranch_execz .LBB388_22
.LBB388_17:                             ; =>This Inner Loop Header: Depth=1
	s_and_saveexec_b64 s[6:7], vcc
	s_cbranch_execz .LBB388_16
; %bb.18:                               ;   in Loop: Header=BB388_17 Depth=1
	v_add_u32_e32 v6, s38, v24
	v_ashrrev_i32_e32 v7, 31, v6
	v_add_u32_e32 v8, s38, v5
	v_add_u32_e32 v10, s38, v22
	;; [unrolled: 1-line block ×3, first 2 shown]
	v_lshl_add_u64 v[6:7], v[6:7], 1, s[18:19]
	v_ashrrev_i32_e32 v9, 31, v8
	v_ashrrev_i32_e32 v11, 31, v10
	;; [unrolled: 1-line block ×3, first 2 shown]
	v_lshl_add_u64 v[8:9], v[8:9], 1, s[18:19]
	v_lshl_add_u64 v[10:11], v[10:11], 1, s[18:19]
	;; [unrolled: 1-line block ×3, first 2 shown]
	global_load_ushort v25, v[6:7], off
	global_load_ushort v26, v[8:9], off
	global_load_ushort v27, v[10:11], off
	global_load_ushort v28, v[12:13], off
	v_add_u32_e32 v6, s31, v1
	v_ashrrev_i32_e32 v7, 31, v6
	v_add_u32_e32 v8, s31, v21
	v_add_u32_e32 v10, s31, v0
	;; [unrolled: 1-line block ×3, first 2 shown]
	v_lshl_add_u64 v[6:7], v[6:7], 1, s[16:17]
	v_ashrrev_i32_e32 v9, 31, v8
	v_ashrrev_i32_e32 v11, 31, v10
	;; [unrolled: 1-line block ×3, first 2 shown]
	v_lshl_add_u64 v[8:9], v[8:9], 1, s[16:17]
	v_lshl_add_u64 v[10:11], v[10:11], 1, s[16:17]
	;; [unrolled: 1-line block ×3, first 2 shown]
	global_load_ushort v29, v[6:7], off
	global_load_ushort v30, v[8:9], off
	;; [unrolled: 1-line block ×4, first 2 shown]
	s_and_saveexec_b64 s[24:25], s[0:1]
	s_cbranch_execz .LBB388_15
; %bb.19:                               ;   in Loop: Header=BB388_17 Depth=1
	global_load_ushort v33, v[6:7], off offset:64
	global_load_ushort v34, v[8:9], off offset:64
	;; [unrolled: 1-line block ×4, first 2 shown]
	s_waitcnt vmcnt(11)
	v_cvt_f32_f16_e32 v37, v25
	s_waitcnt vmcnt(10)
	v_cvt_f32_f16_e32 v38, v26
	s_waitcnt vmcnt(9)
	v_cvt_f32_f16_e32 v39, v27
	s_waitcnt vmcnt(8)
	v_cvt_f32_f16_e32 v40, v28
	s_and_saveexec_b64 s[26:27], s[2:3]
	s_cbranch_execz .LBB388_14
; %bb.20:                               ;   in Loop: Header=BB388_17 Depth=1
	global_load_ushort v41, v[6:7], off offset:128
	global_load_ushort v42, v[8:9], off offset:128
	global_load_ushort v43, v[10:11], off offset:128
	global_load_ushort v44, v[12:13], off offset:128
	s_and_saveexec_b64 s[28:29], s[4:5]
	s_cbranch_execz .LBB388_13
; %bb.21:                               ;   in Loop: Header=BB388_17 Depth=1
	global_load_ushort v45, v[6:7], off offset:192
	global_load_ushort v46, v[8:9], off offset:192
	;; [unrolled: 1-line block ×4, first 2 shown]
	s_waitcnt vmcnt(3)
	v_fma_mix_f32 v6, v37, v45, v15 op_sel_hi:[0,1,0]
	s_waitcnt vmcnt(2)
	v_fma_mix_f32 v6, v38, v46, v6 op_sel_hi:[0,1,0]
	;; [unrolled: 2-line block ×4, first 2 shown]
	s_branch .LBB388_13
.LBB388_22:
	s_or_b64 exec, exec, s[22:23]
.LBB388_23:
	s_or_b64 exec, exec, s[20:21]
	s_sub_i32 s0, s9, s35
	s_cmp_lt_i32 s0, 1
	s_cbranch_scc1 .LBB388_41
; %bb.24:
	v_cmp_gt_i32_e32 vcc, s9, v20
	v_mov_b32_e32 v10, 0
	v_or_b32_e32 v4, 1, v20
	v_mov_b32_e32 v11, 0
	v_mov_b32_e32 v12, 0
	;; [unrolled: 1-line block ×3, first 2 shown]
	s_and_saveexec_b64 s[2:3], vcc
	s_cbranch_execz .LBB388_32
; %bb.25:
	v_mul_lo_u32 v0, v20, s34
	v_ashrrev_i32_e32 v1, 31, v0
	v_lshl_add_u64 v[0:1], v[0:1], 1, s[18:19]
	global_load_ushort v0, v[0:1], off
	v_cmp_gt_i32_e64 s[0:1], s9, v4
	v_mov_b32_e32 v12, 0
	v_mov_b32_e32 v11, 0
	;; [unrolled: 1-line block ×3, first 2 shown]
	s_and_saveexec_b64 s[4:5], s[0:1]
	s_cbranch_execz .LBB388_31
; %bb.26:
	v_mul_lo_u32 v6, v4, s34
	v_ashrrev_i32_e32 v7, 31, v6
	v_lshl_add_u64 v[6:7], v[6:7], 1, s[18:19]
	global_load_ushort v1, v[6:7], off
	v_or_b32_e32 v5, 2, v20
	v_cmp_gt_i32_e64 s[0:1], s9, v5
	v_mov_b32_e32 v11, 0
	v_mov_b32_e32 v10, 0
	s_and_saveexec_b64 s[6:7], s[0:1]
	s_cbranch_execz .LBB388_30
; %bb.27:
	v_mul_lo_u32 v6, v5, s34
	v_ashrrev_i32_e32 v7, 31, v6
	v_lshl_add_u64 v[6:7], v[6:7], 1, s[18:19]
	global_load_ushort v5, v[6:7], off
	v_or_b32_e32 v6, 3, v20
	v_cmp_gt_i32_e64 s[0:1], s9, v6
	v_mov_b32_e32 v10, 0
	s_and_saveexec_b64 s[20:21], s[0:1]
	s_cbranch_execz .LBB388_29
; %bb.28:
	v_mul_lo_u32 v6, v6, s34
	v_ashrrev_i32_e32 v7, 31, v6
	v_lshl_add_u64 v[6:7], v[6:7], 1, s[18:19]
	global_load_ushort v6, v[6:7], off
	s_waitcnt vmcnt(0)
	v_cvt_f32_f16_e32 v10, v6
.LBB388_29:
	s_or_b64 exec, exec, s[20:21]
	s_waitcnt vmcnt(0)
	v_cvt_f32_f16_e32 v11, v5
.LBB388_30:
	s_or_b64 exec, exec, s[6:7]
	s_waitcnt vmcnt(0)
	v_cvt_f32_f16_e32 v12, v1
.LBB388_31:
	s_or_b64 exec, exec, s[4:5]
	s_waitcnt vmcnt(0)
	v_cvt_f32_f16_e32 v13, v0
.LBB388_32:
	s_or_b64 exec, exec, s[2:3]
	v_cmp_gt_i32_e64 s[0:1], s8, v16
	s_and_saveexec_b64 s[2:3], s[0:1]
	s_cbranch_execz .LBB388_40
; %bb.33:
	v_mul_lo_u32 v0, v20, s33
	v_cndmask_b32_e32 v0, 0, v0, vcc
	v_mul_lo_u32 v5, v4, s33
	v_cmp_gt_i32_e32 vcc, s9, v4
	v_or_b32_e32 v6, 2, v20
	v_mul_lo_u32 v7, v6, s33
	v_cndmask_b32_e32 v4, 0, v5, vcc
	v_cmp_gt_i32_e32 vcc, s9, v6
	v_or_b32_e32 v8, 3, v20
	v_mul_lo_u32 v9, v8, s33
	v_cndmask_b32_e32 v6, 0, v7, vcc
	v_cmp_gt_i32_e32 vcc, s9, v8
	v_add_u32_e32 v0, v0, v16
	v_ashrrev_i32_e32 v1, 31, v0
	v_cndmask_b32_e32 v8, 0, v9, vcc
	v_add_u32_e32 v4, v4, v16
	v_add_u32_e32 v6, v6, v16
	;; [unrolled: 1-line block ×3, first 2 shown]
	v_lshl_add_u64 v[0:1], v[0:1], 1, s[16:17]
	v_ashrrev_i32_e32 v5, 31, v4
	v_ashrrev_i32_e32 v7, 31, v6
	v_ashrrev_i32_e32 v9, 31, v8
	v_lshl_add_u64 v[4:5], v[4:5], 1, s[16:17]
	v_lshl_add_u64 v[6:7], v[6:7], 1, s[16:17]
	global_load_ushort v21, v[0:1], off
	global_load_ushort v22, v[4:5], off
	;; [unrolled: 1-line block ×3, first 2 shown]
	v_lshl_add_u64 v[8:9], v[8:9], 1, s[16:17]
	global_load_ushort v20, v[8:9], off
	v_add_u32_e32 v24, 32, v16
	v_cmp_gt_i32_e32 vcc, s8, v24
	s_waitcnt vmcnt(3)
	v_fma_mix_f32 v19, v13, v21, v19 op_sel_hi:[0,1,0]
	s_waitcnt vmcnt(2)
	v_fma_mix_f32 v19, v12, v22, v19 op_sel_hi:[0,1,0]
	s_waitcnt vmcnt(1)
	v_fma_mix_f32 v19, v11, v23, v19 op_sel_hi:[0,1,0]
	s_and_saveexec_b64 s[0:1], vcc
	s_cbranch_execz .LBB388_39
; %bb.34:
	global_load_ushort v22, v[0:1], off offset:64
	global_load_ushort v23, v[4:5], off offset:64
	global_load_ushort v24, v[6:7], off offset:64
	global_load_ushort v21, v[8:9], off offset:64
	v_add_u32_e32 v25, 64, v16
	v_cmp_gt_i32_e32 vcc, s8, v25
	s_waitcnt vmcnt(3)
	v_fma_mix_f32 v18, v13, v22, v18 op_sel_hi:[0,1,0]
	s_waitcnt vmcnt(2)
	v_fma_mix_f32 v18, v12, v23, v18 op_sel_hi:[0,1,0]
	s_waitcnt vmcnt(1)
	v_fma_mix_f32 v18, v11, v24, v18 op_sel_hi:[0,1,0]
	s_and_saveexec_b64 s[4:5], vcc
	s_cbranch_execz .LBB388_38
; %bb.35:
	global_load_ushort v23, v[0:1], off offset:128
	global_load_ushort v24, v[4:5], off offset:128
	global_load_ushort v25, v[6:7], off offset:128
	global_load_ushort v22, v[8:9], off offset:128
	;; [unrolled: 15-line block ×3, first 2 shown]
	s_waitcnt vmcnt(3)
	v_fma_mix_f32 v0, v13, v17, v15 op_sel_hi:[0,1,0]
	s_waitcnt vmcnt(2)
	v_fma_mix_f32 v0, v12, v23, v0 op_sel_hi:[0,1,0]
	;; [unrolled: 2-line block ×4, first 2 shown]
.LBB388_37:
	s_or_b64 exec, exec, s[6:7]
	s_waitcnt vmcnt(0)
	v_fma_mix_f32 v17, v10, v22, v16 op_sel_hi:[0,1,0]
.LBB388_38:
	s_or_b64 exec, exec, s[4:5]
	s_waitcnt vmcnt(0)
	v_fma_mix_f32 v18, v10, v21, v18 op_sel_hi:[0,1,0]
.LBB388_39:
	s_or_b64 exec, exec, s[0:1]
	s_waitcnt vmcnt(0)
	v_fma_mix_f32 v19, v10, v20, v19 op_sel_hi:[0,1,0]
.LBB388_40:
	s_or_b64 exec, exec, s[2:3]
.LBB388_41:
	v_lshlrev_b32_e32 v0, 7, v14
	s_movk_i32 s0, 0x80
	v_add_lshl_u32 v0, v0, v2, 2
	v_cmp_gt_u32_e32 vcc, s0, v3
	ds_write2_b32 v0, v19, v18 offset1:32
	ds_write2_b32 v0, v17, v15 offset0:64 offset1:96
	s_waitcnt lgkmcnt(0)
	s_barrier
	s_waitcnt lgkmcnt(0)
                                        ; implicit-def: $vgpr5
                                        ; implicit-def: $vgpr0_vgpr1
	s_and_saveexec_b64 s[0:1], vcc
	s_cbranch_execz .LBB388_47
; %bb.42:
	v_lshlrev_b32_e32 v12, 2, v3
	ds_read2st64_b32 v[0:1], v12 offset1:2
	ds_read2st64_b32 v[4:5], v12 offset0:4 offset1:6
	ds_read2st64_b32 v[6:7], v12 offset0:8 offset1:10
	;; [unrolled: 1-line block ×4, first 2 shown]
	s_waitcnt lgkmcnt(4)
	v_add_f32_e32 v0, v0, v1
	s_waitcnt lgkmcnt(3)
	v_add_f32_e32 v0, v4, v0
	v_add_f32_e32 v0, v5, v0
	s_waitcnt lgkmcnt(2)
	v_add_f32_e32 v0, v6, v0
	v_add_f32_e32 v0, v7, v0
	s_waitcnt lgkmcnt(1)
	v_add_f32_e32 v0, v8, v0
	v_add_f32_e32 v2, v9, v0
	ds_read2st64_b32 v[0:1], v12 offset0:20 offset1:22
	ds_read2st64_b32 v[4:5], v12 offset0:24 offset1:26
	s_waitcnt lgkmcnt(2)
	v_add_f32_e32 v2, v10, v2
	v_add_f32_e32 v2, v11, v2
	ds_read2st64_b32 v[6:7], v12 offset0:28 offset1:30
	s_waitcnt lgkmcnt(2)
	v_add_f32_e32 v0, v0, v2
	v_add_f32_e32 v0, v1, v0
	s_waitcnt lgkmcnt(1)
	v_add_f32_e32 v0, v4, v0
	v_add_f32_e32 v0, v5, v0
	s_waitcnt lgkmcnt(0)
	v_add_f32_e32 v0, v6, v0
	v_or_b32_e32 v3, s31, v3
	v_add_f32_e32 v2, v7, v0
	v_cmp_gt_i32_e32 vcc, s8, v3
	s_mov_b64 s[4:5], s[14:15]
	ds_write_b32 v12, v2
                                        ; implicit-def: $vgpr5
                                        ; implicit-def: $vgpr0_vgpr1
	s_and_saveexec_b64 s[2:3], vcc
	s_cbranch_execz .LBB388_46
; %bb.43:
	v_cmp_eq_f32_e64 s[4:5], s11, 0
	v_mul_lo_u32 v0, v3, s30
	v_mul_f32_e32 v2, s10, v2
	v_ashrrev_i32_e32 v1, 31, v0
	s_and_b64 vcc, exec, s[4:5]
	s_cbranch_vccnz .LBB388_45
; %bb.44:
	v_lshl_add_u64 v[4:5], v[0:1], 1, s[12:13]
	global_load_ushort v3, v[4:5], off
	s_waitcnt vmcnt(0)
	v_fma_mix_f32 v2, v3, s11, v2 op_sel_hi:[1,0,0]
.LBB388_45:
	s_nop 0
	v_cvt_f16_f32_e32 v5, v2
	s_or_b64 s[4:5], s[14:15], exec
.LBB388_46:
	s_or_b64 exec, exec, s[2:3]
	s_andn2_b64 s[2:3], s[14:15], exec
	s_and_b64 s[4:5], s[4:5], exec
	s_or_b64 s[14:15], s[2:3], s[4:5]
.LBB388_47:
	s_or_b64 exec, exec, s[0:1]
.LBB388_48:
	s_and_saveexec_b64 s[0:1], s[14:15]
	s_cbranch_execz .LBB388_50
; %bb.49:
	v_lshl_add_u64 v[0:1], v[0:1], 1, s[12:13]
	global_store_short v[0:1], v5, off
.LBB388_50:
	s_endpgm
	.section	.rodata,"a",@progbits
	.p2align	6, 0x0
	.amdhsa_kernel _ZL20rocblas_gemvn_kernelILi32ELi16EiDF16_fDF16_EviiT3_lPKT2_lT1_lS3_lS4_lS0_lPT4_lS4_li
		.amdhsa_group_segment_fixed_size 8192
		.amdhsa_private_segment_fixed_size 0
		.amdhsa_kernarg_size 400
		.amdhsa_user_sgpr_count 2
		.amdhsa_user_sgpr_dispatch_ptr 0
		.amdhsa_user_sgpr_queue_ptr 0
		.amdhsa_user_sgpr_kernarg_segment_ptr 1
		.amdhsa_user_sgpr_dispatch_id 0
		.amdhsa_user_sgpr_kernarg_preload_length 0
		.amdhsa_user_sgpr_kernarg_preload_offset 0
		.amdhsa_user_sgpr_private_segment_size 0
		.amdhsa_uses_dynamic_stack 0
		.amdhsa_enable_private_segment 0
		.amdhsa_system_sgpr_workgroup_id_x 1
		.amdhsa_system_sgpr_workgroup_id_y 0
		.amdhsa_system_sgpr_workgroup_id_z 1
		.amdhsa_system_sgpr_workgroup_info 0
		.amdhsa_system_vgpr_workitem_id 1
		.amdhsa_next_free_vgpr 49
		.amdhsa_next_free_sgpr 39
		.amdhsa_accum_offset 52
		.amdhsa_reserve_vcc 1
		.amdhsa_float_round_mode_32 0
		.amdhsa_float_round_mode_16_64 0
		.amdhsa_float_denorm_mode_32 3
		.amdhsa_float_denorm_mode_16_64 3
		.amdhsa_dx10_clamp 1
		.amdhsa_ieee_mode 1
		.amdhsa_fp16_overflow 0
		.amdhsa_tg_split 0
		.amdhsa_exception_fp_ieee_invalid_op 0
		.amdhsa_exception_fp_denorm_src 0
		.amdhsa_exception_fp_ieee_div_zero 0
		.amdhsa_exception_fp_ieee_overflow 0
		.amdhsa_exception_fp_ieee_underflow 0
		.amdhsa_exception_fp_ieee_inexact 0
		.amdhsa_exception_int_div_zero 0
	.end_amdhsa_kernel
	.section	.text._ZL20rocblas_gemvn_kernelILi32ELi16EiDF16_fDF16_EviiT3_lPKT2_lT1_lS3_lS4_lS0_lPT4_lS4_li,"axG",@progbits,_ZL20rocblas_gemvn_kernelILi32ELi16EiDF16_fDF16_EviiT3_lPKT2_lT1_lS3_lS4_lS0_lPT4_lS4_li,comdat
.Lfunc_end388:
	.size	_ZL20rocblas_gemvn_kernelILi32ELi16EiDF16_fDF16_EviiT3_lPKT2_lT1_lS3_lS4_lS0_lPT4_lS4_li, .Lfunc_end388-_ZL20rocblas_gemvn_kernelILi32ELi16EiDF16_fDF16_EviiT3_lPKT2_lT1_lS3_lS4_lS0_lPT4_lS4_li
                                        ; -- End function
	.section	.AMDGPU.csdata,"",@progbits
; Kernel info:
; codeLenInByte = 2556
; NumSgprs: 45
; NumVgprs: 49
; NumAgprs: 0
; TotalNumVgprs: 49
; ScratchSize: 0
; MemoryBound: 0
; FloatMode: 240
; IeeeMode: 1
; LDSByteSize: 8192 bytes/workgroup (compile time only)
; SGPRBlocks: 5
; VGPRBlocks: 6
; NumSGPRsForWavesPerEU: 45
; NumVGPRsForWavesPerEU: 49
; AccumOffset: 52
; Occupancy: 8
; WaveLimiterHint : 1
; COMPUTE_PGM_RSRC2:SCRATCH_EN: 0
; COMPUTE_PGM_RSRC2:USER_SGPR: 2
; COMPUTE_PGM_RSRC2:TRAP_HANDLER: 0
; COMPUTE_PGM_RSRC2:TGID_X_EN: 1
; COMPUTE_PGM_RSRC2:TGID_Y_EN: 0
; COMPUTE_PGM_RSRC2:TGID_Z_EN: 1
; COMPUTE_PGM_RSRC2:TIDIG_COMP_CNT: 1
; COMPUTE_PGM_RSRC3_GFX90A:ACCUM_OFFSET: 12
; COMPUTE_PGM_RSRC3_GFX90A:TG_SPLIT: 0
	.section	.text._ZL20rocblas_gemvn_kernelILi32ELi16ElDF16_fDF16_EviiT3_lPKT2_lT1_lS3_lS4_lS0_lPT4_lS4_li,"axG",@progbits,_ZL20rocblas_gemvn_kernelILi32ELi16ElDF16_fDF16_EviiT3_lPKT2_lT1_lS3_lS4_lS0_lPT4_lS4_li,comdat
	.globl	_ZL20rocblas_gemvn_kernelILi32ELi16ElDF16_fDF16_EviiT3_lPKT2_lT1_lS3_lS4_lS0_lPT4_lS4_li ; -- Begin function _ZL20rocblas_gemvn_kernelILi32ELi16ElDF16_fDF16_EviiT3_lPKT2_lT1_lS3_lS4_lS0_lPT4_lS4_li
	.p2align	8
	.type	_ZL20rocblas_gemvn_kernelILi32ELi16ElDF16_fDF16_EviiT3_lPKT2_lT1_lS3_lS4_lS0_lPT4_lS4_li,@function
_ZL20rocblas_gemvn_kernelILi32ELi16ElDF16_fDF16_EviiT3_lPKT2_lT1_lS3_lS4_lS0_lPT4_lS4_li: ; @_ZL20rocblas_gemvn_kernelILi32ELi16ElDF16_fDF16_EviiT3_lPKT2_lT1_lS3_lS4_lS0_lPT4_lS4_li
; %bb.0:
	s_load_dwordx2 s[4:5], s[0:1], 0x9c
	s_waitcnt lgkmcnt(0)
	s_lshr_b32 s6, s4, 16
	s_and_b32 s4, s4, 0xffff
	s_and_b32 s5, s5, 0xffff
	s_mul_i32 s4, s6, s4
	s_mul_i32 s4, s4, s5
	s_cmpk_lg_i32 s4, 0x200
	s_cbranch_scc1 .LBB389_50
; %bb.1:
	s_load_dwordx4 s[28:31], s[0:1], 0x0
	s_waitcnt lgkmcnt(0)
	s_load_dword s31, s[0:1], 0x58
	v_cmp_eq_f32_e64 s[4:5], s30, 0
	s_waitcnt lgkmcnt(0)
	v_cmp_eq_f32_e64 s[6:7], s31, 1.0
	s_and_b64 s[4:5], s[4:5], s[6:7]
	s_and_b64 vcc, exec, s[4:5]
	s_cbranch_vccnz .LBB389_50
; %bb.2:
	s_load_dwordx8 s[20:27], s[0:1], 0x68
	v_and_b32_e32 v29, 0x3ff, v0
	v_bfe_u32 v30, v0, 10, 10
	v_lshl_add_u32 v28, v30, 5, v29
	s_waitcnt lgkmcnt(0)
	s_mul_i32 s5, s3, s27
	s_mul_hi_u32 s6, s3, s26
	s_mul_i32 s4, s3, s26
	s_add_i32 s5, s6, s5
	s_lshl_b64 s[4:5], s[4:5], 1
	s_add_u32 s6, s20, s4
	s_addc_u32 s7, s21, s5
	s_lshl_b64 s[4:5], s[22:23], 1
	s_add_u32 s26, s6, s4
	s_addc_u32 s27, s7, s5
	v_cmp_neq_f32_e64 s[4:5], s30, 0
	s_and_b64 vcc, exec, s[4:5]
	s_cbranch_vccnz .LBB389_9
; %bb.3:
	s_movk_i32 s4, 0x80
	v_cmp_gt_u32_e32 vcc, s4, v28
	s_mov_b64 s[4:5], 0
	s_mov_b64 s[34:35], 0
                                        ; implicit-def: $vgpr3
                                        ; implicit-def: $vgpr0_vgpr1
	s_and_saveexec_b64 s[6:7], vcc
	s_cbranch_execz .LBB389_10
; %bb.4:
	v_lshl_or_b32 v2, s2, 7, v28
	v_mov_b32_e32 v3, 0
	s_ashr_i32 s9, s28, 31
	s_mov_b32 s8, s28
	v_cmp_gt_i64_e32 vcc, s[8:9], v[2:3]
	s_mov_b64 s[10:11], 0
                                        ; implicit-def: $vgpr0_vgpr1
	s_and_saveexec_b64 s[8:9], vcc
	s_cbranch_execz .LBB389_8
; %bb.5:
	v_mad_u64_u32 v[0:1], s[12:13], v2, s24, 0
	v_mov_b32_e32 v4, v1
	v_cmp_eq_f32_e64 s[10:11], s31, 0
	v_mad_u64_u32 v[4:5], s[12:13], v2, s25, v[4:5]
	v_mov_b32_e32 v1, v4
	s_and_b64 vcc, exec, s[10:11]
	s_cbranch_vccnz .LBB389_7
; %bb.6:
	v_lshl_add_u64 v[2:3], v[0:1], 1, s[26:27]
	global_load_ushort v2, v[2:3], off
	s_waitcnt vmcnt(0)
	v_fma_mixlo_f16 v3, v2, s31, 0 op_sel_hi:[1,0,0]
.LBB389_7:
	s_mov_b64 s[10:11], exec
.LBB389_8:
	s_or_b64 exec, exec, s[8:9]
	s_and_b64 s[34:35], s[10:11], exec
	s_or_b64 exec, exec, s[6:7]
	s_and_b64 vcc, exec, s[4:5]
	s_cbranch_vccnz .LBB389_11
	s_branch .LBB389_48
.LBB389_9:
	s_mov_b64 s[34:35], 0
                                        ; implicit-def: $vgpr3
                                        ; implicit-def: $vgpr0_vgpr1
	s_cbranch_execnz .LBB389_11
	s_branch .LBB389_48
.LBB389_10:
	s_or_b64 exec, exec, s[6:7]
	s_and_b64 vcc, exec, s[4:5]
	s_cbranch_vccz .LBB389_48
.LBB389_11:
	s_load_dwordx16 s[8:23], s[0:1], 0x18
	s_lshl_b32 s33, s2, 7
	v_lshlrev_b32_e32 v33, 2, v30
	v_add_u32_e32 v0, s33, v29
	v_mov_b32_e32 v35, 0
	s_waitcnt lgkmcnt(0)
	s_mul_i32 s0, s3, s15
	s_mul_hi_u32 s1, s3, s14
	s_add_i32 s15, s1, s0
	s_ashr_i32 s0, s29, 31
	s_lshr_b32 s0, s0, 26
	s_add_i32 s52, s29, s0
	s_mul_i32 s4, s3, s23
	s_mul_hi_u32 s5, s3, s22
	s_andn2_b32 s52, s52, 63
	s_mul_i32 s14, s3, s14
	s_add_i32 s23, s5, s4
	s_mul_i32 s22, s3, s22
	v_cmp_gt_i32_e32 vcc, s52, v33
	v_mov_b32_e32 v34, 0
	v_mov_b32_e32 v32, 0
	;; [unrolled: 1-line block ×3, first 2 shown]
	s_and_saveexec_b64 s[36:37], vcc
	s_cbranch_execz .LBB389_23
; %bb.12:
	v_add_u32_e32 v2, 32, v0
	v_cmp_gt_i32_e64 s[0:1], s28, v2
	v_add_u32_e32 v2, 64, v0
	v_cmp_gt_i32_e64 s[2:3], s28, v2
	v_add_u32_e32 v2, 0x60, v0
	v_cmp_gt_i32_e64 s[4:5], s28, v2
	v_mad_u64_u32 v[2:3], s[6:7], s20, v30, 0
	v_mov_b32_e32 v4, v3
	v_ashrrev_i32_e32 v1, 31, v0
	v_mad_u64_u32 v[4:5], s[6:7], s21, v30, v[4:5]
	v_mov_b32_e32 v3, v4
	v_lshlrev_b64 v[4:5], 1, v[0:1]
	v_lshlrev_b32_e32 v1, 2, v30
	v_or_b32_e32 v11, 3, v1
	v_mad_u64_u32 v[6:7], s[42:43], s12, v11, 0
	v_mov_b32_e32 v8, v7
	v_mad_u64_u32 v[8:9], s[42:43], s13, v11, v[8:9]
	v_mov_b32_e32 v7, v8
	v_mad_u64_u32 v[8:9], s[46:47], s20, v11, 0
	v_mov_b32_e32 v10, v9
	v_mad_u64_u32 v[10:11], s[46:47], s21, v11, v[10:11]
	v_mov_b32_e32 v9, v10
	v_mad_u64_u32 v[10:11], s[46:47], s12, v30, 0
	v_mov_b32_e32 v12, v11
	v_mad_u64_u32 v[12:13], s[46:47], s13, v30, v[12:13]
	v_or_b32_e32 v17, 2, v1
	v_mov_b32_e32 v11, v12
	v_mad_u64_u32 v[12:13], s[46:47], s12, v17, 0
	v_mov_b32_e32 v14, v13
	v_mad_u64_u32 v[14:15], s[46:47], s13, v17, v[14:15]
	;; [unrolled: 2-line block ×4, first 2 shown]
	v_mov_b32_e32 v15, v16
	v_mov_b64_e32 v[16:17], s[20:21]
	v_mad_u64_u32 v[16:17], s[46:47], s20, v1, v[16:17]
	s_lshl_b64 s[38:39], s[18:19], 1
	s_lshl_b64 s[6:7], s[22:23], 1
	v_mov_b32_e32 v18, v17
	s_add_u32 s6, s16, s6
	v_mad_u64_u32 v[18:19], s[46:47], s21, v1, v[18:19]
	s_addc_u32 s7, s17, s7
	s_lshl_b64 s[40:41], s[20:21], 7
	s_lshl_b64 s[42:43], s[14:15], 1
	;; [unrolled: 1-line block ×3, first 2 shown]
	v_mov_b32_e32 v17, v18
	v_mov_b64_e32 v[18:19], s[12:13]
	v_lshl_add_u64 v[2:3], v[2:3], 3, s[6:7]
	s_add_u32 s44, s8, s44
	v_lshl_add_u64 v[8:9], v[8:9], 1, s[6:7]
	v_lshl_add_u64 v[14:15], v[14:15], 1, s[6:7]
	v_lshl_add_u64 v[16:17], v[16:17], 1, s[6:7]
	v_mad_u64_u32 v[18:19], s[6:7], s12, v1, v[18:19]
	s_addc_u32 s45, s9, s45
	v_mov_b32_e32 v20, v19
	s_add_u32 s44, s44, s42
	v_mad_u64_u32 v[20:21], s[6:7], s13, v1, v[20:21]
	s_addc_u32 s45, s45, s43
	v_mov_b32_e32 v19, v20
	v_cmp_gt_i32_e32 vcc, s28, v0
	v_lshl_add_u64 v[6:7], v[6:7], 1, s[44:45]
	s_lshl_b64 s[42:43], s[12:13], 7
	v_lshl_add_u64 v[10:11], v[10:11], 3, s[44:45]
	v_lshl_add_u64 v[12:13], v[12:13], 1, s[44:45]
	;; [unrolled: 1-line block ×3, first 2 shown]
	s_mov_b64 s[44:45], 0
	v_mov_b32_e32 v35, 0
	v_mov_b32_e32 v34, 0
	;; [unrolled: 1-line block ×4, first 2 shown]
	s_branch .LBB389_17
.LBB389_13:                             ;   in Loop: Header=BB389_17 Depth=1
	s_or_b64 exec, exec, s[50:51]
	s_waitcnt vmcnt(3)
	v_fma_mix_f32 v20, v47, v51, v32 op_sel_hi:[0,1,0]
	s_waitcnt vmcnt(2)
	v_fma_mix_f32 v20, v48, v52, v20 op_sel_hi:[0,1,0]
	;; [unrolled: 2-line block ×4, first 2 shown]
.LBB389_14:                             ;   in Loop: Header=BB389_17 Depth=1
	s_or_b64 exec, exec, s[48:49]
	s_waitcnt vmcnt(3)
	v_fma_mix_f32 v20, v47, v43, v34 op_sel_hi:[0,1,0]
	s_waitcnt vmcnt(2)
	v_fma_mix_f32 v20, v48, v44, v20 op_sel_hi:[0,1,0]
	;; [unrolled: 2-line block ×4, first 2 shown]
.LBB389_15:                             ;   in Loop: Header=BB389_17 Depth=1
	s_or_b64 exec, exec, s[46:47]
	s_waitcnt vmcnt(3)
	v_fma_mix_f32 v1, v1, v39, v35 op_sel_hi:[1,1,0]
	s_waitcnt vmcnt(2)
	v_fma_mix_f32 v1, v36, v40, v1 op_sel_hi:[1,1,0]
	;; [unrolled: 2-line block ×4, first 2 shown]
.LBB389_16:                             ;   in Loop: Header=BB389_17 Depth=1
	s_or_b64 exec, exec, s[6:7]
	v_add_u32_e32 v33, 64, v33
	v_cmp_le_i32_e64 s[6:7], s52, v33
	v_lshl_add_u64 v[2:3], v[2:3], 0, s[40:41]
	v_lshl_add_u64 v[6:7], v[6:7], 0, s[42:43]
	;; [unrolled: 1-line block ×7, first 2 shown]
	s_or_b64 s[44:45], s[6:7], s[44:45]
	v_lshl_add_u64 v[18:19], v[18:19], 0, s[42:43]
	s_andn2_b64 exec, exec, s[44:45]
	s_cbranch_execz .LBB389_22
.LBB389_17:                             ; =>This Inner Loop Header: Depth=1
	s_and_saveexec_b64 s[6:7], vcc
	s_cbranch_execz .LBB389_16
; %bb.18:                               ;   in Loop: Header=BB389_17 Depth=1
	v_lshl_add_u64 v[20:21], v[2:3], 0, s[38:39]
	global_load_ushort v1, v[20:21], off
	v_lshl_add_u64 v[20:21], v[16:17], 0, s[38:39]
	global_load_ushort v36, v[20:21], off
	;; [unrolled: 2-line block ×4, first 2 shown]
	v_lshl_add_u64 v[20:21], v[10:11], 0, v[4:5]
	v_lshl_add_u64 v[22:23], v[18:19], 0, v[4:5]
	;; [unrolled: 1-line block ×4, first 2 shown]
	global_load_ushort v39, v[20:21], off
	global_load_ushort v40, v[22:23], off
	;; [unrolled: 1-line block ×4, first 2 shown]
	s_and_saveexec_b64 s[46:47], s[0:1]
	s_cbranch_execz .LBB389_15
; %bb.19:                               ;   in Loop: Header=BB389_17 Depth=1
	global_load_ushort v43, v[20:21], off offset:64
	global_load_ushort v44, v[22:23], off offset:64
	global_load_ushort v45, v[24:25], off offset:64
	global_load_ushort v46, v[26:27], off offset:64
	s_waitcnt vmcnt(11)
	v_cvt_f32_f16_e32 v47, v1
	s_waitcnt vmcnt(10)
	v_cvt_f32_f16_e32 v48, v36
	;; [unrolled: 2-line block ×4, first 2 shown]
	s_and_saveexec_b64 s[48:49], s[2:3]
	s_cbranch_execz .LBB389_14
; %bb.20:                               ;   in Loop: Header=BB389_17 Depth=1
	global_load_ushort v51, v[20:21], off offset:128
	global_load_ushort v52, v[22:23], off offset:128
	;; [unrolled: 1-line block ×4, first 2 shown]
	s_and_saveexec_b64 s[50:51], s[4:5]
	s_cbranch_execz .LBB389_13
; %bb.21:                               ;   in Loop: Header=BB389_17 Depth=1
	global_load_ushort v20, v[20:21], off offset:192
	s_nop 0
	global_load_ushort v21, v[22:23], off offset:192
	s_nop 0
	global_load_ushort v22, v[24:25], off offset:192
	global_load_ushort v23, v[26:27], off offset:192
	s_waitcnt vmcnt(3)
	v_fma_mix_f32 v20, v47, v20, v31 op_sel_hi:[0,1,0]
	s_waitcnt vmcnt(2)
	v_fma_mix_f32 v20, v48, v21, v20 op_sel_hi:[0,1,0]
	;; [unrolled: 2-line block ×4, first 2 shown]
	s_branch .LBB389_13
.LBB389_22:
	s_or_b64 exec, exec, s[44:45]
.LBB389_23:
	s_or_b64 exec, exec, s[36:37]
	s_sub_i32 s0, s29, s52
	s_cmp_lt_i32 s0, 1
	s_cbranch_scc1 .LBB389_41
; %bb.24:
	v_cmp_gt_i32_e32 vcc, s29, v33
	v_mov_b32_e32 v10, 0
	v_or_b32_e32 v4, 1, v33
	v_mov_b32_e32 v11, 0
	v_mov_b32_e32 v12, 0
	;; [unrolled: 1-line block ×3, first 2 shown]
	s_and_saveexec_b64 s[2:3], vcc
	s_cbranch_execz .LBB389_32
; %bb.25:
	s_lshl_b64 s[0:1], s[22:23], 1
	s_add_u32 s4, s16, s0
	s_addc_u32 s5, s17, s1
	s_lshl_b64 s[0:1], s[18:19], 1
	s_add_u32 s6, s4, s0
	s_addc_u32 s7, s5, s1
	v_mad_u64_u32 v[2:3], s[0:1], v33, s20, 0
	v_mov_b32_e32 v6, v3
	v_mad_u64_u32 v[6:7], s[0:1], v33, s21, v[6:7]
	v_mov_b32_e32 v3, v6
	v_lshl_add_u64 v[2:3], v[2:3], 1, s[6:7]
	global_load_ushort v1, v[2:3], off
	v_cmp_gt_i32_e64 s[0:1], s29, v4
	v_mov_b32_e32 v12, 0
	v_mov_b32_e32 v11, 0
	;; [unrolled: 1-line block ×3, first 2 shown]
	s_and_saveexec_b64 s[4:5], s[0:1]
	s_cbranch_execz .LBB389_31
; %bb.26:
	v_mad_u64_u32 v[2:3], s[0:1], v4, s20, 0
	v_mov_b32_e32 v6, v3
	v_mad_u64_u32 v[6:7], s[0:1], v4, s21, v[6:7]
	v_mov_b32_e32 v3, v6
	v_lshl_add_u64 v[2:3], v[2:3], 1, s[6:7]
	global_load_ushort v2, v[2:3], off
	v_or_b32_e32 v3, 2, v33
	v_cmp_gt_i32_e64 s[0:1], s29, v3
	v_mov_b32_e32 v11, 0
	v_mov_b32_e32 v10, 0
	s_and_saveexec_b64 s[16:17], s[0:1]
	s_cbranch_execz .LBB389_30
; %bb.27:
	v_mad_u64_u32 v[6:7], s[0:1], v3, s20, 0
	v_mov_b32_e32 v8, v7
	v_mad_u64_u32 v[8:9], s[0:1], v3, s21, v[8:9]
	v_mov_b32_e32 v7, v8
	v_lshl_add_u64 v[6:7], v[6:7], 1, s[6:7]
	global_load_ushort v3, v[6:7], off
	v_or_b32_e32 v5, 3, v33
	v_cmp_gt_i32_e64 s[0:1], s29, v5
	v_mov_b32_e32 v10, 0
	s_and_saveexec_b64 s[18:19], s[0:1]
	s_cbranch_execz .LBB389_29
; %bb.28:
	v_mad_u64_u32 v[6:7], s[0:1], v5, s20, 0
	v_mov_b32_e32 v8, v7
	v_mad_u64_u32 v[8:9], s[0:1], v5, s21, v[8:9]
	v_mov_b32_e32 v7, v8
	v_lshl_add_u64 v[6:7], v[6:7], 1, s[6:7]
	global_load_ushort v5, v[6:7], off
	s_waitcnt vmcnt(0)
	v_cvt_f32_f16_e32 v10, v5
.LBB389_29:
	s_or_b64 exec, exec, s[18:19]
	s_waitcnt vmcnt(0)
	v_cvt_f32_f16_e32 v11, v3
.LBB389_30:
	s_or_b64 exec, exec, s[16:17]
	s_waitcnt vmcnt(0)
	v_cvt_f32_f16_e32 v12, v2
.LBB389_31:
	s_or_b64 exec, exec, s[4:5]
	s_waitcnt vmcnt(0)
	v_cvt_f32_f16_e32 v13, v1
.LBB389_32:
	s_or_b64 exec, exec, s[2:3]
	v_cmp_gt_i32_e64 s[0:1], s28, v0
	s_and_saveexec_b64 s[2:3], s[0:1]
	s_cbranch_execz .LBB389_40
; %bb.33:
	s_lshl_b64 s[0:1], s[14:15], 1
	s_add_u32 s4, s8, s0
	s_addc_u32 s5, s9, s1
	s_lshl_b64 s[0:1], s[10:11], 1
	s_add_u32 s0, s4, s0
	s_addc_u32 s1, s5, s1
	v_mad_u64_u32 v[2:3], s[4:5], v33, s12, 0
	v_mov_b32_e32 v6, v3
	v_mad_u64_u32 v[6:7], s[4:5], v33, s13, v[6:7]
	v_ashrrev_i32_e32 v1, 31, v0
	v_cndmask_b32_e32 v3, 0, v6, vcc
	v_mad_u64_u32 v[6:7], s[4:5], v4, s12, 0
	v_cndmask_b32_e32 v2, 0, v2, vcc
	v_lshlrev_b64 v[8:9], 1, v[0:1]
	v_mov_b32_e32 v14, v7
	v_cmp_gt_i32_e32 vcc, s29, v4
	v_or_b32_e32 v1, 2, v33
	v_mad_u64_u32 v[14:15], s[4:5], v4, s13, v[14:15]
	v_cndmask_b32_e32 v4, 0, v6, vcc
	v_mad_u64_u32 v[6:7], s[4:5], v1, s12, 0
	v_cndmask_b32_e32 v5, 0, v14, vcc
	v_mov_b32_e32 v14, v7
	v_mad_u64_u32 v[14:15], s[4:5], v1, s13, v[14:15]
	v_cmp_gt_i32_e32 vcc, s29, v1
	v_or_b32_e32 v1, 3, v33
	v_lshl_add_u64 v[2:3], v[2:3], 1, s[0:1]
	v_cndmask_b32_e32 v7, 0, v14, vcc
	v_mad_u64_u32 v[14:15], s[4:5], v1, s12, 0
	v_mov_b32_e32 v16, v15
	v_cndmask_b32_e32 v6, 0, v6, vcc
	v_mad_u64_u32 v[16:17], s[4:5], v1, s13, v[16:17]
	v_cmp_gt_i32_e32 vcc, s29, v1
	v_lshl_add_u64 v[2:3], v[2:3], 0, v[8:9]
	v_lshl_add_u64 v[4:5], v[4:5], 1, s[0:1]
	v_cndmask_b32_e32 v14, 0, v14, vcc
	v_cndmask_b32_e32 v15, 0, v16, vcc
	v_lshl_add_u64 v[6:7], v[6:7], 1, s[0:1]
	v_lshl_add_u64 v[14:15], v[14:15], 1, s[0:1]
	;; [unrolled: 1-line block ×4, first 2 shown]
	global_load_ushort v16, v[2:3], off
	global_load_ushort v17, v[4:5], off
	;; [unrolled: 1-line block ×3, first 2 shown]
	v_lshl_add_u64 v[8:9], v[14:15], 0, v[8:9]
	global_load_ushort v1, v[8:9], off
	v_add_u32_e32 v15, 32, v0
	v_cmp_gt_i32_e32 vcc, s28, v15
	s_waitcnt vmcnt(3)
	v_fma_mix_f32 v14, v13, v16, v35 op_sel_hi:[0,1,0]
	s_waitcnt vmcnt(2)
	v_fma_mix_f32 v14, v12, v17, v14 op_sel_hi:[0,1,0]
	s_waitcnt vmcnt(1)
	v_fma_mix_f32 v14, v11, v18, v14 op_sel_hi:[0,1,0]
	s_and_saveexec_b64 s[0:1], vcc
	s_cbranch_execz .LBB389_39
; %bb.34:
	global_load_ushort v16, v[2:3], off offset:64
	global_load_ushort v17, v[4:5], off offset:64
	global_load_ushort v18, v[6:7], off offset:64
	global_load_ushort v15, v[8:9], off offset:64
	v_add_u32_e32 v19, 64, v0
	v_cmp_gt_i32_e32 vcc, s28, v19
	s_waitcnt vmcnt(3)
	v_fma_mix_f32 v16, v13, v16, v34 op_sel_hi:[0,1,0]
	s_waitcnt vmcnt(2)
	v_fma_mix_f32 v16, v12, v17, v16 op_sel_hi:[0,1,0]
	s_waitcnt vmcnt(1)
	v_fma_mix_f32 v16, v11, v18, v16 op_sel_hi:[0,1,0]
	s_and_saveexec_b64 s[4:5], vcc
	s_cbranch_execz .LBB389_38
; %bb.35:
	global_load_ushort v18, v[2:3], off offset:128
	global_load_ushort v19, v[4:5], off offset:128
	global_load_ushort v20, v[6:7], off offset:128
	global_load_ushort v17, v[8:9], off offset:128
	;; [unrolled: 15-line block ×3, first 2 shown]
	s_waitcnt vmcnt(3)
	v_fma_mix_f32 v2, v13, v18, v31 op_sel_hi:[0,1,0]
	s_waitcnt vmcnt(2)
	v_fma_mix_f32 v2, v12, v19, v2 op_sel_hi:[0,1,0]
	;; [unrolled: 2-line block ×4, first 2 shown]
.LBB389_37:
	s_or_b64 exec, exec, s[6:7]
	s_waitcnt vmcnt(0)
	v_fma_mix_f32 v32, v10, v17, v0 op_sel_hi:[0,1,0]
.LBB389_38:
	s_or_b64 exec, exec, s[4:5]
	s_waitcnt vmcnt(0)
	v_fma_mix_f32 v34, v10, v15, v16 op_sel_hi:[0,1,0]
.LBB389_39:
	s_or_b64 exec, exec, s[0:1]
	s_waitcnt vmcnt(0)
	v_fma_mix_f32 v35, v10, v1, v14 op_sel_hi:[0,1,0]
.LBB389_40:
	s_or_b64 exec, exec, s[2:3]
.LBB389_41:
	v_lshlrev_b32_e32 v0, 7, v30
	s_movk_i32 s0, 0x80
	v_add_lshl_u32 v0, v0, v29, 2
	v_cmp_gt_u32_e32 vcc, s0, v28
	ds_write2_b32 v0, v35, v34 offset1:32
	ds_write2_b32 v0, v32, v31 offset0:64 offset1:96
	s_waitcnt lgkmcnt(0)
	s_barrier
	s_waitcnt lgkmcnt(0)
                                        ; implicit-def: $vgpr3
                                        ; implicit-def: $vgpr0_vgpr1
	s_and_saveexec_b64 s[0:1], vcc
	s_cbranch_execz .LBB389_47
; %bb.42:
	v_lshlrev_b32_e32 v10, 2, v28
	ds_read2st64_b32 v[0:1], v10 offset1:2
	ds_read2st64_b32 v[2:3], v10 offset0:4 offset1:6
	ds_read2st64_b32 v[4:5], v10 offset0:8 offset1:10
	;; [unrolled: 1-line block ×4, first 2 shown]
	s_waitcnt lgkmcnt(4)
	v_add_f32_e32 v0, v0, v1
	s_waitcnt lgkmcnt(3)
	v_add_f32_e32 v0, v2, v0
	v_add_f32_e32 v0, v3, v0
	s_waitcnt lgkmcnt(2)
	v_add_f32_e32 v0, v4, v0
	;; [unrolled: 3-line block ×3, first 2 shown]
	v_add_f32_e32 v2, v7, v0
	ds_read2st64_b32 v[0:1], v10 offset0:20 offset1:22
	s_waitcnt lgkmcnt(1)
	v_add_f32_e32 v4, v8, v2
	ds_read2st64_b32 v[2:3], v10 offset0:24 offset1:26
	v_add_f32_e32 v6, v9, v4
	ds_read2st64_b32 v[4:5], v10 offset0:28 offset1:30
	s_waitcnt lgkmcnt(2)
	v_add_f32_e32 v0, v0, v6
	v_add_f32_e32 v0, v1, v0
	s_waitcnt lgkmcnt(1)
	v_add_f32_e32 v0, v2, v0
	v_add_f32_e32 v0, v3, v0
	s_waitcnt lgkmcnt(0)
	v_add_f32_e32 v0, v4, v0
	v_or_b32_e32 v4, s33, v28
	v_add_f32_e32 v2, v5, v0
	v_cmp_gt_i32_e32 vcc, s28, v4
	s_mov_b64 s[4:5], s[34:35]
	ds_write_b32 v10, v2
                                        ; implicit-def: $vgpr3
                                        ; implicit-def: $vgpr0_vgpr1
	s_and_saveexec_b64 s[2:3], vcc
	s_cbranch_execz .LBB389_46
; %bb.43:
	v_ashrrev_i32_e32 v0, 31, v4
	v_cmp_eq_f32_e64 s[4:5], s31, 0
	v_mul_lo_u32 v3, v4, s25
	v_mul_lo_u32 v5, v0, s24
	v_mad_u64_u32 v[0:1], s[6:7], v4, s24, 0
	v_mul_f32_e32 v2, s30, v2
	v_add3_u32 v1, v1, v3, v5
	s_and_b64 vcc, exec, s[4:5]
	s_cbranch_vccnz .LBB389_45
; %bb.44:
	v_lshl_add_u64 v[4:5], v[0:1], 1, s[26:27]
	global_load_ushort v3, v[4:5], off
	s_waitcnt vmcnt(0)
	v_fma_mix_f32 v2, v3, s31, v2 op_sel_hi:[1,0,0]
.LBB389_45:
	s_nop 0
	v_cvt_f16_f32_e32 v3, v2
	s_or_b64 s[4:5], s[34:35], exec
.LBB389_46:
	s_or_b64 exec, exec, s[2:3]
	s_andn2_b64 s[2:3], s[34:35], exec
	s_and_b64 s[4:5], s[4:5], exec
	s_or_b64 s[34:35], s[2:3], s[4:5]
.LBB389_47:
	s_or_b64 exec, exec, s[0:1]
.LBB389_48:
	s_and_saveexec_b64 s[0:1], s[34:35]
	s_cbranch_execz .LBB389_50
; %bb.49:
	v_lshl_add_u64 v[0:1], v[0:1], 1, s[26:27]
	global_store_short v[0:1], v3, off
.LBB389_50:
	s_endpgm
	.section	.rodata,"a",@progbits
	.p2align	6, 0x0
	.amdhsa_kernel _ZL20rocblas_gemvn_kernelILi32ELi16ElDF16_fDF16_EviiT3_lPKT2_lT1_lS3_lS4_lS0_lPT4_lS4_li
		.amdhsa_group_segment_fixed_size 8192
		.amdhsa_private_segment_fixed_size 0
		.amdhsa_kernarg_size 400
		.amdhsa_user_sgpr_count 2
		.amdhsa_user_sgpr_dispatch_ptr 0
		.amdhsa_user_sgpr_queue_ptr 0
		.amdhsa_user_sgpr_kernarg_segment_ptr 1
		.amdhsa_user_sgpr_dispatch_id 0
		.amdhsa_user_sgpr_kernarg_preload_length 0
		.amdhsa_user_sgpr_kernarg_preload_offset 0
		.amdhsa_user_sgpr_private_segment_size 0
		.amdhsa_uses_dynamic_stack 0
		.amdhsa_enable_private_segment 0
		.amdhsa_system_sgpr_workgroup_id_x 1
		.amdhsa_system_sgpr_workgroup_id_y 0
		.amdhsa_system_sgpr_workgroup_id_z 1
		.amdhsa_system_sgpr_workgroup_info 0
		.amdhsa_system_vgpr_workitem_id 1
		.amdhsa_next_free_vgpr 55
		.amdhsa_next_free_sgpr 53
		.amdhsa_accum_offset 56
		.amdhsa_reserve_vcc 1
		.amdhsa_float_round_mode_32 0
		.amdhsa_float_round_mode_16_64 0
		.amdhsa_float_denorm_mode_32 3
		.amdhsa_float_denorm_mode_16_64 3
		.amdhsa_dx10_clamp 1
		.amdhsa_ieee_mode 1
		.amdhsa_fp16_overflow 0
		.amdhsa_tg_split 0
		.amdhsa_exception_fp_ieee_invalid_op 0
		.amdhsa_exception_fp_denorm_src 0
		.amdhsa_exception_fp_ieee_div_zero 0
		.amdhsa_exception_fp_ieee_overflow 0
		.amdhsa_exception_fp_ieee_underflow 0
		.amdhsa_exception_fp_ieee_inexact 0
		.amdhsa_exception_int_div_zero 0
	.end_amdhsa_kernel
	.section	.text._ZL20rocblas_gemvn_kernelILi32ELi16ElDF16_fDF16_EviiT3_lPKT2_lT1_lS3_lS4_lS0_lPT4_lS4_li,"axG",@progbits,_ZL20rocblas_gemvn_kernelILi32ELi16ElDF16_fDF16_EviiT3_lPKT2_lT1_lS3_lS4_lS0_lPT4_lS4_li,comdat
.Lfunc_end389:
	.size	_ZL20rocblas_gemvn_kernelILi32ELi16ElDF16_fDF16_EviiT3_lPKT2_lT1_lS3_lS4_lS0_lPT4_lS4_li, .Lfunc_end389-_ZL20rocblas_gemvn_kernelILi32ELi16ElDF16_fDF16_EviiT3_lPKT2_lT1_lS3_lS4_lS0_lPT4_lS4_li
                                        ; -- End function
	.section	.AMDGPU.csdata,"",@progbits
; Kernel info:
; codeLenInByte = 2860
; NumSgprs: 59
; NumVgprs: 55
; NumAgprs: 0
; TotalNumVgprs: 55
; ScratchSize: 0
; MemoryBound: 0
; FloatMode: 240
; IeeeMode: 1
; LDSByteSize: 8192 bytes/workgroup (compile time only)
; SGPRBlocks: 7
; VGPRBlocks: 6
; NumSGPRsForWavesPerEU: 59
; NumVGPRsForWavesPerEU: 55
; AccumOffset: 56
; Occupancy: 8
; WaveLimiterHint : 1
; COMPUTE_PGM_RSRC2:SCRATCH_EN: 0
; COMPUTE_PGM_RSRC2:USER_SGPR: 2
; COMPUTE_PGM_RSRC2:TRAP_HANDLER: 0
; COMPUTE_PGM_RSRC2:TGID_X_EN: 1
; COMPUTE_PGM_RSRC2:TGID_Y_EN: 0
; COMPUTE_PGM_RSRC2:TGID_Z_EN: 1
; COMPUTE_PGM_RSRC2:TIDIG_COMP_CNT: 1
; COMPUTE_PGM_RSRC3_GFX90A:ACCUM_OFFSET: 13
; COMPUTE_PGM_RSRC3_GFX90A:TG_SPLIT: 0
	.section	.text._ZL20rocblas_gemvn_kernelILi64ELi16EiDF16_PKfDF16_EviiT3_lPKT2_lT1_lS5_lS6_lS2_lPT4_lS6_li,"axG",@progbits,_ZL20rocblas_gemvn_kernelILi64ELi16EiDF16_PKfDF16_EviiT3_lPKT2_lT1_lS5_lS6_lS2_lPT4_lS6_li,comdat
	.globl	_ZL20rocblas_gemvn_kernelILi64ELi16EiDF16_PKfDF16_EviiT3_lPKT2_lT1_lS5_lS6_lS2_lPT4_lS6_li ; -- Begin function _ZL20rocblas_gemvn_kernelILi64ELi16EiDF16_PKfDF16_EviiT3_lPKT2_lT1_lS5_lS6_lS2_lPT4_lS6_li
	.p2align	8
	.type	_ZL20rocblas_gemvn_kernelILi64ELi16EiDF16_PKfDF16_EviiT3_lPKT2_lT1_lS5_lS6_lS2_lPT4_lS6_li,@function
_ZL20rocblas_gemvn_kernelILi64ELi16EiDF16_PKfDF16_EviiT3_lPKT2_lT1_lS5_lS6_lS2_lPT4_lS6_li: ; @_ZL20rocblas_gemvn_kernelILi64ELi16EiDF16_PKfDF16_EviiT3_lPKT2_lT1_lS5_lS6_lS2_lPT4_lS6_li
; %bb.0:
	s_load_dwordx2 s[4:5], s[0:1], 0x9c
	s_waitcnt lgkmcnt(0)
	s_lshr_b32 s6, s4, 16
	s_and_b32 s4, s4, 0xffff
	s_and_b32 s5, s5, 0xffff
	s_mul_i32 s4, s6, s4
	s_mul_i32 s4, s4, s5
	s_cmpk_lg_i32 s4, 0x400
	s_cbranch_scc1 .LBB390_50
; %bb.1:
	s_load_dwordx8 s[12:19], s[0:1], 0x8
	s_load_dwordx8 s[4:11], s[0:1], 0x50
	s_waitcnt lgkmcnt(0)
	s_mul_i32 s15, s3, s15
	s_mul_hi_u32 s20, s3, s14
	s_mul_i32 s14, s3, s14
	s_add_i32 s15, s20, s15
	s_lshl_b64 s[14:15], s[14:15], 2
	s_add_u32 s12, s12, s14
	s_addc_u32 s13, s13, s15
	s_mul_i32 s9, s3, s9
	s_load_dword s28, s[12:13], 0x0
	s_mul_hi_u32 s12, s3, s8
	s_add_i32 s9, s12, s9
	s_mul_i32 s8, s3, s8
	s_lshl_b64 s[8:9], s[8:9], 2
	s_add_u32 s6, s6, s8
	s_addc_u32 s7, s7, s9
	s_load_dword s29, s[6:7], 0x0
	s_waitcnt lgkmcnt(0)
	v_cmp_eq_f32_e64 s[6:7], s28, 0
	v_cmp_eq_f32_e64 s[8:9], s29, 1.0
	s_and_b64 s[6:7], s[6:7], s[8:9]
	s_and_b64 vcc, exec, s[6:7]
	s_cbranch_vccnz .LBB390_50
; %bb.2:
	s_load_dwordx2 s[6:7], s[0:1], 0x80
	s_load_dword s30, s[0:1], 0x78
	s_load_dwordx2 s[8:9], s[0:1], 0x70
	s_load_dwordx2 s[12:13], s[0:1], 0x0
	v_and_b32_e32 v2, 0x3ff, v0
	s_waitcnt lgkmcnt(0)
	s_mul_i32 s7, s3, s7
	s_mul_hi_u32 s14, s3, s6
	s_add_i32 s7, s14, s7
	s_mul_i32 s6, s3, s6
	s_lshl_b64 s[6:7], s[6:7], 1
	s_add_u32 s10, s10, s6
	s_addc_u32 s11, s11, s7
	s_lshl_b64 s[6:7], s[8:9], 1
	s_add_u32 s8, s10, s6
	s_addc_u32 s9, s11, s7
	v_bfe_u32 v14, v0, 10, 10
	v_cmp_neq_f32_e64 s[6:7], s28, 0
	v_lshl_add_u32 v3, v14, 6, v2
	s_and_b64 vcc, exec, s[6:7]
	s_cbranch_vccnz .LBB390_9
; %bb.3:
	s_movk_i32 s6, 0x100
	v_cmp_gt_u32_e32 vcc, s6, v3
	s_mov_b64 s[6:7], 0
	s_mov_b64 s[10:11], 0
                                        ; implicit-def: $vgpr5
                                        ; implicit-def: $vgpr0_vgpr1
	s_and_saveexec_b64 s[14:15], vcc
	s_cbranch_execz .LBB390_10
; %bb.4:
	v_lshl_or_b32 v4, s2, 8, v3
	v_mov_b32_e32 v5, 0
	s_ashr_i32 s11, s12, 31
	s_mov_b32 s10, s12
	v_cmp_gt_i64_e32 vcc, s[10:11], v[4:5]
	s_mov_b64 s[20:21], 0
                                        ; implicit-def: $vgpr0_vgpr1
	s_and_saveexec_b64 s[10:11], vcc
	s_cbranch_execz .LBB390_8
; %bb.5:
	v_mad_u64_u32 v[0:1], s[22:23], s30, v4, 0
	s_ashr_i32 s24, s30, 31
	v_mov_b32_e32 v6, v1
	v_cmp_eq_f32_e64 s[20:21], s29, 0
	v_mad_u64_u32 v[6:7], s[22:23], s24, v4, v[6:7]
	v_mov_b32_e32 v1, v6
	s_and_b64 vcc, exec, s[20:21]
	s_cbranch_vccnz .LBB390_7
; %bb.6:
	v_lshl_add_u64 v[4:5], v[0:1], 1, s[8:9]
	global_load_ushort v4, v[4:5], off
	s_waitcnt vmcnt(0)
	v_fma_mixlo_f16 v5, s29, v4, 0 op_sel_hi:[0,1,0]
.LBB390_7:
	s_mov_b64 s[20:21], exec
.LBB390_8:
	s_or_b64 exec, exec, s[10:11]
	s_and_b64 s[10:11], s[20:21], exec
	s_or_b64 exec, exec, s[14:15]
	s_and_b64 vcc, exec, s[6:7]
	s_cbranch_vccnz .LBB390_11
	s_branch .LBB390_48
.LBB390_9:
	s_mov_b64 s[10:11], 0
                                        ; implicit-def: $vgpr5
                                        ; implicit-def: $vgpr0_vgpr1
	s_cbranch_execnz .LBB390_11
	s_branch .LBB390_48
.LBB390_10:
	s_or_b64 exec, exec, s[14:15]
	s_and_b64 vcc, exec, s[6:7]
	s_cbranch_vccz .LBB390_48
.LBB390_11:
	s_load_dwordx4 s[20:23], s[0:1], 0x30
	s_load_dword s33, s[0:1], 0x28
	s_load_dwordx2 s[6:7], s[0:1], 0x40
	s_load_dword s34, s[0:1], 0x48
	v_lshlrev_b32_e32 v20, 2, v14
	s_waitcnt lgkmcnt(0)
	s_mul_i32 s0, s3, s21
	s_mul_hi_u32 s1, s3, s20
	s_add_i32 s1, s1, s0
	s_mul_i32 s0, s3, s20
	s_lshl_b64 s[0:1], s[0:1], 1
	s_add_u32 s14, s16, s0
	s_addc_u32 s15, s17, s1
	s_lshl_b64 s[0:1], s[18:19], 1
	s_add_u32 s14, s14, s0
	s_addc_u32 s15, s15, s1
	s_mul_i32 s0, s3, s5
	s_mul_hi_u32 s1, s3, s4
	s_add_i32 s1, s1, s0
	s_mul_i32 s0, s3, s4
	s_lshl_b64 s[0:1], s[0:1], 1
	s_add_u32 s3, s22, s0
	s_addc_u32 s4, s23, s1
	s_lshl_b64 s[0:1], s[6:7], 1
	s_add_u32 s16, s3, s0
	s_addc_u32 s17, s4, s1
	s_ashr_i32 s0, s13, 31
	s_lshr_b32 s0, s0, 26
	s_add_i32 s35, s13, s0
	s_lshl_b32 s31, s2, 8
	s_andn2_b32 s35, s35, 63
	v_add_u32_e32 v16, s31, v2
	v_cmp_gt_i32_e32 vcc, s35, v20
	v_mov_b32_e32 v19, 0
	v_mov_b32_e32 v18, 0
	;; [unrolled: 1-line block ×4, first 2 shown]
	s_and_saveexec_b64 s[18:19], vcc
	s_cbranch_execz .LBB390_23
; %bb.12:
	v_add_u32_e32 v0, 64, v16
	v_cmp_gt_i32_e64 s[0:1], s12, v0
	v_add_u32_e32 v0, 0x80, v16
	v_cmp_gt_i32_e64 s[2:3], s12, v0
	v_add_u32_e32 v0, 0xc0, v16
	v_cmp_gt_i32_e64 s[4:5], s12, v0
	v_mul_lo_u32 v0, s33, v20
	v_add_u32_e32 v6, 2, v20
	v_add_u32_e32 v7, 3, v20
	v_add3_u32 v21, v0, s33, v2
	v_mad_u64_u32 v[0:1], s[6:7], s33, v6, v[2:3]
	v_mad_u64_u32 v[4:5], s[6:7], s33, v7, v[2:3]
	v_mul_lo_u32 v1, v14, s33
	v_mul_lo_u32 v5, s34, v20
	;; [unrolled: 1-line block ×4, first 2 shown]
	v_cmp_gt_i32_e32 vcc, s12, v16
	s_lshl_b32 s36, s33, 6
	v_lshl_add_u32 v1, v1, 2, v2
	v_add_u32_e32 v5, s34, v5
	s_lshl_b32 s37, s34, 6
	v_mul_lo_u32 v23, s34, v7
	v_lshlrev_b32_e32 v24, 2, v6
	s_mov_b32 s38, 0
	s_mov_b64 s[20:21], 0
	v_mov_b32_e32 v19, 0
	v_mov_b32_e32 v18, 0
	;; [unrolled: 1-line block ×4, first 2 shown]
	s_branch .LBB390_17
.LBB390_13:                             ;   in Loop: Header=BB390_17 Depth=1
	s_or_b64 exec, exec, s[26:27]
	s_waitcnt vmcnt(3)
	v_fma_mix_f32 v6, v37, v41, v17 op_sel_hi:[0,1,0]
	s_waitcnt vmcnt(2)
	v_fma_mix_f32 v6, v38, v42, v6 op_sel_hi:[0,1,0]
	;; [unrolled: 2-line block ×4, first 2 shown]
.LBB390_14:                             ;   in Loop: Header=BB390_17 Depth=1
	s_or_b64 exec, exec, s[24:25]
	s_waitcnt vmcnt(3)
	v_fma_mix_f32 v6, v37, v33, v18 op_sel_hi:[0,1,0]
	s_waitcnt vmcnt(2)
	v_fma_mix_f32 v6, v38, v34, v6 op_sel_hi:[0,1,0]
	;; [unrolled: 2-line block ×4, first 2 shown]
.LBB390_15:                             ;   in Loop: Header=BB390_17 Depth=1
	s_or_b64 exec, exec, s[22:23]
	s_waitcnt vmcnt(3)
	v_fma_mix_f32 v6, v25, v29, v19 op_sel_hi:[1,1,0]
	s_waitcnt vmcnt(2)
	v_fma_mix_f32 v6, v26, v30, v6 op_sel_hi:[1,1,0]
	;; [unrolled: 2-line block ×4, first 2 shown]
.LBB390_16:                             ;   in Loop: Header=BB390_17 Depth=1
	s_or_b64 exec, exec, s[6:7]
	v_add_u32_e32 v20, 64, v20
	s_add_i32 s38, s38, s37
	v_cmp_le_i32_e64 s[6:7], s35, v20
	v_add_u32_e32 v21, s36, v21
	v_add_u32_e32 v0, s36, v0
	;; [unrolled: 1-line block ×3, first 2 shown]
	s_or_b64 s[20:21], s[6:7], s[20:21]
	v_add_u32_e32 v1, s36, v1
	s_andn2_b64 exec, exec, s[20:21]
	s_cbranch_execz .LBB390_22
.LBB390_17:                             ; =>This Inner Loop Header: Depth=1
	s_and_saveexec_b64 s[6:7], vcc
	s_cbranch_execz .LBB390_16
; %bb.18:                               ;   in Loop: Header=BB390_17 Depth=1
	v_add_u32_e32 v6, s38, v24
	v_ashrrev_i32_e32 v7, 31, v6
	v_add_u32_e32 v8, s38, v5
	v_add_u32_e32 v10, s38, v22
	;; [unrolled: 1-line block ×3, first 2 shown]
	v_lshl_add_u64 v[6:7], v[6:7], 1, s[16:17]
	v_ashrrev_i32_e32 v9, 31, v8
	v_ashrrev_i32_e32 v11, 31, v10
	;; [unrolled: 1-line block ×3, first 2 shown]
	v_lshl_add_u64 v[8:9], v[8:9], 1, s[16:17]
	v_lshl_add_u64 v[10:11], v[10:11], 1, s[16:17]
	v_lshl_add_u64 v[12:13], v[12:13], 1, s[16:17]
	global_load_ushort v25, v[6:7], off
	global_load_ushort v26, v[8:9], off
	global_load_ushort v27, v[10:11], off
	global_load_ushort v28, v[12:13], off
	v_add_u32_e32 v6, s31, v1
	v_ashrrev_i32_e32 v7, 31, v6
	v_add_u32_e32 v8, s31, v21
	v_add_u32_e32 v10, s31, v0
	;; [unrolled: 1-line block ×3, first 2 shown]
	v_lshl_add_u64 v[6:7], v[6:7], 1, s[14:15]
	v_ashrrev_i32_e32 v9, 31, v8
	v_ashrrev_i32_e32 v11, 31, v10
	;; [unrolled: 1-line block ×3, first 2 shown]
	v_lshl_add_u64 v[8:9], v[8:9], 1, s[14:15]
	v_lshl_add_u64 v[10:11], v[10:11], 1, s[14:15]
	;; [unrolled: 1-line block ×3, first 2 shown]
	global_load_ushort v29, v[6:7], off
	global_load_ushort v30, v[8:9], off
	;; [unrolled: 1-line block ×4, first 2 shown]
	s_and_saveexec_b64 s[22:23], s[0:1]
	s_cbranch_execz .LBB390_15
; %bb.19:                               ;   in Loop: Header=BB390_17 Depth=1
	global_load_ushort v33, v[6:7], off offset:128
	global_load_ushort v34, v[8:9], off offset:128
	;; [unrolled: 1-line block ×4, first 2 shown]
	s_waitcnt vmcnt(11)
	v_cvt_f32_f16_e32 v37, v25
	s_waitcnt vmcnt(10)
	v_cvt_f32_f16_e32 v38, v26
	;; [unrolled: 2-line block ×4, first 2 shown]
	s_and_saveexec_b64 s[24:25], s[2:3]
	s_cbranch_execz .LBB390_14
; %bb.20:                               ;   in Loop: Header=BB390_17 Depth=1
	global_load_ushort v41, v[6:7], off offset:256
	global_load_ushort v42, v[8:9], off offset:256
	;; [unrolled: 1-line block ×4, first 2 shown]
	s_and_saveexec_b64 s[26:27], s[4:5]
	s_cbranch_execz .LBB390_13
; %bb.21:                               ;   in Loop: Header=BB390_17 Depth=1
	global_load_ushort v45, v[6:7], off offset:384
	global_load_ushort v46, v[8:9], off offset:384
	;; [unrolled: 1-line block ×4, first 2 shown]
	s_waitcnt vmcnt(3)
	v_fma_mix_f32 v6, v37, v45, v15 op_sel_hi:[0,1,0]
	s_waitcnt vmcnt(2)
	v_fma_mix_f32 v6, v38, v46, v6 op_sel_hi:[0,1,0]
	;; [unrolled: 2-line block ×4, first 2 shown]
	s_branch .LBB390_13
.LBB390_22:
	s_or_b64 exec, exec, s[20:21]
.LBB390_23:
	s_or_b64 exec, exec, s[18:19]
	s_sub_i32 s0, s13, s35
	s_cmp_lt_i32 s0, 1
	s_cbranch_scc1 .LBB390_41
; %bb.24:
	v_cmp_gt_i32_e32 vcc, s13, v20
	v_mov_b32_e32 v10, 0
	v_or_b32_e32 v4, 1, v20
	v_mov_b32_e32 v11, 0
	v_mov_b32_e32 v12, 0
	;; [unrolled: 1-line block ×3, first 2 shown]
	s_and_saveexec_b64 s[2:3], vcc
	s_cbranch_execz .LBB390_32
; %bb.25:
	v_mul_lo_u32 v0, v20, s34
	v_ashrrev_i32_e32 v1, 31, v0
	v_lshl_add_u64 v[0:1], v[0:1], 1, s[16:17]
	global_load_ushort v0, v[0:1], off
	v_cmp_gt_i32_e64 s[0:1], s13, v4
	v_mov_b32_e32 v12, 0
	v_mov_b32_e32 v11, 0
	;; [unrolled: 1-line block ×3, first 2 shown]
	s_and_saveexec_b64 s[4:5], s[0:1]
	s_cbranch_execz .LBB390_31
; %bb.26:
	v_mul_lo_u32 v6, v4, s34
	v_ashrrev_i32_e32 v7, 31, v6
	v_lshl_add_u64 v[6:7], v[6:7], 1, s[16:17]
	global_load_ushort v1, v[6:7], off
	v_or_b32_e32 v5, 2, v20
	v_cmp_gt_i32_e64 s[0:1], s13, v5
	v_mov_b32_e32 v11, 0
	v_mov_b32_e32 v10, 0
	s_and_saveexec_b64 s[6:7], s[0:1]
	s_cbranch_execz .LBB390_30
; %bb.27:
	v_mul_lo_u32 v6, v5, s34
	v_ashrrev_i32_e32 v7, 31, v6
	v_lshl_add_u64 v[6:7], v[6:7], 1, s[16:17]
	global_load_ushort v5, v[6:7], off
	v_or_b32_e32 v6, 3, v20
	v_cmp_gt_i32_e64 s[0:1], s13, v6
	v_mov_b32_e32 v10, 0
	s_and_saveexec_b64 s[18:19], s[0:1]
	s_cbranch_execz .LBB390_29
; %bb.28:
	v_mul_lo_u32 v6, v6, s34
	v_ashrrev_i32_e32 v7, 31, v6
	v_lshl_add_u64 v[6:7], v[6:7], 1, s[16:17]
	global_load_ushort v6, v[6:7], off
	s_waitcnt vmcnt(0)
	v_cvt_f32_f16_e32 v10, v6
.LBB390_29:
	s_or_b64 exec, exec, s[18:19]
	s_waitcnt vmcnt(0)
	v_cvt_f32_f16_e32 v11, v5
.LBB390_30:
	s_or_b64 exec, exec, s[6:7]
	s_waitcnt vmcnt(0)
	v_cvt_f32_f16_e32 v12, v1
.LBB390_31:
	s_or_b64 exec, exec, s[4:5]
	s_waitcnt vmcnt(0)
	v_cvt_f32_f16_e32 v13, v0
.LBB390_32:
	s_or_b64 exec, exec, s[2:3]
	v_cmp_gt_i32_e64 s[0:1], s12, v16
	s_and_saveexec_b64 s[2:3], s[0:1]
	s_cbranch_execz .LBB390_40
; %bb.33:
	v_mul_lo_u32 v0, v20, s33
	v_cndmask_b32_e32 v0, 0, v0, vcc
	v_mul_lo_u32 v5, v4, s33
	v_cmp_gt_i32_e32 vcc, s13, v4
	v_or_b32_e32 v6, 2, v20
	v_mul_lo_u32 v7, v6, s33
	v_cndmask_b32_e32 v4, 0, v5, vcc
	v_cmp_gt_i32_e32 vcc, s13, v6
	v_or_b32_e32 v8, 3, v20
	v_mul_lo_u32 v9, v8, s33
	v_cndmask_b32_e32 v6, 0, v7, vcc
	v_cmp_gt_i32_e32 vcc, s13, v8
	v_add_u32_e32 v0, v0, v16
	v_ashrrev_i32_e32 v1, 31, v0
	v_cndmask_b32_e32 v8, 0, v9, vcc
	v_add_u32_e32 v4, v4, v16
	v_add_u32_e32 v6, v6, v16
	;; [unrolled: 1-line block ×3, first 2 shown]
	v_lshl_add_u64 v[0:1], v[0:1], 1, s[14:15]
	v_ashrrev_i32_e32 v5, 31, v4
	v_ashrrev_i32_e32 v7, 31, v6
	v_ashrrev_i32_e32 v9, 31, v8
	v_lshl_add_u64 v[4:5], v[4:5], 1, s[14:15]
	v_lshl_add_u64 v[6:7], v[6:7], 1, s[14:15]
	global_load_ushort v21, v[0:1], off
	global_load_ushort v22, v[4:5], off
	;; [unrolled: 1-line block ×3, first 2 shown]
	v_lshl_add_u64 v[8:9], v[8:9], 1, s[14:15]
	global_load_ushort v20, v[8:9], off
	v_add_u32_e32 v24, 64, v16
	v_cmp_gt_i32_e32 vcc, s12, v24
	s_waitcnt vmcnt(3)
	v_fma_mix_f32 v19, v13, v21, v19 op_sel_hi:[0,1,0]
	s_waitcnt vmcnt(2)
	v_fma_mix_f32 v19, v12, v22, v19 op_sel_hi:[0,1,0]
	s_waitcnt vmcnt(1)
	v_fma_mix_f32 v19, v11, v23, v19 op_sel_hi:[0,1,0]
	s_and_saveexec_b64 s[0:1], vcc
	s_cbranch_execz .LBB390_39
; %bb.34:
	global_load_ushort v22, v[0:1], off offset:128
	global_load_ushort v23, v[4:5], off offset:128
	global_load_ushort v24, v[6:7], off offset:128
	global_load_ushort v21, v[8:9], off offset:128
	v_add_u32_e32 v25, 0x80, v16
	v_cmp_gt_i32_e32 vcc, s12, v25
	s_waitcnt vmcnt(3)
	v_fma_mix_f32 v18, v13, v22, v18 op_sel_hi:[0,1,0]
	s_waitcnt vmcnt(2)
	v_fma_mix_f32 v18, v12, v23, v18 op_sel_hi:[0,1,0]
	s_waitcnt vmcnt(1)
	v_fma_mix_f32 v18, v11, v24, v18 op_sel_hi:[0,1,0]
	s_and_saveexec_b64 s[4:5], vcc
	s_cbranch_execz .LBB390_38
; %bb.35:
	global_load_ushort v23, v[0:1], off offset:256
	global_load_ushort v24, v[4:5], off offset:256
	global_load_ushort v25, v[6:7], off offset:256
	global_load_ushort v22, v[8:9], off offset:256
	;; [unrolled: 15-line block ×3, first 2 shown]
	s_waitcnt vmcnt(3)
	v_fma_mix_f32 v0, v13, v17, v15 op_sel_hi:[0,1,0]
	s_waitcnt vmcnt(2)
	v_fma_mix_f32 v0, v12, v23, v0 op_sel_hi:[0,1,0]
	;; [unrolled: 2-line block ×4, first 2 shown]
.LBB390_37:
	s_or_b64 exec, exec, s[6:7]
	s_waitcnt vmcnt(0)
	v_fma_mix_f32 v17, v10, v22, v16 op_sel_hi:[0,1,0]
.LBB390_38:
	s_or_b64 exec, exec, s[4:5]
	s_waitcnt vmcnt(0)
	v_fma_mix_f32 v18, v10, v21, v18 op_sel_hi:[0,1,0]
.LBB390_39:
	s_or_b64 exec, exec, s[0:1]
	s_waitcnt vmcnt(0)
	v_fma_mix_f32 v19, v10, v20, v19 op_sel_hi:[0,1,0]
.LBB390_40:
	s_or_b64 exec, exec, s[2:3]
.LBB390_41:
	v_lshlrev_b32_e32 v0, 8, v14
	s_movk_i32 s0, 0x100
	v_add_lshl_u32 v0, v0, v2, 2
	v_cmp_gt_u32_e32 vcc, s0, v3
	ds_write2st64_b32 v0, v19, v18 offset1:1
	ds_write2st64_b32 v0, v17, v15 offset0:2 offset1:3
	s_waitcnt lgkmcnt(0)
	s_barrier
	s_waitcnt lgkmcnt(0)
                                        ; implicit-def: $vgpr5
                                        ; implicit-def: $vgpr0_vgpr1
	s_and_saveexec_b64 s[0:1], vcc
	s_cbranch_execz .LBB390_47
; %bb.42:
	v_lshlrev_b32_e32 v12, 2, v3
	ds_read2st64_b32 v[0:1], v12 offset1:4
	ds_read2st64_b32 v[4:5], v12 offset0:8 offset1:12
	ds_read2st64_b32 v[6:7], v12 offset0:16 offset1:20
	;; [unrolled: 1-line block ×4, first 2 shown]
	s_waitcnt lgkmcnt(4)
	v_add_f32_e32 v0, v0, v1
	s_waitcnt lgkmcnt(3)
	v_add_f32_e32 v0, v4, v0
	v_add_f32_e32 v0, v5, v0
	s_waitcnt lgkmcnt(2)
	v_add_f32_e32 v0, v6, v0
	;; [unrolled: 3-line block ×3, first 2 shown]
	v_add_f32_e32 v2, v9, v0
	ds_read2st64_b32 v[0:1], v12 offset0:40 offset1:44
	ds_read2st64_b32 v[4:5], v12 offset0:48 offset1:52
	s_waitcnt lgkmcnt(2)
	v_add_f32_e32 v2, v10, v2
	v_add_f32_e32 v2, v11, v2
	ds_read2st64_b32 v[6:7], v12 offset0:56 offset1:60
	s_waitcnt lgkmcnt(2)
	v_add_f32_e32 v0, v0, v2
	v_add_f32_e32 v0, v1, v0
	s_waitcnt lgkmcnt(1)
	v_add_f32_e32 v0, v4, v0
	v_add_f32_e32 v0, v5, v0
	s_waitcnt lgkmcnt(0)
	v_add_f32_e32 v0, v6, v0
	v_or_b32_e32 v3, s31, v3
	v_add_f32_e32 v2, v7, v0
	v_cmp_gt_i32_e32 vcc, s12, v3
	s_mov_b64 s[4:5], s[10:11]
	ds_write_b32 v12, v2
                                        ; implicit-def: $vgpr5
                                        ; implicit-def: $vgpr0_vgpr1
	s_and_saveexec_b64 s[2:3], vcc
	s_cbranch_execz .LBB390_46
; %bb.43:
	v_cmp_eq_f32_e64 s[4:5], s29, 0
	v_mul_lo_u32 v0, v3, s30
	v_mul_f32_e32 v2, s28, v2
	v_ashrrev_i32_e32 v1, 31, v0
	s_and_b64 vcc, exec, s[4:5]
	s_cbranch_vccnz .LBB390_45
; %bb.44:
	v_lshl_add_u64 v[4:5], v[0:1], 1, s[8:9]
	global_load_ushort v3, v[4:5], off
	s_waitcnt vmcnt(0)
	v_fma_mix_f32 v2, s29, v3, v2 op_sel_hi:[0,1,0]
.LBB390_45:
	v_cvt_f16_f32_e32 v5, v2
	s_or_b64 s[4:5], s[10:11], exec
.LBB390_46:
	s_or_b64 exec, exec, s[2:3]
	s_andn2_b64 s[2:3], s[10:11], exec
	s_and_b64 s[4:5], s[4:5], exec
	s_or_b64 s[10:11], s[2:3], s[4:5]
.LBB390_47:
	s_or_b64 exec, exec, s[0:1]
.LBB390_48:
	s_and_saveexec_b64 s[0:1], s[10:11]
	s_cbranch_execz .LBB390_50
; %bb.49:
	v_lshl_add_u64 v[0:1], v[0:1], 1, s[8:9]
	global_store_short v[0:1], v5, off
.LBB390_50:
	s_endpgm
	.section	.rodata,"a",@progbits
	.p2align	6, 0x0
	.amdhsa_kernel _ZL20rocblas_gemvn_kernelILi64ELi16EiDF16_PKfDF16_EviiT3_lPKT2_lT1_lS5_lS6_lS2_lPT4_lS6_li
		.amdhsa_group_segment_fixed_size 16384
		.amdhsa_private_segment_fixed_size 0
		.amdhsa_kernarg_size 400
		.amdhsa_user_sgpr_count 2
		.amdhsa_user_sgpr_dispatch_ptr 0
		.amdhsa_user_sgpr_queue_ptr 0
		.amdhsa_user_sgpr_kernarg_segment_ptr 1
		.amdhsa_user_sgpr_dispatch_id 0
		.amdhsa_user_sgpr_kernarg_preload_length 0
		.amdhsa_user_sgpr_kernarg_preload_offset 0
		.amdhsa_user_sgpr_private_segment_size 0
		.amdhsa_uses_dynamic_stack 0
		.amdhsa_enable_private_segment 0
		.amdhsa_system_sgpr_workgroup_id_x 1
		.amdhsa_system_sgpr_workgroup_id_y 0
		.amdhsa_system_sgpr_workgroup_id_z 1
		.amdhsa_system_sgpr_workgroup_info 0
		.amdhsa_system_vgpr_workitem_id 1
		.amdhsa_next_free_vgpr 49
		.amdhsa_next_free_sgpr 39
		.amdhsa_accum_offset 52
		.amdhsa_reserve_vcc 1
		.amdhsa_float_round_mode_32 0
		.amdhsa_float_round_mode_16_64 0
		.amdhsa_float_denorm_mode_32 3
		.amdhsa_float_denorm_mode_16_64 3
		.amdhsa_dx10_clamp 1
		.amdhsa_ieee_mode 1
		.amdhsa_fp16_overflow 0
		.amdhsa_tg_split 0
		.amdhsa_exception_fp_ieee_invalid_op 0
		.amdhsa_exception_fp_denorm_src 0
		.amdhsa_exception_fp_ieee_div_zero 0
		.amdhsa_exception_fp_ieee_overflow 0
		.amdhsa_exception_fp_ieee_underflow 0
		.amdhsa_exception_fp_ieee_inexact 0
		.amdhsa_exception_int_div_zero 0
	.end_amdhsa_kernel
	.section	.text._ZL20rocblas_gemvn_kernelILi64ELi16EiDF16_PKfDF16_EviiT3_lPKT2_lT1_lS5_lS6_lS2_lPT4_lS6_li,"axG",@progbits,_ZL20rocblas_gemvn_kernelILi64ELi16EiDF16_PKfDF16_EviiT3_lPKT2_lT1_lS5_lS6_lS2_lPT4_lS6_li,comdat
.Lfunc_end390:
	.size	_ZL20rocblas_gemvn_kernelILi64ELi16EiDF16_PKfDF16_EviiT3_lPKT2_lT1_lS5_lS6_lS2_lPT4_lS6_li, .Lfunc_end390-_ZL20rocblas_gemvn_kernelILi64ELi16EiDF16_PKfDF16_EviiT3_lPKT2_lT1_lS5_lS6_lS2_lPT4_lS6_li
                                        ; -- End function
	.section	.AMDGPU.csdata,"",@progbits
; Kernel info:
; codeLenInByte = 2624
; NumSgprs: 45
; NumVgprs: 49
; NumAgprs: 0
; TotalNumVgprs: 49
; ScratchSize: 0
; MemoryBound: 0
; FloatMode: 240
; IeeeMode: 1
; LDSByteSize: 16384 bytes/workgroup (compile time only)
; SGPRBlocks: 5
; VGPRBlocks: 6
; NumSGPRsForWavesPerEU: 45
; NumVGPRsForWavesPerEU: 49
; AccumOffset: 52
; Occupancy: 8
; WaveLimiterHint : 1
; COMPUTE_PGM_RSRC2:SCRATCH_EN: 0
; COMPUTE_PGM_RSRC2:USER_SGPR: 2
; COMPUTE_PGM_RSRC2:TRAP_HANDLER: 0
; COMPUTE_PGM_RSRC2:TGID_X_EN: 1
; COMPUTE_PGM_RSRC2:TGID_Y_EN: 0
; COMPUTE_PGM_RSRC2:TGID_Z_EN: 1
; COMPUTE_PGM_RSRC2:TIDIG_COMP_CNT: 1
; COMPUTE_PGM_RSRC3_GFX90A:ACCUM_OFFSET: 12
; COMPUTE_PGM_RSRC3_GFX90A:TG_SPLIT: 0
	.section	.text._ZL20rocblas_gemvn_kernelILi64ELi16ElDF16_PKfDF16_EviiT3_lPKT2_lT1_lS5_lS6_lS2_lPT4_lS6_li,"axG",@progbits,_ZL20rocblas_gemvn_kernelILi64ELi16ElDF16_PKfDF16_EviiT3_lPKT2_lT1_lS5_lS6_lS2_lPT4_lS6_li,comdat
	.globl	_ZL20rocblas_gemvn_kernelILi64ELi16ElDF16_PKfDF16_EviiT3_lPKT2_lT1_lS5_lS6_lS2_lPT4_lS6_li ; -- Begin function _ZL20rocblas_gemvn_kernelILi64ELi16ElDF16_PKfDF16_EviiT3_lPKT2_lT1_lS5_lS6_lS2_lPT4_lS6_li
	.p2align	8
	.type	_ZL20rocblas_gemvn_kernelILi64ELi16ElDF16_PKfDF16_EviiT3_lPKT2_lT1_lS5_lS6_lS2_lPT4_lS6_li,@function
_ZL20rocblas_gemvn_kernelILi64ELi16ElDF16_PKfDF16_EviiT3_lPKT2_lT1_lS5_lS6_lS2_lPT4_lS6_li: ; @_ZL20rocblas_gemvn_kernelILi64ELi16ElDF16_PKfDF16_EviiT3_lPKT2_lT1_lS5_lS6_lS2_lPT4_lS6_li
; %bb.0:
	s_load_dwordx2 s[4:5], s[0:1], 0x9c
	s_waitcnt lgkmcnt(0)
	s_lshr_b32 s6, s4, 16
	s_and_b32 s4, s4, 0xffff
	s_and_b32 s5, s5, 0xffff
	s_mul_i32 s4, s6, s4
	s_mul_i32 s4, s4, s5
	s_cmpk_lg_i32 s4, 0x400
	s_cbranch_scc1 .LBB391_50
; %bb.1:
	s_load_dwordx16 s[36:51], s[0:1], 0x8
	s_load_dwordx16 s[8:23], s[0:1], 0x48
	s_waitcnt lgkmcnt(0)
	s_mul_i32 s5, s3, s39
	s_mul_hi_u32 s6, s3, s38
	s_mul_i32 s4, s3, s38
	s_add_i32 s5, s6, s5
	s_lshl_b64 s[4:5], s[4:5], 2
	s_add_u32 s4, s36, s4
	s_addc_u32 s5, s37, s5
	s_mul_i32 s7, s3, s15
	s_load_dword s52, s[4:5], 0x0
	s_mul_hi_u32 s4, s3, s14
	s_add_i32 s5, s4, s7
	s_mul_i32 s4, s3, s14
	s_lshl_b64 s[4:5], s[4:5], 2
	s_add_u32 s4, s12, s4
	s_addc_u32 s5, s13, s5
	s_load_dword s33, s[4:5], 0x0
	s_waitcnt lgkmcnt(0)
	v_cmp_eq_f32_e64 s[4:5], s52, 0
	v_cmp_eq_f32_e64 s[6:7], s33, 1.0
	s_and_b64 s[4:5], s[4:5], s[6:7]
	s_and_b64 vcc, exec, s[4:5]
	s_cbranch_vccnz .LBB391_50
; %bb.2:
	s_load_dwordx2 s[14:15], s[0:1], 0x0
	s_mul_i32 s0, s3, s23
	s_mul_hi_u32 s1, s3, s22
	s_add_i32 s1, s1, s0
	s_mul_i32 s0, s3, s22
	s_lshl_b64 s[0:1], s[0:1], 1
	s_add_u32 s4, s16, s0
	s_addc_u32 s5, s17, s1
	s_lshl_b64 s[0:1], s[18:19], 1
	s_add_u32 s12, s4, s0
	s_addc_u32 s13, s5, s1
	v_and_b32_e32 v29, 0x3ff, v0
	v_bfe_u32 v30, v0, 10, 10
	v_cmp_neq_f32_e64 s[0:1], s52, 0
	v_lshl_add_u32 v28, v30, 6, v29
	s_and_b64 vcc, exec, s[0:1]
	s_cbranch_vccnz .LBB391_9
; %bb.3:
	s_movk_i32 s0, 0x100
	v_cmp_gt_u32_e32 vcc, s0, v28
	s_mov_b64 s[0:1], 0
	s_mov_b64 s[16:17], 0
                                        ; implicit-def: $vgpr3
                                        ; implicit-def: $vgpr0_vgpr1
	s_and_saveexec_b64 s[4:5], vcc
	s_cbranch_execz .LBB391_10
; %bb.4:
	v_lshl_or_b32 v2, s2, 8, v28
	v_mov_b32_e32 v3, 0
	s_waitcnt lgkmcnt(0)
	s_ashr_i32 s7, s14, 31
	s_mov_b32 s6, s14
	v_cmp_gt_i64_e32 vcc, s[6:7], v[2:3]
                                        ; implicit-def: $vgpr0_vgpr1
	s_and_saveexec_b64 s[6:7], vcc
	s_cbranch_execz .LBB391_8
; %bb.5:
	v_mad_u64_u32 v[0:1], s[18:19], v2, s20, 0
	v_mov_b32_e32 v4, v1
	v_cmp_eq_f32_e64 s[16:17], s33, 0
	v_mad_u64_u32 v[4:5], s[18:19], v2, s21, v[4:5]
	v_mov_b32_e32 v1, v4
	s_and_b64 vcc, exec, s[16:17]
	s_cbranch_vccnz .LBB391_7
; %bb.6:
	v_lshl_add_u64 v[2:3], v[0:1], 1, s[12:13]
	global_load_ushort v2, v[2:3], off
	s_waitcnt vmcnt(0)
	v_fma_mixlo_f16 v3, s33, v2, 0 op_sel_hi:[0,1,0]
.LBB391_7:
	s_mov_b64 s[16:17], exec
.LBB391_8:
	s_or_b64 exec, exec, s[6:7]
	s_and_b64 s[16:17], s[16:17], exec
	s_or_b64 exec, exec, s[4:5]
	s_and_b64 vcc, exec, s[0:1]
	s_cbranch_vccnz .LBB391_11
	s_branch .LBB391_48
.LBB391_9:
	s_mov_b64 s[16:17], 0
                                        ; implicit-def: $vgpr3
                                        ; implicit-def: $vgpr0_vgpr1
	s_cbranch_execnz .LBB391_11
	s_branch .LBB391_48
.LBB391_10:
	s_or_b64 exec, exec, s[4:5]
	s_and_b64 vcc, exec, s[0:1]
	s_cbranch_vccz .LBB391_48
.LBB391_11:
	s_mul_i32 s0, s3, s47
	s_mul_hi_u32 s1, s3, s46
	s_add_i32 s19, s1, s0
	s_mul_i32 s0, s3, s11
	s_mul_hi_u32 s1, s3, s10
	s_add_i32 s11, s1, s0
	s_waitcnt lgkmcnt(0)
	s_ashr_i32 s0, s15, 31
	s_lshr_b32 s0, s0, 26
	s_add_i32 s47, s15, s0
	s_mul_i32 s18, s3, s46
	s_lshl_b32 s46, s2, 8
	s_andn2_b32 s47, s47, 63
	v_lshlrev_b32_e32 v33, 2, v30
	s_mul_i32 s10, s3, s10
	v_add_u32_e32 v0, s46, v29
	v_cmp_gt_i32_e32 vcc, s47, v33
	v_mov_b32_e32 v35, 0
	v_mov_b32_e32 v34, 0
	;; [unrolled: 1-line block ×4, first 2 shown]
	s_and_saveexec_b64 s[22:23], vcc
	s_cbranch_execz .LBB391_23
; %bb.12:
	v_add_u32_e32 v2, 64, v0
	v_cmp_gt_i32_e64 s[0:1], s14, v2
	v_add_u32_e32 v2, 0x80, v0
	v_cmp_gt_i32_e64 s[2:3], s14, v2
	;; [unrolled: 2-line block ×3, first 2 shown]
	v_mad_u64_u32 v[2:3], s[6:7], s8, v30, 0
	v_mov_b32_e32 v4, v3
	v_ashrrev_i32_e32 v1, 31, v0
	v_mad_u64_u32 v[4:5], s[6:7], s9, v30, v[4:5]
	v_mov_b32_e32 v3, v4
	v_lshlrev_b64 v[4:5], 1, v[0:1]
	v_lshlrev_b32_e32 v1, 2, v30
	v_or_b32_e32 v11, 3, v1
	v_mad_u64_u32 v[6:7], s[28:29], s44, v11, 0
	v_mov_b32_e32 v8, v7
	v_mad_u64_u32 v[8:9], s[28:29], s45, v11, v[8:9]
	v_mov_b32_e32 v7, v8
	;; [unrolled: 2-line block ×5, first 2 shown]
	v_mad_u64_u32 v[12:13], s[34:35], s45, v30, v[12:13]
	v_or_b32_e32 v17, 2, v1
	v_mov_b32_e32 v11, v12
	v_mad_u64_u32 v[12:13], s[34:35], s44, v17, 0
	v_mov_b32_e32 v14, v13
	v_mad_u64_u32 v[14:15], s[34:35], s45, v17, v[14:15]
	;; [unrolled: 2-line block ×4, first 2 shown]
	v_mov_b32_e32 v15, v16
	v_mov_b64_e32 v[16:17], s[8:9]
	v_mad_u64_u32 v[16:17], s[34:35], s8, v1, v[16:17]
	s_lshl_b64 s[24:25], s[50:51], 1
	s_lshl_b64 s[6:7], s[10:11], 1
	v_mov_b32_e32 v18, v17
	s_add_u32 s6, s48, s6
	v_mad_u64_u32 v[18:19], s[34:35], s9, v1, v[18:19]
	s_addc_u32 s7, s49, s7
	s_lshl_b64 s[26:27], s[8:9], 7
	s_lshl_b64 s[28:29], s[18:19], 1
	;; [unrolled: 1-line block ×3, first 2 shown]
	v_mov_b32_e32 v17, v18
	v_mov_b64_e32 v[18:19], s[44:45]
	v_lshl_add_u64 v[2:3], v[2:3], 3, s[6:7]
	s_add_u32 s30, s40, s30
	v_lshl_add_u64 v[8:9], v[8:9], 1, s[6:7]
	v_lshl_add_u64 v[14:15], v[14:15], 1, s[6:7]
	;; [unrolled: 1-line block ×3, first 2 shown]
	v_mad_u64_u32 v[18:19], s[6:7], s44, v1, v[18:19]
	s_addc_u32 s31, s41, s31
	v_mov_b32_e32 v20, v19
	s_add_u32 s30, s30, s28
	v_mad_u64_u32 v[20:21], s[6:7], s45, v1, v[20:21]
	s_addc_u32 s31, s31, s29
	v_mov_b32_e32 v19, v20
	v_cmp_gt_i32_e32 vcc, s14, v0
	v_lshl_add_u64 v[6:7], v[6:7], 1, s[30:31]
	s_lshl_b64 s[28:29], s[44:45], 7
	v_lshl_add_u64 v[10:11], v[10:11], 3, s[30:31]
	v_lshl_add_u64 v[12:13], v[12:13], 1, s[30:31]
	;; [unrolled: 1-line block ×3, first 2 shown]
	s_mov_b64 s[30:31], 0
	v_mov_b32_e32 v35, 0
	v_mov_b32_e32 v34, 0
	;; [unrolled: 1-line block ×4, first 2 shown]
	s_branch .LBB391_17
.LBB391_13:                             ;   in Loop: Header=BB391_17 Depth=1
	s_or_b64 exec, exec, s[38:39]
	s_waitcnt vmcnt(3)
	v_fma_mix_f32 v20, v47, v51, v32 op_sel_hi:[0,1,0]
	s_waitcnt vmcnt(2)
	v_fma_mix_f32 v20, v48, v52, v20 op_sel_hi:[0,1,0]
	s_waitcnt vmcnt(1)
	v_fma_mix_f32 v20, v49, v53, v20 op_sel_hi:[0,1,0]
	s_waitcnt vmcnt(0)
	v_fma_mix_f32 v32, v50, v54, v20 op_sel_hi:[0,1,0]
.LBB391_14:                             ;   in Loop: Header=BB391_17 Depth=1
	s_or_b64 exec, exec, s[36:37]
	s_waitcnt vmcnt(3)
	v_fma_mix_f32 v20, v47, v43, v34 op_sel_hi:[0,1,0]
	s_waitcnt vmcnt(2)
	v_fma_mix_f32 v20, v48, v44, v20 op_sel_hi:[0,1,0]
	;; [unrolled: 2-line block ×4, first 2 shown]
.LBB391_15:                             ;   in Loop: Header=BB391_17 Depth=1
	s_or_b64 exec, exec, s[34:35]
	s_waitcnt vmcnt(3)
	v_fma_mix_f32 v1, v1, v39, v35 op_sel_hi:[1,1,0]
	s_waitcnt vmcnt(2)
	v_fma_mix_f32 v1, v36, v40, v1 op_sel_hi:[1,1,0]
	;; [unrolled: 2-line block ×4, first 2 shown]
.LBB391_16:                             ;   in Loop: Header=BB391_17 Depth=1
	s_or_b64 exec, exec, s[6:7]
	v_add_u32_e32 v33, 64, v33
	v_cmp_le_i32_e64 s[6:7], s47, v33
	v_lshl_add_u64 v[2:3], v[2:3], 0, s[26:27]
	v_lshl_add_u64 v[6:7], v[6:7], 0, s[28:29]
	;; [unrolled: 1-line block ×7, first 2 shown]
	s_or_b64 s[30:31], s[6:7], s[30:31]
	v_lshl_add_u64 v[18:19], v[18:19], 0, s[28:29]
	s_andn2_b64 exec, exec, s[30:31]
	s_cbranch_execz .LBB391_22
.LBB391_17:                             ; =>This Inner Loop Header: Depth=1
	s_and_saveexec_b64 s[6:7], vcc
	s_cbranch_execz .LBB391_16
; %bb.18:                               ;   in Loop: Header=BB391_17 Depth=1
	v_lshl_add_u64 v[20:21], v[2:3], 0, s[24:25]
	global_load_ushort v1, v[20:21], off
	v_lshl_add_u64 v[20:21], v[16:17], 0, s[24:25]
	global_load_ushort v36, v[20:21], off
	;; [unrolled: 2-line block ×4, first 2 shown]
	v_lshl_add_u64 v[20:21], v[10:11], 0, v[4:5]
	v_lshl_add_u64 v[22:23], v[18:19], 0, v[4:5]
	;; [unrolled: 1-line block ×4, first 2 shown]
	global_load_ushort v39, v[20:21], off
	global_load_ushort v40, v[22:23], off
	;; [unrolled: 1-line block ×4, first 2 shown]
	s_and_saveexec_b64 s[34:35], s[0:1]
	s_cbranch_execz .LBB391_15
; %bb.19:                               ;   in Loop: Header=BB391_17 Depth=1
	global_load_ushort v43, v[20:21], off offset:128
	global_load_ushort v44, v[22:23], off offset:128
	;; [unrolled: 1-line block ×4, first 2 shown]
	s_waitcnt vmcnt(11)
	v_cvt_f32_f16_e32 v47, v1
	s_waitcnt vmcnt(10)
	v_cvt_f32_f16_e32 v48, v36
	;; [unrolled: 2-line block ×4, first 2 shown]
	s_and_saveexec_b64 s[36:37], s[2:3]
	s_cbranch_execz .LBB391_14
; %bb.20:                               ;   in Loop: Header=BB391_17 Depth=1
	global_load_ushort v51, v[20:21], off offset:256
	global_load_ushort v52, v[22:23], off offset:256
	;; [unrolled: 1-line block ×4, first 2 shown]
	s_and_saveexec_b64 s[38:39], s[4:5]
	s_cbranch_execz .LBB391_13
; %bb.21:                               ;   in Loop: Header=BB391_17 Depth=1
	global_load_ushort v20, v[20:21], off offset:384
	s_nop 0
	global_load_ushort v21, v[22:23], off offset:384
	s_nop 0
	global_load_ushort v22, v[24:25], off offset:384
	global_load_ushort v23, v[26:27], off offset:384
	s_waitcnt vmcnt(3)
	v_fma_mix_f32 v20, v47, v20, v31 op_sel_hi:[0,1,0]
	s_waitcnt vmcnt(2)
	v_fma_mix_f32 v20, v48, v21, v20 op_sel_hi:[0,1,0]
	;; [unrolled: 2-line block ×4, first 2 shown]
	s_branch .LBB391_13
.LBB391_22:
	s_or_b64 exec, exec, s[30:31]
.LBB391_23:
	s_or_b64 exec, exec, s[22:23]
	s_sub_i32 s0, s15, s47
	s_cmp_lt_i32 s0, 1
	s_cbranch_scc1 .LBB391_41
; %bb.24:
	v_cmp_gt_i32_e32 vcc, s15, v33
	v_mov_b32_e32 v10, 0
	v_or_b32_e32 v4, 1, v33
	v_mov_b32_e32 v11, 0
	v_mov_b32_e32 v12, 0
	;; [unrolled: 1-line block ×3, first 2 shown]
	s_and_saveexec_b64 s[2:3], vcc
	s_cbranch_execz .LBB391_32
; %bb.25:
	s_lshl_b64 s[0:1], s[10:11], 1
	s_add_u32 s4, s48, s0
	s_addc_u32 s5, s49, s1
	s_lshl_b64 s[0:1], s[50:51], 1
	s_add_u32 s6, s4, s0
	s_addc_u32 s7, s5, s1
	v_mad_u64_u32 v[2:3], s[0:1], v33, s8, 0
	v_mov_b32_e32 v6, v3
	v_mad_u64_u32 v[6:7], s[0:1], v33, s9, v[6:7]
	v_mov_b32_e32 v3, v6
	v_lshl_add_u64 v[2:3], v[2:3], 1, s[6:7]
	global_load_ushort v1, v[2:3], off
	v_cmp_gt_i32_e64 s[0:1], s15, v4
	v_mov_b32_e32 v12, 0
	v_mov_b32_e32 v11, 0
	;; [unrolled: 1-line block ×3, first 2 shown]
	s_and_saveexec_b64 s[4:5], s[0:1]
	s_cbranch_execz .LBB391_31
; %bb.26:
	v_mad_u64_u32 v[2:3], s[0:1], v4, s8, 0
	v_mov_b32_e32 v6, v3
	v_mad_u64_u32 v[6:7], s[0:1], v4, s9, v[6:7]
	v_mov_b32_e32 v3, v6
	v_lshl_add_u64 v[2:3], v[2:3], 1, s[6:7]
	global_load_ushort v2, v[2:3], off
	v_or_b32_e32 v3, 2, v33
	v_cmp_gt_i32_e64 s[0:1], s15, v3
	v_mov_b32_e32 v11, 0
	v_mov_b32_e32 v10, 0
	s_and_saveexec_b64 s[10:11], s[0:1]
	s_cbranch_execz .LBB391_30
; %bb.27:
	v_mad_u64_u32 v[6:7], s[0:1], v3, s8, 0
	v_mov_b32_e32 v8, v7
	v_mad_u64_u32 v[8:9], s[0:1], v3, s9, v[8:9]
	v_mov_b32_e32 v7, v8
	v_lshl_add_u64 v[6:7], v[6:7], 1, s[6:7]
	global_load_ushort v3, v[6:7], off
	v_or_b32_e32 v5, 3, v33
	v_cmp_gt_i32_e64 s[0:1], s15, v5
	v_mov_b32_e32 v10, 0
	s_and_saveexec_b64 s[22:23], s[0:1]
	s_cbranch_execz .LBB391_29
; %bb.28:
	v_mad_u64_u32 v[6:7], s[0:1], v5, s8, 0
	v_mov_b32_e32 v8, v7
	v_mad_u64_u32 v[8:9], s[0:1], v5, s9, v[8:9]
	v_mov_b32_e32 v7, v8
	v_lshl_add_u64 v[6:7], v[6:7], 1, s[6:7]
	global_load_ushort v5, v[6:7], off
	s_waitcnt vmcnt(0)
	v_cvt_f32_f16_e32 v10, v5
.LBB391_29:
	s_or_b64 exec, exec, s[22:23]
	s_waitcnt vmcnt(0)
	v_cvt_f32_f16_e32 v11, v3
.LBB391_30:
	s_or_b64 exec, exec, s[10:11]
	s_waitcnt vmcnt(0)
	v_cvt_f32_f16_e32 v12, v2
.LBB391_31:
	s_or_b64 exec, exec, s[4:5]
	s_waitcnt vmcnt(0)
	v_cvt_f32_f16_e32 v13, v1
.LBB391_32:
	s_or_b64 exec, exec, s[2:3]
	v_cmp_gt_i32_e64 s[0:1], s14, v0
	s_and_saveexec_b64 s[2:3], s[0:1]
	s_cbranch_execz .LBB391_40
; %bb.33:
	s_lshl_b64 s[0:1], s[18:19], 1
	s_add_u32 s4, s40, s0
	s_addc_u32 s5, s41, s1
	s_lshl_b64 s[0:1], s[42:43], 1
	s_add_u32 s0, s4, s0
	s_addc_u32 s1, s5, s1
	v_mad_u64_u32 v[2:3], s[4:5], v33, s44, 0
	v_mov_b32_e32 v6, v3
	v_mad_u64_u32 v[6:7], s[4:5], v33, s45, v[6:7]
	v_ashrrev_i32_e32 v1, 31, v0
	v_cndmask_b32_e32 v3, 0, v6, vcc
	v_mad_u64_u32 v[6:7], s[4:5], v4, s44, 0
	v_cndmask_b32_e32 v2, 0, v2, vcc
	v_lshlrev_b64 v[8:9], 1, v[0:1]
	v_mov_b32_e32 v14, v7
	v_cmp_gt_i32_e32 vcc, s15, v4
	v_or_b32_e32 v1, 2, v33
	v_mad_u64_u32 v[14:15], s[4:5], v4, s45, v[14:15]
	v_cndmask_b32_e32 v4, 0, v6, vcc
	v_mad_u64_u32 v[6:7], s[4:5], v1, s44, 0
	v_cndmask_b32_e32 v5, 0, v14, vcc
	v_mov_b32_e32 v14, v7
	v_mad_u64_u32 v[14:15], s[4:5], v1, s45, v[14:15]
	v_cmp_gt_i32_e32 vcc, s15, v1
	v_or_b32_e32 v1, 3, v33
	v_lshl_add_u64 v[2:3], v[2:3], 1, s[0:1]
	v_cndmask_b32_e32 v7, 0, v14, vcc
	v_mad_u64_u32 v[14:15], s[4:5], v1, s44, 0
	v_mov_b32_e32 v16, v15
	v_cndmask_b32_e32 v6, 0, v6, vcc
	v_mad_u64_u32 v[16:17], s[4:5], v1, s45, v[16:17]
	v_cmp_gt_i32_e32 vcc, s15, v1
	v_lshl_add_u64 v[2:3], v[2:3], 0, v[8:9]
	v_lshl_add_u64 v[4:5], v[4:5], 1, s[0:1]
	v_cndmask_b32_e32 v14, 0, v14, vcc
	v_cndmask_b32_e32 v15, 0, v16, vcc
	v_lshl_add_u64 v[6:7], v[6:7], 1, s[0:1]
	v_lshl_add_u64 v[14:15], v[14:15], 1, s[0:1]
	;; [unrolled: 1-line block ×4, first 2 shown]
	global_load_ushort v16, v[2:3], off
	global_load_ushort v17, v[4:5], off
	;; [unrolled: 1-line block ×3, first 2 shown]
	v_lshl_add_u64 v[8:9], v[14:15], 0, v[8:9]
	global_load_ushort v1, v[8:9], off
	v_add_u32_e32 v15, 64, v0
	v_cmp_gt_i32_e32 vcc, s14, v15
	s_waitcnt vmcnt(3)
	v_fma_mix_f32 v14, v13, v16, v35 op_sel_hi:[0,1,0]
	s_waitcnt vmcnt(2)
	v_fma_mix_f32 v14, v12, v17, v14 op_sel_hi:[0,1,0]
	s_waitcnt vmcnt(1)
	v_fma_mix_f32 v14, v11, v18, v14 op_sel_hi:[0,1,0]
	s_and_saveexec_b64 s[0:1], vcc
	s_cbranch_execz .LBB391_39
; %bb.34:
	global_load_ushort v16, v[2:3], off offset:128
	global_load_ushort v17, v[4:5], off offset:128
	global_load_ushort v18, v[6:7], off offset:128
	global_load_ushort v15, v[8:9], off offset:128
	v_add_u32_e32 v19, 0x80, v0
	v_cmp_gt_i32_e32 vcc, s14, v19
	s_waitcnt vmcnt(3)
	v_fma_mix_f32 v16, v13, v16, v34 op_sel_hi:[0,1,0]
	s_waitcnt vmcnt(2)
	v_fma_mix_f32 v16, v12, v17, v16 op_sel_hi:[0,1,0]
	s_waitcnt vmcnt(1)
	v_fma_mix_f32 v16, v11, v18, v16 op_sel_hi:[0,1,0]
	s_and_saveexec_b64 s[4:5], vcc
	s_cbranch_execz .LBB391_38
; %bb.35:
	global_load_ushort v18, v[2:3], off offset:256
	global_load_ushort v19, v[4:5], off offset:256
	global_load_ushort v20, v[6:7], off offset:256
	global_load_ushort v17, v[8:9], off offset:256
	;; [unrolled: 15-line block ×3, first 2 shown]
	s_waitcnt vmcnt(3)
	v_fma_mix_f32 v2, v13, v18, v31 op_sel_hi:[0,1,0]
	s_waitcnt vmcnt(2)
	v_fma_mix_f32 v2, v12, v19, v2 op_sel_hi:[0,1,0]
	;; [unrolled: 2-line block ×4, first 2 shown]
.LBB391_37:
	s_or_b64 exec, exec, s[6:7]
	s_waitcnt vmcnt(0)
	v_fma_mix_f32 v32, v10, v17, v0 op_sel_hi:[0,1,0]
.LBB391_38:
	s_or_b64 exec, exec, s[4:5]
	s_waitcnt vmcnt(0)
	v_fma_mix_f32 v34, v10, v15, v16 op_sel_hi:[0,1,0]
.LBB391_39:
	s_or_b64 exec, exec, s[0:1]
	s_waitcnt vmcnt(0)
	v_fma_mix_f32 v35, v10, v1, v14 op_sel_hi:[0,1,0]
.LBB391_40:
	s_or_b64 exec, exec, s[2:3]
.LBB391_41:
	v_lshlrev_b32_e32 v0, 8, v30
	s_movk_i32 s0, 0x100
	v_add_lshl_u32 v0, v0, v29, 2
	v_cmp_gt_u32_e32 vcc, s0, v28
	ds_write2st64_b32 v0, v35, v34 offset1:1
	ds_write2st64_b32 v0, v32, v31 offset0:2 offset1:3
	s_waitcnt lgkmcnt(0)
	s_barrier
	s_waitcnt lgkmcnt(0)
                                        ; implicit-def: $vgpr3
                                        ; implicit-def: $vgpr0_vgpr1
	s_and_saveexec_b64 s[0:1], vcc
	s_cbranch_execz .LBB391_47
; %bb.42:
	v_lshlrev_b32_e32 v10, 2, v28
	ds_read2st64_b32 v[0:1], v10 offset1:4
	ds_read2st64_b32 v[2:3], v10 offset0:8 offset1:12
	ds_read2st64_b32 v[4:5], v10 offset0:16 offset1:20
	;; [unrolled: 1-line block ×4, first 2 shown]
	s_waitcnt lgkmcnt(4)
	v_add_f32_e32 v0, v0, v1
	s_waitcnt lgkmcnt(3)
	v_add_f32_e32 v0, v2, v0
	v_add_f32_e32 v0, v3, v0
	s_waitcnt lgkmcnt(2)
	v_add_f32_e32 v0, v4, v0
	;; [unrolled: 3-line block ×3, first 2 shown]
	v_add_f32_e32 v2, v7, v0
	ds_read2st64_b32 v[0:1], v10 offset0:40 offset1:44
	s_waitcnt lgkmcnt(1)
	v_add_f32_e32 v4, v8, v2
	ds_read2st64_b32 v[2:3], v10 offset0:48 offset1:52
	v_add_f32_e32 v6, v9, v4
	ds_read2st64_b32 v[4:5], v10 offset0:56 offset1:60
	s_waitcnt lgkmcnt(2)
	v_add_f32_e32 v0, v0, v6
	v_add_f32_e32 v0, v1, v0
	s_waitcnt lgkmcnt(1)
	v_add_f32_e32 v0, v2, v0
	v_add_f32_e32 v0, v3, v0
	s_waitcnt lgkmcnt(0)
	v_add_f32_e32 v0, v4, v0
	v_or_b32_e32 v4, s46, v28
	v_add_f32_e32 v2, v5, v0
	v_cmp_gt_i32_e32 vcc, s14, v4
	s_mov_b64 s[4:5], s[16:17]
	ds_write_b32 v10, v2
                                        ; implicit-def: $vgpr3
                                        ; implicit-def: $vgpr0_vgpr1
	s_and_saveexec_b64 s[2:3], vcc
	s_cbranch_execz .LBB391_46
; %bb.43:
	v_ashrrev_i32_e32 v0, 31, v4
	v_cmp_eq_f32_e64 s[4:5], s33, 0
	v_mul_lo_u32 v3, v4, s21
	v_mul_lo_u32 v5, v0, s20
	v_mad_u64_u32 v[0:1], s[6:7], v4, s20, 0
	v_mul_f32_e32 v2, s52, v2
	v_add3_u32 v1, v1, v3, v5
	s_and_b64 vcc, exec, s[4:5]
	s_cbranch_vccnz .LBB391_45
; %bb.44:
	v_lshl_add_u64 v[4:5], v[0:1], 1, s[12:13]
	global_load_ushort v3, v[4:5], off
	s_waitcnt vmcnt(0)
	v_fma_mix_f32 v2, s33, v3, v2 op_sel_hi:[0,1,0]
.LBB391_45:
	v_cvt_f16_f32_e32 v3, v2
	s_or_b64 s[4:5], s[16:17], exec
.LBB391_46:
	s_or_b64 exec, exec, s[2:3]
	s_andn2_b64 s[2:3], s[16:17], exec
	s_and_b64 s[4:5], s[4:5], exec
	s_or_b64 s[16:17], s[2:3], s[4:5]
.LBB391_47:
	s_or_b64 exec, exec, s[0:1]
.LBB391_48:
	s_and_saveexec_b64 s[0:1], s[16:17]
	s_cbranch_execz .LBB391_50
; %bb.49:
	v_lshl_add_u64 v[0:1], v[0:1], 1, s[12:13]
	global_store_short v[0:1], v3, off
.LBB391_50:
	s_endpgm
	.section	.rodata,"a",@progbits
	.p2align	6, 0x0
	.amdhsa_kernel _ZL20rocblas_gemvn_kernelILi64ELi16ElDF16_PKfDF16_EviiT3_lPKT2_lT1_lS5_lS6_lS2_lPT4_lS6_li
		.amdhsa_group_segment_fixed_size 16384
		.amdhsa_private_segment_fixed_size 0
		.amdhsa_kernarg_size 400
		.amdhsa_user_sgpr_count 2
		.amdhsa_user_sgpr_dispatch_ptr 0
		.amdhsa_user_sgpr_queue_ptr 0
		.amdhsa_user_sgpr_kernarg_segment_ptr 1
		.amdhsa_user_sgpr_dispatch_id 0
		.amdhsa_user_sgpr_kernarg_preload_length 0
		.amdhsa_user_sgpr_kernarg_preload_offset 0
		.amdhsa_user_sgpr_private_segment_size 0
		.amdhsa_uses_dynamic_stack 0
		.amdhsa_enable_private_segment 0
		.amdhsa_system_sgpr_workgroup_id_x 1
		.amdhsa_system_sgpr_workgroup_id_y 0
		.amdhsa_system_sgpr_workgroup_id_z 1
		.amdhsa_system_sgpr_workgroup_info 0
		.amdhsa_system_vgpr_workitem_id 1
		.amdhsa_next_free_vgpr 55
		.amdhsa_next_free_sgpr 53
		.amdhsa_accum_offset 56
		.amdhsa_reserve_vcc 1
		.amdhsa_float_round_mode_32 0
		.amdhsa_float_round_mode_16_64 0
		.amdhsa_float_denorm_mode_32 3
		.amdhsa_float_denorm_mode_16_64 3
		.amdhsa_dx10_clamp 1
		.amdhsa_ieee_mode 1
		.amdhsa_fp16_overflow 0
		.amdhsa_tg_split 0
		.amdhsa_exception_fp_ieee_invalid_op 0
		.amdhsa_exception_fp_denorm_src 0
		.amdhsa_exception_fp_ieee_div_zero 0
		.amdhsa_exception_fp_ieee_overflow 0
		.amdhsa_exception_fp_ieee_underflow 0
		.amdhsa_exception_fp_ieee_inexact 0
		.amdhsa_exception_int_div_zero 0
	.end_amdhsa_kernel
	.section	.text._ZL20rocblas_gemvn_kernelILi64ELi16ElDF16_PKfDF16_EviiT3_lPKT2_lT1_lS5_lS6_lS2_lPT4_lS6_li,"axG",@progbits,_ZL20rocblas_gemvn_kernelILi64ELi16ElDF16_PKfDF16_EviiT3_lPKT2_lT1_lS5_lS6_lS2_lPT4_lS6_li,comdat
.Lfunc_end391:
	.size	_ZL20rocblas_gemvn_kernelILi64ELi16ElDF16_PKfDF16_EviiT3_lPKT2_lT1_lS5_lS6_lS2_lPT4_lS6_li, .Lfunc_end391-_ZL20rocblas_gemvn_kernelILi64ELi16ElDF16_PKfDF16_EviiT3_lPKT2_lT1_lS5_lS6_lS2_lPT4_lS6_li
                                        ; -- End function
	.section	.AMDGPU.csdata,"",@progbits
; Kernel info:
; codeLenInByte = 2924
; NumSgprs: 59
; NumVgprs: 55
; NumAgprs: 0
; TotalNumVgprs: 55
; ScratchSize: 0
; MemoryBound: 0
; FloatMode: 240
; IeeeMode: 1
; LDSByteSize: 16384 bytes/workgroup (compile time only)
; SGPRBlocks: 7
; VGPRBlocks: 6
; NumSGPRsForWavesPerEU: 59
; NumVGPRsForWavesPerEU: 55
; AccumOffset: 56
; Occupancy: 8
; WaveLimiterHint : 0
; COMPUTE_PGM_RSRC2:SCRATCH_EN: 0
; COMPUTE_PGM_RSRC2:USER_SGPR: 2
; COMPUTE_PGM_RSRC2:TRAP_HANDLER: 0
; COMPUTE_PGM_RSRC2:TGID_X_EN: 1
; COMPUTE_PGM_RSRC2:TGID_Y_EN: 0
; COMPUTE_PGM_RSRC2:TGID_Z_EN: 1
; COMPUTE_PGM_RSRC2:TIDIG_COMP_CNT: 1
; COMPUTE_PGM_RSRC3_GFX90A:ACCUM_OFFSET: 13
; COMPUTE_PGM_RSRC3_GFX90A:TG_SPLIT: 0
	.section	.text._ZL20rocblas_gemvn_kernelILi64ELi16EiDF16_fDF16_EviiT3_lPKT2_lT1_lS3_lS4_lS0_lPT4_lS4_li,"axG",@progbits,_ZL20rocblas_gemvn_kernelILi64ELi16EiDF16_fDF16_EviiT3_lPKT2_lT1_lS3_lS4_lS0_lPT4_lS4_li,comdat
	.globl	_ZL20rocblas_gemvn_kernelILi64ELi16EiDF16_fDF16_EviiT3_lPKT2_lT1_lS3_lS4_lS0_lPT4_lS4_li ; -- Begin function _ZL20rocblas_gemvn_kernelILi64ELi16EiDF16_fDF16_EviiT3_lPKT2_lT1_lS3_lS4_lS0_lPT4_lS4_li
	.p2align	8
	.type	_ZL20rocblas_gemvn_kernelILi64ELi16EiDF16_fDF16_EviiT3_lPKT2_lT1_lS3_lS4_lS0_lPT4_lS4_li,@function
_ZL20rocblas_gemvn_kernelILi64ELi16EiDF16_fDF16_EviiT3_lPKT2_lT1_lS3_lS4_lS0_lPT4_lS4_li: ; @_ZL20rocblas_gemvn_kernelILi64ELi16EiDF16_fDF16_EviiT3_lPKT2_lT1_lS3_lS4_lS0_lPT4_lS4_li
; %bb.0:
	s_load_dwordx2 s[4:5], s[0:1], 0x9c
	s_waitcnt lgkmcnt(0)
	s_lshr_b32 s6, s4, 16
	s_and_b32 s4, s4, 0xffff
	s_and_b32 s5, s5, 0xffff
	s_mul_i32 s4, s6, s4
	s_mul_i32 s4, s4, s5
	s_cmpk_lg_i32 s4, 0x400
	s_cbranch_scc1 .LBB392_50
; %bb.1:
	s_load_dwordx4 s[8:11], s[0:1], 0x0
	s_waitcnt lgkmcnt(0)
	s_load_dword s11, s[0:1], 0x58
	v_cmp_eq_f32_e64 s[4:5], s10, 0
	s_waitcnt lgkmcnt(0)
	v_cmp_eq_f32_e64 s[6:7], s11, 1.0
	s_and_b64 s[4:5], s[4:5], s[6:7]
	s_and_b64 vcc, exec, s[4:5]
	s_cbranch_vccnz .LBB392_50
; %bb.2:
	s_load_dwordx2 s[12:13], s[0:1], 0x80
	s_load_dwordx4 s[4:7], s[0:1], 0x68
	s_load_dword s30, s[0:1], 0x78
	v_and_b32_e32 v2, 0x3ff, v0
	v_bfe_u32 v14, v0, 10, 10
	s_waitcnt lgkmcnt(0)
	s_mul_i32 s13, s3, s13
	s_mul_hi_u32 s14, s3, s12
	s_mul_i32 s12, s3, s12
	s_add_i32 s13, s14, s13
	s_lshl_b64 s[12:13], s[12:13], 1
	s_add_u32 s12, s4, s12
	s_addc_u32 s13, s5, s13
	s_lshl_b64 s[4:5], s[6:7], 1
	s_add_u32 s12, s12, s4
	s_addc_u32 s13, s13, s5
	v_cmp_neq_f32_e64 s[4:5], s10, 0
	v_lshl_add_u32 v3, v14, 6, v2
	s_and_b64 vcc, exec, s[4:5]
	s_cbranch_vccnz .LBB392_9
; %bb.3:
	s_movk_i32 s4, 0x100
	v_cmp_gt_u32_e32 vcc, s4, v3
	s_mov_b64 s[4:5], 0
	s_mov_b64 s[14:15], 0
                                        ; implicit-def: $vgpr5
                                        ; implicit-def: $vgpr0_vgpr1
	s_and_saveexec_b64 s[6:7], vcc
	s_cbranch_execz .LBB392_10
; %bb.4:
	v_lshl_or_b32 v4, s2, 8, v3
	v_mov_b32_e32 v5, 0
	s_ashr_i32 s15, s8, 31
	s_mov_b32 s14, s8
	v_cmp_gt_i64_e32 vcc, s[14:15], v[4:5]
	s_mov_b64 s[16:17], 0
                                        ; implicit-def: $vgpr0_vgpr1
	s_and_saveexec_b64 s[14:15], vcc
	s_cbranch_execz .LBB392_8
; %bb.5:
	v_mad_u64_u32 v[0:1], s[18:19], s30, v4, 0
	s_ashr_i32 s20, s30, 31
	v_mov_b32_e32 v6, v1
	v_cmp_eq_f32_e64 s[16:17], s11, 0
	v_mad_u64_u32 v[6:7], s[18:19], s20, v4, v[6:7]
	v_mov_b32_e32 v1, v6
	s_and_b64 vcc, exec, s[16:17]
	s_cbranch_vccnz .LBB392_7
; %bb.6:
	v_lshl_add_u64 v[4:5], v[0:1], 1, s[12:13]
	global_load_ushort v4, v[4:5], off
	s_waitcnt vmcnt(0)
	v_fma_mixlo_f16 v5, v4, s11, 0 op_sel_hi:[1,0,0]
.LBB392_7:
	s_mov_b64 s[16:17], exec
.LBB392_8:
	s_or_b64 exec, exec, s[14:15]
	s_and_b64 s[14:15], s[16:17], exec
	s_or_b64 exec, exec, s[6:7]
	s_and_b64 vcc, exec, s[4:5]
	s_cbranch_vccnz .LBB392_11
	s_branch .LBB392_48
.LBB392_9:
	s_mov_b64 s[14:15], 0
                                        ; implicit-def: $vgpr5
                                        ; implicit-def: $vgpr0_vgpr1
	s_cbranch_execnz .LBB392_11
	s_branch .LBB392_48
.LBB392_10:
	s_or_b64 exec, exec, s[6:7]
	s_and_b64 vcc, exec, s[4:5]
	s_cbranch_vccz .LBB392_48
.LBB392_11:
	s_load_dwordx4 s[4:7], s[0:1], 0x30
	s_load_dwordx4 s[16:19], s[0:1], 0x18
	s_load_dword s33, s[0:1], 0x28
	s_load_dwordx2 s[20:21], s[0:1], 0x40
	s_load_dword s34, s[0:1], 0x48
	s_load_dwordx2 s[22:23], s[0:1], 0x50
	s_waitcnt lgkmcnt(0)
	s_mul_i32 s0, s3, s5
	s_mul_hi_u32 s1, s3, s4
	s_add_i32 s1, s1, s0
	s_mul_i32 s0, s3, s4
	s_lshl_b64 s[0:1], s[0:1], 1
	s_add_u32 s4, s16, s0
	s_addc_u32 s5, s17, s1
	s_lshl_b64 s[0:1], s[18:19], 1
	s_add_u32 s16, s4, s0
	s_addc_u32 s17, s5, s1
	s_mul_i32 s0, s3, s23
	s_mul_hi_u32 s1, s3, s22
	s_add_i32 s1, s1, s0
	s_mul_i32 s0, s3, s22
	s_lshl_b64 s[0:1], s[0:1], 1
	s_add_u32 s3, s6, s0
	s_addc_u32 s4, s7, s1
	s_lshl_b64 s[0:1], s[20:21], 1
	s_add_u32 s18, s3, s0
	s_addc_u32 s19, s4, s1
	s_ashr_i32 s0, s9, 31
	s_lshr_b32 s0, s0, 26
	s_add_i32 s35, s9, s0
	s_lshl_b32 s31, s2, 8
	s_andn2_b32 s35, s35, 63
	v_lshlrev_b32_e32 v20, 2, v14
	v_add_u32_e32 v16, s31, v2
	v_cmp_gt_i32_e32 vcc, s35, v20
	v_mov_b32_e32 v19, 0
	v_mov_b32_e32 v18, 0
	;; [unrolled: 1-line block ×4, first 2 shown]
	s_and_saveexec_b64 s[20:21], vcc
	s_cbranch_execz .LBB392_23
; %bb.12:
	v_add_u32_e32 v0, 64, v16
	v_cmp_gt_i32_e64 s[0:1], s8, v0
	v_add_u32_e32 v0, 0x80, v16
	v_cmp_gt_i32_e64 s[2:3], s8, v0
	;; [unrolled: 2-line block ×3, first 2 shown]
	v_mul_lo_u32 v0, s33, v20
	v_add_u32_e32 v6, 2, v20
	v_add_u32_e32 v7, 3, v20
	v_add3_u32 v21, v0, s33, v2
	v_mad_u64_u32 v[0:1], s[6:7], s33, v6, v[2:3]
	v_mad_u64_u32 v[4:5], s[6:7], s33, v7, v[2:3]
	v_mul_lo_u32 v1, v14, s33
	v_mul_lo_u32 v5, s34, v20
	;; [unrolled: 1-line block ×4, first 2 shown]
	v_cmp_gt_i32_e32 vcc, s8, v16
	s_lshl_b32 s36, s33, 6
	v_lshl_add_u32 v1, v1, 2, v2
	v_add_u32_e32 v5, s34, v5
	s_lshl_b32 s37, s34, 6
	v_mul_lo_u32 v23, s34, v7
	v_lshlrev_b32_e32 v24, 2, v6
	s_mov_b32 s38, 0
	s_mov_b64 s[22:23], 0
	v_mov_b32_e32 v19, 0
	v_mov_b32_e32 v18, 0
	;; [unrolled: 1-line block ×4, first 2 shown]
	s_branch .LBB392_17
.LBB392_13:                             ;   in Loop: Header=BB392_17 Depth=1
	s_or_b64 exec, exec, s[28:29]
	s_waitcnt vmcnt(3)
	v_fma_mix_f32 v6, v37, v41, v17 op_sel_hi:[0,1,0]
	s_waitcnt vmcnt(2)
	v_fma_mix_f32 v6, v38, v42, v6 op_sel_hi:[0,1,0]
	;; [unrolled: 2-line block ×4, first 2 shown]
.LBB392_14:                             ;   in Loop: Header=BB392_17 Depth=1
	s_or_b64 exec, exec, s[26:27]
	s_waitcnt vmcnt(3)
	v_fma_mix_f32 v6, v37, v33, v18 op_sel_hi:[0,1,0]
	s_waitcnt vmcnt(2)
	v_fma_mix_f32 v6, v38, v34, v6 op_sel_hi:[0,1,0]
	s_waitcnt vmcnt(1)
	v_fma_mix_f32 v6, v39, v35, v6 op_sel_hi:[0,1,0]
	s_waitcnt vmcnt(0)
	v_fma_mix_f32 v18, v40, v36, v6 op_sel_hi:[0,1,0]
.LBB392_15:                             ;   in Loop: Header=BB392_17 Depth=1
	s_or_b64 exec, exec, s[24:25]
	s_waitcnt vmcnt(3)
	v_fma_mix_f32 v6, v25, v29, v19 op_sel_hi:[1,1,0]
	s_waitcnt vmcnt(2)
	v_fma_mix_f32 v6, v26, v30, v6 op_sel_hi:[1,1,0]
	;; [unrolled: 2-line block ×4, first 2 shown]
.LBB392_16:                             ;   in Loop: Header=BB392_17 Depth=1
	s_or_b64 exec, exec, s[6:7]
	v_add_u32_e32 v20, 64, v20
	s_add_i32 s38, s38, s37
	v_cmp_le_i32_e64 s[6:7], s35, v20
	v_add_u32_e32 v21, s36, v21
	v_add_u32_e32 v0, s36, v0
	;; [unrolled: 1-line block ×3, first 2 shown]
	s_or_b64 s[22:23], s[6:7], s[22:23]
	v_add_u32_e32 v1, s36, v1
	s_andn2_b64 exec, exec, s[22:23]
	s_cbranch_execz .LBB392_22
.LBB392_17:                             ; =>This Inner Loop Header: Depth=1
	s_and_saveexec_b64 s[6:7], vcc
	s_cbranch_execz .LBB392_16
; %bb.18:                               ;   in Loop: Header=BB392_17 Depth=1
	v_add_u32_e32 v6, s38, v24
	v_ashrrev_i32_e32 v7, 31, v6
	v_add_u32_e32 v8, s38, v5
	v_add_u32_e32 v10, s38, v22
	;; [unrolled: 1-line block ×3, first 2 shown]
	v_lshl_add_u64 v[6:7], v[6:7], 1, s[18:19]
	v_ashrrev_i32_e32 v9, 31, v8
	v_ashrrev_i32_e32 v11, 31, v10
	;; [unrolled: 1-line block ×3, first 2 shown]
	v_lshl_add_u64 v[8:9], v[8:9], 1, s[18:19]
	v_lshl_add_u64 v[10:11], v[10:11], 1, s[18:19]
	;; [unrolled: 1-line block ×3, first 2 shown]
	global_load_ushort v25, v[6:7], off
	global_load_ushort v26, v[8:9], off
	;; [unrolled: 1-line block ×4, first 2 shown]
	v_add_u32_e32 v6, s31, v1
	v_ashrrev_i32_e32 v7, 31, v6
	v_add_u32_e32 v8, s31, v21
	v_add_u32_e32 v10, s31, v0
	;; [unrolled: 1-line block ×3, first 2 shown]
	v_lshl_add_u64 v[6:7], v[6:7], 1, s[16:17]
	v_ashrrev_i32_e32 v9, 31, v8
	v_ashrrev_i32_e32 v11, 31, v10
	;; [unrolled: 1-line block ×3, first 2 shown]
	v_lshl_add_u64 v[8:9], v[8:9], 1, s[16:17]
	v_lshl_add_u64 v[10:11], v[10:11], 1, s[16:17]
	v_lshl_add_u64 v[12:13], v[12:13], 1, s[16:17]
	global_load_ushort v29, v[6:7], off
	global_load_ushort v30, v[8:9], off
	;; [unrolled: 1-line block ×4, first 2 shown]
	s_and_saveexec_b64 s[24:25], s[0:1]
	s_cbranch_execz .LBB392_15
; %bb.19:                               ;   in Loop: Header=BB392_17 Depth=1
	global_load_ushort v33, v[6:7], off offset:128
	global_load_ushort v34, v[8:9], off offset:128
	;; [unrolled: 1-line block ×4, first 2 shown]
	s_waitcnt vmcnt(11)
	v_cvt_f32_f16_e32 v37, v25
	s_waitcnt vmcnt(10)
	v_cvt_f32_f16_e32 v38, v26
	s_waitcnt vmcnt(9)
	v_cvt_f32_f16_e32 v39, v27
	s_waitcnt vmcnt(8)
	v_cvt_f32_f16_e32 v40, v28
	s_and_saveexec_b64 s[26:27], s[2:3]
	s_cbranch_execz .LBB392_14
; %bb.20:                               ;   in Loop: Header=BB392_17 Depth=1
	global_load_ushort v41, v[6:7], off offset:256
	global_load_ushort v42, v[8:9], off offset:256
	;; [unrolled: 1-line block ×4, first 2 shown]
	s_and_saveexec_b64 s[28:29], s[4:5]
	s_cbranch_execz .LBB392_13
; %bb.21:                               ;   in Loop: Header=BB392_17 Depth=1
	global_load_ushort v45, v[6:7], off offset:384
	global_load_ushort v46, v[8:9], off offset:384
	;; [unrolled: 1-line block ×4, first 2 shown]
	s_waitcnt vmcnt(3)
	v_fma_mix_f32 v6, v37, v45, v15 op_sel_hi:[0,1,0]
	s_waitcnt vmcnt(2)
	v_fma_mix_f32 v6, v38, v46, v6 op_sel_hi:[0,1,0]
	s_waitcnt vmcnt(1)
	v_fma_mix_f32 v6, v39, v47, v6 op_sel_hi:[0,1,0]
	s_waitcnt vmcnt(0)
	v_fma_mix_f32 v15, v40, v48, v6 op_sel_hi:[0,1,0]
	s_branch .LBB392_13
.LBB392_22:
	s_or_b64 exec, exec, s[22:23]
.LBB392_23:
	s_or_b64 exec, exec, s[20:21]
	s_sub_i32 s0, s9, s35
	s_cmp_lt_i32 s0, 1
	s_cbranch_scc1 .LBB392_41
; %bb.24:
	v_cmp_gt_i32_e32 vcc, s9, v20
	v_mov_b32_e32 v10, 0
	v_or_b32_e32 v4, 1, v20
	v_mov_b32_e32 v11, 0
	v_mov_b32_e32 v12, 0
	;; [unrolled: 1-line block ×3, first 2 shown]
	s_and_saveexec_b64 s[2:3], vcc
	s_cbranch_execz .LBB392_32
; %bb.25:
	v_mul_lo_u32 v0, v20, s34
	v_ashrrev_i32_e32 v1, 31, v0
	v_lshl_add_u64 v[0:1], v[0:1], 1, s[18:19]
	global_load_ushort v0, v[0:1], off
	v_cmp_gt_i32_e64 s[0:1], s9, v4
	v_mov_b32_e32 v12, 0
	v_mov_b32_e32 v11, 0
	;; [unrolled: 1-line block ×3, first 2 shown]
	s_and_saveexec_b64 s[4:5], s[0:1]
	s_cbranch_execz .LBB392_31
; %bb.26:
	v_mul_lo_u32 v6, v4, s34
	v_ashrrev_i32_e32 v7, 31, v6
	v_lshl_add_u64 v[6:7], v[6:7], 1, s[18:19]
	global_load_ushort v1, v[6:7], off
	v_or_b32_e32 v5, 2, v20
	v_cmp_gt_i32_e64 s[0:1], s9, v5
	v_mov_b32_e32 v11, 0
	v_mov_b32_e32 v10, 0
	s_and_saveexec_b64 s[6:7], s[0:1]
	s_cbranch_execz .LBB392_30
; %bb.27:
	v_mul_lo_u32 v6, v5, s34
	v_ashrrev_i32_e32 v7, 31, v6
	v_lshl_add_u64 v[6:7], v[6:7], 1, s[18:19]
	global_load_ushort v5, v[6:7], off
	v_or_b32_e32 v6, 3, v20
	v_cmp_gt_i32_e64 s[0:1], s9, v6
	v_mov_b32_e32 v10, 0
	s_and_saveexec_b64 s[20:21], s[0:1]
	s_cbranch_execz .LBB392_29
; %bb.28:
	v_mul_lo_u32 v6, v6, s34
	v_ashrrev_i32_e32 v7, 31, v6
	v_lshl_add_u64 v[6:7], v[6:7], 1, s[18:19]
	global_load_ushort v6, v[6:7], off
	s_waitcnt vmcnt(0)
	v_cvt_f32_f16_e32 v10, v6
.LBB392_29:
	s_or_b64 exec, exec, s[20:21]
	s_waitcnt vmcnt(0)
	v_cvt_f32_f16_e32 v11, v5
.LBB392_30:
	s_or_b64 exec, exec, s[6:7]
	s_waitcnt vmcnt(0)
	v_cvt_f32_f16_e32 v12, v1
.LBB392_31:
	s_or_b64 exec, exec, s[4:5]
	s_waitcnt vmcnt(0)
	v_cvt_f32_f16_e32 v13, v0
.LBB392_32:
	s_or_b64 exec, exec, s[2:3]
	v_cmp_gt_i32_e64 s[0:1], s8, v16
	s_and_saveexec_b64 s[2:3], s[0:1]
	s_cbranch_execz .LBB392_40
; %bb.33:
	v_mul_lo_u32 v0, v20, s33
	v_cndmask_b32_e32 v0, 0, v0, vcc
	v_mul_lo_u32 v5, v4, s33
	v_cmp_gt_i32_e32 vcc, s9, v4
	v_or_b32_e32 v6, 2, v20
	v_mul_lo_u32 v7, v6, s33
	v_cndmask_b32_e32 v4, 0, v5, vcc
	v_cmp_gt_i32_e32 vcc, s9, v6
	v_or_b32_e32 v8, 3, v20
	v_mul_lo_u32 v9, v8, s33
	v_cndmask_b32_e32 v6, 0, v7, vcc
	v_cmp_gt_i32_e32 vcc, s9, v8
	v_add_u32_e32 v0, v0, v16
	v_ashrrev_i32_e32 v1, 31, v0
	v_cndmask_b32_e32 v8, 0, v9, vcc
	v_add_u32_e32 v4, v4, v16
	v_add_u32_e32 v6, v6, v16
	;; [unrolled: 1-line block ×3, first 2 shown]
	v_lshl_add_u64 v[0:1], v[0:1], 1, s[16:17]
	v_ashrrev_i32_e32 v5, 31, v4
	v_ashrrev_i32_e32 v7, 31, v6
	;; [unrolled: 1-line block ×3, first 2 shown]
	v_lshl_add_u64 v[4:5], v[4:5], 1, s[16:17]
	v_lshl_add_u64 v[6:7], v[6:7], 1, s[16:17]
	global_load_ushort v21, v[0:1], off
	global_load_ushort v22, v[4:5], off
	;; [unrolled: 1-line block ×3, first 2 shown]
	v_lshl_add_u64 v[8:9], v[8:9], 1, s[16:17]
	global_load_ushort v20, v[8:9], off
	v_add_u32_e32 v24, 64, v16
	v_cmp_gt_i32_e32 vcc, s8, v24
	s_waitcnt vmcnt(3)
	v_fma_mix_f32 v19, v13, v21, v19 op_sel_hi:[0,1,0]
	s_waitcnt vmcnt(2)
	v_fma_mix_f32 v19, v12, v22, v19 op_sel_hi:[0,1,0]
	s_waitcnt vmcnt(1)
	v_fma_mix_f32 v19, v11, v23, v19 op_sel_hi:[0,1,0]
	s_and_saveexec_b64 s[0:1], vcc
	s_cbranch_execz .LBB392_39
; %bb.34:
	global_load_ushort v22, v[0:1], off offset:128
	global_load_ushort v23, v[4:5], off offset:128
	global_load_ushort v24, v[6:7], off offset:128
	global_load_ushort v21, v[8:9], off offset:128
	v_add_u32_e32 v25, 0x80, v16
	v_cmp_gt_i32_e32 vcc, s8, v25
	s_waitcnt vmcnt(3)
	v_fma_mix_f32 v18, v13, v22, v18 op_sel_hi:[0,1,0]
	s_waitcnt vmcnt(2)
	v_fma_mix_f32 v18, v12, v23, v18 op_sel_hi:[0,1,0]
	s_waitcnt vmcnt(1)
	v_fma_mix_f32 v18, v11, v24, v18 op_sel_hi:[0,1,0]
	s_and_saveexec_b64 s[4:5], vcc
	s_cbranch_execz .LBB392_38
; %bb.35:
	global_load_ushort v23, v[0:1], off offset:256
	global_load_ushort v24, v[4:5], off offset:256
	global_load_ushort v25, v[6:7], off offset:256
	global_load_ushort v22, v[8:9], off offset:256
	;; [unrolled: 15-line block ×3, first 2 shown]
	s_waitcnt vmcnt(3)
	v_fma_mix_f32 v0, v13, v17, v15 op_sel_hi:[0,1,0]
	s_waitcnt vmcnt(2)
	v_fma_mix_f32 v0, v12, v23, v0 op_sel_hi:[0,1,0]
	;; [unrolled: 2-line block ×4, first 2 shown]
.LBB392_37:
	s_or_b64 exec, exec, s[6:7]
	s_waitcnt vmcnt(0)
	v_fma_mix_f32 v17, v10, v22, v16 op_sel_hi:[0,1,0]
.LBB392_38:
	s_or_b64 exec, exec, s[4:5]
	s_waitcnt vmcnt(0)
	v_fma_mix_f32 v18, v10, v21, v18 op_sel_hi:[0,1,0]
.LBB392_39:
	s_or_b64 exec, exec, s[0:1]
	s_waitcnt vmcnt(0)
	v_fma_mix_f32 v19, v10, v20, v19 op_sel_hi:[0,1,0]
.LBB392_40:
	s_or_b64 exec, exec, s[2:3]
.LBB392_41:
	v_lshlrev_b32_e32 v0, 8, v14
	s_movk_i32 s0, 0x100
	v_add_lshl_u32 v0, v0, v2, 2
	v_cmp_gt_u32_e32 vcc, s0, v3
	ds_write2st64_b32 v0, v19, v18 offset1:1
	ds_write2st64_b32 v0, v17, v15 offset0:2 offset1:3
	s_waitcnt lgkmcnt(0)
	s_barrier
	s_waitcnt lgkmcnt(0)
                                        ; implicit-def: $vgpr5
                                        ; implicit-def: $vgpr0_vgpr1
	s_and_saveexec_b64 s[0:1], vcc
	s_cbranch_execz .LBB392_47
; %bb.42:
	v_lshlrev_b32_e32 v12, 2, v3
	ds_read2st64_b32 v[0:1], v12 offset1:4
	ds_read2st64_b32 v[4:5], v12 offset0:8 offset1:12
	ds_read2st64_b32 v[6:7], v12 offset0:16 offset1:20
	;; [unrolled: 1-line block ×4, first 2 shown]
	s_waitcnt lgkmcnt(4)
	v_add_f32_e32 v0, v0, v1
	s_waitcnt lgkmcnt(3)
	v_add_f32_e32 v0, v4, v0
	v_add_f32_e32 v0, v5, v0
	s_waitcnt lgkmcnt(2)
	v_add_f32_e32 v0, v6, v0
	;; [unrolled: 3-line block ×3, first 2 shown]
	v_add_f32_e32 v2, v9, v0
	ds_read2st64_b32 v[0:1], v12 offset0:40 offset1:44
	ds_read2st64_b32 v[4:5], v12 offset0:48 offset1:52
	s_waitcnt lgkmcnt(2)
	v_add_f32_e32 v2, v10, v2
	v_add_f32_e32 v2, v11, v2
	ds_read2st64_b32 v[6:7], v12 offset0:56 offset1:60
	s_waitcnt lgkmcnt(2)
	v_add_f32_e32 v0, v0, v2
	v_add_f32_e32 v0, v1, v0
	s_waitcnt lgkmcnt(1)
	v_add_f32_e32 v0, v4, v0
	v_add_f32_e32 v0, v5, v0
	s_waitcnt lgkmcnt(0)
	v_add_f32_e32 v0, v6, v0
	v_or_b32_e32 v3, s31, v3
	v_add_f32_e32 v2, v7, v0
	v_cmp_gt_i32_e32 vcc, s8, v3
	s_mov_b64 s[4:5], s[14:15]
	ds_write_b32 v12, v2
                                        ; implicit-def: $vgpr5
                                        ; implicit-def: $vgpr0_vgpr1
	s_and_saveexec_b64 s[2:3], vcc
	s_cbranch_execz .LBB392_46
; %bb.43:
	v_cmp_eq_f32_e64 s[4:5], s11, 0
	v_mul_lo_u32 v0, v3, s30
	v_mul_f32_e32 v2, s10, v2
	v_ashrrev_i32_e32 v1, 31, v0
	s_and_b64 vcc, exec, s[4:5]
	s_cbranch_vccnz .LBB392_45
; %bb.44:
	v_lshl_add_u64 v[4:5], v[0:1], 1, s[12:13]
	global_load_ushort v3, v[4:5], off
	s_waitcnt vmcnt(0)
	v_fma_mix_f32 v2, v3, s11, v2 op_sel_hi:[1,0,0]
.LBB392_45:
	s_nop 0
	v_cvt_f16_f32_e32 v5, v2
	s_or_b64 s[4:5], s[14:15], exec
.LBB392_46:
	s_or_b64 exec, exec, s[2:3]
	s_andn2_b64 s[2:3], s[14:15], exec
	s_and_b64 s[4:5], s[4:5], exec
	s_or_b64 s[14:15], s[2:3], s[4:5]
.LBB392_47:
	s_or_b64 exec, exec, s[0:1]
.LBB392_48:
	s_and_saveexec_b64 s[0:1], s[14:15]
	s_cbranch_execz .LBB392_50
; %bb.49:
	v_lshl_add_u64 v[0:1], v[0:1], 1, s[12:13]
	global_store_short v[0:1], v5, off
.LBB392_50:
	s_endpgm
	.section	.rodata,"a",@progbits
	.p2align	6, 0x0
	.amdhsa_kernel _ZL20rocblas_gemvn_kernelILi64ELi16EiDF16_fDF16_EviiT3_lPKT2_lT1_lS3_lS4_lS0_lPT4_lS4_li
		.amdhsa_group_segment_fixed_size 16384
		.amdhsa_private_segment_fixed_size 0
		.amdhsa_kernarg_size 400
		.amdhsa_user_sgpr_count 2
		.amdhsa_user_sgpr_dispatch_ptr 0
		.amdhsa_user_sgpr_queue_ptr 0
		.amdhsa_user_sgpr_kernarg_segment_ptr 1
		.amdhsa_user_sgpr_dispatch_id 0
		.amdhsa_user_sgpr_kernarg_preload_length 0
		.amdhsa_user_sgpr_kernarg_preload_offset 0
		.amdhsa_user_sgpr_private_segment_size 0
		.amdhsa_uses_dynamic_stack 0
		.amdhsa_enable_private_segment 0
		.amdhsa_system_sgpr_workgroup_id_x 1
		.amdhsa_system_sgpr_workgroup_id_y 0
		.amdhsa_system_sgpr_workgroup_id_z 1
		.amdhsa_system_sgpr_workgroup_info 0
		.amdhsa_system_vgpr_workitem_id 1
		.amdhsa_next_free_vgpr 49
		.amdhsa_next_free_sgpr 39
		.amdhsa_accum_offset 52
		.amdhsa_reserve_vcc 1
		.amdhsa_float_round_mode_32 0
		.amdhsa_float_round_mode_16_64 0
		.amdhsa_float_denorm_mode_32 3
		.amdhsa_float_denorm_mode_16_64 3
		.amdhsa_dx10_clamp 1
		.amdhsa_ieee_mode 1
		.amdhsa_fp16_overflow 0
		.amdhsa_tg_split 0
		.amdhsa_exception_fp_ieee_invalid_op 0
		.amdhsa_exception_fp_denorm_src 0
		.amdhsa_exception_fp_ieee_div_zero 0
		.amdhsa_exception_fp_ieee_overflow 0
		.amdhsa_exception_fp_ieee_underflow 0
		.amdhsa_exception_fp_ieee_inexact 0
		.amdhsa_exception_int_div_zero 0
	.end_amdhsa_kernel
	.section	.text._ZL20rocblas_gemvn_kernelILi64ELi16EiDF16_fDF16_EviiT3_lPKT2_lT1_lS3_lS4_lS0_lPT4_lS4_li,"axG",@progbits,_ZL20rocblas_gemvn_kernelILi64ELi16EiDF16_fDF16_EviiT3_lPKT2_lT1_lS3_lS4_lS0_lPT4_lS4_li,comdat
.Lfunc_end392:
	.size	_ZL20rocblas_gemvn_kernelILi64ELi16EiDF16_fDF16_EviiT3_lPKT2_lT1_lS3_lS4_lS0_lPT4_lS4_li, .Lfunc_end392-_ZL20rocblas_gemvn_kernelILi64ELi16EiDF16_fDF16_EviiT3_lPKT2_lT1_lS3_lS4_lS0_lPT4_lS4_li
                                        ; -- End function
	.section	.AMDGPU.csdata,"",@progbits
; Kernel info:
; codeLenInByte = 2564
; NumSgprs: 45
; NumVgprs: 49
; NumAgprs: 0
; TotalNumVgprs: 49
; ScratchSize: 0
; MemoryBound: 0
; FloatMode: 240
; IeeeMode: 1
; LDSByteSize: 16384 bytes/workgroup (compile time only)
; SGPRBlocks: 5
; VGPRBlocks: 6
; NumSGPRsForWavesPerEU: 45
; NumVGPRsForWavesPerEU: 49
; AccumOffset: 52
; Occupancy: 8
; WaveLimiterHint : 1
; COMPUTE_PGM_RSRC2:SCRATCH_EN: 0
; COMPUTE_PGM_RSRC2:USER_SGPR: 2
; COMPUTE_PGM_RSRC2:TRAP_HANDLER: 0
; COMPUTE_PGM_RSRC2:TGID_X_EN: 1
; COMPUTE_PGM_RSRC2:TGID_Y_EN: 0
; COMPUTE_PGM_RSRC2:TGID_Z_EN: 1
; COMPUTE_PGM_RSRC2:TIDIG_COMP_CNT: 1
; COMPUTE_PGM_RSRC3_GFX90A:ACCUM_OFFSET: 12
; COMPUTE_PGM_RSRC3_GFX90A:TG_SPLIT: 0
	.section	.text._ZL20rocblas_gemvn_kernelILi64ELi16ElDF16_fDF16_EviiT3_lPKT2_lT1_lS3_lS4_lS0_lPT4_lS4_li,"axG",@progbits,_ZL20rocblas_gemvn_kernelILi64ELi16ElDF16_fDF16_EviiT3_lPKT2_lT1_lS3_lS4_lS0_lPT4_lS4_li,comdat
	.globl	_ZL20rocblas_gemvn_kernelILi64ELi16ElDF16_fDF16_EviiT3_lPKT2_lT1_lS3_lS4_lS0_lPT4_lS4_li ; -- Begin function _ZL20rocblas_gemvn_kernelILi64ELi16ElDF16_fDF16_EviiT3_lPKT2_lT1_lS3_lS4_lS0_lPT4_lS4_li
	.p2align	8
	.type	_ZL20rocblas_gemvn_kernelILi64ELi16ElDF16_fDF16_EviiT3_lPKT2_lT1_lS3_lS4_lS0_lPT4_lS4_li,@function
_ZL20rocblas_gemvn_kernelILi64ELi16ElDF16_fDF16_EviiT3_lPKT2_lT1_lS3_lS4_lS0_lPT4_lS4_li: ; @_ZL20rocblas_gemvn_kernelILi64ELi16ElDF16_fDF16_EviiT3_lPKT2_lT1_lS3_lS4_lS0_lPT4_lS4_li
; %bb.0:
	s_load_dwordx2 s[4:5], s[0:1], 0x9c
	s_waitcnt lgkmcnt(0)
	s_lshr_b32 s6, s4, 16
	s_and_b32 s4, s4, 0xffff
	s_and_b32 s5, s5, 0xffff
	s_mul_i32 s4, s6, s4
	s_mul_i32 s4, s4, s5
	s_cmpk_lg_i32 s4, 0x400
	s_cbranch_scc1 .LBB393_50
; %bb.1:
	s_load_dwordx4 s[28:31], s[0:1], 0x0
	s_waitcnt lgkmcnt(0)
	s_load_dword s31, s[0:1], 0x58
	v_cmp_eq_f32_e64 s[4:5], s30, 0
	s_waitcnt lgkmcnt(0)
	v_cmp_eq_f32_e64 s[6:7], s31, 1.0
	s_and_b64 s[4:5], s[4:5], s[6:7]
	s_and_b64 vcc, exec, s[4:5]
	s_cbranch_vccnz .LBB393_50
; %bb.2:
	s_load_dwordx8 s[20:27], s[0:1], 0x68
	v_and_b32_e32 v29, 0x3ff, v0
	v_bfe_u32 v30, v0, 10, 10
	v_lshl_add_u32 v28, v30, 6, v29
	s_waitcnt lgkmcnt(0)
	s_mul_i32 s5, s3, s27
	s_mul_hi_u32 s6, s3, s26
	s_mul_i32 s4, s3, s26
	s_add_i32 s5, s6, s5
	s_lshl_b64 s[4:5], s[4:5], 1
	s_add_u32 s6, s20, s4
	s_addc_u32 s7, s21, s5
	s_lshl_b64 s[4:5], s[22:23], 1
	s_add_u32 s26, s6, s4
	s_addc_u32 s27, s7, s5
	v_cmp_neq_f32_e64 s[4:5], s30, 0
	s_and_b64 vcc, exec, s[4:5]
	s_cbranch_vccnz .LBB393_9
; %bb.3:
	s_movk_i32 s4, 0x100
	v_cmp_gt_u32_e32 vcc, s4, v28
	s_mov_b64 s[4:5], 0
	s_mov_b64 s[34:35], 0
                                        ; implicit-def: $vgpr3
                                        ; implicit-def: $vgpr0_vgpr1
	s_and_saveexec_b64 s[6:7], vcc
	s_cbranch_execz .LBB393_10
; %bb.4:
	v_lshl_or_b32 v2, s2, 8, v28
	v_mov_b32_e32 v3, 0
	s_ashr_i32 s9, s28, 31
	s_mov_b32 s8, s28
	v_cmp_gt_i64_e32 vcc, s[8:9], v[2:3]
	s_mov_b64 s[10:11], 0
                                        ; implicit-def: $vgpr0_vgpr1
	s_and_saveexec_b64 s[8:9], vcc
	s_cbranch_execz .LBB393_8
; %bb.5:
	v_mad_u64_u32 v[0:1], s[12:13], v2, s24, 0
	v_mov_b32_e32 v4, v1
	v_cmp_eq_f32_e64 s[10:11], s31, 0
	v_mad_u64_u32 v[4:5], s[12:13], v2, s25, v[4:5]
	v_mov_b32_e32 v1, v4
	s_and_b64 vcc, exec, s[10:11]
	s_cbranch_vccnz .LBB393_7
; %bb.6:
	v_lshl_add_u64 v[2:3], v[0:1], 1, s[26:27]
	global_load_ushort v2, v[2:3], off
	s_waitcnt vmcnt(0)
	v_fma_mixlo_f16 v3, v2, s31, 0 op_sel_hi:[1,0,0]
.LBB393_7:
	s_mov_b64 s[10:11], exec
.LBB393_8:
	s_or_b64 exec, exec, s[8:9]
	s_and_b64 s[34:35], s[10:11], exec
	s_or_b64 exec, exec, s[6:7]
	s_and_b64 vcc, exec, s[4:5]
	s_cbranch_vccnz .LBB393_11
	s_branch .LBB393_48
.LBB393_9:
	s_mov_b64 s[34:35], 0
                                        ; implicit-def: $vgpr3
                                        ; implicit-def: $vgpr0_vgpr1
	s_cbranch_execnz .LBB393_11
	s_branch .LBB393_48
.LBB393_10:
	s_or_b64 exec, exec, s[6:7]
	s_and_b64 vcc, exec, s[4:5]
	s_cbranch_vccz .LBB393_48
.LBB393_11:
	s_load_dwordx16 s[8:23], s[0:1], 0x18
	s_lshl_b32 s33, s2, 8
	v_lshlrev_b32_e32 v33, 2, v30
	v_add_u32_e32 v0, s33, v29
	v_mov_b32_e32 v35, 0
	s_waitcnt lgkmcnt(0)
	s_mul_i32 s0, s3, s15
	s_mul_hi_u32 s1, s3, s14
	s_add_i32 s15, s1, s0
	s_ashr_i32 s0, s29, 31
	s_lshr_b32 s0, s0, 26
	s_add_i32 s52, s29, s0
	s_mul_i32 s4, s3, s23
	s_mul_hi_u32 s5, s3, s22
	s_andn2_b32 s52, s52, 63
	s_mul_i32 s14, s3, s14
	s_add_i32 s23, s5, s4
	s_mul_i32 s22, s3, s22
	v_cmp_gt_i32_e32 vcc, s52, v33
	v_mov_b32_e32 v34, 0
	v_mov_b32_e32 v32, 0
	;; [unrolled: 1-line block ×3, first 2 shown]
	s_and_saveexec_b64 s[36:37], vcc
	s_cbranch_execz .LBB393_23
; %bb.12:
	v_add_u32_e32 v2, 64, v0
	v_cmp_gt_i32_e64 s[0:1], s28, v2
	v_add_u32_e32 v2, 0x80, v0
	v_cmp_gt_i32_e64 s[2:3], s28, v2
	;; [unrolled: 2-line block ×3, first 2 shown]
	v_mad_u64_u32 v[2:3], s[6:7], s20, v30, 0
	v_mov_b32_e32 v4, v3
	v_ashrrev_i32_e32 v1, 31, v0
	v_mad_u64_u32 v[4:5], s[6:7], s21, v30, v[4:5]
	v_mov_b32_e32 v3, v4
	v_lshlrev_b64 v[4:5], 1, v[0:1]
	v_lshlrev_b32_e32 v1, 2, v30
	v_or_b32_e32 v11, 3, v1
	v_mad_u64_u32 v[6:7], s[42:43], s12, v11, 0
	v_mov_b32_e32 v8, v7
	v_mad_u64_u32 v[8:9], s[42:43], s13, v11, v[8:9]
	v_mov_b32_e32 v7, v8
	;; [unrolled: 2-line block ×5, first 2 shown]
	v_mad_u64_u32 v[12:13], s[46:47], s13, v30, v[12:13]
	v_or_b32_e32 v17, 2, v1
	v_mov_b32_e32 v11, v12
	v_mad_u64_u32 v[12:13], s[46:47], s12, v17, 0
	v_mov_b32_e32 v14, v13
	v_mad_u64_u32 v[14:15], s[46:47], s13, v17, v[14:15]
	;; [unrolled: 2-line block ×4, first 2 shown]
	v_mov_b32_e32 v15, v16
	v_mov_b64_e32 v[16:17], s[20:21]
	v_mad_u64_u32 v[16:17], s[46:47], s20, v1, v[16:17]
	s_lshl_b64 s[38:39], s[18:19], 1
	s_lshl_b64 s[6:7], s[22:23], 1
	v_mov_b32_e32 v18, v17
	s_add_u32 s6, s16, s6
	v_mad_u64_u32 v[18:19], s[46:47], s21, v1, v[18:19]
	s_addc_u32 s7, s17, s7
	s_lshl_b64 s[40:41], s[20:21], 7
	s_lshl_b64 s[42:43], s[14:15], 1
	;; [unrolled: 1-line block ×3, first 2 shown]
	v_mov_b32_e32 v17, v18
	v_mov_b64_e32 v[18:19], s[12:13]
	v_lshl_add_u64 v[2:3], v[2:3], 3, s[6:7]
	s_add_u32 s44, s8, s44
	v_lshl_add_u64 v[8:9], v[8:9], 1, s[6:7]
	v_lshl_add_u64 v[14:15], v[14:15], 1, s[6:7]
	;; [unrolled: 1-line block ×3, first 2 shown]
	v_mad_u64_u32 v[18:19], s[6:7], s12, v1, v[18:19]
	s_addc_u32 s45, s9, s45
	v_mov_b32_e32 v20, v19
	s_add_u32 s44, s44, s42
	v_mad_u64_u32 v[20:21], s[6:7], s13, v1, v[20:21]
	s_addc_u32 s45, s45, s43
	v_mov_b32_e32 v19, v20
	v_cmp_gt_i32_e32 vcc, s28, v0
	v_lshl_add_u64 v[6:7], v[6:7], 1, s[44:45]
	s_lshl_b64 s[42:43], s[12:13], 7
	v_lshl_add_u64 v[10:11], v[10:11], 3, s[44:45]
	v_lshl_add_u64 v[12:13], v[12:13], 1, s[44:45]
	;; [unrolled: 1-line block ×3, first 2 shown]
	s_mov_b64 s[44:45], 0
	v_mov_b32_e32 v35, 0
	v_mov_b32_e32 v34, 0
	;; [unrolled: 1-line block ×4, first 2 shown]
	s_branch .LBB393_17
.LBB393_13:                             ;   in Loop: Header=BB393_17 Depth=1
	s_or_b64 exec, exec, s[50:51]
	s_waitcnt vmcnt(3)
	v_fma_mix_f32 v20, v47, v51, v32 op_sel_hi:[0,1,0]
	s_waitcnt vmcnt(2)
	v_fma_mix_f32 v20, v48, v52, v20 op_sel_hi:[0,1,0]
	;; [unrolled: 2-line block ×4, first 2 shown]
.LBB393_14:                             ;   in Loop: Header=BB393_17 Depth=1
	s_or_b64 exec, exec, s[48:49]
	s_waitcnt vmcnt(3)
	v_fma_mix_f32 v20, v47, v43, v34 op_sel_hi:[0,1,0]
	s_waitcnt vmcnt(2)
	v_fma_mix_f32 v20, v48, v44, v20 op_sel_hi:[0,1,0]
	;; [unrolled: 2-line block ×4, first 2 shown]
.LBB393_15:                             ;   in Loop: Header=BB393_17 Depth=1
	s_or_b64 exec, exec, s[46:47]
	s_waitcnt vmcnt(3)
	v_fma_mix_f32 v1, v1, v39, v35 op_sel_hi:[1,1,0]
	s_waitcnt vmcnt(2)
	v_fma_mix_f32 v1, v36, v40, v1 op_sel_hi:[1,1,0]
	;; [unrolled: 2-line block ×4, first 2 shown]
.LBB393_16:                             ;   in Loop: Header=BB393_17 Depth=1
	s_or_b64 exec, exec, s[6:7]
	v_add_u32_e32 v33, 64, v33
	v_cmp_le_i32_e64 s[6:7], s52, v33
	v_lshl_add_u64 v[2:3], v[2:3], 0, s[40:41]
	v_lshl_add_u64 v[6:7], v[6:7], 0, s[42:43]
	;; [unrolled: 1-line block ×7, first 2 shown]
	s_or_b64 s[44:45], s[6:7], s[44:45]
	v_lshl_add_u64 v[18:19], v[18:19], 0, s[42:43]
	s_andn2_b64 exec, exec, s[44:45]
	s_cbranch_execz .LBB393_22
.LBB393_17:                             ; =>This Inner Loop Header: Depth=1
	s_and_saveexec_b64 s[6:7], vcc
	s_cbranch_execz .LBB393_16
; %bb.18:                               ;   in Loop: Header=BB393_17 Depth=1
	v_lshl_add_u64 v[20:21], v[2:3], 0, s[38:39]
	global_load_ushort v1, v[20:21], off
	v_lshl_add_u64 v[20:21], v[16:17], 0, s[38:39]
	global_load_ushort v36, v[20:21], off
	;; [unrolled: 2-line block ×4, first 2 shown]
	v_lshl_add_u64 v[20:21], v[10:11], 0, v[4:5]
	v_lshl_add_u64 v[22:23], v[18:19], 0, v[4:5]
	;; [unrolled: 1-line block ×4, first 2 shown]
	global_load_ushort v39, v[20:21], off
	global_load_ushort v40, v[22:23], off
	global_load_ushort v41, v[24:25], off
	global_load_ushort v42, v[26:27], off
	s_and_saveexec_b64 s[46:47], s[0:1]
	s_cbranch_execz .LBB393_15
; %bb.19:                               ;   in Loop: Header=BB393_17 Depth=1
	global_load_ushort v43, v[20:21], off offset:128
	global_load_ushort v44, v[22:23], off offset:128
	;; [unrolled: 1-line block ×4, first 2 shown]
	s_waitcnt vmcnt(11)
	v_cvt_f32_f16_e32 v47, v1
	s_waitcnt vmcnt(10)
	v_cvt_f32_f16_e32 v48, v36
	;; [unrolled: 2-line block ×4, first 2 shown]
	s_and_saveexec_b64 s[48:49], s[2:3]
	s_cbranch_execz .LBB393_14
; %bb.20:                               ;   in Loop: Header=BB393_17 Depth=1
	global_load_ushort v51, v[20:21], off offset:256
	global_load_ushort v52, v[22:23], off offset:256
	;; [unrolled: 1-line block ×4, first 2 shown]
	s_and_saveexec_b64 s[50:51], s[4:5]
	s_cbranch_execz .LBB393_13
; %bb.21:                               ;   in Loop: Header=BB393_17 Depth=1
	global_load_ushort v20, v[20:21], off offset:384
	s_nop 0
	global_load_ushort v21, v[22:23], off offset:384
	s_nop 0
	global_load_ushort v22, v[24:25], off offset:384
	global_load_ushort v23, v[26:27], off offset:384
	s_waitcnt vmcnt(3)
	v_fma_mix_f32 v20, v47, v20, v31 op_sel_hi:[0,1,0]
	s_waitcnt vmcnt(2)
	v_fma_mix_f32 v20, v48, v21, v20 op_sel_hi:[0,1,0]
	;; [unrolled: 2-line block ×4, first 2 shown]
	s_branch .LBB393_13
.LBB393_22:
	s_or_b64 exec, exec, s[44:45]
.LBB393_23:
	s_or_b64 exec, exec, s[36:37]
	s_sub_i32 s0, s29, s52
	s_cmp_lt_i32 s0, 1
	s_cbranch_scc1 .LBB393_41
; %bb.24:
	v_cmp_gt_i32_e32 vcc, s29, v33
	v_mov_b32_e32 v10, 0
	v_or_b32_e32 v4, 1, v33
	v_mov_b32_e32 v11, 0
	v_mov_b32_e32 v12, 0
	;; [unrolled: 1-line block ×3, first 2 shown]
	s_and_saveexec_b64 s[2:3], vcc
	s_cbranch_execz .LBB393_32
; %bb.25:
	s_lshl_b64 s[0:1], s[22:23], 1
	s_add_u32 s4, s16, s0
	s_addc_u32 s5, s17, s1
	s_lshl_b64 s[0:1], s[18:19], 1
	s_add_u32 s6, s4, s0
	s_addc_u32 s7, s5, s1
	v_mad_u64_u32 v[2:3], s[0:1], v33, s20, 0
	v_mov_b32_e32 v6, v3
	v_mad_u64_u32 v[6:7], s[0:1], v33, s21, v[6:7]
	v_mov_b32_e32 v3, v6
	v_lshl_add_u64 v[2:3], v[2:3], 1, s[6:7]
	global_load_ushort v1, v[2:3], off
	v_cmp_gt_i32_e64 s[0:1], s29, v4
	v_mov_b32_e32 v12, 0
	v_mov_b32_e32 v11, 0
	;; [unrolled: 1-line block ×3, first 2 shown]
	s_and_saveexec_b64 s[4:5], s[0:1]
	s_cbranch_execz .LBB393_31
; %bb.26:
	v_mad_u64_u32 v[2:3], s[0:1], v4, s20, 0
	v_mov_b32_e32 v6, v3
	v_mad_u64_u32 v[6:7], s[0:1], v4, s21, v[6:7]
	v_mov_b32_e32 v3, v6
	v_lshl_add_u64 v[2:3], v[2:3], 1, s[6:7]
	global_load_ushort v2, v[2:3], off
	v_or_b32_e32 v3, 2, v33
	v_cmp_gt_i32_e64 s[0:1], s29, v3
	v_mov_b32_e32 v11, 0
	v_mov_b32_e32 v10, 0
	s_and_saveexec_b64 s[16:17], s[0:1]
	s_cbranch_execz .LBB393_30
; %bb.27:
	v_mad_u64_u32 v[6:7], s[0:1], v3, s20, 0
	v_mov_b32_e32 v8, v7
	v_mad_u64_u32 v[8:9], s[0:1], v3, s21, v[8:9]
	v_mov_b32_e32 v7, v8
	v_lshl_add_u64 v[6:7], v[6:7], 1, s[6:7]
	global_load_ushort v3, v[6:7], off
	v_or_b32_e32 v5, 3, v33
	v_cmp_gt_i32_e64 s[0:1], s29, v5
	v_mov_b32_e32 v10, 0
	s_and_saveexec_b64 s[18:19], s[0:1]
	s_cbranch_execz .LBB393_29
; %bb.28:
	v_mad_u64_u32 v[6:7], s[0:1], v5, s20, 0
	v_mov_b32_e32 v8, v7
	v_mad_u64_u32 v[8:9], s[0:1], v5, s21, v[8:9]
	v_mov_b32_e32 v7, v8
	v_lshl_add_u64 v[6:7], v[6:7], 1, s[6:7]
	global_load_ushort v5, v[6:7], off
	s_waitcnt vmcnt(0)
	v_cvt_f32_f16_e32 v10, v5
.LBB393_29:
	s_or_b64 exec, exec, s[18:19]
	s_waitcnt vmcnt(0)
	v_cvt_f32_f16_e32 v11, v3
.LBB393_30:
	s_or_b64 exec, exec, s[16:17]
	s_waitcnt vmcnt(0)
	v_cvt_f32_f16_e32 v12, v2
.LBB393_31:
	s_or_b64 exec, exec, s[4:5]
	s_waitcnt vmcnt(0)
	v_cvt_f32_f16_e32 v13, v1
.LBB393_32:
	s_or_b64 exec, exec, s[2:3]
	v_cmp_gt_i32_e64 s[0:1], s28, v0
	s_and_saveexec_b64 s[2:3], s[0:1]
	s_cbranch_execz .LBB393_40
; %bb.33:
	s_lshl_b64 s[0:1], s[14:15], 1
	s_add_u32 s4, s8, s0
	s_addc_u32 s5, s9, s1
	s_lshl_b64 s[0:1], s[10:11], 1
	s_add_u32 s0, s4, s0
	s_addc_u32 s1, s5, s1
	v_mad_u64_u32 v[2:3], s[4:5], v33, s12, 0
	v_mov_b32_e32 v6, v3
	v_mad_u64_u32 v[6:7], s[4:5], v33, s13, v[6:7]
	v_ashrrev_i32_e32 v1, 31, v0
	v_cndmask_b32_e32 v3, 0, v6, vcc
	v_mad_u64_u32 v[6:7], s[4:5], v4, s12, 0
	v_cndmask_b32_e32 v2, 0, v2, vcc
	v_lshlrev_b64 v[8:9], 1, v[0:1]
	v_mov_b32_e32 v14, v7
	v_cmp_gt_i32_e32 vcc, s29, v4
	v_or_b32_e32 v1, 2, v33
	v_mad_u64_u32 v[14:15], s[4:5], v4, s13, v[14:15]
	v_cndmask_b32_e32 v4, 0, v6, vcc
	v_mad_u64_u32 v[6:7], s[4:5], v1, s12, 0
	v_cndmask_b32_e32 v5, 0, v14, vcc
	v_mov_b32_e32 v14, v7
	v_mad_u64_u32 v[14:15], s[4:5], v1, s13, v[14:15]
	v_cmp_gt_i32_e32 vcc, s29, v1
	v_or_b32_e32 v1, 3, v33
	v_lshl_add_u64 v[2:3], v[2:3], 1, s[0:1]
	v_cndmask_b32_e32 v7, 0, v14, vcc
	v_mad_u64_u32 v[14:15], s[4:5], v1, s12, 0
	v_mov_b32_e32 v16, v15
	v_cndmask_b32_e32 v6, 0, v6, vcc
	v_mad_u64_u32 v[16:17], s[4:5], v1, s13, v[16:17]
	v_cmp_gt_i32_e32 vcc, s29, v1
	v_lshl_add_u64 v[2:3], v[2:3], 0, v[8:9]
	v_lshl_add_u64 v[4:5], v[4:5], 1, s[0:1]
	v_cndmask_b32_e32 v14, 0, v14, vcc
	v_cndmask_b32_e32 v15, 0, v16, vcc
	v_lshl_add_u64 v[6:7], v[6:7], 1, s[0:1]
	v_lshl_add_u64 v[14:15], v[14:15], 1, s[0:1]
	;; [unrolled: 1-line block ×4, first 2 shown]
	global_load_ushort v16, v[2:3], off
	global_load_ushort v17, v[4:5], off
	;; [unrolled: 1-line block ×3, first 2 shown]
	v_lshl_add_u64 v[8:9], v[14:15], 0, v[8:9]
	global_load_ushort v1, v[8:9], off
	v_add_u32_e32 v15, 64, v0
	v_cmp_gt_i32_e32 vcc, s28, v15
	s_waitcnt vmcnt(3)
	v_fma_mix_f32 v14, v13, v16, v35 op_sel_hi:[0,1,0]
	s_waitcnt vmcnt(2)
	v_fma_mix_f32 v14, v12, v17, v14 op_sel_hi:[0,1,0]
	s_waitcnt vmcnt(1)
	v_fma_mix_f32 v14, v11, v18, v14 op_sel_hi:[0,1,0]
	s_and_saveexec_b64 s[0:1], vcc
	s_cbranch_execz .LBB393_39
; %bb.34:
	global_load_ushort v16, v[2:3], off offset:128
	global_load_ushort v17, v[4:5], off offset:128
	global_load_ushort v18, v[6:7], off offset:128
	global_load_ushort v15, v[8:9], off offset:128
	v_add_u32_e32 v19, 0x80, v0
	v_cmp_gt_i32_e32 vcc, s28, v19
	s_waitcnt vmcnt(3)
	v_fma_mix_f32 v16, v13, v16, v34 op_sel_hi:[0,1,0]
	s_waitcnt vmcnt(2)
	v_fma_mix_f32 v16, v12, v17, v16 op_sel_hi:[0,1,0]
	s_waitcnt vmcnt(1)
	v_fma_mix_f32 v16, v11, v18, v16 op_sel_hi:[0,1,0]
	s_and_saveexec_b64 s[4:5], vcc
	s_cbranch_execz .LBB393_38
; %bb.35:
	global_load_ushort v18, v[2:3], off offset:256
	global_load_ushort v19, v[4:5], off offset:256
	global_load_ushort v20, v[6:7], off offset:256
	global_load_ushort v17, v[8:9], off offset:256
	v_add_u32_e32 v21, 0xc0, v0
	v_cmp_gt_i32_e32 vcc, s28, v21
	s_waitcnt vmcnt(3)
	v_fma_mix_f32 v0, v13, v18, v32 op_sel_hi:[0,1,0]
	s_waitcnt vmcnt(2)
	v_fma_mix_f32 v0, v12, v19, v0 op_sel_hi:[0,1,0]
	s_waitcnt vmcnt(1)
	v_fma_mix_f32 v0, v11, v20, v0 op_sel_hi:[0,1,0]
	s_and_saveexec_b64 s[6:7], vcc
	s_cbranch_execz .LBB393_37
; %bb.36:
	global_load_ushort v18, v[2:3], off offset:384
	global_load_ushort v19, v[4:5], off offset:384
	global_load_ushort v20, v[6:7], off offset:384
	global_load_ushort v21, v[8:9], off offset:384
	s_waitcnt vmcnt(3)
	v_fma_mix_f32 v2, v13, v18, v31 op_sel_hi:[0,1,0]
	s_waitcnt vmcnt(2)
	v_fma_mix_f32 v2, v12, v19, v2 op_sel_hi:[0,1,0]
	;; [unrolled: 2-line block ×4, first 2 shown]
.LBB393_37:
	s_or_b64 exec, exec, s[6:7]
	s_waitcnt vmcnt(0)
	v_fma_mix_f32 v32, v10, v17, v0 op_sel_hi:[0,1,0]
.LBB393_38:
	s_or_b64 exec, exec, s[4:5]
	s_waitcnt vmcnt(0)
	v_fma_mix_f32 v34, v10, v15, v16 op_sel_hi:[0,1,0]
.LBB393_39:
	s_or_b64 exec, exec, s[0:1]
	s_waitcnt vmcnt(0)
	v_fma_mix_f32 v35, v10, v1, v14 op_sel_hi:[0,1,0]
.LBB393_40:
	s_or_b64 exec, exec, s[2:3]
.LBB393_41:
	v_lshlrev_b32_e32 v0, 8, v30
	s_movk_i32 s0, 0x100
	v_add_lshl_u32 v0, v0, v29, 2
	v_cmp_gt_u32_e32 vcc, s0, v28
	ds_write2st64_b32 v0, v35, v34 offset1:1
	ds_write2st64_b32 v0, v32, v31 offset0:2 offset1:3
	s_waitcnt lgkmcnt(0)
	s_barrier
	s_waitcnt lgkmcnt(0)
                                        ; implicit-def: $vgpr3
                                        ; implicit-def: $vgpr0_vgpr1
	s_and_saveexec_b64 s[0:1], vcc
	s_cbranch_execz .LBB393_47
; %bb.42:
	v_lshlrev_b32_e32 v10, 2, v28
	ds_read2st64_b32 v[0:1], v10 offset1:4
	ds_read2st64_b32 v[2:3], v10 offset0:8 offset1:12
	ds_read2st64_b32 v[4:5], v10 offset0:16 offset1:20
	;; [unrolled: 1-line block ×4, first 2 shown]
	s_waitcnt lgkmcnt(4)
	v_add_f32_e32 v0, v0, v1
	s_waitcnt lgkmcnt(3)
	v_add_f32_e32 v0, v2, v0
	v_add_f32_e32 v0, v3, v0
	s_waitcnt lgkmcnt(2)
	v_add_f32_e32 v0, v4, v0
	;; [unrolled: 3-line block ×3, first 2 shown]
	v_add_f32_e32 v2, v7, v0
	ds_read2st64_b32 v[0:1], v10 offset0:40 offset1:44
	s_waitcnt lgkmcnt(1)
	v_add_f32_e32 v4, v8, v2
	ds_read2st64_b32 v[2:3], v10 offset0:48 offset1:52
	v_add_f32_e32 v6, v9, v4
	ds_read2st64_b32 v[4:5], v10 offset0:56 offset1:60
	s_waitcnt lgkmcnt(2)
	v_add_f32_e32 v0, v0, v6
	v_add_f32_e32 v0, v1, v0
	s_waitcnt lgkmcnt(1)
	v_add_f32_e32 v0, v2, v0
	v_add_f32_e32 v0, v3, v0
	s_waitcnt lgkmcnt(0)
	v_add_f32_e32 v0, v4, v0
	v_or_b32_e32 v4, s33, v28
	v_add_f32_e32 v2, v5, v0
	v_cmp_gt_i32_e32 vcc, s28, v4
	s_mov_b64 s[4:5], s[34:35]
	ds_write_b32 v10, v2
                                        ; implicit-def: $vgpr3
                                        ; implicit-def: $vgpr0_vgpr1
	s_and_saveexec_b64 s[2:3], vcc
	s_cbranch_execz .LBB393_46
; %bb.43:
	v_ashrrev_i32_e32 v0, 31, v4
	v_cmp_eq_f32_e64 s[4:5], s31, 0
	v_mul_lo_u32 v3, v4, s25
	v_mul_lo_u32 v5, v0, s24
	v_mad_u64_u32 v[0:1], s[6:7], v4, s24, 0
	v_mul_f32_e32 v2, s30, v2
	v_add3_u32 v1, v1, v3, v5
	s_and_b64 vcc, exec, s[4:5]
	s_cbranch_vccnz .LBB393_45
; %bb.44:
	v_lshl_add_u64 v[4:5], v[0:1], 1, s[26:27]
	global_load_ushort v3, v[4:5], off
	s_waitcnt vmcnt(0)
	v_fma_mix_f32 v2, v3, s31, v2 op_sel_hi:[1,0,0]
.LBB393_45:
	s_nop 0
	v_cvt_f16_f32_e32 v3, v2
	s_or_b64 s[4:5], s[34:35], exec
.LBB393_46:
	s_or_b64 exec, exec, s[2:3]
	s_andn2_b64 s[2:3], s[34:35], exec
	s_and_b64 s[4:5], s[4:5], exec
	s_or_b64 s[34:35], s[2:3], s[4:5]
.LBB393_47:
	s_or_b64 exec, exec, s[0:1]
.LBB393_48:
	s_and_saveexec_b64 s[0:1], s[34:35]
	s_cbranch_execz .LBB393_50
; %bb.49:
	v_lshl_add_u64 v[0:1], v[0:1], 1, s[26:27]
	global_store_short v[0:1], v3, off
.LBB393_50:
	s_endpgm
	.section	.rodata,"a",@progbits
	.p2align	6, 0x0
	.amdhsa_kernel _ZL20rocblas_gemvn_kernelILi64ELi16ElDF16_fDF16_EviiT3_lPKT2_lT1_lS3_lS4_lS0_lPT4_lS4_li
		.amdhsa_group_segment_fixed_size 16384
		.amdhsa_private_segment_fixed_size 0
		.amdhsa_kernarg_size 400
		.amdhsa_user_sgpr_count 2
		.amdhsa_user_sgpr_dispatch_ptr 0
		.amdhsa_user_sgpr_queue_ptr 0
		.amdhsa_user_sgpr_kernarg_segment_ptr 1
		.amdhsa_user_sgpr_dispatch_id 0
		.amdhsa_user_sgpr_kernarg_preload_length 0
		.amdhsa_user_sgpr_kernarg_preload_offset 0
		.amdhsa_user_sgpr_private_segment_size 0
		.amdhsa_uses_dynamic_stack 0
		.amdhsa_enable_private_segment 0
		.amdhsa_system_sgpr_workgroup_id_x 1
		.amdhsa_system_sgpr_workgroup_id_y 0
		.amdhsa_system_sgpr_workgroup_id_z 1
		.amdhsa_system_sgpr_workgroup_info 0
		.amdhsa_system_vgpr_workitem_id 1
		.amdhsa_next_free_vgpr 55
		.amdhsa_next_free_sgpr 53
		.amdhsa_accum_offset 56
		.amdhsa_reserve_vcc 1
		.amdhsa_float_round_mode_32 0
		.amdhsa_float_round_mode_16_64 0
		.amdhsa_float_denorm_mode_32 3
		.amdhsa_float_denorm_mode_16_64 3
		.amdhsa_dx10_clamp 1
		.amdhsa_ieee_mode 1
		.amdhsa_fp16_overflow 0
		.amdhsa_tg_split 0
		.amdhsa_exception_fp_ieee_invalid_op 0
		.amdhsa_exception_fp_denorm_src 0
		.amdhsa_exception_fp_ieee_div_zero 0
		.amdhsa_exception_fp_ieee_overflow 0
		.amdhsa_exception_fp_ieee_underflow 0
		.amdhsa_exception_fp_ieee_inexact 0
		.amdhsa_exception_int_div_zero 0
	.end_amdhsa_kernel
	.section	.text._ZL20rocblas_gemvn_kernelILi64ELi16ElDF16_fDF16_EviiT3_lPKT2_lT1_lS3_lS4_lS0_lPT4_lS4_li,"axG",@progbits,_ZL20rocblas_gemvn_kernelILi64ELi16ElDF16_fDF16_EviiT3_lPKT2_lT1_lS3_lS4_lS0_lPT4_lS4_li,comdat
.Lfunc_end393:
	.size	_ZL20rocblas_gemvn_kernelILi64ELi16ElDF16_fDF16_EviiT3_lPKT2_lT1_lS3_lS4_lS0_lPT4_lS4_li, .Lfunc_end393-_ZL20rocblas_gemvn_kernelILi64ELi16ElDF16_fDF16_EviiT3_lPKT2_lT1_lS3_lS4_lS0_lPT4_lS4_li
                                        ; -- End function
	.section	.AMDGPU.csdata,"",@progbits
; Kernel info:
; codeLenInByte = 2868
; NumSgprs: 59
; NumVgprs: 55
; NumAgprs: 0
; TotalNumVgprs: 55
; ScratchSize: 0
; MemoryBound: 0
; FloatMode: 240
; IeeeMode: 1
; LDSByteSize: 16384 bytes/workgroup (compile time only)
; SGPRBlocks: 7
; VGPRBlocks: 6
; NumSGPRsForWavesPerEU: 59
; NumVGPRsForWavesPerEU: 55
; AccumOffset: 56
; Occupancy: 8
; WaveLimiterHint : 1
; COMPUTE_PGM_RSRC2:SCRATCH_EN: 0
; COMPUTE_PGM_RSRC2:USER_SGPR: 2
; COMPUTE_PGM_RSRC2:TRAP_HANDLER: 0
; COMPUTE_PGM_RSRC2:TGID_X_EN: 1
; COMPUTE_PGM_RSRC2:TGID_Y_EN: 0
; COMPUTE_PGM_RSRC2:TGID_Z_EN: 1
; COMPUTE_PGM_RSRC2:TIDIG_COMP_CNT: 1
; COMPUTE_PGM_RSRC3_GFX90A:ACCUM_OFFSET: 13
; COMPUTE_PGM_RSRC3_GFX90A:TG_SPLIT: 0
	.section	.text._ZL22rocblas_gemvtsm_kernelILb0ELi256EDF16_PKfDF16_EviiT2_lPKT1_lilS5_lilS2_lPT3_lil,"axG",@progbits,_ZL22rocblas_gemvtsm_kernelILb0ELi256EDF16_PKfDF16_EviiT2_lPKT1_lilS5_lilS2_lPT3_lil,comdat
	.globl	_ZL22rocblas_gemvtsm_kernelILb0ELi256EDF16_PKfDF16_EviiT2_lPKT1_lilS5_lilS2_lPT3_lil ; -- Begin function _ZL22rocblas_gemvtsm_kernelILb0ELi256EDF16_PKfDF16_EviiT2_lPKT1_lilS5_lilS2_lPT3_lil
	.p2align	8
	.type	_ZL22rocblas_gemvtsm_kernelILb0ELi256EDF16_PKfDF16_EviiT2_lPKT1_lilS5_lilS2_lPT3_lil,@function
_ZL22rocblas_gemvtsm_kernelILb0ELi256EDF16_PKfDF16_EviiT2_lPKT1_lilS5_lilS2_lPT3_lil: ; @_ZL22rocblas_gemvtsm_kernelILb0ELi256EDF16_PKfDF16_EviiT2_lPKT1_lilS5_lilS2_lPT3_lil
; %bb.0:
	s_load_dwordx8 s[4:11], s[0:1], 0x8
	s_load_dwordx8 s[12:19], s[0:1], 0x50
	s_waitcnt lgkmcnt(0)
	s_mul_i32 s3, s2, s7
	s_mul_hi_u32 s7, s2, s6
	s_add_i32 s7, s7, s3
	s_mul_i32 s6, s2, s6
	s_lshl_b64 s[6:7], s[6:7], 2
	s_add_u32 s4, s4, s6
	s_addc_u32 s5, s5, s7
	s_load_dword s3, s[4:5], 0x0
	s_mul_i32 s4, s2, s17
	s_mul_hi_u32 s5, s2, s16
	s_add_i32 s5, s5, s4
	s_mul_i32 s4, s2, s16
	s_lshl_b64 s[4:5], s[4:5], 2
	s_add_u32 s4, s14, s4
	s_addc_u32 s5, s15, s5
	s_load_dword s28, s[4:5], 0x0
	s_waitcnt lgkmcnt(0)
	v_cmp_eq_f32_e64 s[4:5], s3, 0
	v_cmp_eq_f32_e64 s[6:7], s28, 1.0
	s_and_b64 s[4:5], s[4:5], s[6:7]
	s_and_b64 vcc, exec, s[4:5]
	s_cbranch_vccnz .LBB394_34
; %bb.1:
	s_load_dwordx2 s[4:5], s[0:1], 0x80
	s_load_dword s14, s[0:1], 0x78
	s_load_dwordx2 s[20:21], s[0:1], 0x70
	s_load_dwordx2 s[16:17], s[0:1], 0x0
	s_waitcnt lgkmcnt(0)
	s_mul_i32 s5, s2, s5
	s_mul_hi_u32 s6, s2, s4
	s_add_i32 s23, s6, s5
	s_mul_i32 s22, s2, s4
	v_cmp_neq_f32_e64 s[4:5], s3, 0
	s_and_b64 vcc, exec, s[4:5]
	s_cbranch_vccnz .LBB394_9
; %bb.2:
	s_cmp_gt_i32 s17, 0
	s_cselect_b64 s[6:7], -1, 0
	v_cmp_neq_f32_e64 s[4:5], s28, 0
	v_cndmask_b32_e64 v1, 0, 1, s[6:7]
	s_and_b64 vcc, exec, s[4:5]
	v_cmp_ne_u32_e64 s[4:5], 1, v1
	s_cbranch_vccnz .LBB394_10
; %bb.3:
	s_and_b64 vcc, exec, s[4:5]
	s_cbranch_vccnz .LBB394_8
; %bb.4:
	v_mad_i64_i32 v[2:3], s[24:25], s14, v0, 0
	s_ashr_i32 s15, s14, 31
	s_lshl_b64 s[6:7], s[22:23], 1
	s_lshl_b64 s[24:25], s[20:21], 1
	s_add_u32 s24, s18, s24
	s_addc_u32 s25, s19, s25
	s_add_u32 s6, s24, s6
	s_addc_u32 s7, s25, s7
	v_lshl_add_u64 v[2:3], v[2:3], 1, s[6:7]
	s_lshl_b64 s[6:7], s[14:15], 9
	s_mov_b32 s15, 0
	v_mov_b32_e32 v1, 0
	s_branch .LBB394_6
.LBB394_5:                              ;   in Loop: Header=BB394_6 Depth=1
	s_or_b64 exec, exec, s[24:25]
	s_addk_i32 s15, 0x100
	s_cmp_ge_i32 s15, s17
	v_lshl_add_u64 v[2:3], v[2:3], 0, s[6:7]
	s_cbranch_scc1 .LBB394_8
.LBB394_6:                              ; =>This Inner Loop Header: Depth=1
	v_add_u32_e32 v4, s15, v0
	v_cmp_gt_i32_e32 vcc, s17, v4
	s_and_saveexec_b64 s[24:25], vcc
	s_cbranch_execz .LBB394_5
; %bb.7:                                ;   in Loop: Header=BB394_6 Depth=1
	global_store_short v[2:3], v1, off
	s_branch .LBB394_5
.LBB394_8:
	s_cbranch_execz .LBB394_11
	s_branch .LBB394_16
.LBB394_9:
	s_branch .LBB394_17
.LBB394_10:
.LBB394_11:
	s_and_b64 vcc, exec, s[4:5]
	s_cbranch_vccnz .LBB394_16
; %bb.12:
	v_mad_i64_i32 v[2:3], s[6:7], s14, v0, 0
	s_ashr_i32 s15, s14, 31
	s_lshl_b64 s[4:5], s[22:23], 1
	s_lshl_b64 s[6:7], s[20:21], 1
	s_add_u32 s6, s18, s6
	s_addc_u32 s7, s19, s7
	s_add_u32 s4, s6, s4
	s_addc_u32 s5, s7, s5
	v_lshl_add_u64 v[2:3], v[2:3], 1, s[4:5]
	s_lshl_b64 s[4:5], s[14:15], 9
	s_mov_b32 s15, 0
	s_branch .LBB394_14
.LBB394_13:                             ;   in Loop: Header=BB394_14 Depth=1
	s_or_b64 exec, exec, s[6:7]
	s_addk_i32 s15, 0x100
	s_cmp_ge_i32 s15, s17
	v_lshl_add_u64 v[2:3], v[2:3], 0, s[4:5]
	s_cbranch_scc1 .LBB394_16
.LBB394_14:                             ; =>This Inner Loop Header: Depth=1
	v_add_u32_e32 v1, s15, v0
	v_cmp_gt_i32_e32 vcc, s17, v1
	s_and_saveexec_b64 s[6:7], vcc
	s_cbranch_execz .LBB394_13
; %bb.15:                               ;   in Loop: Header=BB394_14 Depth=1
	global_load_ushort v1, v[2:3], off
	s_waitcnt vmcnt(0)
	v_fma_mixlo_f16 v1, s28, v1, 0 op_sel_hi:[0,1,0]
	global_store_short v[2:3], v1, off
	s_branch .LBB394_13
.LBB394_16:
	s_cbranch_execnz .LBB394_34
.LBB394_17:
	s_load_dwordx4 s[4:7], s[0:1], 0x30
	s_load_dwordx2 s[26:27], s[0:1], 0x40
	v_cmp_gt_i32_e32 vcc, s16, v0
	s_and_saveexec_b64 s[24:25], vcc
	s_cbranch_execz .LBB394_19
; %bb.18:
	s_mul_i32 s13, s2, s13
	s_mul_hi_u32 s15, s2, s12
	s_add_i32 s13, s15, s13
	s_mul_i32 s12, s2, s12
	s_load_dword s15, s[0:1], 0x48
	s_lshl_b64 s[12:13], s[12:13], 1
	s_waitcnt lgkmcnt(0)
	s_add_u32 s12, s6, s12
	s_addc_u32 s13, s7, s13
	s_lshl_b64 s[6:7], s[26:27], 1
	s_add_u32 s6, s12, s6
	s_addc_u32 s7, s13, s7
	v_mad_i64_i32 v[2:3], s[12:13], s15, v0, 0
	v_lshl_add_u64 v[2:3], v[2:3], 1, s[6:7]
	global_load_ushort v1, v[2:3], off
	v_lshlrev_b32_e32 v2, 2, v0
	s_waitcnt vmcnt(0)
	v_cvt_f32_f16_e32 v1, v1
	v_mul_f32_e32 v1, s3, v1
	ds_write_b32 v2, v1
.LBB394_19:
	s_or_b64 exec, exec, s[24:25]
	s_cmp_lt_i32 s17, 1
	s_waitcnt lgkmcnt(0)
	s_barrier
	s_cbranch_scc1 .LBB394_34
; %bb.20:
	s_load_dword s0, s[0:1], 0x28
	s_lshl_b64 s[6:7], s[22:23], 1
	s_add_u32 s3, s18, s6
	s_addc_u32 s1, s19, s7
	s_lshl_b64 s[6:7], s[20:21], 1
	s_add_u32 s12, s3, s6
	s_addc_u32 s13, s1, s7
	s_waitcnt lgkmcnt(0)
	s_ashr_i32 s1, s0, 31
	s_ashr_i32 s15, s14, 31
	s_cmp_gt_i32 s16, 0
	s_cselect_b64 s[6:7], -1, 0
	s_and_b32 s20, s16, 7
	s_cmp_gt_u32 s16, 7
	s_cselect_b64 s[22:23], -1, 0
	s_and_b32 s16, s16, 0x7ffffff8
	s_cmp_lg_u32 s20, 0
	s_mul_i32 s3, s5, s2
	s_mul_hi_u32 s5, s4, s2
	s_cselect_b64 s[24:25], -1, 0
	s_add_i32 s3, s5, s3
	s_mul_i32 s2, s4, s2
	v_mad_i64_i32 v[2:3], s[4:5], s0, v0, 0
	s_lshl_b64 s[2:3], s[2:3], 1
	s_lshl_b64 s[4:5], s[10:11], 1
	s_add_u32 s4, s8, s4
	s_addc_u32 s5, s9, s5
	s_add_u32 s2, s4, s2
	s_addc_u32 s3, s5, s3
	s_lshl_b64 s[8:9], s[0:1], 9
	v_cmp_neq_f32_e64 s[0:1], s28, 0
	v_cndmask_b32_e64 v6, 0, 1, s[22:23]
	v_lshl_add_u64 v[2:3], v[2:3], 1, s[2:3]
	v_cndmask_b32_e64 v1, 0, 1, s[0:1]
	v_cmp_ne_u32_e64 s[0:1], 1, v1
	v_cndmask_b32_e64 v1, 0, 1, s[6:7]
	v_cmp_ne_u32_e64 s[2:3], 1, v6
	v_cndmask_b32_e64 v6, 0, 1, s[24:25]
	s_mov_b32 s19, 0
	v_lshl_add_u64 v[4:5], v[2:3], 0, 14
	v_cmp_ne_u32_e64 s[4:5], 1, v1
	v_cmp_ne_u32_e64 s[6:7], 1, v6
	s_mov_b32 s21, 0
	s_branch .LBB394_23
.LBB394_21:                             ;   in Loop: Header=BB394_23 Depth=1
	v_cvt_f16_f32_e32 v1, v1
	global_store_short v[6:7], v1, off
.LBB394_22:                             ;   in Loop: Header=BB394_23 Depth=1
	s_or_b64 exec, exec, s[10:11]
	s_addk_i32 s21, 0x100
	v_lshl_add_u64 v[4:5], v[4:5], 0, s[8:9]
	s_cmp_ge_i32 s21, s17
	v_lshl_add_u64 v[2:3], v[2:3], 0, s[8:9]
	s_cbranch_scc1 .LBB394_34
.LBB394_23:                             ; =>This Loop Header: Depth=1
                                        ;     Child Loop BB394_29 Depth 2
                                        ;     Child Loop BB394_33 Depth 2
	v_add_u32_e32 v1, s21, v0
	v_cmp_gt_i32_e32 vcc, s17, v1
	s_and_saveexec_b64 s[10:11], vcc
	s_cbranch_execz .LBB394_22
; %bb.24:                               ;   in Loop: Header=BB394_23 Depth=1
	v_mad_u64_u32 v[6:7], s[22:23], v1, s14, 0
	v_mov_b32_e32 v8, v7
	v_mad_u64_u32 v[8:9], s[22:23], v1, s15, v[8:9]
	v_mov_b32_e32 v7, v8
	s_and_b64 vcc, exec, s[0:1]
	v_lshl_add_u64 v[6:7], v[6:7], 1, s[12:13]
	s_cbranch_vccnz .LBB394_26
; %bb.25:                               ;   in Loop: Header=BB394_23 Depth=1
	global_load_ushort v1, v[6:7], off
	s_waitcnt vmcnt(0)
	v_cvt_f32_f16_e32 v1, v1
	v_mul_f32_e32 v1, s28, v1
	s_and_b64 vcc, exec, s[4:5]
	s_cbranch_vccz .LBB394_27
	s_branch .LBB394_21
.LBB394_26:                             ;   in Loop: Header=BB394_23 Depth=1
	v_mov_b32_e32 v1, 0
	s_and_b64 vcc, exec, s[4:5]
	s_cbranch_vccnz .LBB394_21
.LBB394_27:                             ;   in Loop: Header=BB394_23 Depth=1
	s_mov_b32 s18, 0
	s_and_b64 vcc, exec, s[2:3]
	s_cbranch_vccnz .LBB394_31
; %bb.28:                               ;   in Loop: Header=BB394_23 Depth=1
	s_mov_b32 s22, 0
	v_mov_b64_e32 v[8:9], v[4:5]
.LBB394_29:                             ;   Parent Loop BB394_23 Depth=1
                                        ; =>  This Inner Loop Header: Depth=2
	global_load_dwordx4 v[10:13], v[8:9], off offset:-14
	v_mov_b32_e32 v18, s18
	ds_read_b128 v[14:17], v18
	ds_read_b128 v[18:21], v18 offset:16
	s_add_i32 s22, s22, 8
	s_add_i32 s18, s18, 32
	v_lshl_add_u64 v[8:9], v[8:9], 0, 16
	s_cmp_eq_u32 s16, s22
	s_waitcnt vmcnt(0) lgkmcnt(1)
	v_fma_mix_f32 v1, v14, v10, v1 op_sel_hi:[0,1,0]
	v_fma_mix_f32 v1, v15, v10, v1 op_sel:[0,1,0] op_sel_hi:[0,1,0]
	v_fma_mix_f32 v1, v16, v11, v1 op_sel_hi:[0,1,0]
	v_fma_mix_f32 v1, v17, v11, v1 op_sel:[0,1,0] op_sel_hi:[0,1,0]
	s_waitcnt lgkmcnt(0)
	v_fma_mix_f32 v1, v18, v12, v1 op_sel_hi:[0,1,0]
	v_fma_mix_f32 v1, v19, v12, v1 op_sel:[0,1,0] op_sel_hi:[0,1,0]
	v_fma_mix_f32 v1, v20, v13, v1 op_sel_hi:[0,1,0]
	v_fma_mix_f32 v1, v21, v13, v1 op_sel:[0,1,0] op_sel_hi:[0,1,0]
	s_cbranch_scc0 .LBB394_29
; %bb.30:                               ;   in Loop: Header=BB394_23 Depth=1
	s_mov_b32 s18, s16
.LBB394_31:                             ;   in Loop: Header=BB394_23 Depth=1
	s_and_b64 vcc, exec, s[6:7]
	s_cbranch_vccnz .LBB394_21
; %bb.32:                               ;   in Loop: Header=BB394_23 Depth=1
	s_lshl_b32 s22, s18, 2
	s_lshl_b32 s18, s18, 1
	v_lshl_add_u64 v[8:9], v[2:3], 0, s[18:19]
	s_mov_b32 s18, s20
.LBB394_33:                             ;   Parent Loop BB394_23 Depth=1
                                        ; =>  This Inner Loop Header: Depth=2
	global_load_ushort v10, v[8:9], off
	v_mov_b32_e32 v11, s22
	ds_read_b32 v11, v11
	s_add_i32 s22, s22, 4
	s_add_i32 s18, s18, -1
	v_lshl_add_u64 v[8:9], v[8:9], 0, 2
	s_cmp_lg_u32 s18, 0
	s_waitcnt vmcnt(0) lgkmcnt(0)
	v_fma_mix_f32 v1, v11, v10, v1 op_sel_hi:[0,1,0]
	s_cbranch_scc1 .LBB394_33
	s_branch .LBB394_21
.LBB394_34:
	s_endpgm
	.section	.rodata,"a",@progbits
	.p2align	6, 0x0
	.amdhsa_kernel _ZL22rocblas_gemvtsm_kernelILb0ELi256EDF16_PKfDF16_EviiT2_lPKT1_lilS5_lilS2_lPT3_lil
		.amdhsa_group_segment_fixed_size 256
		.amdhsa_private_segment_fixed_size 0
		.amdhsa_kernarg_size 136
		.amdhsa_user_sgpr_count 2
		.amdhsa_user_sgpr_dispatch_ptr 0
		.amdhsa_user_sgpr_queue_ptr 0
		.amdhsa_user_sgpr_kernarg_segment_ptr 1
		.amdhsa_user_sgpr_dispatch_id 0
		.amdhsa_user_sgpr_kernarg_preload_length 0
		.amdhsa_user_sgpr_kernarg_preload_offset 0
		.amdhsa_user_sgpr_private_segment_size 0
		.amdhsa_uses_dynamic_stack 0
		.amdhsa_enable_private_segment 0
		.amdhsa_system_sgpr_workgroup_id_x 1
		.amdhsa_system_sgpr_workgroup_id_y 0
		.amdhsa_system_sgpr_workgroup_id_z 0
		.amdhsa_system_sgpr_workgroup_info 0
		.amdhsa_system_vgpr_workitem_id 0
		.amdhsa_next_free_vgpr 22
		.amdhsa_next_free_sgpr 29
		.amdhsa_accum_offset 24
		.amdhsa_reserve_vcc 1
		.amdhsa_float_round_mode_32 0
		.amdhsa_float_round_mode_16_64 0
		.amdhsa_float_denorm_mode_32 3
		.amdhsa_float_denorm_mode_16_64 3
		.amdhsa_dx10_clamp 1
		.amdhsa_ieee_mode 1
		.amdhsa_fp16_overflow 0
		.amdhsa_tg_split 0
		.amdhsa_exception_fp_ieee_invalid_op 0
		.amdhsa_exception_fp_denorm_src 0
		.amdhsa_exception_fp_ieee_div_zero 0
		.amdhsa_exception_fp_ieee_overflow 0
		.amdhsa_exception_fp_ieee_underflow 0
		.amdhsa_exception_fp_ieee_inexact 0
		.amdhsa_exception_int_div_zero 0
	.end_amdhsa_kernel
	.section	.text._ZL22rocblas_gemvtsm_kernelILb0ELi256EDF16_PKfDF16_EviiT2_lPKT1_lilS5_lilS2_lPT3_lil,"axG",@progbits,_ZL22rocblas_gemvtsm_kernelILb0ELi256EDF16_PKfDF16_EviiT2_lPKT1_lilS5_lilS2_lPT3_lil,comdat
.Lfunc_end394:
	.size	_ZL22rocblas_gemvtsm_kernelILb0ELi256EDF16_PKfDF16_EviiT2_lPKT1_lilS5_lilS2_lPT3_lil, .Lfunc_end394-_ZL22rocblas_gemvtsm_kernelILb0ELi256EDF16_PKfDF16_EviiT2_lPKT1_lilS5_lilS2_lPT3_lil
                                        ; -- End function
	.section	.AMDGPU.csdata,"",@progbits
; Kernel info:
; codeLenInByte = 1268
; NumSgprs: 35
; NumVgprs: 22
; NumAgprs: 0
; TotalNumVgprs: 22
; ScratchSize: 0
; MemoryBound: 0
; FloatMode: 240
; IeeeMode: 1
; LDSByteSize: 256 bytes/workgroup (compile time only)
; SGPRBlocks: 4
; VGPRBlocks: 2
; NumSGPRsForWavesPerEU: 35
; NumVGPRsForWavesPerEU: 22
; AccumOffset: 24
; Occupancy: 8
; WaveLimiterHint : 1
; COMPUTE_PGM_RSRC2:SCRATCH_EN: 0
; COMPUTE_PGM_RSRC2:USER_SGPR: 2
; COMPUTE_PGM_RSRC2:TRAP_HANDLER: 0
; COMPUTE_PGM_RSRC2:TGID_X_EN: 1
; COMPUTE_PGM_RSRC2:TGID_Y_EN: 0
; COMPUTE_PGM_RSRC2:TGID_Z_EN: 0
; COMPUTE_PGM_RSRC2:TIDIG_COMP_CNT: 0
; COMPUTE_PGM_RSRC3_GFX90A:ACCUM_OFFSET: 5
; COMPUTE_PGM_RSRC3_GFX90A:TG_SPLIT: 0
	.section	.text._ZL22rocblas_gemvtsm_kernelILb0ELi256EDF16_fDF16_EviiT2_lPKT1_lilS3_lilS0_lPT3_lil,"axG",@progbits,_ZL22rocblas_gemvtsm_kernelILb0ELi256EDF16_fDF16_EviiT2_lPKT1_lilS3_lilS0_lPT3_lil,comdat
	.globl	_ZL22rocblas_gemvtsm_kernelILb0ELi256EDF16_fDF16_EviiT2_lPKT1_lilS3_lilS0_lPT3_lil ; -- Begin function _ZL22rocblas_gemvtsm_kernelILb0ELi256EDF16_fDF16_EviiT2_lPKT1_lilS3_lilS0_lPT3_lil
	.p2align	8
	.type	_ZL22rocblas_gemvtsm_kernelILb0ELi256EDF16_fDF16_EviiT2_lPKT1_lilS3_lilS0_lPT3_lil,@function
_ZL22rocblas_gemvtsm_kernelILb0ELi256EDF16_fDF16_EviiT2_lPKT1_lilS3_lilS0_lPT3_lil: ; @_ZL22rocblas_gemvtsm_kernelILb0ELi256EDF16_fDF16_EviiT2_lPKT1_lilS3_lilS0_lPT3_lil
; %bb.0:
	s_load_dwordx4 s[8:11], s[0:1], 0x0
	s_load_dword s24, s[0:1], 0x58
	s_waitcnt lgkmcnt(0)
	v_cmp_eq_f32_e64 s[4:5], s10, 0
	v_cmp_eq_f32_e64 s[6:7], s24, 1.0
	s_and_b64 s[4:5], s[4:5], s[6:7]
	s_and_b64 vcc, exec, s[4:5]
	s_cbranch_vccnz .LBB395_34
; %bb.1:
	s_load_dwordx2 s[4:5], s[0:1], 0x80
	s_load_dwordx4 s[12:15], s[0:1], 0x68
	s_load_dword s16, s[0:1], 0x78
	s_waitcnt lgkmcnt(0)
	s_mul_i32 s3, s2, s5
	s_mul_hi_u32 s5, s2, s4
	s_mul_i32 s18, s2, s4
	s_add_i32 s19, s5, s3
	v_cmp_neq_f32_e64 s[4:5], s10, 0
	s_and_b64 vcc, exec, s[4:5]
	s_cbranch_vccnz .LBB395_9
; %bb.2:
	s_cmp_gt_i32 s9, 0
	s_cselect_b64 s[6:7], -1, 0
	v_cmp_neq_f32_e64 s[4:5], s24, 0
	v_cndmask_b32_e64 v1, 0, 1, s[6:7]
	s_and_b64 vcc, exec, s[4:5]
	v_cmp_ne_u32_e64 s[4:5], 1, v1
	s_cbranch_vccnz .LBB395_10
; %bb.3:
	s_and_b64 vcc, exec, s[4:5]
	s_cbranch_vccnz .LBB395_8
; %bb.4:
	v_mad_i64_i32 v[2:3], s[20:21], s16, v0, 0
	s_ashr_i32 s17, s16, 31
	s_lshl_b64 s[6:7], s[18:19], 1
	s_lshl_b64 s[20:21], s[14:15], 1
	s_add_u32 s3, s12, s20
	s_addc_u32 s11, s13, s21
	s_add_u32 s6, s3, s6
	s_addc_u32 s7, s11, s7
	v_lshl_add_u64 v[2:3], v[2:3], 1, s[6:7]
	s_lshl_b64 s[6:7], s[16:17], 9
	s_mov_b32 s3, 0
	v_mov_b32_e32 v1, 0
	s_branch .LBB395_6
.LBB395_5:                              ;   in Loop: Header=BB395_6 Depth=1
	s_or_b64 exec, exec, s[20:21]
	s_addk_i32 s3, 0x100
	s_cmp_ge_i32 s3, s9
	v_lshl_add_u64 v[2:3], v[2:3], 0, s[6:7]
	s_cbranch_scc1 .LBB395_8
.LBB395_6:                              ; =>This Inner Loop Header: Depth=1
	v_add_u32_e32 v4, s3, v0
	v_cmp_gt_i32_e32 vcc, s9, v4
	s_and_saveexec_b64 s[20:21], vcc
	s_cbranch_execz .LBB395_5
; %bb.7:                                ;   in Loop: Header=BB395_6 Depth=1
	global_store_short v[2:3], v1, off
	s_branch .LBB395_5
.LBB395_8:
	s_cbranch_execz .LBB395_11
	s_branch .LBB395_16
.LBB395_9:
	s_branch .LBB395_17
.LBB395_10:
.LBB395_11:
	s_and_b64 vcc, exec, s[4:5]
	s_cbranch_vccnz .LBB395_16
; %bb.12:
	v_mad_i64_i32 v[2:3], s[6:7], s16, v0, 0
	s_ashr_i32 s17, s16, 31
	s_lshl_b64 s[4:5], s[18:19], 1
	s_lshl_b64 s[6:7], s[14:15], 1
	s_add_u32 s3, s12, s6
	s_addc_u32 s6, s13, s7
	s_add_u32 s4, s3, s4
	s_addc_u32 s5, s6, s5
	v_lshl_add_u64 v[2:3], v[2:3], 1, s[4:5]
	s_lshl_b64 s[4:5], s[16:17], 9
	s_mov_b32 s3, 0
	s_branch .LBB395_14
.LBB395_13:                             ;   in Loop: Header=BB395_14 Depth=1
	s_or_b64 exec, exec, s[6:7]
	s_addk_i32 s3, 0x100
	s_cmp_ge_i32 s3, s9
	v_lshl_add_u64 v[2:3], v[2:3], 0, s[4:5]
	s_cbranch_scc1 .LBB395_16
.LBB395_14:                             ; =>This Inner Loop Header: Depth=1
	v_add_u32_e32 v1, s3, v0
	v_cmp_gt_i32_e32 vcc, s9, v1
	s_and_saveexec_b64 s[6:7], vcc
	s_cbranch_execz .LBB395_13
; %bb.15:                               ;   in Loop: Header=BB395_14 Depth=1
	global_load_ushort v1, v[2:3], off
	s_waitcnt vmcnt(0)
	v_fma_mixlo_f16 v1, v1, s24, 0 op_sel_hi:[1,0,0]
	global_store_short v[2:3], v1, off
	s_branch .LBB395_13
.LBB395_16:
	s_cbranch_execnz .LBB395_34
.LBB395_17:
	s_load_dwordx4 s[4:7], s[0:1], 0x30
	s_load_dwordx2 s[22:23], s[0:1], 0x40
	v_cmp_gt_i32_e32 vcc, s8, v0
	s_and_saveexec_b64 s[20:21], vcc
	s_cbranch_execz .LBB395_19
; %bb.18:
	s_load_dwordx2 s[26:27], s[0:1], 0x50
	s_load_dword s3, s[0:1], 0x48
	s_waitcnt lgkmcnt(0)
	s_mul_i32 s11, s2, s27
	s_mul_hi_u32 s17, s2, s26
	s_mul_i32 s26, s2, s26
	s_add_i32 s27, s17, s11
	s_lshl_b64 s[26:27], s[26:27], 1
	s_add_u32 s11, s6, s26
	s_addc_u32 s17, s7, s27
	s_lshl_b64 s[6:7], s[22:23], 1
	s_add_u32 s6, s11, s6
	s_addc_u32 s7, s17, s7
	v_mad_i64_i32 v[2:3], s[22:23], s3, v0, 0
	v_lshl_add_u64 v[2:3], v[2:3], 1, s[6:7]
	global_load_ushort v1, v[2:3], off
	v_lshlrev_b32_e32 v2, 2, v0
	s_waitcnt vmcnt(0)
	v_cvt_f32_f16_e32 v1, v1
	v_mul_f32_e32 v1, s10, v1
	ds_write_b32 v2, v1
.LBB395_19:
	s_or_b64 exec, exec, s[20:21]
	s_cmp_lt_i32 s9, 1
	s_waitcnt lgkmcnt(0)
	s_barrier
	s_cbranch_scc1 .LBB395_34
; %bb.20:
	s_lshl_b64 s[6:7], s[18:19], 1
	s_add_u32 s3, s12, s6
	s_load_dwordx4 s[28:31], s[0:1], 0x18
	s_load_dword s6, s[0:1], 0x28
	s_addc_u32 s7, s13, s7
	s_lshl_b64 s[0:1], s[14:15], 1
	s_add_u32 s10, s3, s0
	s_addc_u32 s11, s7, s1
	s_waitcnt lgkmcnt(0)
	s_ashr_i32 s7, s6, 31
	s_ashr_i32 s17, s16, 31
	s_cmp_gt_i32 s8, 0
	s_cselect_b64 s[18:19], -1, 0
	s_and_b32 s20, s8, 7
	s_cmp_gt_u32 s8, 7
	s_cselect_b64 s[22:23], -1, 0
	s_and_b32 s8, s8, 0x7ffffff8
	s_cmp_lg_u32 s20, 0
	s_mul_i32 s0, s5, s2
	s_mul_hi_u32 s1, s4, s2
	s_cselect_b64 s[26:27], -1, 0
	s_add_i32 s1, s1, s0
	s_mul_i32 s0, s4, s2
	v_mad_i64_i32 v[2:3], s[2:3], s6, v0, 0
	s_lshl_b64 s[0:1], s[0:1], 1
	s_lshl_b64 s[2:3], s[30:31], 1
	s_add_u32 s2, s28, s2
	s_addc_u32 s3, s29, s3
	s_add_u32 s0, s2, s0
	s_addc_u32 s1, s3, s1
	v_lshl_add_u64 v[2:3], v[2:3], 1, s[0:1]
	v_cmp_neq_f32_e64 s[0:1], s24, 0
	s_mov_b32 s13, 0
	v_lshl_add_u64 v[4:5], v[2:3], 0, 14
	v_cndmask_b32_e64 v1, 0, 1, s[0:1]
	v_cmp_ne_u32_e64 s[0:1], 1, v1
	v_cndmask_b32_e64 v1, 0, 1, s[18:19]
	v_cmp_ne_u32_e64 s[2:3], 1, v1
	;; [unrolled: 2-line block ×3, first 2 shown]
	v_cndmask_b32_e64 v1, 0, 1, s[26:27]
	s_lshl_b64 s[14:15], s[6:7], 9
	v_cmp_ne_u32_e64 s[6:7], 1, v1
	s_mov_b32 s21, 0
	s_branch .LBB395_23
.LBB395_21:                             ;   in Loop: Header=BB395_23 Depth=1
	v_cvt_f16_f32_e32 v1, v1
	global_store_short v[6:7], v1, off
.LBB395_22:                             ;   in Loop: Header=BB395_23 Depth=1
	s_or_b64 exec, exec, s[18:19]
	s_addk_i32 s21, 0x100
	v_lshl_add_u64 v[4:5], v[4:5], 0, s[14:15]
	s_cmp_ge_i32 s21, s9
	v_lshl_add_u64 v[2:3], v[2:3], 0, s[14:15]
	s_cbranch_scc1 .LBB395_34
.LBB395_23:                             ; =>This Loop Header: Depth=1
                                        ;     Child Loop BB395_29 Depth 2
                                        ;     Child Loop BB395_33 Depth 2
	v_add_u32_e32 v1, s21, v0
	v_cmp_gt_i32_e32 vcc, s9, v1
	s_and_saveexec_b64 s[18:19], vcc
	s_cbranch_execz .LBB395_22
; %bb.24:                               ;   in Loop: Header=BB395_23 Depth=1
	v_mad_u64_u32 v[6:7], s[22:23], v1, s16, 0
	v_mov_b32_e32 v8, v7
	v_mad_u64_u32 v[8:9], s[22:23], v1, s17, v[8:9]
	v_mov_b32_e32 v7, v8
	s_and_b64 vcc, exec, s[0:1]
	v_lshl_add_u64 v[6:7], v[6:7], 1, s[10:11]
	s_cbranch_vccnz .LBB395_26
; %bb.25:                               ;   in Loop: Header=BB395_23 Depth=1
	global_load_ushort v1, v[6:7], off
	s_waitcnt vmcnt(0)
	v_cvt_f32_f16_e32 v1, v1
	v_mul_f32_e32 v1, s24, v1
	s_and_b64 vcc, exec, s[2:3]
	s_cbranch_vccz .LBB395_27
	s_branch .LBB395_21
.LBB395_26:                             ;   in Loop: Header=BB395_23 Depth=1
	v_mov_b32_e32 v1, 0
	s_and_b64 vcc, exec, s[2:3]
	s_cbranch_vccnz .LBB395_21
.LBB395_27:                             ;   in Loop: Header=BB395_23 Depth=1
	s_mov_b32 s12, 0
	s_and_b64 vcc, exec, s[4:5]
	s_cbranch_vccnz .LBB395_31
; %bb.28:                               ;   in Loop: Header=BB395_23 Depth=1
	s_mov_b32 s22, 0
	v_mov_b64_e32 v[8:9], v[4:5]
.LBB395_29:                             ;   Parent Loop BB395_23 Depth=1
                                        ; =>  This Inner Loop Header: Depth=2
	global_load_dwordx4 v[10:13], v[8:9], off offset:-14
	v_mov_b32_e32 v18, s12
	ds_read_b128 v[14:17], v18
	ds_read_b128 v[18:21], v18 offset:16
	s_add_i32 s22, s22, 8
	s_add_i32 s12, s12, 32
	v_lshl_add_u64 v[8:9], v[8:9], 0, 16
	s_cmp_eq_u32 s8, s22
	s_waitcnt vmcnt(0) lgkmcnt(1)
	v_fma_mix_f32 v1, v14, v10, v1 op_sel_hi:[0,1,0]
	v_fma_mix_f32 v1, v15, v10, v1 op_sel:[0,1,0] op_sel_hi:[0,1,0]
	v_fma_mix_f32 v1, v16, v11, v1 op_sel_hi:[0,1,0]
	v_fma_mix_f32 v1, v17, v11, v1 op_sel:[0,1,0] op_sel_hi:[0,1,0]
	s_waitcnt lgkmcnt(0)
	v_fma_mix_f32 v1, v18, v12, v1 op_sel_hi:[0,1,0]
	v_fma_mix_f32 v1, v19, v12, v1 op_sel:[0,1,0] op_sel_hi:[0,1,0]
	v_fma_mix_f32 v1, v20, v13, v1 op_sel_hi:[0,1,0]
	v_fma_mix_f32 v1, v21, v13, v1 op_sel:[0,1,0] op_sel_hi:[0,1,0]
	s_cbranch_scc0 .LBB395_29
; %bb.30:                               ;   in Loop: Header=BB395_23 Depth=1
	s_mov_b32 s12, s8
.LBB395_31:                             ;   in Loop: Header=BB395_23 Depth=1
	s_and_b64 vcc, exec, s[6:7]
	s_cbranch_vccnz .LBB395_21
; %bb.32:                               ;   in Loop: Header=BB395_23 Depth=1
	s_lshl_b32 s22, s12, 2
	s_lshl_b32 s12, s12, 1
	v_lshl_add_u64 v[8:9], v[2:3], 0, s[12:13]
	s_mov_b32 s12, s20
.LBB395_33:                             ;   Parent Loop BB395_23 Depth=1
                                        ; =>  This Inner Loop Header: Depth=2
	global_load_ushort v10, v[8:9], off
	v_mov_b32_e32 v11, s22
	ds_read_b32 v11, v11
	s_add_i32 s22, s22, 4
	s_add_i32 s12, s12, -1
	v_lshl_add_u64 v[8:9], v[8:9], 0, 2
	s_cmp_lg_u32 s12, 0
	s_waitcnt vmcnt(0) lgkmcnt(0)
	v_fma_mix_f32 v1, v11, v10, v1 op_sel_hi:[0,1,0]
	s_cbranch_scc1 .LBB395_33
	s_branch .LBB395_21
.LBB395_34:
	s_endpgm
	.section	.rodata,"a",@progbits
	.p2align	6, 0x0
	.amdhsa_kernel _ZL22rocblas_gemvtsm_kernelILb0ELi256EDF16_fDF16_EviiT2_lPKT1_lilS3_lilS0_lPT3_lil
		.amdhsa_group_segment_fixed_size 256
		.amdhsa_private_segment_fixed_size 0
		.amdhsa_kernarg_size 136
		.amdhsa_user_sgpr_count 2
		.amdhsa_user_sgpr_dispatch_ptr 0
		.amdhsa_user_sgpr_queue_ptr 0
		.amdhsa_user_sgpr_kernarg_segment_ptr 1
		.amdhsa_user_sgpr_dispatch_id 0
		.amdhsa_user_sgpr_kernarg_preload_length 0
		.amdhsa_user_sgpr_kernarg_preload_offset 0
		.amdhsa_user_sgpr_private_segment_size 0
		.amdhsa_uses_dynamic_stack 0
		.amdhsa_enable_private_segment 0
		.amdhsa_system_sgpr_workgroup_id_x 1
		.amdhsa_system_sgpr_workgroup_id_y 0
		.amdhsa_system_sgpr_workgroup_id_z 0
		.amdhsa_system_sgpr_workgroup_info 0
		.amdhsa_system_vgpr_workitem_id 0
		.amdhsa_next_free_vgpr 22
		.amdhsa_next_free_sgpr 32
		.amdhsa_accum_offset 24
		.amdhsa_reserve_vcc 1
		.amdhsa_float_round_mode_32 0
		.amdhsa_float_round_mode_16_64 0
		.amdhsa_float_denorm_mode_32 3
		.amdhsa_float_denorm_mode_16_64 3
		.amdhsa_dx10_clamp 1
		.amdhsa_ieee_mode 1
		.amdhsa_fp16_overflow 0
		.amdhsa_tg_split 0
		.amdhsa_exception_fp_ieee_invalid_op 0
		.amdhsa_exception_fp_denorm_src 0
		.amdhsa_exception_fp_ieee_div_zero 0
		.amdhsa_exception_fp_ieee_overflow 0
		.amdhsa_exception_fp_ieee_underflow 0
		.amdhsa_exception_fp_ieee_inexact 0
		.amdhsa_exception_int_div_zero 0
	.end_amdhsa_kernel
	.section	.text._ZL22rocblas_gemvtsm_kernelILb0ELi256EDF16_fDF16_EviiT2_lPKT1_lilS3_lilS0_lPT3_lil,"axG",@progbits,_ZL22rocblas_gemvtsm_kernelILb0ELi256EDF16_fDF16_EviiT2_lPKT1_lilS3_lilS0_lPT3_lil,comdat
.Lfunc_end395:
	.size	_ZL22rocblas_gemvtsm_kernelILb0ELi256EDF16_fDF16_EviiT2_lPKT1_lilS3_lilS0_lPT3_lil, .Lfunc_end395-_ZL22rocblas_gemvtsm_kernelILb0ELi256EDF16_fDF16_EviiT2_lPKT1_lilS3_lilS0_lPT3_lil
                                        ; -- End function
	.section	.AMDGPU.csdata,"",@progbits
; Kernel info:
; codeLenInByte = 1200
; NumSgprs: 38
; NumVgprs: 22
; NumAgprs: 0
; TotalNumVgprs: 22
; ScratchSize: 0
; MemoryBound: 0
; FloatMode: 240
; IeeeMode: 1
; LDSByteSize: 256 bytes/workgroup (compile time only)
; SGPRBlocks: 4
; VGPRBlocks: 2
; NumSGPRsForWavesPerEU: 38
; NumVGPRsForWavesPerEU: 22
; AccumOffset: 24
; Occupancy: 8
; WaveLimiterHint : 1
; COMPUTE_PGM_RSRC2:SCRATCH_EN: 0
; COMPUTE_PGM_RSRC2:USER_SGPR: 2
; COMPUTE_PGM_RSRC2:TRAP_HANDLER: 0
; COMPUTE_PGM_RSRC2:TGID_X_EN: 1
; COMPUTE_PGM_RSRC2:TGID_Y_EN: 0
; COMPUTE_PGM_RSRC2:TGID_Z_EN: 0
; COMPUTE_PGM_RSRC2:TIDIG_COMP_CNT: 0
; COMPUTE_PGM_RSRC3_GFX90A:ACCUM_OFFSET: 5
; COMPUTE_PGM_RSRC3_GFX90A:TG_SPLIT: 0
	.section	.text._ZL23rocblas_gemvt_sn_kernelILb0ELi256ELi4EiDF16_PKffEviiT4_lPKT3_lilS5_lilPT5_i,"axG",@progbits,_ZL23rocblas_gemvt_sn_kernelILb0ELi256ELi4EiDF16_PKffEviiT4_lPKT3_lilS5_lilPT5_i,comdat
	.globl	_ZL23rocblas_gemvt_sn_kernelILb0ELi256ELi4EiDF16_PKffEviiT4_lPKT3_lilS5_lilPT5_i ; -- Begin function _ZL23rocblas_gemvt_sn_kernelILb0ELi256ELi4EiDF16_PKffEviiT4_lPKT3_lilS5_lilPT5_i
	.p2align	8
	.type	_ZL23rocblas_gemvt_sn_kernelILb0ELi256ELi4EiDF16_PKffEviiT4_lPKT3_lilS5_lilPT5_i,@function
_ZL23rocblas_gemvt_sn_kernelILb0ELi256ELi4EiDF16_PKffEviiT4_lPKT3_lilS5_lilPT5_i: ; @_ZL23rocblas_gemvt_sn_kernelILb0ELi256ELi4EiDF16_PKffEviiT4_lPKT3_lilS5_lilPT5_i
; %bb.0:
	s_load_dwordx8 s[20:27], s[0:1], 0x8
	s_load_dwordx2 s[28:29], s[0:1], 0x0
	s_mov_b32 s6, s3
	s_mov_b32 s31, 0
	s_waitcnt lgkmcnt(0)
	s_mul_i32 s3, s3, s23
	s_mul_hi_u32 s4, s6, s22
	s_add_i32 s5, s4, s3
	s_mul_i32 s4, s6, s22
	s_lshl_b64 s[4:5], s[4:5], 2
	s_add_u32 s4, s20, s4
	s_addc_u32 s5, s21, s5
	s_load_dword s33, s[4:5], 0x0
	s_load_dwordx4 s[8:11], s[0:1], 0x50
	s_load_dword s30, s[0:1], 0x68
	s_ashr_i32 s7, s29, 31
	s_mul_hi_u32 s3, s29, s6
	s_mul_i32 s4, s7, s6
	s_add_i32 s13, s3, s4
	s_mul_i32 s12, s29, s6
	s_waitcnt lgkmcnt(0)
	s_mul_i32 s3, s13, s30
	s_mul_hi_u32 s4, s12, s30
	s_add_i32 s5, s4, s3
	s_mul_i32 s4, s12, s30
	s_lshl_b64 s[4:5], s[4:5], 2
	s_add_u32 s55, s10, s4
	s_addc_u32 s56, s11, s5
	v_cmp_neq_f32_e64 s[4:5], s33, 0
	s_and_b64 vcc, exec, s[4:5]
	v_cmp_eq_u32_e64 s[4:5], 0, v0
	s_cbranch_vccnz .LBB396_10
; %bb.1:
	s_cmp_gt_i32 s29, 0
	s_cselect_b64 s[14:15], -1, 0
	s_and_b64 s[14:15], s[4:5], s[14:15]
	s_and_saveexec_b64 s[4:5], s[14:15]
	s_cbranch_execz .LBB396_9
; %bb.2:
	s_cmp_gt_u32 s29, 1
	s_cselect_b64 s[14:15], -1, 0
	s_cmp_eq_u32 s30, 1
	s_cselect_b64 s[18:19], -1, 0
	s_mov_b32 s3, 0
	s_and_b64 s[14:15], s[14:15], s[18:19]
	s_mov_b64 s[16:17], -1
	s_andn2_b64 vcc, exec, s[14:15]
	s_mov_b32 s14, s3
	s_cbranch_vccnz .LBB396_6
; %bb.3:
	s_lshl_b64 s[14:15], s[2:3], 2
	s_add_u32 s16, s55, s14
	s_addc_u32 s17, s56, s15
	s_and_b32 s14, s29, 0x7ffffffe
	v_mov_b32_e32 v2, 0
	v_mov_b32_e32 v3, v2
	s_mov_b32 s15, s14
.LBB396_4:                              ; =>This Inner Loop Header: Depth=1
	global_store_dwordx2 v2, v[2:3], s[16:17]
	s_add_u32 s16, s16, 8
	s_addc_u32 s17, s17, 0
	s_add_i32 s15, s15, -2
	s_cmp_lg_u32 s15, 0
	s_cbranch_scc1 .LBB396_4
; %bb.5:
	s_cmp_lg_u32 s14, s29
	s_cselect_b64 s[16:17], -1, 0
.LBB396_6:
	s_and_b64 vcc, exec, s[16:17]
	s_cbranch_vccz .LBB396_9
; %bb.7:
	s_mov_b32 s15, 0
	s_sub_i32 s16, s29, s14
	s_lshl_b64 s[12:13], s[12:13], 2
	s_lshl_b64 s[14:15], s[14:15], 2
	s_add_u32 s12, s12, s14
	s_addc_u32 s13, s13, s15
	s_mul_i32 s13, s13, s30
	s_mul_hi_u32 s14, s12, s30
	s_add_i32 s14, s14, s13
	s_mul_i32 s15, s12, s30
	s_lshl_b64 s[12:13], s[2:3], 2
	s_add_u32 s3, s15, s12
	s_addc_u32 s12, s14, s13
	s_add_u32 s10, s10, s3
	s_addc_u32 s11, s11, s12
	s_lshl_b64 s[12:13], s[30:31], 2
	v_mov_b32_e32 v1, 0
.LBB396_8:                              ; =>This Inner Loop Header: Depth=1
	s_add_i32 s16, s16, -1
	global_store_dword v1, v1, s[10:11]
	s_add_u32 s10, s10, s12
	s_addc_u32 s11, s11, s13
	s_cmp_eq_u32 s16, 0
	s_cbranch_scc0 .LBB396_8
.LBB396_9:
	s_or_b64 exec, exec, s[4:5]
	s_cbranch_execz .LBB396_11
	s_branch .LBB396_84
.LBB396_10:
.LBB396_11:
	s_load_dword s22, s[0:1], 0x28
	s_load_dwordx4 s[12:15], s[0:1], 0x30
	s_load_dwordx2 s[4:5], s[0:1], 0x40
	s_load_dword s31, s[0:1], 0x48
	s_mul_i32 s0, s6, s9
	s_mul_hi_u32 s1, s6, s8
	s_add_i32 s1, s1, s0
	s_mul_i32 s0, s6, s8
	s_lshl_b64 s[0:1], s[0:1], 1
	s_waitcnt lgkmcnt(0)
	s_add_u32 s3, s14, s0
	s_addc_u32 s8, s15, s1
	s_lshl_b64 s[0:1], s[4:5], 1
	s_add_u32 s34, s3, s0
	s_addc_u32 s35, s8, s1
	s_mul_i32 s0, s6, s13
	s_mul_hi_u32 s1, s6, s12
	s_add_i32 s1, s1, s0
	s_mul_i32 s0, s6, s12
	s_lshl_b64 s[36:37], s[0:1], 1
	s_add_u32 s0, s24, s36
	s_addc_u32 s1, s25, s37
	s_lshl_b64 s[26:27], s[26:27], 1
	s_add_u32 s0, s0, s26
	s_addc_u32 s1, s1, s27
	s_lshl_b32 s3, s2, 10
	v_lshl_or_b32 v10, v0, 2, s3
	v_ashrrev_i32_e32 v11, 31, v10
	v_lshl_add_u64 v[6:7], v[10:11], 1, s[0:1]
	s_lshr_b32 s0, s7, 30
	s_add_i32 s0, s29, s0
	s_and_b32 s3, s0, -4
	s_ashr_i32 s0, s28, 31
	s_lshr_b32 s0, s0, 30
	s_add_i32 s0, s28, s0
	s_and_b32 s0, s0, -4
	s_sub_i32 s54, s28, s0
	s_cmp_lt_i32 s3, 1
	v_add_u32_e32 v27, 4, v10
	v_add_u32_e32 v28, s54, v10
	v_and_b32_e32 v1, 63, v0
	v_cmp_gt_u32_e64 s[0:1], 64, v0
	v_mbcnt_lo_u32_b32 v26, -1, 0
	v_cmp_gt_u32_e64 s[4:5], 4, v0
	v_lshrrev_b32_e32 v9, 4, v0
	v_mul_lo_u32 v8, v10, s31
	s_cbranch_scc1 .LBB396_59
; %bb.12:
	v_mbcnt_hi_u32_b32 v2, -1, v26
	v_and_b32_e32 v3, 63, v2
	v_cmp_gt_u32_e32 vcc, 32, v3
	v_mul_lo_u32 v12, v10, s31
	s_cmp_gt_i32 s54, 0
	v_cndmask_b32_e64 v4, 0, 1, vcc
	v_lshlrev_b32_e32 v4, 5, v4
	v_cmp_gt_u32_e32 vcc, 48, v3
	v_add_lshl_u32 v29, v4, v2, 2
	s_cselect_b64 s[40:41], -1, 0
	v_cndmask_b32_e64 v4, 0, 1, vcc
	v_lshlrev_b32_e32 v4, 4, v4
	v_cmp_gt_u32_e32 vcc, 56, v3
	v_add_lshl_u32 v30, v4, v2, 2
	s_lshl_b32 s57, s22, 2
	v_cndmask_b32_e64 v4, 0, 1, vcc
	v_lshlrev_b32_e32 v4, 3, v4
	v_cmp_gt_u32_e32 vcc, 60, v3
	v_add_lshl_u32 v31, v4, v2, 2
	s_lshl_b32 s38, s22, 1
	v_cndmask_b32_e64 v4, 0, 1, vcc
	v_lshlrev_b32_e32 v4, 2, v4
	v_cmp_gt_u32_e32 vcc, 62, v3
	v_add_lshl_u32 v32, v4, v2, 2
	s_add_u32 s14, s36, s26
	v_cndmask_b32_e64 v4, 0, 1, vcc
	v_lshlrev_b32_e32 v4, 1, v4
	v_cmp_ne_u32_e32 vcc, 63, v3
	v_add_lshl_u32 v33, v4, v2, 2
	s_addc_u32 s15, s37, s27
	v_addc_co_u32_e32 v2, vcc, 0, v2, vcc
	v_lshlrev_b32_e32 v34, 2, v2
	v_add_u32_e32 v2, s31, v12
	v_ashrrev_i32_e32 v3, 31, v2
	v_lshl_add_u64 v[16:17], v[2:3], 1, s[34:35]
	v_add_u32_e32 v2, s31, v2
	v_ashrrev_i32_e32 v3, 31, v2
	s_mov_b32 s39, 0
	v_lshl_add_u64 v[18:19], v[2:3], 1, s[34:35]
	v_add_u32_e32 v2, s31, v2
	s_add_u32 s14, s24, s14
	v_ashrrev_i32_e32 v13, 31, v12
	v_ashrrev_i32_e32 v3, 31, v2
	s_mov_b32 s23, s39
	s_addc_u32 s15, s25, s15
	v_cmp_ge_i32_e64 s[6:7], s28, v27
	v_cmp_ge_i32_e64 s[8:9], s28, v28
	v_cmp_eq_u32_e64 s[10:11], 0, v1
	v_lshlrev_b32_e32 v35, 2, v1
	v_and_b32_e32 v36, 12, v9
	v_cmp_eq_u32_e64 s[12:13], 0, v0
	v_lshl_add_u64 v[14:15], v[12:13], 1, s[34:35]
	v_lshl_add_u64 v[20:21], v[2:3], 1, s[34:35]
	s_mul_i32 s58, s22, 3
	s_mov_b32 s59, s39
	v_lshl_add_u64 v[22:23], v[10:11], 1, s[14:15]
	v_mov_b32_e32 v13, 0
	s_mov_b32 s42, s39
	s_mov_b64 s[44:45], s[38:39]
	s_mov_b64 s[46:47], s[22:23]
	s_mov_b32 s23, 0
                                        ; implicit-def: $vgpr2_vgpr3_vgpr4_vgpr5
	s_branch .LBB396_14
.LBB396_13:                             ;   in Loop: Header=BB396_14 Depth=1
	s_or_b64 exec, exec, s[14:15]
	s_add_i32 s23, s23, 4
	s_add_u32 s46, s46, s57
	s_addc_u32 s47, s47, 0
	s_add_u32 s44, s44, s57
	s_addc_u32 s45, s45, 0
	;; [unrolled: 2-line block ×3, first 2 shown]
	s_add_i32 s42, s42, s57
	s_cmp_ge_i32 s23, s3
	s_cbranch_scc1 .LBB396_60
.LBB396_14:                             ; =>This Loop Header: Depth=1
                                        ;     Child Loop BB396_45 Depth 2
                                        ;     Child Loop BB396_48 Depth 2
                                        ; implicit-def: $vgpr37
                                        ; implicit-def: $vgpr38
                                        ; implicit-def: $vgpr39
                                        ; implicit-def: $vgpr40
	s_and_saveexec_b64 s[14:15], s[6:7]
	s_xor_b64 s[14:15], exec, s[14:15]
	s_cbranch_execnz .LBB396_41
; %bb.15:                               ;   in Loop: Header=BB396_14 Depth=1
	s_andn2_saveexec_b64 s[48:49], s[14:15]
	s_cbranch_execnz .LBB396_42
.LBB396_16:                             ;   in Loop: Header=BB396_14 Depth=1
	s_or_b64 exec, exec, s[48:49]
	s_and_saveexec_b64 s[14:15], s[0:1]
	s_cbranch_execz .LBB396_18
.LBB396_17:                             ;   in Loop: Header=BB396_14 Depth=1
	ds_write_b32 v35, v13
.LBB396_18:                             ;   in Loop: Header=BB396_14 Depth=1
	s_or_b64 exec, exec, s[14:15]
	ds_bpermute_b32 v24, v29, v40
	s_waitcnt lgkmcnt(0)
	s_barrier
	v_add_f32_e32 v24, v40, v24
	ds_bpermute_b32 v25, v30, v24
	s_waitcnt lgkmcnt(0)
	v_add_f32_e32 v24, v24, v25
	ds_bpermute_b32 v25, v31, v24
	s_waitcnt lgkmcnt(0)
	;; [unrolled: 3-line block ×4, first 2 shown]
	v_add_f32_e32 v24, v24, v25
	ds_bpermute_b32 v25, v34, v24
	s_and_saveexec_b64 s[14:15], s[10:11]
	s_cbranch_execz .LBB396_20
; %bb.19:                               ;   in Loop: Header=BB396_14 Depth=1
	s_waitcnt lgkmcnt(0)
	v_add_f32_e32 v24, v24, v25
	ds_write_b32 v36, v24
.LBB396_20:                             ;   in Loop: Header=BB396_14 Depth=1
	s_or_b64 exec, exec, s[14:15]
	v_mov_b32_e32 v24, 0
	s_waitcnt lgkmcnt(0)
	s_barrier
	s_and_saveexec_b64 s[14:15], s[4:5]
	s_cbranch_execnz .LBB396_50
; %bb.21:                               ;   in Loop: Header=BB396_14 Depth=1
	s_or_b64 exec, exec, s[14:15]
	s_and_saveexec_b64 s[14:15], s[0:1]
	s_cbranch_execnz .LBB396_51
.LBB396_22:                             ;   in Loop: Header=BB396_14 Depth=1
	s_or_b64 exec, exec, s[14:15]
	s_and_saveexec_b64 s[14:15], s[0:1]
	s_cbranch_execz .LBB396_24
.LBB396_23:                             ;   in Loop: Header=BB396_14 Depth=1
	ds_write_b32 v35, v13
.LBB396_24:                             ;   in Loop: Header=BB396_14 Depth=1
	s_or_b64 exec, exec, s[14:15]
	ds_bpermute_b32 v25, v29, v39
	s_waitcnt lgkmcnt(0)
	s_barrier
	v_add_f32_e32 v25, v39, v25
	ds_bpermute_b32 v39, v30, v25
	s_waitcnt lgkmcnt(0)
	v_add_f32_e32 v25, v25, v39
	ds_bpermute_b32 v39, v31, v25
	s_waitcnt lgkmcnt(0)
	;; [unrolled: 3-line block ×4, first 2 shown]
	v_add_f32_e32 v25, v25, v39
	ds_bpermute_b32 v39, v34, v25
	s_and_saveexec_b64 s[14:15], s[10:11]
	s_cbranch_execz .LBB396_26
; %bb.25:                               ;   in Loop: Header=BB396_14 Depth=1
	s_waitcnt lgkmcnt(0)
	v_add_f32_e32 v25, v25, v39
	ds_write_b32 v36, v25
.LBB396_26:                             ;   in Loop: Header=BB396_14 Depth=1
	s_or_b64 exec, exec, s[14:15]
	v_mov_b32_e32 v25, 0
	s_waitcnt lgkmcnt(0)
	s_barrier
	s_and_saveexec_b64 s[14:15], s[4:5]
	s_cbranch_execnz .LBB396_52
; %bb.27:                               ;   in Loop: Header=BB396_14 Depth=1
	s_or_b64 exec, exec, s[14:15]
	s_and_saveexec_b64 s[14:15], s[0:1]
	s_cbranch_execnz .LBB396_53
.LBB396_28:                             ;   in Loop: Header=BB396_14 Depth=1
	s_or_b64 exec, exec, s[14:15]
	s_and_saveexec_b64 s[14:15], s[0:1]
	s_cbranch_execz .LBB396_30
.LBB396_29:                             ;   in Loop: Header=BB396_14 Depth=1
	ds_write_b32 v35, v13
.LBB396_30:                             ;   in Loop: Header=BB396_14 Depth=1
	s_or_b64 exec, exec, s[14:15]
	ds_bpermute_b32 v39, v29, v38
	s_waitcnt lgkmcnt(0)
	s_barrier
	v_add_f32_e32 v38, v38, v39
	ds_bpermute_b32 v39, v30, v38
	s_waitcnt lgkmcnt(0)
	v_add_f32_e32 v38, v38, v39
	ds_bpermute_b32 v39, v31, v38
	s_waitcnt lgkmcnt(0)
	;; [unrolled: 3-line block ×4, first 2 shown]
	v_add_f32_e32 v38, v38, v39
	ds_bpermute_b32 v39, v34, v38
	s_and_saveexec_b64 s[14:15], s[10:11]
	s_cbranch_execz .LBB396_32
; %bb.31:                               ;   in Loop: Header=BB396_14 Depth=1
	s_waitcnt lgkmcnt(0)
	v_add_f32_e32 v38, v38, v39
	ds_write_b32 v36, v38
.LBB396_32:                             ;   in Loop: Header=BB396_14 Depth=1
	s_or_b64 exec, exec, s[14:15]
	v_mov_b32_e32 v38, 0
	s_waitcnt lgkmcnt(0)
	s_barrier
	s_and_saveexec_b64 s[14:15], s[4:5]
	s_cbranch_execnz .LBB396_54
; %bb.33:                               ;   in Loop: Header=BB396_14 Depth=1
	s_or_b64 exec, exec, s[14:15]
	s_and_saveexec_b64 s[14:15], s[0:1]
	s_cbranch_execnz .LBB396_55
.LBB396_34:                             ;   in Loop: Header=BB396_14 Depth=1
	s_or_b64 exec, exec, s[14:15]
	s_and_saveexec_b64 s[14:15], s[0:1]
	s_cbranch_execz .LBB396_36
.LBB396_35:                             ;   in Loop: Header=BB396_14 Depth=1
	ds_write_b32 v35, v13
.LBB396_36:                             ;   in Loop: Header=BB396_14 Depth=1
	s_or_b64 exec, exec, s[14:15]
	ds_bpermute_b32 v39, v29, v37
	s_waitcnt lgkmcnt(0)
	s_barrier
	v_add_f32_e32 v37, v37, v39
	ds_bpermute_b32 v39, v30, v37
	s_waitcnt lgkmcnt(0)
	v_add_f32_e32 v37, v37, v39
	ds_bpermute_b32 v39, v31, v37
	s_waitcnt lgkmcnt(0)
	;; [unrolled: 3-line block ×4, first 2 shown]
	v_add_f32_e32 v37, v37, v39
	ds_bpermute_b32 v39, v34, v37
	s_and_saveexec_b64 s[14:15], s[10:11]
	s_cbranch_execz .LBB396_38
; %bb.37:                               ;   in Loop: Header=BB396_14 Depth=1
	s_waitcnt lgkmcnt(0)
	v_add_f32_e32 v37, v37, v39
	ds_write_b32 v36, v37
.LBB396_38:                             ;   in Loop: Header=BB396_14 Depth=1
	s_or_b64 exec, exec, s[14:15]
	v_mov_b32_e32 v37, 0
	s_waitcnt lgkmcnt(0)
	s_barrier
	s_and_saveexec_b64 s[14:15], s[4:5]
	s_cbranch_execnz .LBB396_56
; %bb.39:                               ;   in Loop: Header=BB396_14 Depth=1
	s_or_b64 exec, exec, s[14:15]
	s_and_saveexec_b64 s[14:15], s[0:1]
	s_cbranch_execnz .LBB396_57
.LBB396_40:                             ;   in Loop: Header=BB396_14 Depth=1
	s_or_b64 exec, exec, s[14:15]
	s_and_saveexec_b64 s[14:15], s[12:13]
	s_cbranch_execz .LBB396_13
	s_branch .LBB396_58
.LBB396_41:                             ;   in Loop: Header=BB396_14 Depth=1
	s_mul_i32 s16, s23, s22
	s_ashr_i32 s17, s16, 31
	v_lshl_add_u64 v[2:3], s[16:17], 1, v[6:7]
	s_add_i32 s16, s16, s22
	s_ashr_i32 s17, s16, 31
	v_lshl_add_u64 v[4:5], s[16:17], 1, v[6:7]
	s_add_i32 s16, s16, s22
	;; [unrolled: 3-line block ×3, first 2 shown]
	s_ashr_i32 s17, s16, 31
	s_waitcnt lgkmcnt(0)
	global_load_ushort v37, v[14:15], off
	global_load_ushort v44, v[16:17], off
	;; [unrolled: 1-line block ×4, first 2 shown]
	global_load_dwordx2 v[38:39], v[2:3], off
	global_load_dwordx2 v[40:41], v[4:5], off
	v_lshl_add_u64 v[2:3], s[16:17], 1, v[6:7]
	global_load_dwordx2 v[24:25], v[24:25], off
	s_waitcnt vmcnt(4)
	v_cvt_f32_f16_e32 v4, v45
	global_load_dwordx2 v[42:43], v[2:3], off
	s_waitcnt vmcnt(3)
	v_fma_mix_f32 v47, v37, v38, 0 op_sel_hi:[1,1,0]
	v_cvt_f32_f16_e32 v2, v37
	v_cvt_f32_f16_e32 v3, v44
	;; [unrolled: 1-line block ×3, first 2 shown]
	s_waitcnt vmcnt(2)
	v_fma_mix_f32 v48, v37, v40, 0 op_sel_hi:[1,1,0]
	v_fma_mix_f32 v38, v44, v38, v47 op_sel:[0,1,0] op_sel_hi:[1,1,0]
	s_waitcnt vmcnt(1)
	v_fma_mix_f32 v47, v37, v24, 0 op_sel_hi:[1,1,0]
	v_fma_mix_f32 v40, v44, v40, v48 op_sel:[0,1,0] op_sel_hi:[1,1,0]
	v_fma_mix_f32 v24, v44, v24, v47 op_sel:[0,1,0] op_sel_hi:[1,1,0]
	v_fma_mix_f32 v38, v45, v39, v38 op_sel_hi:[1,1,0]
	v_fma_mix_f32 v47, v45, v41, v40 op_sel_hi:[1,1,0]
	;; [unrolled: 1-line block ×3, first 2 shown]
	v_fma_mix_f32 v40, v46, v39, v38 op_sel:[0,1,0] op_sel_hi:[1,1,0]
	v_fma_mix_f32 v39, v46, v41, v47 op_sel:[0,1,0] op_sel_hi:[1,1,0]
	;; [unrolled: 1-line block ×3, first 2 shown]
	s_waitcnt vmcnt(0)
	v_fma_mix_f32 v37, v37, v42, 0 op_sel_hi:[1,1,0]
	s_nop 0
	v_fma_mix_f32 v37, v44, v42, v37 op_sel:[0,1,0] op_sel_hi:[1,1,0]
	s_nop 0
	v_fma_mix_f32 v37, v45, v43, v37 op_sel_hi:[1,1,0]
	s_nop 0
	v_fma_mix_f32 v37, v46, v43, v37 op_sel:[0,1,0] op_sel_hi:[1,1,0]
	s_andn2_saveexec_b64 s[48:49], s[14:15]
	s_cbranch_execz .LBB396_16
.LBB396_42:                             ;   in Loop: Header=BB396_14 Depth=1
	s_waitcnt lgkmcnt(0)
	v_mov_b32_e32 v37, 0
	v_mov_b32_e32 v38, 0
	;; [unrolled: 1-line block ×4, first 2 shown]
	s_and_saveexec_b64 s[50:51], s[8:9]
	s_cbranch_execz .LBB396_49
; %bb.43:                               ;   in Loop: Header=BB396_14 Depth=1
	v_cndmask_b32_e64 v24, 0, 1, s[40:41]
	v_cmp_ne_u32_e64 s[14:15], 1, v24
	s_andn2_b64 vcc, exec, s[40:41]
	s_cbranch_vccnz .LBB396_46
; %bb.44:                               ;   in Loop: Header=BB396_14 Depth=1
	s_mov_b64 s[52:53], 0
	v_mov_b32_e32 v24, v12
.LBB396_45:                             ;   Parent Loop BB396_14 Depth=1
                                        ; =>  This Inner Loop Header: Depth=2
	v_ashrrev_i32_e32 v25, 31, v24
	v_lshl_add_u64 v[38:39], v[24:25], 1, s[34:35]
	global_load_ushort v25, v[38:39], off
	s_cmp_eq_u32 s52, 3
	s_cselect_b64 vcc, -1, 0
	s_cmp_eq_u32 s52, 2
	s_cselect_b64 s[16:17], -1, 0
	s_cmp_eq_u32 s52, 1
	s_cselect_b64 s[18:19], -1, 0
	;; [unrolled: 2-line block ×3, first 2 shown]
	s_add_u32 s52, s52, 1
	s_addc_u32 s53, s53, 0
	v_add_u32_e32 v24, s31, v24
	s_cmp_eq_u32 s54, s52
	s_waitcnt vmcnt(0)
	v_cvt_f32_f16_e32 v25, v25
	v_cndmask_b32_e32 v5, v5, v25, vcc
	v_cndmask_b32_e64 v4, v4, v25, s[16:17]
	v_cndmask_b32_e64 v3, v3, v25, s[18:19]
	;; [unrolled: 1-line block ×3, first 2 shown]
	s_cbranch_scc0 .LBB396_45
.LBB396_46:                             ;   in Loop: Header=BB396_14 Depth=1
	s_and_b64 vcc, exec, s[14:15]
	v_mov_b32_e32 v37, 0
	v_mov_b32_e32 v38, 0
	;; [unrolled: 1-line block ×4, first 2 shown]
	s_cbranch_vccnz .LBB396_49
; %bb.47:                               ;   in Loop: Header=BB396_14 Depth=1
	s_ashr_i32 s43, s42, 31
	v_lshl_add_u64 v[24:25], s[42:43], 1, v[22:23]
	s_mov_b64 s[14:15], 0
	v_mov_b32_e32 v40, 0
	v_mov_b32_e32 v39, 0
	;; [unrolled: 1-line block ×4, first 2 shown]
.LBB396_48:                             ;   Parent Loop BB396_14 Depth=1
                                        ; =>  This Inner Loop Header: Depth=2
	s_cmp_eq_u32 s14, 1
	s_cselect_b64 vcc, -1, 0
	s_cmp_eq_u32 s14, 2
	v_cndmask_b32_e32 v42, v2, v3, vcc
	s_cselect_b64 vcc, -1, 0
	s_cmp_eq_u32 s14, 3
	v_cndmask_b32_e32 v48, v42, v4, vcc
	s_cselect_b64 vcc, -1, 0
	s_add_i32 s16, s46, s14
	s_add_i32 s18, s44, s14
	;; [unrolled: 1-line block ×3, first 2 shown]
	s_ashr_i32 s17, s16, 31
	s_ashr_i32 s19, s18, 31
	;; [unrolled: 1-line block ×3, first 2 shown]
	v_lshl_add_u64 v[42:43], s[16:17], 1, v[6:7]
	v_lshl_add_u64 v[44:45], s[18:19], 1, v[6:7]
	global_load_ushort v41, v[24:25], off
	v_lshl_add_u64 v[46:47], s[20:21], 1, v[6:7]
	global_load_ushort v42, v[42:43], off
	s_nop 0
	global_load_ushort v43, v[44:45], off
	s_nop 0
	global_load_ushort v44, v[46:47], off
	s_add_u32 s14, s14, 1
	v_cndmask_b32_e32 v45, v48, v5, vcc
	s_addc_u32 s15, s15, 0
	v_lshl_add_u64 v[24:25], v[24:25], 0, 2
	s_cmp_lg_u32 s54, s14
	s_waitcnt vmcnt(3)
	v_fma_mix_f32 v40, v45, v41, v40 op_sel_hi:[0,1,0]
	s_waitcnt vmcnt(2)
	v_fma_mix_f32 v39, v45, v42, v39 op_sel_hi:[0,1,0]
	;; [unrolled: 2-line block ×4, first 2 shown]
	s_cbranch_scc1 .LBB396_48
.LBB396_49:                             ;   in Loop: Header=BB396_14 Depth=1
	s_or_b64 exec, exec, s[50:51]
	s_or_b64 exec, exec, s[48:49]
	s_and_saveexec_b64 s[14:15], s[0:1]
	s_cbranch_execnz .LBB396_17
	s_branch .LBB396_18
.LBB396_50:                             ;   in Loop: Header=BB396_14 Depth=1
	ds_read_b32 v24, v35
	s_or_b64 exec, exec, s[14:15]
	s_and_saveexec_b64 s[14:15], s[0:1]
	s_cbranch_execz .LBB396_22
.LBB396_51:                             ;   in Loop: Header=BB396_14 Depth=1
	s_waitcnt lgkmcnt(0)
	ds_bpermute_b32 v25, v33, v24
	s_waitcnt lgkmcnt(0)
	v_add_f32_e32 v24, v24, v25
	ds_bpermute_b32 v25, v34, v24
	s_waitcnt lgkmcnt(0)
	v_add_f32_e32 v24, v24, v25
	s_or_b64 exec, exec, s[14:15]
	s_and_saveexec_b64 s[14:15], s[0:1]
	s_cbranch_execnz .LBB396_23
	s_branch .LBB396_24
.LBB396_52:                             ;   in Loop: Header=BB396_14 Depth=1
	ds_read_b32 v25, v35
	s_or_b64 exec, exec, s[14:15]
	s_and_saveexec_b64 s[14:15], s[0:1]
	s_cbranch_execz .LBB396_28
.LBB396_53:                             ;   in Loop: Header=BB396_14 Depth=1
	s_waitcnt lgkmcnt(0)
	ds_bpermute_b32 v39, v33, v25
	s_waitcnt lgkmcnt(0)
	v_add_f32_e32 v25, v25, v39
	ds_bpermute_b32 v39, v34, v25
	s_waitcnt lgkmcnt(0)
	v_add_f32_e32 v25, v25, v39
	s_or_b64 exec, exec, s[14:15]
	s_and_saveexec_b64 s[14:15], s[0:1]
	s_cbranch_execnz .LBB396_29
	s_branch .LBB396_30
.LBB396_54:                             ;   in Loop: Header=BB396_14 Depth=1
	ds_read_b32 v38, v35
	s_or_b64 exec, exec, s[14:15]
	s_and_saveexec_b64 s[14:15], s[0:1]
	s_cbranch_execz .LBB396_34
.LBB396_55:                             ;   in Loop: Header=BB396_14 Depth=1
	s_waitcnt lgkmcnt(0)
	ds_bpermute_b32 v39, v33, v38
	s_waitcnt lgkmcnt(0)
	v_add_f32_e32 v38, v38, v39
	ds_bpermute_b32 v39, v34, v38
	s_waitcnt lgkmcnt(0)
	v_add_f32_e32 v38, v38, v39
	s_or_b64 exec, exec, s[14:15]
	s_and_saveexec_b64 s[14:15], s[0:1]
	s_cbranch_execnz .LBB396_35
	s_branch .LBB396_36
.LBB396_56:                             ;   in Loop: Header=BB396_14 Depth=1
	ds_read_b32 v37, v35
	s_or_b64 exec, exec, s[14:15]
	s_and_saveexec_b64 s[14:15], s[0:1]
	s_cbranch_execz .LBB396_40
.LBB396_57:                             ;   in Loop: Header=BB396_14 Depth=1
	s_waitcnt lgkmcnt(0)
	ds_bpermute_b32 v39, v33, v37
	s_waitcnt lgkmcnt(0)
	v_add_f32_e32 v37, v37, v39
	ds_bpermute_b32 v39, v34, v37
	s_waitcnt lgkmcnt(0)
	v_add_f32_e32 v37, v37, v39
	s_or_b64 exec, exec, s[14:15]
	s_and_saveexec_b64 s[14:15], s[12:13]
	s_cbranch_execz .LBB396_13
.LBB396_58:                             ;   in Loop: Header=BB396_14 Depth=1
	s_mul_i32 s16, s23, s30
	s_add_i32 s38, s16, s2
	s_lshl_b64 s[16:17], s[38:39], 2
	s_add_u32 s16, s55, s16
	v_mul_f32_e32 v24, s33, v24
	s_addc_u32 s17, s56, s17
	s_add_i32 s38, s38, s30
	global_store_dword v13, v24, s[16:17]
	s_lshl_b64 s[16:17], s[38:39], 2
	s_add_u32 s16, s55, s16
	v_mul_f32_e32 v24, s33, v25
	s_addc_u32 s17, s56, s17
	s_add_i32 s38, s38, s30
	global_store_dword v13, v24, s[16:17]
	;; [unrolled: 6-line block ×3, first 2 shown]
	s_lshl_b64 s[16:17], s[38:39], 2
	s_add_u32 s16, s55, s16
	s_waitcnt lgkmcnt(0)
	v_mul_f32_e32 v24, s33, v37
	s_addc_u32 s17, s56, s17
	global_store_dword v13, v24, s[16:17]
	s_branch .LBB396_13
.LBB396_59:
	s_mov_b32 s23, 0
                                        ; implicit-def: $vgpr2_vgpr3_vgpr4_vgpr5
.LBB396_60:
	s_cmp_ge_i32 s23, s29
	s_cbranch_scc1 .LBB396_84
; %bb.61:
	v_mbcnt_hi_u32_b32 v12, -1, v26
	v_and_b32_e32 v13, 63, v12
	v_cmp_gt_u32_e32 vcc, 32, v13
	s_mov_b32 s3, 0
	s_cmp_gt_i32 s54, 0
	v_cndmask_b32_e64 v14, 0, 1, vcc
	v_lshlrev_b32_e32 v14, 5, v14
	v_cmp_gt_u32_e32 vcc, 48, v13
	v_add_lshl_u32 v23, v14, v12, 2
	s_cselect_b64 s[38:39], -1, 0
	v_cndmask_b32_e64 v14, 0, 1, vcc
	v_lshlrev_b32_e32 v14, 4, v14
	v_cmp_gt_u32_e32 vcc, 56, v13
	v_add_lshl_u32 v24, v14, v12, 2
	s_lshl_b64 s[14:15], s[2:3], 2
	v_cndmask_b32_e64 v14, 0, 1, vcc
	v_lshlrev_b32_e32 v14, 3, v14
	v_cmp_gt_u32_e32 vcc, 60, v13
	v_add_lshl_u32 v25, v14, v12, 2
	s_add_u32 s2, s55, s14
	v_cndmask_b32_e64 v14, 0, 1, vcc
	v_cmp_ge_i32_e64 s[0:1], s28, v27
	v_cmp_ge_i32_e64 s[4:5], s28, v28
	v_lshlrev_b32_e32 v14, 2, v14
	v_cmp_gt_u32_e32 vcc, 62, v13
	s_addc_u32 s28, s56, s15
	v_add_u32_e32 v16, s31, v8
	v_add_lshl_u32 v26, v14, v12, 2
	v_cndmask_b32_e64 v14, 0, 1, vcc
	v_add_u32_e32 v18, s31, v16
	s_add_u32 s14, s36, s26
	v_lshlrev_b32_e32 v14, 1, v14
	v_ashrrev_i32_e32 v17, 31, v16
	v_ashrrev_i32_e32 v19, 31, v18
	s_addc_u32 s15, s37, s27
	v_add_lshl_u32 v27, v14, v12, 2
	v_cmp_ne_u32_e32 vcc, 63, v13
	v_lshl_add_u64 v[14:15], v[16:17], 1, s[34:35]
	v_lshl_add_u64 v[16:17], v[18:19], 1, s[34:35]
	v_add_u32_e32 v18, s31, v18
	s_add_u32 s14, s24, s14
	v_lshlrev_b32_e32 v22, 2, v1
	v_addc_co_u32_e32 v12, vcc, 0, v12, vcc
	v_cmp_eq_u32_e64 s[8:9], 0, v1
	v_and_b32_e32 v1, 12, v9
	v_ashrrev_i32_e32 v9, 31, v8
	v_ashrrev_i32_e32 v19, 31, v18
	s_addc_u32 s15, s25, s15
	v_cmp_gt_u32_e64 s[6:7], 64, v0
	v_lshlrev_b32_e32 v28, 2, v12
	v_cmp_gt_u32_e64 s[10:11], 4, v0
	v_cmp_eq_u32_e64 s[12:13], 0, v0
	v_lshl_add_u64 v[12:13], v[8:9], 1, s[34:35]
	v_lshl_add_u64 v[18:19], v[18:19], 1, s[34:35]
	;; [unrolled: 1-line block ×3, first 2 shown]
	s_mul_i32 s24, s23, s22
	v_mov_b32_e32 v9, 0
	s_branch .LBB396_63
.LBB396_62:                             ;   in Loop: Header=BB396_63 Depth=1
	s_or_b64 exec, exec, s[14:15]
	s_add_i32 s23, s23, 1
	s_add_i32 s24, s24, s22
	s_cmp_ge_i32 s23, s29
	s_cbranch_scc1 .LBB396_84
.LBB396_63:                             ; =>This Loop Header: Depth=1
                                        ;     Child Loop BB396_76 Depth 2
                                        ;     Child Loop BB396_79 Depth 2
	s_waitcnt lgkmcnt(0)
	v_mov_b32_e32 v0, s3
	s_and_saveexec_b64 s[14:15], s[0:1]
	s_xor_b64 s[14:15], exec, s[14:15]
	s_cbranch_execnz .LBB396_72
; %bb.64:                               ;   in Loop: Header=BB396_63 Depth=1
	s_andn2_saveexec_b64 s[26:27], s[14:15]
	s_cbranch_execnz .LBB396_73
.LBB396_65:                             ;   in Loop: Header=BB396_63 Depth=1
	s_or_b64 exec, exec, s[26:27]
	s_and_saveexec_b64 s[14:15], s[6:7]
	s_cbranch_execz .LBB396_67
.LBB396_66:                             ;   in Loop: Header=BB396_63 Depth=1
	ds_write_b32 v22, v9
.LBB396_67:                             ;   in Loop: Header=BB396_63 Depth=1
	s_or_b64 exec, exec, s[14:15]
	ds_bpermute_b32 v20, v23, v0
	s_waitcnt lgkmcnt(0)
	s_barrier
	v_add_f32_e32 v0, v0, v20
	ds_bpermute_b32 v20, v24, v0
	s_waitcnt lgkmcnt(0)
	v_add_f32_e32 v0, v0, v20
	ds_bpermute_b32 v20, v25, v0
	s_waitcnt lgkmcnt(0)
	;; [unrolled: 3-line block ×4, first 2 shown]
	v_add_f32_e32 v0, v0, v20
	ds_bpermute_b32 v20, v28, v0
	s_and_saveexec_b64 s[14:15], s[8:9]
	s_cbranch_execz .LBB396_69
; %bb.68:                               ;   in Loop: Header=BB396_63 Depth=1
	s_waitcnt lgkmcnt(0)
	v_add_f32_e32 v0, v0, v20
	ds_write_b32 v1, v0
.LBB396_69:                             ;   in Loop: Header=BB396_63 Depth=1
	s_or_b64 exec, exec, s[14:15]
	v_mov_b32_e32 v0, 0
	s_waitcnt lgkmcnt(0)
	s_barrier
	s_and_saveexec_b64 s[14:15], s[10:11]
	s_cbranch_execnz .LBB396_81
; %bb.70:                               ;   in Loop: Header=BB396_63 Depth=1
	s_or_b64 exec, exec, s[14:15]
	s_and_saveexec_b64 s[14:15], s[6:7]
	s_cbranch_execnz .LBB396_82
.LBB396_71:                             ;   in Loop: Header=BB396_63 Depth=1
	s_or_b64 exec, exec, s[14:15]
	s_and_saveexec_b64 s[14:15], s[12:13]
	s_cbranch_execz .LBB396_62
	s_branch .LBB396_83
.LBB396_72:                             ;   in Loop: Header=BB396_63 Depth=1
	s_mul_i32 s16, s23, s22
	s_ashr_i32 s17, s16, 31
	global_load_ushort v0, v[18:19], off
	global_load_ushort v4, v[12:13], off
	;; [unrolled: 1-line block ×3, first 2 shown]
	v_lshl_add_u64 v[2:3], s[16:17], 1, v[6:7]
	global_load_dwordx2 v[20:21], v[2:3], off
	global_load_ushort v29, v[16:17], off
	s_waitcnt vmcnt(3)
	v_cvt_f32_f16_e32 v2, v4
	s_waitcnt vmcnt(2)
	v_cvt_f32_f16_e32 v3, v5
	;; [unrolled: 2-line block ×3, first 2 shown]
	v_cvt_f32_f16_sdwa v31, v20 dst_sel:DWORD dst_unused:UNUSED_PAD src0_sel:WORD_1
	v_cvt_f32_f16_e32 v5, v0
	s_waitcnt vmcnt(0)
	v_cvt_f32_f16_e32 v4, v29
	v_cvt_f32_f16_e32 v20, v21
	v_cvt_f32_f16_sdwa v21, v21 dst_sel:DWORD dst_unused:UNUSED_PAD src0_sel:WORD_1
	v_pk_mul_f32 v[30:31], v[2:3], v[30:31]
	v_pk_mul_f32 v[20:21], v[4:5], v[20:21]
	v_add_f32_e32 v0, 0, v30
	v_add_f32_e32 v0, v0, v31
	;; [unrolled: 1-line block ×4, first 2 shown]
	s_andn2_saveexec_b64 s[26:27], s[14:15]
	s_cbranch_execz .LBB396_65
.LBB396_73:                             ;   in Loop: Header=BB396_63 Depth=1
	s_and_saveexec_b64 s[36:37], s[4:5]
	s_cbranch_execz .LBB396_80
; %bb.74:                               ;   in Loop: Header=BB396_63 Depth=1
	v_cndmask_b32_e64 v20, 0, 1, s[38:39]
	v_cmp_ne_u32_e64 s[14:15], 1, v20
	s_andn2_b64 vcc, exec, s[38:39]
	s_cbranch_vccnz .LBB396_77
; %bb.75:                               ;   in Loop: Header=BB396_63 Depth=1
	s_mov_b64 s[40:41], 0
	v_mov_b32_e32 v20, v8
.LBB396_76:                             ;   Parent Loop BB396_63 Depth=1
                                        ; =>  This Inner Loop Header: Depth=2
	v_ashrrev_i32_e32 v21, 31, v20
	v_lshl_add_u64 v[30:31], v[20:21], 1, s[34:35]
	global_load_ushort v21, v[30:31], off
	s_cmp_eq_u32 s40, 3
	s_cselect_b64 vcc, -1, 0
	s_cmp_eq_u32 s40, 2
	s_cselect_b64 s[16:17], -1, 0
	s_cmp_eq_u32 s40, 1
	s_cselect_b64 s[18:19], -1, 0
	;; [unrolled: 2-line block ×3, first 2 shown]
	s_add_u32 s40, s40, 1
	s_addc_u32 s41, s41, 0
	v_add_u32_e32 v20, s31, v20
	s_cmp_eq_u32 s54, s40
	s_waitcnt vmcnt(0)
	v_cvt_f32_f16_e32 v21, v21
	v_cndmask_b32_e32 v5, v5, v21, vcc
	v_cndmask_b32_e64 v4, v4, v21, s[16:17]
	v_cndmask_b32_e64 v3, v3, v21, s[18:19]
	;; [unrolled: 1-line block ×3, first 2 shown]
	s_cbranch_scc0 .LBB396_76
.LBB396_77:                             ;   in Loop: Header=BB396_63 Depth=1
	s_and_b64 vcc, exec, s[14:15]
	s_cbranch_vccnz .LBB396_80
; %bb.78:                               ;   in Loop: Header=BB396_63 Depth=1
	s_ashr_i32 s25, s24, 31
	v_lshl_add_u64 v[20:21], s[24:25], 1, v[10:11]
	s_mov_b64 s[14:15], 0
.LBB396_79:                             ;   Parent Loop BB396_63 Depth=1
                                        ; =>  This Inner Loop Header: Depth=2
	global_load_ushort v29, v[20:21], off
	s_cmp_eq_u32 s14, 1
	s_cselect_b64 vcc, -1, 0
	s_cmp_eq_u32 s14, 2
	v_cndmask_b32_e32 v30, v2, v3, vcc
	s_cselect_b64 vcc, -1, 0
	s_cmp_eq_u32 s14, 3
	v_cndmask_b32_e32 v30, v30, v4, vcc
	s_cselect_b64 vcc, -1, 0
	s_add_u32 s14, s14, 1
	v_cndmask_b32_e32 v30, v30, v5, vcc
	s_addc_u32 s15, s15, 0
	v_lshl_add_u64 v[20:21], v[20:21], 0, 2
	s_cmp_lg_u32 s54, s14
	s_waitcnt vmcnt(0)
	v_fma_mix_f32 v0, v30, v29, v0 op_sel_hi:[0,1,0]
	s_cbranch_scc1 .LBB396_79
.LBB396_80:                             ;   in Loop: Header=BB396_63 Depth=1
	s_or_b64 exec, exec, s[36:37]
	s_or_b64 exec, exec, s[26:27]
	s_and_saveexec_b64 s[14:15], s[6:7]
	s_cbranch_execnz .LBB396_66
	s_branch .LBB396_67
.LBB396_81:                             ;   in Loop: Header=BB396_63 Depth=1
	ds_read_b32 v0, v22
	s_or_b64 exec, exec, s[14:15]
	s_and_saveexec_b64 s[14:15], s[6:7]
	s_cbranch_execz .LBB396_71
.LBB396_82:                             ;   in Loop: Header=BB396_63 Depth=1
	s_waitcnt lgkmcnt(0)
	ds_bpermute_b32 v20, v27, v0
	s_waitcnt lgkmcnt(0)
	v_add_f32_e32 v0, v0, v20
	ds_bpermute_b32 v20, v28, v0
	s_waitcnt lgkmcnt(0)
	v_add_f32_e32 v0, v0, v20
	s_or_b64 exec, exec, s[14:15]
	s_and_saveexec_b64 s[14:15], s[12:13]
	s_cbranch_execz .LBB396_62
.LBB396_83:                             ;   in Loop: Header=BB396_63 Depth=1
	s_mul_hi_u32 s17, s23, s30
	s_mul_i32 s16, s23, s30
	s_lshl_b64 s[16:17], s[16:17], 2
	s_add_u32 s16, s2, s16
	s_waitcnt lgkmcnt(0)
	v_mul_f32_e32 v0, s33, v0
	s_addc_u32 s17, s28, s17
	global_store_dword v9, v0, s[16:17]
	s_branch .LBB396_62
.LBB396_84:
	s_endpgm
	.section	.rodata,"a",@progbits
	.p2align	6, 0x0
	.amdhsa_kernel _ZL23rocblas_gemvt_sn_kernelILb0ELi256ELi4EiDF16_PKffEviiT4_lPKT3_lilS5_lilPT5_i
		.amdhsa_group_segment_fixed_size 256
		.amdhsa_private_segment_fixed_size 0
		.amdhsa_kernarg_size 360
		.amdhsa_user_sgpr_count 2
		.amdhsa_user_sgpr_dispatch_ptr 0
		.amdhsa_user_sgpr_queue_ptr 0
		.amdhsa_user_sgpr_kernarg_segment_ptr 1
		.amdhsa_user_sgpr_dispatch_id 0
		.amdhsa_user_sgpr_kernarg_preload_length 0
		.amdhsa_user_sgpr_kernarg_preload_offset 0
		.amdhsa_user_sgpr_private_segment_size 0
		.amdhsa_uses_dynamic_stack 0
		.amdhsa_enable_private_segment 0
		.amdhsa_system_sgpr_workgroup_id_x 1
		.amdhsa_system_sgpr_workgroup_id_y 0
		.amdhsa_system_sgpr_workgroup_id_z 1
		.amdhsa_system_sgpr_workgroup_info 0
		.amdhsa_system_vgpr_workitem_id 0
		.amdhsa_next_free_vgpr 49
		.amdhsa_next_free_sgpr 60
		.amdhsa_accum_offset 52
		.amdhsa_reserve_vcc 1
		.amdhsa_float_round_mode_32 0
		.amdhsa_float_round_mode_16_64 0
		.amdhsa_float_denorm_mode_32 3
		.amdhsa_float_denorm_mode_16_64 3
		.amdhsa_dx10_clamp 1
		.amdhsa_ieee_mode 1
		.amdhsa_fp16_overflow 0
		.amdhsa_tg_split 0
		.amdhsa_exception_fp_ieee_invalid_op 0
		.amdhsa_exception_fp_denorm_src 0
		.amdhsa_exception_fp_ieee_div_zero 0
		.amdhsa_exception_fp_ieee_overflow 0
		.amdhsa_exception_fp_ieee_underflow 0
		.amdhsa_exception_fp_ieee_inexact 0
		.amdhsa_exception_int_div_zero 0
	.end_amdhsa_kernel
	.section	.text._ZL23rocblas_gemvt_sn_kernelILb0ELi256ELi4EiDF16_PKffEviiT4_lPKT3_lilS5_lilPT5_i,"axG",@progbits,_ZL23rocblas_gemvt_sn_kernelILb0ELi256ELi4EiDF16_PKffEviiT4_lPKT3_lilS5_lilPT5_i,comdat
.Lfunc_end396:
	.size	_ZL23rocblas_gemvt_sn_kernelILb0ELi256ELi4EiDF16_PKffEviiT4_lPKT3_lilS5_lilPT5_i, .Lfunc_end396-_ZL23rocblas_gemvt_sn_kernelILb0ELi256ELi4EiDF16_PKffEviiT4_lPKT3_lilS5_lilPT5_i
                                        ; -- End function
	.section	.AMDGPU.csdata,"",@progbits
; Kernel info:
; codeLenInByte = 4016
; NumSgprs: 66
; NumVgprs: 49
; NumAgprs: 0
; TotalNumVgprs: 49
; ScratchSize: 0
; MemoryBound: 0
; FloatMode: 240
; IeeeMode: 1
; LDSByteSize: 256 bytes/workgroup (compile time only)
; SGPRBlocks: 8
; VGPRBlocks: 6
; NumSGPRsForWavesPerEU: 66
; NumVGPRsForWavesPerEU: 49
; AccumOffset: 52
; Occupancy: 8
; WaveLimiterHint : 1
; COMPUTE_PGM_RSRC2:SCRATCH_EN: 0
; COMPUTE_PGM_RSRC2:USER_SGPR: 2
; COMPUTE_PGM_RSRC2:TRAP_HANDLER: 0
; COMPUTE_PGM_RSRC2:TGID_X_EN: 1
; COMPUTE_PGM_RSRC2:TGID_Y_EN: 0
; COMPUTE_PGM_RSRC2:TGID_Z_EN: 1
; COMPUTE_PGM_RSRC2:TIDIG_COMP_CNT: 0
; COMPUTE_PGM_RSRC3_GFX90A:ACCUM_OFFSET: 12
; COMPUTE_PGM_RSRC3_GFX90A:TG_SPLIT: 0
	.section	.text._ZL23rocblas_gemvt_sn_kernelILb0ELi256ELi4ElDF16_PKffEviiT4_lPKT3_lilS5_lilPT5_i,"axG",@progbits,_ZL23rocblas_gemvt_sn_kernelILb0ELi256ELi4ElDF16_PKffEviiT4_lPKT3_lilS5_lilPT5_i,comdat
	.globl	_ZL23rocblas_gemvt_sn_kernelILb0ELi256ELi4ElDF16_PKffEviiT4_lPKT3_lilS5_lilPT5_i ; -- Begin function _ZL23rocblas_gemvt_sn_kernelILb0ELi256ELi4ElDF16_PKffEviiT4_lPKT3_lilS5_lilPT5_i
	.p2align	8
	.type	_ZL23rocblas_gemvt_sn_kernelILb0ELi256ELi4ElDF16_PKffEviiT4_lPKT3_lilS5_lilPT5_i,@function
_ZL23rocblas_gemvt_sn_kernelILb0ELi256ELi4ElDF16_PKffEviiT4_lPKT3_lilS5_lilPT5_i: ; @_ZL23rocblas_gemvt_sn_kernelILb0ELi256ELi4ElDF16_PKffEviiT4_lPKT3_lilS5_lilPT5_i
; %bb.0:
	s_load_dwordx8 s[20:27], s[0:1], 0x8
	s_load_dwordx2 s[28:29], s[0:1], 0x0
	s_mov_b32 s6, s3
	s_mov_b32 s31, 0
	s_waitcnt lgkmcnt(0)
	s_mul_i32 s3, s3, s23
	s_mul_hi_u32 s4, s6, s22
	s_add_i32 s5, s4, s3
	s_mul_i32 s4, s6, s22
	s_lshl_b64 s[4:5], s[4:5], 2
	s_add_u32 s4, s20, s4
	s_addc_u32 s5, s21, s5
	s_load_dword s33, s[4:5], 0x0
	s_load_dwordx4 s[8:11], s[0:1], 0x50
	s_load_dword s30, s[0:1], 0x68
	s_ashr_i32 s7, s29, 31
	s_mul_hi_u32 s3, s29, s6
	s_mul_i32 s4, s7, s6
	s_add_i32 s13, s3, s4
	s_mul_i32 s12, s29, s6
	s_waitcnt lgkmcnt(0)
	s_mul_i32 s3, s13, s30
	s_mul_hi_u32 s4, s12, s30
	s_add_i32 s5, s4, s3
	s_mul_i32 s4, s12, s30
	s_lshl_b64 s[4:5], s[4:5], 2
	s_add_u32 s64, s10, s4
	s_addc_u32 s65, s11, s5
	v_cmp_neq_f32_e64 s[4:5], s33, 0
	s_and_b64 vcc, exec, s[4:5]
	v_cmp_eq_u32_e64 s[4:5], 0, v0
	s_cbranch_vccnz .LBB397_10
; %bb.1:
	s_cmp_gt_i32 s29, 0
	s_cselect_b64 s[14:15], -1, 0
	s_and_b64 s[14:15], s[4:5], s[14:15]
	s_and_saveexec_b64 s[4:5], s[14:15]
	s_cbranch_execz .LBB397_9
; %bb.2:
	s_cmp_gt_u32 s29, 1
	s_cselect_b64 s[14:15], -1, 0
	s_cmp_eq_u32 s30, 1
	s_cselect_b64 s[18:19], -1, 0
	s_mov_b32 s3, 0
	s_and_b64 s[14:15], s[14:15], s[18:19]
	s_mov_b64 s[16:17], -1
	s_andn2_b64 vcc, exec, s[14:15]
	s_mov_b32 s14, s3
	s_cbranch_vccnz .LBB397_6
; %bb.3:
	s_lshl_b64 s[14:15], s[2:3], 2
	s_add_u32 s16, s64, s14
	s_addc_u32 s17, s65, s15
	s_and_b32 s14, s29, 0x7ffffffe
	v_mov_b32_e32 v2, 0
	v_mov_b32_e32 v3, v2
	s_mov_b32 s15, s14
.LBB397_4:                              ; =>This Inner Loop Header: Depth=1
	global_store_dwordx2 v2, v[2:3], s[16:17]
	s_add_u32 s16, s16, 8
	s_addc_u32 s17, s17, 0
	s_add_i32 s15, s15, -2
	s_cmp_lg_u32 s15, 0
	s_cbranch_scc1 .LBB397_4
; %bb.5:
	s_cmp_lg_u32 s14, s29
	s_cselect_b64 s[16:17], -1, 0
.LBB397_6:
	s_and_b64 vcc, exec, s[16:17]
	s_cbranch_vccz .LBB397_9
; %bb.7:
	s_mov_b32 s15, 0
	s_sub_i32 s16, s29, s14
	s_lshl_b64 s[12:13], s[12:13], 2
	s_lshl_b64 s[14:15], s[14:15], 2
	s_add_u32 s12, s12, s14
	s_addc_u32 s13, s13, s15
	s_mul_i32 s13, s13, s30
	s_mul_hi_u32 s14, s12, s30
	s_add_i32 s14, s14, s13
	s_mul_i32 s15, s12, s30
	s_lshl_b64 s[12:13], s[2:3], 2
	s_add_u32 s3, s15, s12
	s_addc_u32 s12, s14, s13
	s_add_u32 s10, s10, s3
	s_addc_u32 s11, s11, s12
	s_lshl_b64 s[12:13], s[30:31], 2
	v_mov_b32_e32 v1, 0
.LBB397_8:                              ; =>This Inner Loop Header: Depth=1
	s_add_i32 s16, s16, -1
	global_store_dword v1, v1, s[10:11]
	s_add_u32 s10, s10, s12
	s_addc_u32 s11, s11, s13
	s_cmp_eq_u32 s16, 0
	s_cbranch_scc0 .LBB397_8
.LBB397_9:
	s_or_b64 exec, exec, s[4:5]
	s_cbranch_execz .LBB397_11
	s_branch .LBB397_84
.LBB397_10:
.LBB397_11:
	s_load_dword s34, s[0:1], 0x28
	s_load_dword s36, s[0:1], 0x48
	s_load_dwordx2 s[4:5], s[0:1], 0x40
	s_load_dwordx4 s[20:23], s[0:1], 0x30
	s_mul_i32 s0, s6, s9
	s_mul_hi_u32 s1, s6, s8
	s_add_i32 s1, s1, s0
	s_mul_i32 s0, s6, s8
	s_waitcnt lgkmcnt(0)
	s_ashr_i32 s35, s34, 31
	s_ashr_i32 s37, s36, 31
	s_lshl_b64 s[38:39], s[0:1], 1
	s_add_u32 s0, s22, s38
	s_addc_u32 s1, s23, s39
	s_lshl_b64 s[42:43], s[4:5], 1
	s_add_u32 s44, s0, s42
	s_addc_u32 s45, s1, s43
	s_mul_i32 s0, s6, s21
	s_mul_hi_u32 s1, s6, s20
	s_add_i32 s1, s1, s0
	s_mul_i32 s0, s6, s20
	s_lshl_b64 s[40:41], s[0:1], 1
	s_add_u32 s0, s24, s40
	s_addc_u32 s1, s25, s41
	s_lshl_b64 s[26:27], s[26:27], 1
	s_add_u32 s0, s0, s26
	s_addc_u32 s1, s1, s27
	s_lshl_b32 s3, s2, 10
	v_lshl_or_b32 v8, v0, 2, s3
	v_ashrrev_i32_e32 v9, 31, v8
	v_lshl_add_u64 v[6:7], v[8:9], 1, s[0:1]
	s_lshr_b32 s0, s7, 30
	s_add_i32 s0, s29, s0
	s_and_b32 s66, s0, -4
	s_ashr_i32 s0, s28, 31
	s_lshr_b32 s0, s0, 30
	s_add_i32 s0, s28, s0
	s_and_b32 s0, s0, -4
	s_sub_i32 s31, s28, s0
	s_cmp_lt_i32 s66, 1
	v_add_u32_e32 v29, 4, v8
	v_add_u32_e32 v30, s31, v8
	v_and_b32_e32 v26, 63, v0
	v_cmp_gt_u32_e64 s[0:1], 64, v0
	v_mbcnt_lo_u32_b32 v28, -1, 0
	v_cmp_gt_u32_e64 s[4:5], 4, v0
	v_lshrrev_b32_e32 v27, 4, v0
	v_or_b32_e32 v25, 1, v8
	v_or_b32_e32 v24, 2, v8
	;; [unrolled: 1-line block ×3, first 2 shown]
	s_cbranch_scc1 .LBB397_59
; %bb.12:
	v_mbcnt_hi_u32_b32 v2, -1, v28
	v_and_b32_e32 v3, 63, v2
	v_cmp_gt_u32_e32 vcc, 32, v3
	s_mov_b32 s3, 0
	s_cmp_gt_i32 s31, 0
	v_cndmask_b32_e64 v4, 0, 1, vcc
	v_lshlrev_b32_e32 v4, 5, v4
	v_cmp_gt_u32_e32 vcc, 48, v3
	v_add_lshl_u32 v31, v4, v2, 2
	s_cselect_b64 s[46:47], -1, 0
	v_cndmask_b32_e64 v4, 0, 1, vcc
	v_lshlrev_b32_e32 v4, 4, v4
	v_cmp_gt_u32_e32 vcc, 56, v3
	v_add_lshl_u32 v32, v4, v2, 2
	s_lshl_b64 s[14:15], s[2:3], 2
	v_cndmask_b32_e64 v4, 0, 1, vcc
	v_lshlrev_b32_e32 v4, 3, v4
	v_cmp_gt_u32_e32 vcc, 60, v3
	v_add_lshl_u32 v33, v4, v2, 2
	s_add_u32 s67, s64, s14
	v_cndmask_b32_e64 v4, 0, 1, vcc
	v_lshlrev_b32_e32 v4, 2, v4
	v_cmp_gt_u32_e32 vcc, 62, v3
	v_add_lshl_u32 v34, v4, v2, 2
	s_addc_u32 s68, s65, s15
	v_cndmask_b32_e64 v4, 0, 1, vcc
	v_lshlrev_b32_e32 v4, 1, v4
	v_add_lshl_u32 v35, v4, v2, 2
	v_cmp_ne_u32_e32 vcc, 63, v3
	v_mad_i64_i32 v[4:5], s[14:15], s36, v25, 0
	s_nop 0
	v_addc_co_u32_e32 v2, vcc, 0, v2, vcc
	v_lshl_add_u64 v[12:13], v[4:5], 1, s[44:45]
	v_mad_i64_i32 v[4:5], s[14:15], s36, v24, 0
	v_lshlrev_b32_e32 v36, 2, v2
	v_mad_i64_i32 v[2:3], s[14:15], s36, v8, 0
	v_lshl_add_u64 v[14:15], v[4:5], 1, s[44:45]
	v_mad_i64_i32 v[4:5], s[14:15], s36, v1, 0
	s_add_u32 s14, s22, s42
	s_addc_u32 s15, s23, s43
	s_add_u32 s14, s14, s38
	v_lshlrev_b64 v[2:3], 1, v[2:3]
	s_addc_u32 s15, s15, s39
	v_cmp_ge_i32_e64 s[6:7], s28, v29
	v_cmp_ge_i32_e64 s[8:9], s28, v30
	v_cmp_eq_u32_e64 s[10:11], 0, v26
	v_lshlrev_b32_e32 v37, 2, v26
	v_and_b32_e32 v38, 12, v27
	v_cmp_eq_u32_e64 s[12:13], 0, v0
	v_lshl_add_u64 v[10:11], s[44:45], 0, v[2:3]
	v_lshl_add_u64 v[16:17], v[4:5], 1, s[44:45]
	;; [unrolled: 1-line block ×3, first 2 shown]
	s_lshl_b64 s[48:49], s[36:37], 1
	s_lshl_b64 s[50:51], s[34:35], 3
	;; [unrolled: 1-line block ×4, first 2 shown]
	s_mul_hi_i32 s57, s34, 6
	s_mul_i32 s56, s34, 6
	v_mov_b32_e32 v39, 0
	v_mov_b64_e32 v[20:21], v[6:7]
                                        ; implicit-def: $vgpr2_vgpr3_vgpr4_vgpr5
	s_branch .LBB397_14
.LBB397_13:                             ;   in Loop: Header=BB397_14 Depth=1
	s_or_b64 exec, exec, s[14:15]
	s_add_i32 s3, s3, 4
	s_cmp_ge_i32 s3, s66
	v_lshl_add_u64 v[20:21], v[20:21], 0, s[50:51]
	s_cbranch_scc1 .LBB397_60
.LBB397_14:                             ; =>This Loop Header: Depth=1
                                        ;     Child Loop BB397_45 Depth 2
                                        ;     Child Loop BB397_48 Depth 2
                                        ; implicit-def: $vgpr40
                                        ; implicit-def: $vgpr41
                                        ; implicit-def: $vgpr42
                                        ; implicit-def: $vgpr43
	s_and_saveexec_b64 s[14:15], s[6:7]
	s_xor_b64 s[14:15], exec, s[14:15]
	s_cbranch_execnz .LBB397_41
; %bb.15:                               ;   in Loop: Header=BB397_14 Depth=1
	s_andn2_saveexec_b64 s[58:59], s[14:15]
	s_cbranch_execnz .LBB397_42
.LBB397_16:                             ;   in Loop: Header=BB397_14 Depth=1
	s_or_b64 exec, exec, s[58:59]
	s_and_saveexec_b64 s[14:15], s[0:1]
	s_cbranch_execz .LBB397_18
.LBB397_17:                             ;   in Loop: Header=BB397_14 Depth=1
	ds_write_b32 v37, v39
.LBB397_18:                             ;   in Loop: Header=BB397_14 Depth=1
	s_or_b64 exec, exec, s[14:15]
	ds_bpermute_b32 v22, v31, v43
	s_waitcnt lgkmcnt(0)
	s_barrier
	v_add_f32_e32 v22, v43, v22
	ds_bpermute_b32 v23, v32, v22
	s_waitcnt lgkmcnt(0)
	v_add_f32_e32 v22, v22, v23
	ds_bpermute_b32 v23, v33, v22
	s_waitcnt lgkmcnt(0)
	;; [unrolled: 3-line block ×4, first 2 shown]
	v_add_f32_e32 v22, v22, v23
	ds_bpermute_b32 v23, v36, v22
	s_and_saveexec_b64 s[14:15], s[10:11]
	s_cbranch_execz .LBB397_20
; %bb.19:                               ;   in Loop: Header=BB397_14 Depth=1
	s_waitcnt lgkmcnt(0)
	v_add_f32_e32 v22, v22, v23
	ds_write_b32 v38, v22
.LBB397_20:                             ;   in Loop: Header=BB397_14 Depth=1
	s_or_b64 exec, exec, s[14:15]
	v_mov_b32_e32 v22, 0
	s_waitcnt lgkmcnt(0)
	s_barrier
	s_and_saveexec_b64 s[14:15], s[4:5]
	s_cbranch_execnz .LBB397_50
; %bb.21:                               ;   in Loop: Header=BB397_14 Depth=1
	s_or_b64 exec, exec, s[14:15]
	s_and_saveexec_b64 s[14:15], s[0:1]
	s_cbranch_execnz .LBB397_51
.LBB397_22:                             ;   in Loop: Header=BB397_14 Depth=1
	s_or_b64 exec, exec, s[14:15]
	s_and_saveexec_b64 s[14:15], s[0:1]
	s_cbranch_execz .LBB397_24
.LBB397_23:                             ;   in Loop: Header=BB397_14 Depth=1
	ds_write_b32 v37, v39
.LBB397_24:                             ;   in Loop: Header=BB397_14 Depth=1
	s_or_b64 exec, exec, s[14:15]
	ds_bpermute_b32 v23, v31, v42
	s_waitcnt lgkmcnt(0)
	s_barrier
	v_add_f32_e32 v23, v42, v23
	ds_bpermute_b32 v42, v32, v23
	s_waitcnt lgkmcnt(0)
	v_add_f32_e32 v23, v23, v42
	ds_bpermute_b32 v42, v33, v23
	s_waitcnt lgkmcnt(0)
	;; [unrolled: 3-line block ×4, first 2 shown]
	v_add_f32_e32 v23, v23, v42
	ds_bpermute_b32 v42, v36, v23
	s_and_saveexec_b64 s[14:15], s[10:11]
	s_cbranch_execz .LBB397_26
; %bb.25:                               ;   in Loop: Header=BB397_14 Depth=1
	s_waitcnt lgkmcnt(0)
	v_add_f32_e32 v23, v23, v42
	ds_write_b32 v38, v23
.LBB397_26:                             ;   in Loop: Header=BB397_14 Depth=1
	s_or_b64 exec, exec, s[14:15]
	v_mov_b32_e32 v23, 0
	s_waitcnt lgkmcnt(0)
	s_barrier
	s_and_saveexec_b64 s[14:15], s[4:5]
	s_cbranch_execnz .LBB397_52
; %bb.27:                               ;   in Loop: Header=BB397_14 Depth=1
	s_or_b64 exec, exec, s[14:15]
	s_and_saveexec_b64 s[14:15], s[0:1]
	s_cbranch_execnz .LBB397_53
.LBB397_28:                             ;   in Loop: Header=BB397_14 Depth=1
	s_or_b64 exec, exec, s[14:15]
	s_and_saveexec_b64 s[14:15], s[0:1]
	s_cbranch_execz .LBB397_30
.LBB397_29:                             ;   in Loop: Header=BB397_14 Depth=1
	ds_write_b32 v37, v39
.LBB397_30:                             ;   in Loop: Header=BB397_14 Depth=1
	s_or_b64 exec, exec, s[14:15]
	ds_bpermute_b32 v42, v31, v41
	s_waitcnt lgkmcnt(0)
	s_barrier
	v_add_f32_e32 v41, v41, v42
	ds_bpermute_b32 v42, v32, v41
	s_waitcnt lgkmcnt(0)
	v_add_f32_e32 v41, v41, v42
	ds_bpermute_b32 v42, v33, v41
	s_waitcnt lgkmcnt(0)
	;; [unrolled: 3-line block ×4, first 2 shown]
	v_add_f32_e32 v41, v41, v42
	ds_bpermute_b32 v42, v36, v41
	s_and_saveexec_b64 s[14:15], s[10:11]
	s_cbranch_execz .LBB397_32
; %bb.31:                               ;   in Loop: Header=BB397_14 Depth=1
	s_waitcnt lgkmcnt(0)
	v_add_f32_e32 v41, v41, v42
	ds_write_b32 v38, v41
.LBB397_32:                             ;   in Loop: Header=BB397_14 Depth=1
	s_or_b64 exec, exec, s[14:15]
	v_mov_b32_e32 v41, 0
	s_waitcnt lgkmcnt(0)
	s_barrier
	s_and_saveexec_b64 s[14:15], s[4:5]
	s_cbranch_execnz .LBB397_54
; %bb.33:                               ;   in Loop: Header=BB397_14 Depth=1
	s_or_b64 exec, exec, s[14:15]
	s_and_saveexec_b64 s[14:15], s[0:1]
	s_cbranch_execnz .LBB397_55
.LBB397_34:                             ;   in Loop: Header=BB397_14 Depth=1
	s_or_b64 exec, exec, s[14:15]
	s_and_saveexec_b64 s[14:15], s[0:1]
	s_cbranch_execz .LBB397_36
.LBB397_35:                             ;   in Loop: Header=BB397_14 Depth=1
	ds_write_b32 v37, v39
.LBB397_36:                             ;   in Loop: Header=BB397_14 Depth=1
	s_or_b64 exec, exec, s[14:15]
	ds_bpermute_b32 v42, v31, v40
	s_waitcnt lgkmcnt(0)
	s_barrier
	v_add_f32_e32 v40, v40, v42
	ds_bpermute_b32 v42, v32, v40
	s_waitcnt lgkmcnt(0)
	v_add_f32_e32 v40, v40, v42
	ds_bpermute_b32 v42, v33, v40
	s_waitcnt lgkmcnt(0)
	v_add_f32_e32 v40, v40, v42
	ds_bpermute_b32 v42, v34, v40
	s_waitcnt lgkmcnt(0)
	v_add_f32_e32 v40, v40, v42
	ds_bpermute_b32 v42, v35, v40
	s_waitcnt lgkmcnt(0)
	v_add_f32_e32 v40, v40, v42
	ds_bpermute_b32 v42, v36, v40
	s_and_saveexec_b64 s[14:15], s[10:11]
	s_cbranch_execz .LBB397_38
; %bb.37:                               ;   in Loop: Header=BB397_14 Depth=1
	s_waitcnt lgkmcnt(0)
	v_add_f32_e32 v40, v40, v42
	ds_write_b32 v38, v40
.LBB397_38:                             ;   in Loop: Header=BB397_14 Depth=1
	s_or_b64 exec, exec, s[14:15]
	v_mov_b32_e32 v40, 0
	s_waitcnt lgkmcnt(0)
	s_barrier
	s_and_saveexec_b64 s[14:15], s[4:5]
	s_cbranch_execnz .LBB397_56
; %bb.39:                               ;   in Loop: Header=BB397_14 Depth=1
	s_or_b64 exec, exec, s[14:15]
	s_and_saveexec_b64 s[14:15], s[0:1]
	s_cbranch_execnz .LBB397_57
.LBB397_40:                             ;   in Loop: Header=BB397_14 Depth=1
	s_or_b64 exec, exec, s[14:15]
	s_and_saveexec_b64 s[14:15], s[12:13]
	s_cbranch_execz .LBB397_13
	s_branch .LBB397_58
.LBB397_41:                             ;   in Loop: Header=BB397_14 Depth=1
	s_mul_i32 s16, s3, s35
	s_mul_hi_u32 s17, s3, s34
	s_add_i32 s17, s17, s16
	s_mul_i32 s16, s3, s34
	v_lshl_add_u64 v[2:3], s[16:17], 1, v[6:7]
	s_or_b32 s16, s3, 1
	s_mul_i32 s17, s16, s35
	s_mul_hi_u32 s18, s16, s34
	s_add_i32 s17, s18, s17
	s_mul_i32 s16, s16, s34
	v_lshl_add_u64 v[4:5], s[16:17], 1, v[6:7]
	s_or_b32 s16, s3, 2
	;; [unrolled: 6-line block ×3, first 2 shown]
	s_mul_i32 s17, s16, s35
	s_mul_hi_u32 s18, s16, s34
	s_add_i32 s17, s18, s17
	s_mul_i32 s16, s16, s34
	global_load_ushort v48, v[10:11], off
	global_load_ushort v49, v[12:13], off
	;; [unrolled: 1-line block ×4, first 2 shown]
	s_waitcnt lgkmcnt(0)
	v_lshl_add_u64 v[40:41], s[16:17], 1, v[6:7]
	global_load_dwordx2 v[42:43], v[2:3], off
	global_load_dwordx2 v[44:45], v[4:5], off
	s_nop 0
	global_load_dwordx2 v[22:23], v[22:23], off
	s_nop 0
	global_load_dwordx2 v[46:47], v[40:41], off
	s_waitcnt vmcnt(7)
	v_cvt_f32_f16_e32 v2, v48
	s_waitcnt vmcnt(6)
	v_cvt_f32_f16_e32 v3, v49
	s_waitcnt vmcnt(5)
	v_cvt_f32_f16_e32 v4, v50
	s_waitcnt vmcnt(4)
	v_cvt_f32_f16_e32 v5, v51
	s_waitcnt vmcnt(3)
	v_fma_mix_f32 v40, v48, v42, 0 op_sel_hi:[1,1,0]
	s_waitcnt vmcnt(2)
	v_fma_mix_f32 v41, v48, v44, 0 op_sel_hi:[1,1,0]
	;; [unrolled: 2-line block ×4, first 2 shown]
	v_fma_mix_f32 v40, v49, v42, v40 op_sel:[0,1,0] op_sel_hi:[1,1,0]
	v_fma_mix_f32 v41, v49, v44, v41 op_sel:[0,1,0] op_sel_hi:[1,1,0]
	;; [unrolled: 1-line block ×4, first 2 shown]
	v_fma_mix_f32 v40, v50, v43, v40 op_sel_hi:[1,1,0]
	v_fma_mix_f32 v41, v50, v45, v41 op_sel_hi:[1,1,0]
	;; [unrolled: 1-line block ×4, first 2 shown]
	v_fma_mix_f32 v43, v51, v43, v40 op_sel:[0,1,0] op_sel_hi:[1,1,0]
	v_fma_mix_f32 v42, v51, v45, v41 op_sel:[0,1,0] op_sel_hi:[1,1,0]
	v_fma_mix_f32 v41, v51, v23, v22 op_sel:[0,1,0] op_sel_hi:[1,1,0]
	v_fma_mix_f32 v40, v51, v47, v44 op_sel:[0,1,0] op_sel_hi:[1,1,0]
	s_andn2_saveexec_b64 s[58:59], s[14:15]
	s_cbranch_execz .LBB397_16
.LBB397_42:                             ;   in Loop: Header=BB397_14 Depth=1
	s_waitcnt lgkmcnt(0)
	v_mov_b32_e32 v40, 0
	v_mov_b32_e32 v41, 0
	;; [unrolled: 1-line block ×4, first 2 shown]
	s_and_saveexec_b64 s[60:61], s[8:9]
	s_cbranch_execz .LBB397_49
; %bb.43:                               ;   in Loop: Header=BB397_14 Depth=1
	v_cndmask_b32_e64 v22, 0, 1, s[46:47]
	v_cmp_ne_u32_e64 s[14:15], 1, v22
	s_andn2_b64 vcc, exec, s[46:47]
	s_cbranch_vccnz .LBB397_46
; %bb.44:                               ;   in Loop: Header=BB397_14 Depth=1
	s_mov_b64 s[62:63], 0
	v_mov_b64_e32 v[22:23], v[18:19]
.LBB397_45:                             ;   Parent Loop BB397_14 Depth=1
                                        ; =>  This Inner Loop Header: Depth=2
	global_load_ushort v40, v[22:23], off
	s_cmp_eq_u32 s62, 3
	s_cselect_b64 vcc, -1, 0
	s_cmp_eq_u32 s62, 2
	s_cselect_b64 s[16:17], -1, 0
	s_cmp_eq_u32 s62, 1
	s_cselect_b64 s[18:19], -1, 0
	;; [unrolled: 2-line block ×3, first 2 shown]
	s_add_u32 s62, s62, 1
	s_addc_u32 s63, s63, 0
	v_lshl_add_u64 v[22:23], v[22:23], 0, s[48:49]
	s_cmp_eq_u32 s31, s62
	s_waitcnt vmcnt(0)
	v_cvt_f32_f16_e32 v40, v40
	v_cndmask_b32_e32 v5, v5, v40, vcc
	v_cndmask_b32_e64 v4, v4, v40, s[16:17]
	v_cndmask_b32_e64 v3, v3, v40, s[18:19]
	;; [unrolled: 1-line block ×3, first 2 shown]
	s_cbranch_scc0 .LBB397_45
.LBB397_46:                             ;   in Loop: Header=BB397_14 Depth=1
	s_and_b64 vcc, exec, s[14:15]
	v_mov_b32_e32 v40, 0
	v_mov_b32_e32 v41, 0
	;; [unrolled: 1-line block ×4, first 2 shown]
	s_cbranch_vccnz .LBB397_49
; %bb.47:                               ;   in Loop: Header=BB397_14 Depth=1
	s_mov_b64 s[14:15], 0
	v_mov_b32_e32 v43, 0
	v_mov_b64_e32 v[22:23], v[20:21]
	v_mov_b32_e32 v42, 0
	v_mov_b32_e32 v41, 0
	;; [unrolled: 1-line block ×3, first 2 shown]
.LBB397_48:                             ;   Parent Loop BB397_14 Depth=1
                                        ; =>  This Inner Loop Header: Depth=2
	v_lshl_add_u64 v[44:45], v[22:23], 0, s[52:53]
	v_lshl_add_u64 v[46:47], v[22:23], 0, s[54:55]
	global_load_ushort v50, v[22:23], off
	v_lshl_add_u64 v[48:49], v[22:23], 0, s[56:57]
	global_load_ushort v44, v[44:45], off
	s_nop 0
	global_load_ushort v45, v[46:47], off
	s_nop 0
	global_load_ushort v46, v[48:49], off
	s_cmp_eq_u32 s14, 1
	s_cselect_b64 vcc, -1, 0
	s_cmp_eq_u32 s14, 2
	v_cndmask_b32_e32 v47, v2, v3, vcc
	s_cselect_b64 vcc, -1, 0
	s_cmp_eq_u32 s14, 3
	v_cndmask_b32_e32 v47, v47, v4, vcc
	s_cselect_b64 vcc, -1, 0
	s_add_u32 s14, s14, 1
	v_cndmask_b32_e32 v47, v47, v5, vcc
	s_addc_u32 s15, s15, 0
	v_lshl_add_u64 v[22:23], v[22:23], 0, 2
	s_cmp_lg_u32 s31, s14
	s_waitcnt vmcnt(2)
	v_fma_mix_f32 v42, v47, v44, v42 op_sel_hi:[0,1,0]
	v_fma_mix_f32 v43, v47, v50, v43 op_sel_hi:[0,1,0]
	s_waitcnt vmcnt(1)
	v_fma_mix_f32 v41, v47, v45, v41 op_sel_hi:[0,1,0]
	s_waitcnt vmcnt(0)
	v_fma_mix_f32 v40, v47, v46, v40 op_sel_hi:[0,1,0]
	s_cbranch_scc1 .LBB397_48
.LBB397_49:                             ;   in Loop: Header=BB397_14 Depth=1
	s_or_b64 exec, exec, s[60:61]
	s_or_b64 exec, exec, s[58:59]
	s_and_saveexec_b64 s[14:15], s[0:1]
	s_cbranch_execnz .LBB397_17
	s_branch .LBB397_18
.LBB397_50:                             ;   in Loop: Header=BB397_14 Depth=1
	ds_read_b32 v22, v37
	s_or_b64 exec, exec, s[14:15]
	s_and_saveexec_b64 s[14:15], s[0:1]
	s_cbranch_execz .LBB397_22
.LBB397_51:                             ;   in Loop: Header=BB397_14 Depth=1
	s_waitcnt lgkmcnt(0)
	ds_bpermute_b32 v23, v35, v22
	s_waitcnt lgkmcnt(0)
	v_add_f32_e32 v22, v22, v23
	ds_bpermute_b32 v23, v36, v22
	s_waitcnt lgkmcnt(0)
	v_add_f32_e32 v22, v22, v23
	s_or_b64 exec, exec, s[14:15]
	s_and_saveexec_b64 s[14:15], s[0:1]
	s_cbranch_execnz .LBB397_23
	s_branch .LBB397_24
.LBB397_52:                             ;   in Loop: Header=BB397_14 Depth=1
	ds_read_b32 v23, v37
	s_or_b64 exec, exec, s[14:15]
	s_and_saveexec_b64 s[14:15], s[0:1]
	s_cbranch_execz .LBB397_28
.LBB397_53:                             ;   in Loop: Header=BB397_14 Depth=1
	s_waitcnt lgkmcnt(0)
	ds_bpermute_b32 v42, v35, v23
	s_waitcnt lgkmcnt(0)
	v_add_f32_e32 v23, v23, v42
	ds_bpermute_b32 v42, v36, v23
	s_waitcnt lgkmcnt(0)
	v_add_f32_e32 v23, v23, v42
	s_or_b64 exec, exec, s[14:15]
	s_and_saveexec_b64 s[14:15], s[0:1]
	s_cbranch_execnz .LBB397_29
	s_branch .LBB397_30
.LBB397_54:                             ;   in Loop: Header=BB397_14 Depth=1
	ds_read_b32 v41, v37
	s_or_b64 exec, exec, s[14:15]
	s_and_saveexec_b64 s[14:15], s[0:1]
	s_cbranch_execz .LBB397_34
.LBB397_55:                             ;   in Loop: Header=BB397_14 Depth=1
	s_waitcnt lgkmcnt(0)
	ds_bpermute_b32 v42, v35, v41
	s_waitcnt lgkmcnt(0)
	v_add_f32_e32 v41, v41, v42
	ds_bpermute_b32 v42, v36, v41
	s_waitcnt lgkmcnt(0)
	v_add_f32_e32 v41, v41, v42
	s_or_b64 exec, exec, s[14:15]
	s_and_saveexec_b64 s[14:15], s[0:1]
	s_cbranch_execnz .LBB397_35
	s_branch .LBB397_36
.LBB397_56:                             ;   in Loop: Header=BB397_14 Depth=1
	ds_read_b32 v40, v37
	s_or_b64 exec, exec, s[14:15]
	s_and_saveexec_b64 s[14:15], s[0:1]
	s_cbranch_execz .LBB397_40
.LBB397_57:                             ;   in Loop: Header=BB397_14 Depth=1
	s_waitcnt lgkmcnt(0)
	ds_bpermute_b32 v42, v35, v40
	s_waitcnt lgkmcnt(0)
	v_add_f32_e32 v40, v40, v42
	ds_bpermute_b32 v42, v36, v40
	s_waitcnt lgkmcnt(0)
	v_add_f32_e32 v40, v40, v42
	s_or_b64 exec, exec, s[14:15]
	s_and_saveexec_b64 s[14:15], s[12:13]
	s_cbranch_execz .LBB397_13
.LBB397_58:                             ;   in Loop: Header=BB397_14 Depth=1
	s_mul_hi_u32 s17, s3, s30
	s_mul_i32 s16, s3, s30
	s_lshl_b64 s[16:17], s[16:17], 2
	s_add_u32 s16, s67, s16
	v_mul_f32_e32 v22, s33, v22
	s_addc_u32 s17, s68, s17
	global_store_dword v39, v22, s[16:17]
	s_or_b32 s16, s3, 1
	s_mul_hi_u32 s17, s16, s30
	s_mul_i32 s16, s16, s30
	s_lshl_b64 s[16:17], s[16:17], 2
	s_add_u32 s16, s67, s16
	v_mul_f32_e32 v22, s33, v23
	s_addc_u32 s17, s68, s17
	global_store_dword v39, v22, s[16:17]
	s_or_b32 s16, s3, 2
	;; [unrolled: 8-line block ×3, first 2 shown]
	s_mul_hi_u32 s17, s16, s30
	s_mul_i32 s16, s16, s30
	s_lshl_b64 s[16:17], s[16:17], 2
	s_add_u32 s16, s67, s16
	s_waitcnt lgkmcnt(0)
	v_mul_f32_e32 v22, s33, v40
	s_addc_u32 s17, s68, s17
	global_store_dword v39, v22, s[16:17]
	s_branch .LBB397_13
.LBB397_59:
	s_mov_b32 s3, 0
                                        ; implicit-def: $vgpr2_vgpr3_vgpr4_vgpr5
.LBB397_60:
	s_cmp_ge_i32 s3, s29
	s_cbranch_scc1 .LBB397_84
; %bb.61:
	v_mbcnt_hi_u32_b32 v10, -1, v28
	v_and_b32_e32 v11, 63, v10
	v_cmp_gt_u32_e32 vcc, 32, v11
	v_cmp_ge_i32_e64 s[0:1], s28, v29
	v_cmp_ge_i32_e64 s[4:5], s28, v30
	v_cndmask_b32_e64 v12, 0, 1, vcc
	v_lshlrev_b32_e32 v12, 5, v12
	v_cmp_gt_u32_e32 vcc, 48, v11
	v_add_lshl_u32 v23, v12, v10, 2
	s_mov_b32 s47, 0
	v_cndmask_b32_e64 v12, 0, 1, vcc
	v_lshlrev_b32_e32 v12, 4, v12
	v_cmp_gt_u32_e32 vcc, 56, v11
	v_add_lshl_u32 v28, v12, v10, 2
	s_cmp_gt_i32 s31, 0
	v_cndmask_b32_e64 v12, 0, 1, vcc
	v_lshlrev_b32_e32 v12, 3, v12
	v_cmp_gt_u32_e32 vcc, 60, v11
	v_add_lshl_u32 v29, v12, v10, 2
	s_mov_b32 s46, s2
	v_cndmask_b32_e64 v12, 0, 1, vcc
	v_lshlrev_b32_e32 v12, 2, v12
	v_cmp_gt_u32_e32 vcc, 62, v11
	v_add_lshl_u32 v30, v12, v10, 2
	s_cselect_b64 s[48:49], -1, 0
	v_cndmask_b32_e64 v12, 0, 1, vcc
	v_lshlrev_b32_e32 v12, 1, v12
	v_cmp_ne_u32_e32 vcc, 63, v11
	s_lshl_b64 s[14:15], s[46:47], 2
	v_add_lshl_u32 v31, v12, v10, 2
	v_addc_co_u32_e32 v10, vcc, 0, v10, vcc
	s_add_u32 s2, s64, s14
	v_cmp_gt_u32_e64 s[6:7], 64, v0
	v_lshlrev_b32_e32 v32, 2, v10
	v_cmp_gt_u32_e64 s[10:11], 4, v0
	v_cmp_eq_u32_e64 s[12:13], 0, v0
	s_addc_u32 s28, s65, s15
	v_mad_i64_i32 v[10:11], s[14:15], s36, v8, 0
	v_mad_i64_i32 v[12:13], s[14:15], s36, v25, 0
	;; [unrolled: 1-line block ×4, first 2 shown]
	s_add_u32 s14, s22, s42
	s_addc_u32 s15, s23, s43
	s_add_u32 s14, s14, s38
	v_lshlrev_b64 v[18:19], 1, v[10:11]
	s_addc_u32 s15, s15, s39
	v_lshl_add_u64 v[10:11], s[44:45], 0, v[18:19]
	v_lshl_add_u64 v[18:19], s[14:15], 0, v[18:19]
	s_mul_i32 s14, s35, s3
	s_mul_hi_u32 s15, s34, s3
	s_add_i32 s15, s15, s14
	s_mul_i32 s14, s34, s3
	s_lshl_b64 s[22:23], s[36:37], 1
	s_lshl_b64 s[14:15], s[14:15], 1
	s_add_u32 s14, s40, s14
	s_addc_u32 s15, s41, s15
	s_add_u32 s14, s14, s26
	s_addc_u32 s15, s15, s27
	;; [unrolled: 2-line block ×3, first 2 shown]
	v_lshlrev_b32_e32 v22, 2, v26
	v_cmp_eq_u32_e64 s[8:9], 0, v26
	v_and_b32_e32 v26, 12, v27
	v_lshl_add_u64 v[12:13], v[12:13], 1, s[44:45]
	v_lshl_add_u64 v[14:15], v[14:15], 1, s[44:45]
	;; [unrolled: 1-line block ×4, first 2 shown]
	s_lshl_b64 s[24:25], s[34:35], 1
	v_mov_b32_e32 v1, 0
	s_branch .LBB397_63
.LBB397_62:                             ;   in Loop: Header=BB397_63 Depth=1
	s_or_b64 exec, exec, s[14:15]
	s_add_i32 s3, s3, 1
	s_cmp_ge_i32 s3, s29
	v_lshl_add_u64 v[8:9], v[8:9], 0, s[24:25]
	s_cbranch_scc1 .LBB397_84
.LBB397_63:                             ; =>This Loop Header: Depth=1
                                        ;     Child Loop BB397_76 Depth 2
                                        ;     Child Loop BB397_79 Depth 2
	s_waitcnt lgkmcnt(0)
	v_mov_b32_e32 v0, s47
	s_and_saveexec_b64 s[14:15], s[0:1]
	s_xor_b64 s[14:15], exec, s[14:15]
	s_cbranch_execnz .LBB397_72
; %bb.64:                               ;   in Loop: Header=BB397_63 Depth=1
	s_andn2_saveexec_b64 s[26:27], s[14:15]
	s_cbranch_execnz .LBB397_73
.LBB397_65:                             ;   in Loop: Header=BB397_63 Depth=1
	s_or_b64 exec, exec, s[26:27]
	s_and_saveexec_b64 s[14:15], s[6:7]
	s_cbranch_execz .LBB397_67
.LBB397_66:                             ;   in Loop: Header=BB397_63 Depth=1
	ds_write_b32 v22, v1
.LBB397_67:                             ;   in Loop: Header=BB397_63 Depth=1
	s_or_b64 exec, exec, s[14:15]
	ds_bpermute_b32 v20, v23, v0
	s_waitcnt lgkmcnt(0)
	s_barrier
	v_add_f32_e32 v0, v0, v20
	ds_bpermute_b32 v20, v28, v0
	s_waitcnt lgkmcnt(0)
	v_add_f32_e32 v0, v0, v20
	ds_bpermute_b32 v20, v29, v0
	s_waitcnt lgkmcnt(0)
	;; [unrolled: 3-line block ×4, first 2 shown]
	v_add_f32_e32 v0, v0, v20
	ds_bpermute_b32 v20, v32, v0
	s_and_saveexec_b64 s[14:15], s[8:9]
	s_cbranch_execz .LBB397_69
; %bb.68:                               ;   in Loop: Header=BB397_63 Depth=1
	s_waitcnt lgkmcnt(0)
	v_add_f32_e32 v0, v0, v20
	ds_write_b32 v26, v0
.LBB397_69:                             ;   in Loop: Header=BB397_63 Depth=1
	s_or_b64 exec, exec, s[14:15]
	v_mov_b32_e32 v0, 0
	s_waitcnt lgkmcnt(0)
	s_barrier
	s_and_saveexec_b64 s[14:15], s[10:11]
	s_cbranch_execnz .LBB397_81
; %bb.70:                               ;   in Loop: Header=BB397_63 Depth=1
	s_or_b64 exec, exec, s[14:15]
	s_and_saveexec_b64 s[14:15], s[6:7]
	s_cbranch_execnz .LBB397_82
.LBB397_71:                             ;   in Loop: Header=BB397_63 Depth=1
	s_or_b64 exec, exec, s[14:15]
	s_and_saveexec_b64 s[14:15], s[12:13]
	s_cbranch_execz .LBB397_62
	s_branch .LBB397_83
.LBB397_72:                             ;   in Loop: Header=BB397_63 Depth=1
	s_mul_i32 s16, s3, s35
	s_mul_hi_u32 s17, s3, s34
	s_add_i32 s17, s17, s16
	s_mul_i32 s16, s3, s34
	v_lshl_add_u64 v[2:3], s[16:17], 1, v[6:7]
	global_load_ushort v0, v[10:11], off
	global_load_ushort v24, v[12:13], off
	;; [unrolled: 1-line block ×4, first 2 shown]
	global_load_dwordx2 v[20:21], v[2:3], off
	s_waitcnt vmcnt(4)
	v_cvt_f32_f16_e32 v2, v0
	s_waitcnt vmcnt(3)
	v_cvt_f32_f16_e32 v3, v24
	;; [unrolled: 2-line block ×4, first 2 shown]
	s_waitcnt vmcnt(0)
	v_fma_mix_f32 v0, v0, v20, 0 op_sel_hi:[1,1,0]
	s_nop 0
	v_fma_mix_f32 v0, v24, v20, v0 op_sel:[0,1,0] op_sel_hi:[1,1,0]
	s_nop 0
	v_fma_mix_f32 v0, v25, v21, v0 op_sel_hi:[1,1,0]
	s_nop 0
	v_fma_mix_f32 v0, v27, v21, v0 op_sel:[0,1,0] op_sel_hi:[1,1,0]
	s_andn2_saveexec_b64 s[26:27], s[14:15]
	s_cbranch_execz .LBB397_65
.LBB397_73:                             ;   in Loop: Header=BB397_63 Depth=1
	s_and_saveexec_b64 s[36:37], s[4:5]
	s_cbranch_execz .LBB397_80
; %bb.74:                               ;   in Loop: Header=BB397_63 Depth=1
	v_cndmask_b32_e64 v20, 0, 1, s[48:49]
	v_cmp_ne_u32_e64 s[14:15], 1, v20
	s_andn2_b64 vcc, exec, s[48:49]
	s_cbranch_vccnz .LBB397_77
; %bb.75:                               ;   in Loop: Header=BB397_63 Depth=1
	s_mov_b64 s[38:39], 0
	v_mov_b64_e32 v[20:21], v[18:19]
.LBB397_76:                             ;   Parent Loop BB397_63 Depth=1
                                        ; =>  This Inner Loop Header: Depth=2
	global_load_ushort v24, v[20:21], off
	s_cmp_eq_u32 s38, 3
	s_cselect_b64 vcc, -1, 0
	s_cmp_eq_u32 s38, 2
	s_cselect_b64 s[16:17], -1, 0
	s_cmp_eq_u32 s38, 1
	s_cselect_b64 s[18:19], -1, 0
	;; [unrolled: 2-line block ×3, first 2 shown]
	s_add_u32 s38, s38, 1
	s_addc_u32 s39, s39, 0
	v_lshl_add_u64 v[20:21], v[20:21], 0, s[22:23]
	s_cmp_eq_u32 s31, s38
	s_waitcnt vmcnt(0)
	v_cvt_f32_f16_e32 v24, v24
	v_cndmask_b32_e32 v5, v5, v24, vcc
	v_cndmask_b32_e64 v4, v4, v24, s[16:17]
	v_cndmask_b32_e64 v3, v3, v24, s[18:19]
	;; [unrolled: 1-line block ×3, first 2 shown]
	s_cbranch_scc0 .LBB397_76
.LBB397_77:                             ;   in Loop: Header=BB397_63 Depth=1
	s_and_b64 vcc, exec, s[14:15]
	s_cbranch_vccnz .LBB397_80
; %bb.78:                               ;   in Loop: Header=BB397_63 Depth=1
	s_mov_b64 s[14:15], 0
	v_mov_b64_e32 v[20:21], v[8:9]
.LBB397_79:                             ;   Parent Loop BB397_63 Depth=1
                                        ; =>  This Inner Loop Header: Depth=2
	global_load_ushort v24, v[20:21], off
	s_cmp_eq_u32 s14, 1
	s_cselect_b64 vcc, -1, 0
	s_cmp_eq_u32 s14, 2
	v_cndmask_b32_e32 v25, v2, v3, vcc
	s_cselect_b64 vcc, -1, 0
	s_cmp_eq_u32 s14, 3
	v_cndmask_b32_e32 v25, v25, v4, vcc
	s_cselect_b64 vcc, -1, 0
	s_add_u32 s14, s14, 1
	v_cndmask_b32_e32 v25, v25, v5, vcc
	s_addc_u32 s15, s15, 0
	v_lshl_add_u64 v[20:21], v[20:21], 0, 2
	s_cmp_lg_u32 s31, s14
	s_waitcnt vmcnt(0)
	v_fma_mix_f32 v0, v25, v24, v0 op_sel_hi:[0,1,0]
	s_cbranch_scc1 .LBB397_79
.LBB397_80:                             ;   in Loop: Header=BB397_63 Depth=1
	s_or_b64 exec, exec, s[36:37]
	s_or_b64 exec, exec, s[26:27]
	s_and_saveexec_b64 s[14:15], s[6:7]
	s_cbranch_execnz .LBB397_66
	s_branch .LBB397_67
.LBB397_81:                             ;   in Loop: Header=BB397_63 Depth=1
	ds_read_b32 v0, v22
	s_or_b64 exec, exec, s[14:15]
	s_and_saveexec_b64 s[14:15], s[6:7]
	s_cbranch_execz .LBB397_71
.LBB397_82:                             ;   in Loop: Header=BB397_63 Depth=1
	s_waitcnt lgkmcnt(0)
	ds_bpermute_b32 v20, v31, v0
	s_waitcnt lgkmcnt(0)
	v_add_f32_e32 v0, v0, v20
	ds_bpermute_b32 v20, v32, v0
	s_waitcnt lgkmcnt(0)
	v_add_f32_e32 v0, v0, v20
	s_or_b64 exec, exec, s[14:15]
	s_and_saveexec_b64 s[14:15], s[12:13]
	s_cbranch_execz .LBB397_62
.LBB397_83:                             ;   in Loop: Header=BB397_63 Depth=1
	s_mul_hi_u32 s17, s3, s30
	s_mul_i32 s16, s3, s30
	s_lshl_b64 s[16:17], s[16:17], 2
	s_add_u32 s16, s2, s16
	s_waitcnt lgkmcnt(0)
	v_mul_f32_e32 v0, s33, v0
	s_addc_u32 s17, s28, s17
	global_store_dword v1, v0, s[16:17]
	s_branch .LBB397_62
.LBB397_84:
	s_endpgm
	.section	.rodata,"a",@progbits
	.p2align	6, 0x0
	.amdhsa_kernel _ZL23rocblas_gemvt_sn_kernelILb0ELi256ELi4ElDF16_PKffEviiT4_lPKT3_lilS5_lilPT5_i
		.amdhsa_group_segment_fixed_size 256
		.amdhsa_private_segment_fixed_size 0
		.amdhsa_kernarg_size 360
		.amdhsa_user_sgpr_count 2
		.amdhsa_user_sgpr_dispatch_ptr 0
		.amdhsa_user_sgpr_queue_ptr 0
		.amdhsa_user_sgpr_kernarg_segment_ptr 1
		.amdhsa_user_sgpr_dispatch_id 0
		.amdhsa_user_sgpr_kernarg_preload_length 0
		.amdhsa_user_sgpr_kernarg_preload_offset 0
		.amdhsa_user_sgpr_private_segment_size 0
		.amdhsa_uses_dynamic_stack 0
		.amdhsa_enable_private_segment 0
		.amdhsa_system_sgpr_workgroup_id_x 1
		.amdhsa_system_sgpr_workgroup_id_y 0
		.amdhsa_system_sgpr_workgroup_id_z 1
		.amdhsa_system_sgpr_workgroup_info 0
		.amdhsa_system_vgpr_workitem_id 0
		.amdhsa_next_free_vgpr 53
		.amdhsa_next_free_sgpr 69
		.amdhsa_accum_offset 56
		.amdhsa_reserve_vcc 1
		.amdhsa_float_round_mode_32 0
		.amdhsa_float_round_mode_16_64 0
		.amdhsa_float_denorm_mode_32 3
		.amdhsa_float_denorm_mode_16_64 3
		.amdhsa_dx10_clamp 1
		.amdhsa_ieee_mode 1
		.amdhsa_fp16_overflow 0
		.amdhsa_tg_split 0
		.amdhsa_exception_fp_ieee_invalid_op 0
		.amdhsa_exception_fp_denorm_src 0
		.amdhsa_exception_fp_ieee_div_zero 0
		.amdhsa_exception_fp_ieee_overflow 0
		.amdhsa_exception_fp_ieee_underflow 0
		.amdhsa_exception_fp_ieee_inexact 0
		.amdhsa_exception_int_div_zero 0
	.end_amdhsa_kernel
	.section	.text._ZL23rocblas_gemvt_sn_kernelILb0ELi256ELi4ElDF16_PKffEviiT4_lPKT3_lilS5_lilPT5_i,"axG",@progbits,_ZL23rocblas_gemvt_sn_kernelILb0ELi256ELi4ElDF16_PKffEviiT4_lPKT3_lilS5_lilPT5_i,comdat
.Lfunc_end397:
	.size	_ZL23rocblas_gemvt_sn_kernelILb0ELi256ELi4ElDF16_PKffEviiT4_lPKT3_lilS5_lilPT5_i, .Lfunc_end397-_ZL23rocblas_gemvt_sn_kernelILb0ELi256ELi4ElDF16_PKffEviiT4_lPKT3_lilS5_lilPT5_i
                                        ; -- End function
	.section	.AMDGPU.csdata,"",@progbits
; Kernel info:
; codeLenInByte = 4112
; NumSgprs: 75
; NumVgprs: 53
; NumAgprs: 0
; TotalNumVgprs: 53
; ScratchSize: 0
; MemoryBound: 0
; FloatMode: 240
; IeeeMode: 1
; LDSByteSize: 256 bytes/workgroup (compile time only)
; SGPRBlocks: 9
; VGPRBlocks: 6
; NumSGPRsForWavesPerEU: 75
; NumVGPRsForWavesPerEU: 53
; AccumOffset: 56
; Occupancy: 8
; WaveLimiterHint : 1
; COMPUTE_PGM_RSRC2:SCRATCH_EN: 0
; COMPUTE_PGM_RSRC2:USER_SGPR: 2
; COMPUTE_PGM_RSRC2:TRAP_HANDLER: 0
; COMPUTE_PGM_RSRC2:TGID_X_EN: 1
; COMPUTE_PGM_RSRC2:TGID_Y_EN: 0
; COMPUTE_PGM_RSRC2:TGID_Z_EN: 1
; COMPUTE_PGM_RSRC2:TIDIG_COMP_CNT: 0
; COMPUTE_PGM_RSRC3_GFX90A:ACCUM_OFFSET: 13
; COMPUTE_PGM_RSRC3_GFX90A:TG_SPLIT: 0
	.section	.text._ZL23rocblas_gemvt_sn_reduceILi256ELi8EfPKfDF16_EviT2_lPT3_lilPT1_i,"axG",@progbits,_ZL23rocblas_gemvt_sn_reduceILi256ELi8EfPKfDF16_EviT2_lPT3_lilPT1_i,comdat
	.globl	_ZL23rocblas_gemvt_sn_reduceILi256ELi8EfPKfDF16_EviT2_lPT3_lilPT1_i ; -- Begin function _ZL23rocblas_gemvt_sn_reduceILi256ELi8EfPKfDF16_EviT2_lPT3_lilPT1_i
	.p2align	8
	.type	_ZL23rocblas_gemvt_sn_reduceILi256ELi8EfPKfDF16_EviT2_lPT3_lilPT1_i,@function
_ZL23rocblas_gemvt_sn_reduceILi256ELi8EfPKfDF16_EviT2_lPT3_lilPT1_i: ; @_ZL23rocblas_gemvt_sn_reduceILi256ELi8EfPKfDF16_EviT2_lPT3_lilPT1_i
; %bb.0:
	s_load_dword s5, s[0:1], 0x0
	s_load_dwordx8 s[8:15], s[0:1], 0x8
	v_lshlrev_b32_e32 v1, 3, v0
	s_mov_b32 s17, 0
	v_mov_b32_e32 v3, 0
	s_waitcnt lgkmcnt(0)
	s_ashr_i32 s16, s5, 31
	s_mul_i32 s2, s4, s11
	s_mul_hi_u32 s6, s4, s10
	s_add_i32 s7, s6, s2
	s_mul_i32 s6, s4, s10
	s_lshl_b64 s[10:11], s[6:7], 2
	s_add_u32 s8, s8, s10
	s_load_dwordx2 s[6:7], s[0:1], 0x38
	s_load_dword s10, s[0:1], 0x4c
	s_addc_u32 s9, s9, s11
	s_load_dword s2, s[8:9], 0x0
	s_add_u32 s18, s0, 0x48
	s_addc_u32 s19, s1, 0
	s_waitcnt lgkmcnt(0)
	s_mul_i32 s8, s10, s4
	s_add_i32 s8, s8, s3
	s_mul_i32 s9, s8, s16
	s_mul_hi_u32 s10, s8, s5
	s_add_i32 s9, s10, s9
	s_lshr_b32 s10, s16, 29
	s_add_i32 s10, s5, s10
	s_and_b32 s20, s10, -8
	s_mul_i32 s8, s8, s5
	v_cmp_gt_i32_e32 vcc, s20, v1
	s_and_saveexec_b64 s[10:11], vcc
	s_cbranch_execz .LBB398_4
; %bb.1:
	s_load_dword s16, s[18:19], 0xc
	s_lshl_b64 s[18:19], s[8:9], 2
	v_lshlrev_b32_e32 v2, 5, v0
	v_mov_b32_e32 v3, 0
	s_waitcnt lgkmcnt(0)
	s_and_b32 s16, s16, 0xffff
	s_lshl_b32 s21, s16, 3
	s_add_u32 s18, s6, s18
	s_addc_u32 s19, s7, s19
	v_lshl_add_u64 v[4:5], s[18:19], 0, v[2:3]
	s_lshl_b32 s16, s16, 5
	v_lshl_add_u64 v[4:5], v[4:5], 0, 28
	s_mov_b64 s[18:19], 0
.LBB398_2:                              ; =>This Inner Loop Header: Depth=1
	global_load_dwordx4 v[6:9], v[4:5], off offset:-28
	global_load_dwordx4 v[10:13], v[4:5], off offset:-12
	v_add_u32_e32 v1, s21, v1
	v_cmp_le_i32_e32 vcc, s20, v1
	v_lshl_add_u64 v[4:5], v[4:5], 0, s[16:17]
	s_or_b64 s[18:19], vcc, s[18:19]
	s_waitcnt vmcnt(1)
	v_add_f32_e32 v2, v3, v6
	v_add_f32_e32 v2, v2, v7
	;; [unrolled: 1-line block ×4, first 2 shown]
	s_waitcnt vmcnt(0)
	v_add_f32_e32 v2, v2, v10
	v_add_f32_e32 v2, v2, v11
	;; [unrolled: 1-line block ×4, first 2 shown]
	s_andn2_b64 exec, exec, s[18:19]
	s_cbranch_execnz .LBB398_2
; %bb.3:
	s_or_b64 exec, exec, s[18:19]
.LBB398_4:
	s_or_b64 exec, exec, s[10:11]
	s_sub_i32 s10, s5, s20
	v_cmp_gt_u32_e32 vcc, s10, v0
	s_and_saveexec_b64 s[10:11], vcc
	s_cbranch_execz .LBB398_6
; %bb.5:
	s_lshl_b64 s[8:9], s[8:9], 2
	s_add_u32 s6, s6, s8
	s_addc_u32 s7, s7, s9
	v_xad_u32 v4, v0, -1, s5
	v_mov_b32_e32 v5, 0
	v_lshl_add_u64 v[4:5], v[4:5], 2, s[6:7]
	global_load_dword v1, v[4:5], off
	s_waitcnt vmcnt(0)
	v_add_f32_e32 v3, v3, v1
.LBB398_6:
	s_or_b64 exec, exec, s[10:11]
	v_and_b32_e32 v2, 63, v0
	v_cmp_gt_u32_e32 vcc, 64, v0
	v_lshlrev_b32_e32 v1, 2, v2
	s_and_saveexec_b64 s[6:7], vcc
	s_cbranch_execz .LBB398_8
; %bb.7:
	v_mov_b32_e32 v4, 0
	ds_write_b32 v1, v4
.LBB398_8:
	s_or_b64 exec, exec, s[6:7]
	v_mbcnt_lo_u32_b32 v4, -1, 0
	v_mbcnt_hi_u32_b32 v4, -1, v4
	v_and_b32_e32 v5, 63, v4
	v_cmp_gt_u32_e64 s[6:7], 32, v5
	s_waitcnt lgkmcnt(0)
	s_barrier
	v_cndmask_b32_e64 v6, 0, 1, s[6:7]
	v_lshlrev_b32_e32 v6, 5, v6
	v_add_lshl_u32 v6, v6, v4, 2
	ds_bpermute_b32 v6, v6, v3
	v_cmp_gt_u32_e64 s[6:7], 48, v5
	s_waitcnt lgkmcnt(0)
	v_add_f32_e32 v3, v3, v6
	v_cndmask_b32_e64 v7, 0, 1, s[6:7]
	v_lshlrev_b32_e32 v7, 4, v7
	v_add_lshl_u32 v6, v7, v4, 2
	ds_bpermute_b32 v6, v6, v3
	v_cmp_gt_u32_e64 s[6:7], 56, v5
	s_waitcnt lgkmcnt(0)
	v_add_f32_e32 v3, v3, v6
	;; [unrolled: 7-line block ×4, first 2 shown]
	v_cndmask_b32_e64 v7, 0, 1, s[6:7]
	v_lshlrev_b32_e32 v7, 1, v7
	v_add_lshl_u32 v3, v7, v4, 2
	ds_bpermute_b32 v7, v3, v6
	v_cmp_ne_u32_e64 s[6:7], 63, v5
	s_waitcnt lgkmcnt(0)
	v_add_f32_e32 v5, v6, v7
	v_addc_co_u32_e64 v4, s[6:7], 0, v4, s[6:7]
	v_lshlrev_b32_e32 v4, 2, v4
	ds_bpermute_b32 v6, v4, v5
	v_cmp_eq_u32_e64 s[6:7], 0, v2
	s_and_saveexec_b64 s[8:9], s[6:7]
	s_cbranch_execz .LBB398_10
; %bb.9:
	v_lshrrev_b32_e32 v2, 4, v0
	v_and_b32_e32 v2, 12, v2
	s_waitcnt lgkmcnt(0)
	v_add_f32_e32 v5, v5, v6
	ds_write_b32 v2, v5
.LBB398_10:
	s_or_b64 exec, exec, s[8:9]
	v_cmp_gt_u32_e64 s[6:7], 4, v0
	v_mov_b32_e32 v2, 0
	s_waitcnt lgkmcnt(0)
	s_barrier
	s_and_saveexec_b64 s[8:9], s[6:7]
	s_cbranch_execnz .LBB398_14
; %bb.11:
	s_or_b64 exec, exec, s[8:9]
	s_and_saveexec_b64 s[6:7], vcc
	s_cbranch_execnz .LBB398_15
.LBB398_12:
	s_or_b64 exec, exec, s[6:7]
	v_cmp_eq_u32_e32 vcc, 0, v0
	s_and_saveexec_b64 s[6:7], vcc
	s_cbranch_execnz .LBB398_16
.LBB398_13:
	s_endpgm
.LBB398_14:
	ds_read_b32 v2, v1
	s_or_b64 exec, exec, s[8:9]
	s_and_saveexec_b64 s[6:7], vcc
	s_cbranch_execz .LBB398_12
.LBB398_15:
	s_waitcnt lgkmcnt(0)
	ds_bpermute_b32 v1, v3, v2
	s_waitcnt lgkmcnt(0)
	v_add_f32_e32 v1, v2, v1
	ds_bpermute_b32 v2, v4, v1
	s_waitcnt lgkmcnt(0)
	v_add_f32_e32 v2, v1, v2
	s_or_b64 exec, exec, s[6:7]
	v_cmp_eq_u32_e32 vcc, 0, v0
	s_and_saveexec_b64 s[6:7], vcc
	s_cbranch_execz .LBB398_13
.LBB398_16:
	s_load_dword s8, s[0:1], 0x28
	s_load_dwordx2 s[6:7], s[0:1], 0x30
	s_waitcnt lgkmcnt(0)
	s_ashr_i32 s9, s8, 31
	s_mul_i32 s1, s4, s7
	s_mul_hi_u32 s5, s4, s6
	s_mul_i32 s0, s4, s6
	s_add_i32 s1, s5, s1
	s_lshl_b64 s[0:1], s[0:1], 1
	s_add_u32 s4, s12, s0
	s_addc_u32 s5, s13, s1
	s_lshl_b64 s[0:1], s[14:15], 1
	s_add_u32 s4, s4, s0
	v_cmp_eq_f32_e64 s[6:7], s2, 0
	s_mul_hi_u32 s0, s8, s3
	s_mul_i32 s9, s9, s3
	s_addc_u32 s5, s5, s1
	s_add_i32 s1, s0, s9
	s_mul_i32 s0, s8, s3
	s_and_b64 vcc, exec, s[6:7]
	s_cbranch_vccnz .LBB398_18
; %bb.17:
	s_lshl_b64 s[6:7], s[0:1], 1
	s_add_u32 s6, s4, s6
	s_addc_u32 s7, s5, s7
	v_mov_b32_e32 v0, 0
	global_load_ushort v0, v0, s[6:7]
	s_waitcnt vmcnt(0)
	v_fma_mix_f32 v2, s2, v0, v2 op_sel_hi:[0,1,0]
.LBB398_18:
	v_cvt_f16_f32_e32 v0, v2
	s_lshl_b64 s[0:1], s[0:1], 1
	s_add_u32 s0, s4, s0
	s_addc_u32 s1, s5, s1
	v_mov_b32_e32 v1, 0
	global_store_short v1, v0, s[0:1]
	s_endpgm
	.section	.rodata,"a",@progbits
	.p2align	6, 0x0
	.amdhsa_kernel _ZL23rocblas_gemvt_sn_reduceILi256ELi8EfPKfDF16_EviT2_lPT3_lilPT1_i
		.amdhsa_group_segment_fixed_size 256
		.amdhsa_private_segment_fixed_size 0
		.amdhsa_kernarg_size 328
		.amdhsa_user_sgpr_count 2
		.amdhsa_user_sgpr_dispatch_ptr 0
		.amdhsa_user_sgpr_queue_ptr 0
		.amdhsa_user_sgpr_kernarg_segment_ptr 1
		.amdhsa_user_sgpr_dispatch_id 0
		.amdhsa_user_sgpr_kernarg_preload_length 0
		.amdhsa_user_sgpr_kernarg_preload_offset 0
		.amdhsa_user_sgpr_private_segment_size 0
		.amdhsa_uses_dynamic_stack 0
		.amdhsa_enable_private_segment 0
		.amdhsa_system_sgpr_workgroup_id_x 1
		.amdhsa_system_sgpr_workgroup_id_y 1
		.amdhsa_system_sgpr_workgroup_id_z 1
		.amdhsa_system_sgpr_workgroup_info 0
		.amdhsa_system_vgpr_workitem_id 0
		.amdhsa_next_free_vgpr 14
		.amdhsa_next_free_sgpr 22
		.amdhsa_accum_offset 16
		.amdhsa_reserve_vcc 1
		.amdhsa_float_round_mode_32 0
		.amdhsa_float_round_mode_16_64 0
		.amdhsa_float_denorm_mode_32 3
		.amdhsa_float_denorm_mode_16_64 3
		.amdhsa_dx10_clamp 1
		.amdhsa_ieee_mode 1
		.amdhsa_fp16_overflow 0
		.amdhsa_tg_split 0
		.amdhsa_exception_fp_ieee_invalid_op 0
		.amdhsa_exception_fp_denorm_src 0
		.amdhsa_exception_fp_ieee_div_zero 0
		.amdhsa_exception_fp_ieee_overflow 0
		.amdhsa_exception_fp_ieee_underflow 0
		.amdhsa_exception_fp_ieee_inexact 0
		.amdhsa_exception_int_div_zero 0
	.end_amdhsa_kernel
	.section	.text._ZL23rocblas_gemvt_sn_reduceILi256ELi8EfPKfDF16_EviT2_lPT3_lilPT1_i,"axG",@progbits,_ZL23rocblas_gemvt_sn_reduceILi256ELi8EfPKfDF16_EviT2_lPT3_lilPT1_i,comdat
.Lfunc_end398:
	.size	_ZL23rocblas_gemvt_sn_reduceILi256ELi8EfPKfDF16_EviT2_lPT3_lilPT1_i, .Lfunc_end398-_ZL23rocblas_gemvt_sn_reduceILi256ELi8EfPKfDF16_EviT2_lPT3_lilPT1_i
                                        ; -- End function
	.section	.AMDGPU.csdata,"",@progbits
; Kernel info:
; codeLenInByte = 1032
; NumSgprs: 28
; NumVgprs: 14
; NumAgprs: 0
; TotalNumVgprs: 14
; ScratchSize: 0
; MemoryBound: 0
; FloatMode: 240
; IeeeMode: 1
; LDSByteSize: 256 bytes/workgroup (compile time only)
; SGPRBlocks: 3
; VGPRBlocks: 1
; NumSGPRsForWavesPerEU: 28
; NumVGPRsForWavesPerEU: 14
; AccumOffset: 16
; Occupancy: 8
; WaveLimiterHint : 0
; COMPUTE_PGM_RSRC2:SCRATCH_EN: 0
; COMPUTE_PGM_RSRC2:USER_SGPR: 2
; COMPUTE_PGM_RSRC2:TRAP_HANDLER: 0
; COMPUTE_PGM_RSRC2:TGID_X_EN: 1
; COMPUTE_PGM_RSRC2:TGID_Y_EN: 1
; COMPUTE_PGM_RSRC2:TGID_Z_EN: 1
; COMPUTE_PGM_RSRC2:TIDIG_COMP_CNT: 0
; COMPUTE_PGM_RSRC3_GFX90A:ACCUM_OFFSET: 3
; COMPUTE_PGM_RSRC3_GFX90A:TG_SPLIT: 0
	.section	.text._ZL23rocblas_gemvt_sn_kernelILb0ELi256ELi4EiDF16_ffEviiT4_lPKT3_lilS3_lilPT5_i,"axG",@progbits,_ZL23rocblas_gemvt_sn_kernelILb0ELi256ELi4EiDF16_ffEviiT4_lPKT3_lilS3_lilPT5_i,comdat
	.globl	_ZL23rocblas_gemvt_sn_kernelILb0ELi256ELi4EiDF16_ffEviiT4_lPKT3_lilS3_lilPT5_i ; -- Begin function _ZL23rocblas_gemvt_sn_kernelILb0ELi256ELi4EiDF16_ffEviiT4_lPKT3_lilS3_lilPT5_i
	.p2align	8
	.type	_ZL23rocblas_gemvt_sn_kernelILb0ELi256ELi4EiDF16_ffEviiT4_lPKT3_lilS3_lilPT5_i,@function
_ZL23rocblas_gemvt_sn_kernelILb0ELi256ELi4EiDF16_ffEviiT4_lPKT3_lilS3_lilPT5_i: ; @_ZL23rocblas_gemvt_sn_kernelILb0ELi256ELi4EiDF16_ffEviiT4_lPKT3_lilS3_lilPT5_i
; %bb.0:
	s_load_dwordx4 s[24:27], s[0:1], 0x0
	s_load_dwordx4 s[8:11], s[0:1], 0x50
	s_load_dword s22, s[0:1], 0x68
	s_mov_b32 s6, s3
	s_mov_b32 s23, 0
	s_waitcnt lgkmcnt(0)
	s_ashr_i32 s7, s25, 31
	s_mul_hi_u32 s3, s25, s3
	s_mul_i32 s4, s7, s6
	s_add_i32 s13, s3, s4
	s_mul_i32 s12, s25, s6
	s_mul_i32 s3, s13, s22
	s_mul_hi_u32 s4, s12, s22
	s_add_i32 s5, s4, s3
	s_mul_i32 s4, s12, s22
	s_lshl_b64 s[4:5], s[4:5], 2
	s_add_u32 s56, s10, s4
	s_addc_u32 s57, s11, s5
	v_cmp_neq_f32_e64 s[4:5], s26, 0
	s_and_b64 vcc, exec, s[4:5]
	v_cmp_eq_u32_e64 s[4:5], 0, v0
	s_cbranch_vccnz .LBB399_10
; %bb.1:
	s_cmp_gt_i32 s25, 0
	s_cselect_b64 s[14:15], -1, 0
	s_and_b64 s[14:15], s[4:5], s[14:15]
	s_and_saveexec_b64 s[4:5], s[14:15]
	s_cbranch_execz .LBB399_9
; %bb.2:
	s_cmp_gt_u32 s25, 1
	s_cselect_b64 s[14:15], -1, 0
	s_cmp_eq_u32 s22, 1
	s_cselect_b64 s[18:19], -1, 0
	s_mov_b32 s3, 0
	s_and_b64 s[14:15], s[14:15], s[18:19]
	s_mov_b64 s[16:17], -1
	s_andn2_b64 vcc, exec, s[14:15]
	s_mov_b32 s14, s3
	s_cbranch_vccnz .LBB399_6
; %bb.3:
	s_lshl_b64 s[14:15], s[2:3], 2
	s_add_u32 s16, s56, s14
	s_addc_u32 s17, s57, s15
	s_and_b32 s14, s25, 0x7ffffffe
	v_mov_b32_e32 v2, 0
	v_mov_b32_e32 v3, v2
	s_mov_b32 s15, s14
.LBB399_4:                              ; =>This Inner Loop Header: Depth=1
	global_store_dwordx2 v2, v[2:3], s[16:17]
	s_add_u32 s16, s16, 8
	s_addc_u32 s17, s17, 0
	s_add_i32 s15, s15, -2
	s_cmp_lg_u32 s15, 0
	s_cbranch_scc1 .LBB399_4
; %bb.5:
	s_cmp_lg_u32 s14, s25
	s_cselect_b64 s[16:17], -1, 0
.LBB399_6:
	s_and_b64 vcc, exec, s[16:17]
	s_cbranch_vccz .LBB399_9
; %bb.7:
	s_mov_b32 s15, 0
	s_sub_i32 s16, s25, s14
	s_lshl_b64 s[12:13], s[12:13], 2
	s_lshl_b64 s[14:15], s[14:15], 2
	s_add_u32 s12, s12, s14
	s_addc_u32 s13, s13, s15
	s_mul_i32 s13, s13, s22
	s_mul_hi_u32 s14, s12, s22
	s_add_i32 s14, s14, s13
	s_mul_i32 s15, s12, s22
	s_lshl_b64 s[12:13], s[2:3], 2
	s_add_u32 s3, s15, s12
	s_addc_u32 s12, s14, s13
	s_add_u32 s10, s10, s3
	s_addc_u32 s11, s11, s12
	s_lshl_b64 s[12:13], s[22:23], 2
	v_mov_b32_e32 v1, 0
.LBB399_8:                              ; =>This Inner Loop Header: Depth=1
	s_add_i32 s16, s16, -1
	global_store_dword v1, v1, s[10:11]
	s_add_u32 s10, s10, s12
	s_addc_u32 s11, s11, s13
	s_cmp_eq_u32 s16, 0
	s_cbranch_scc0 .LBB399_8
.LBB399_9:
	s_or_b64 exec, exec, s[4:5]
	s_cbranch_execz .LBB399_11
	s_branch .LBB399_84
.LBB399_10:
.LBB399_11:
	s_load_dwordx4 s[28:31], s[0:1], 0x18
	s_load_dword s34, s[0:1], 0x28
	s_load_dwordx4 s[12:15], s[0:1], 0x30
	s_load_dwordx2 s[4:5], s[0:1], 0x40
	s_load_dword s23, s[0:1], 0x48
	s_mul_i32 s0, s6, s9
	s_mul_hi_u32 s1, s6, s8
	s_add_i32 s1, s1, s0
	s_mul_i32 s0, s6, s8
	s_lshl_b64 s[0:1], s[0:1], 1
	s_waitcnt lgkmcnt(0)
	s_add_u32 s3, s14, s0
	s_addc_u32 s8, s15, s1
	s_lshl_b64 s[0:1], s[4:5], 1
	s_add_u32 s36, s3, s0
	s_addc_u32 s37, s8, s1
	s_mul_i32 s0, s6, s13
	s_mul_hi_u32 s1, s6, s12
	s_add_i32 s1, s1, s0
	s_mul_i32 s0, s6, s12
	s_lshl_b64 s[38:39], s[0:1], 1
	s_add_u32 s0, s28, s38
	s_addc_u32 s1, s29, s39
	s_lshl_b64 s[30:31], s[30:31], 1
	s_add_u32 s0, s0, s30
	s_addc_u32 s1, s1, s31
	s_lshl_b32 s3, s2, 10
	v_lshl_or_b32 v10, v0, 2, s3
	v_ashrrev_i32_e32 v11, 31, v10
	v_lshl_add_u64 v[6:7], v[10:11], 1, s[0:1]
	s_lshr_b32 s0, s7, 30
	s_add_i32 s0, s25, s0
	s_and_b32 s3, s0, -4
	s_ashr_i32 s0, s24, 31
	s_lshr_b32 s0, s0, 30
	s_add_i32 s0, s24, s0
	s_and_b32 s0, s0, -4
	s_sub_i32 s27, s24, s0
	s_cmp_lt_i32 s3, 1
	v_add_u32_e32 v27, 4, v10
	v_add_u32_e32 v28, s27, v10
	v_and_b32_e32 v1, 63, v0
	v_cmp_gt_u32_e64 s[0:1], 64, v0
	v_mbcnt_lo_u32_b32 v26, -1, 0
	v_cmp_gt_u32_e64 s[4:5], 4, v0
	v_lshrrev_b32_e32 v9, 4, v0
	v_mul_lo_u32 v8, v10, s23
	s_cbranch_scc1 .LBB399_59
; %bb.12:
	v_mbcnt_hi_u32_b32 v2, -1, v26
	v_and_b32_e32 v3, 63, v2
	v_cmp_gt_u32_e32 vcc, 32, v3
	v_mul_lo_u32 v12, v10, s23
	s_cmp_gt_i32 s27, 0
	v_cndmask_b32_e64 v4, 0, 1, vcc
	v_lshlrev_b32_e32 v4, 5, v4
	v_cmp_gt_u32_e32 vcc, 48, v3
	v_add_lshl_u32 v29, v4, v2, 2
	s_cselect_b64 s[42:43], -1, 0
	v_cndmask_b32_e64 v4, 0, 1, vcc
	v_lshlrev_b32_e32 v4, 4, v4
	v_cmp_gt_u32_e32 vcc, 56, v3
	v_add_lshl_u32 v30, v4, v2, 2
	s_lshl_b32 s58, s34, 2
	v_cndmask_b32_e64 v4, 0, 1, vcc
	v_lshlrev_b32_e32 v4, 3, v4
	v_cmp_gt_u32_e32 vcc, 60, v3
	v_add_lshl_u32 v31, v4, v2, 2
	s_lshl_b32 s40, s34, 1
	v_cndmask_b32_e64 v4, 0, 1, vcc
	v_lshlrev_b32_e32 v4, 2, v4
	v_cmp_gt_u32_e32 vcc, 62, v3
	v_add_lshl_u32 v32, v4, v2, 2
	s_add_u32 s14, s38, s30
	v_cndmask_b32_e64 v4, 0, 1, vcc
	v_lshlrev_b32_e32 v4, 1, v4
	v_cmp_ne_u32_e32 vcc, 63, v3
	v_add_lshl_u32 v33, v4, v2, 2
	s_addc_u32 s15, s39, s31
	v_addc_co_u32_e32 v2, vcc, 0, v2, vcc
	v_lshlrev_b32_e32 v34, 2, v2
	v_add_u32_e32 v2, s23, v12
	v_ashrrev_i32_e32 v3, 31, v2
	v_lshl_add_u64 v[16:17], v[2:3], 1, s[36:37]
	v_add_u32_e32 v2, s23, v2
	v_ashrrev_i32_e32 v3, 31, v2
	s_mov_b32 s41, 0
	v_lshl_add_u64 v[18:19], v[2:3], 1, s[36:37]
	v_add_u32_e32 v2, s23, v2
	s_add_u32 s14, s28, s14
	v_ashrrev_i32_e32 v13, 31, v12
	v_ashrrev_i32_e32 v3, 31, v2
	s_mov_b32 s35, s41
	s_addc_u32 s15, s29, s15
	v_cmp_ge_i32_e64 s[6:7], s24, v27
	v_cmp_ge_i32_e64 s[8:9], s24, v28
	v_cmp_eq_u32_e64 s[10:11], 0, v1
	v_lshlrev_b32_e32 v35, 2, v1
	v_and_b32_e32 v36, 12, v9
	v_cmp_eq_u32_e64 s[12:13], 0, v0
	v_lshl_add_u64 v[14:15], v[12:13], 1, s[36:37]
	v_lshl_add_u64 v[20:21], v[2:3], 1, s[36:37]
	s_mul_i32 s59, s34, 3
	s_mov_b32 s60, s41
	v_lshl_add_u64 v[22:23], v[10:11], 1, s[14:15]
	v_mov_b32_e32 v13, 0
	s_mov_b32 s44, s41
	s_mov_b64 s[46:47], s[40:41]
	s_mov_b64 s[48:49], s[34:35]
	s_mov_b32 s33, 0
                                        ; implicit-def: $vgpr2_vgpr3_vgpr4_vgpr5
	s_branch .LBB399_14
.LBB399_13:                             ;   in Loop: Header=BB399_14 Depth=1
	s_or_b64 exec, exec, s[14:15]
	s_add_i32 s33, s33, 4
	s_add_u32 s48, s48, s58
	s_addc_u32 s49, s49, 0
	s_add_u32 s46, s46, s58
	s_addc_u32 s47, s47, 0
	;; [unrolled: 2-line block ×3, first 2 shown]
	s_add_i32 s44, s44, s58
	s_cmp_ge_i32 s33, s3
	s_cbranch_scc1 .LBB399_60
.LBB399_14:                             ; =>This Loop Header: Depth=1
                                        ;     Child Loop BB399_45 Depth 2
                                        ;     Child Loop BB399_48 Depth 2
                                        ; implicit-def: $vgpr37
                                        ; implicit-def: $vgpr38
                                        ; implicit-def: $vgpr39
                                        ; implicit-def: $vgpr40
	s_and_saveexec_b64 s[14:15], s[6:7]
	s_xor_b64 s[14:15], exec, s[14:15]
	s_cbranch_execnz .LBB399_41
; %bb.15:                               ;   in Loop: Header=BB399_14 Depth=1
	s_andn2_saveexec_b64 s[50:51], s[14:15]
	s_cbranch_execnz .LBB399_42
.LBB399_16:                             ;   in Loop: Header=BB399_14 Depth=1
	s_or_b64 exec, exec, s[50:51]
	s_and_saveexec_b64 s[14:15], s[0:1]
	s_cbranch_execz .LBB399_18
.LBB399_17:                             ;   in Loop: Header=BB399_14 Depth=1
	ds_write_b32 v35, v13
.LBB399_18:                             ;   in Loop: Header=BB399_14 Depth=1
	s_or_b64 exec, exec, s[14:15]
	ds_bpermute_b32 v24, v29, v40
	s_waitcnt lgkmcnt(0)
	s_barrier
	v_add_f32_e32 v24, v40, v24
	ds_bpermute_b32 v25, v30, v24
	s_waitcnt lgkmcnt(0)
	v_add_f32_e32 v24, v24, v25
	ds_bpermute_b32 v25, v31, v24
	s_waitcnt lgkmcnt(0)
	;; [unrolled: 3-line block ×4, first 2 shown]
	v_add_f32_e32 v24, v24, v25
	ds_bpermute_b32 v25, v34, v24
	s_and_saveexec_b64 s[14:15], s[10:11]
	s_cbranch_execz .LBB399_20
; %bb.19:                               ;   in Loop: Header=BB399_14 Depth=1
	s_waitcnt lgkmcnt(0)
	v_add_f32_e32 v24, v24, v25
	ds_write_b32 v36, v24
.LBB399_20:                             ;   in Loop: Header=BB399_14 Depth=1
	s_or_b64 exec, exec, s[14:15]
	v_mov_b32_e32 v24, 0
	s_waitcnt lgkmcnt(0)
	s_barrier
	s_and_saveexec_b64 s[14:15], s[4:5]
	s_cbranch_execnz .LBB399_50
; %bb.21:                               ;   in Loop: Header=BB399_14 Depth=1
	s_or_b64 exec, exec, s[14:15]
	s_and_saveexec_b64 s[14:15], s[0:1]
	s_cbranch_execnz .LBB399_51
.LBB399_22:                             ;   in Loop: Header=BB399_14 Depth=1
	s_or_b64 exec, exec, s[14:15]
	s_and_saveexec_b64 s[14:15], s[0:1]
	s_cbranch_execz .LBB399_24
.LBB399_23:                             ;   in Loop: Header=BB399_14 Depth=1
	ds_write_b32 v35, v13
.LBB399_24:                             ;   in Loop: Header=BB399_14 Depth=1
	s_or_b64 exec, exec, s[14:15]
	ds_bpermute_b32 v25, v29, v39
	s_waitcnt lgkmcnt(0)
	s_barrier
	v_add_f32_e32 v25, v39, v25
	ds_bpermute_b32 v39, v30, v25
	s_waitcnt lgkmcnt(0)
	v_add_f32_e32 v25, v25, v39
	ds_bpermute_b32 v39, v31, v25
	s_waitcnt lgkmcnt(0)
	v_add_f32_e32 v25, v25, v39
	ds_bpermute_b32 v39, v32, v25
	s_waitcnt lgkmcnt(0)
	v_add_f32_e32 v25, v25, v39
	ds_bpermute_b32 v39, v33, v25
	s_waitcnt lgkmcnt(0)
	v_add_f32_e32 v25, v25, v39
	ds_bpermute_b32 v39, v34, v25
	s_and_saveexec_b64 s[14:15], s[10:11]
	s_cbranch_execz .LBB399_26
; %bb.25:                               ;   in Loop: Header=BB399_14 Depth=1
	s_waitcnt lgkmcnt(0)
	v_add_f32_e32 v25, v25, v39
	ds_write_b32 v36, v25
.LBB399_26:                             ;   in Loop: Header=BB399_14 Depth=1
	s_or_b64 exec, exec, s[14:15]
	v_mov_b32_e32 v25, 0
	s_waitcnt lgkmcnt(0)
	s_barrier
	s_and_saveexec_b64 s[14:15], s[4:5]
	s_cbranch_execnz .LBB399_52
; %bb.27:                               ;   in Loop: Header=BB399_14 Depth=1
	s_or_b64 exec, exec, s[14:15]
	s_and_saveexec_b64 s[14:15], s[0:1]
	s_cbranch_execnz .LBB399_53
.LBB399_28:                             ;   in Loop: Header=BB399_14 Depth=1
	s_or_b64 exec, exec, s[14:15]
	s_and_saveexec_b64 s[14:15], s[0:1]
	s_cbranch_execz .LBB399_30
.LBB399_29:                             ;   in Loop: Header=BB399_14 Depth=1
	ds_write_b32 v35, v13
.LBB399_30:                             ;   in Loop: Header=BB399_14 Depth=1
	s_or_b64 exec, exec, s[14:15]
	ds_bpermute_b32 v39, v29, v38
	s_waitcnt lgkmcnt(0)
	s_barrier
	v_add_f32_e32 v38, v38, v39
	ds_bpermute_b32 v39, v30, v38
	s_waitcnt lgkmcnt(0)
	v_add_f32_e32 v38, v38, v39
	ds_bpermute_b32 v39, v31, v38
	s_waitcnt lgkmcnt(0)
	;; [unrolled: 3-line block ×4, first 2 shown]
	v_add_f32_e32 v38, v38, v39
	ds_bpermute_b32 v39, v34, v38
	s_and_saveexec_b64 s[14:15], s[10:11]
	s_cbranch_execz .LBB399_32
; %bb.31:                               ;   in Loop: Header=BB399_14 Depth=1
	s_waitcnt lgkmcnt(0)
	v_add_f32_e32 v38, v38, v39
	ds_write_b32 v36, v38
.LBB399_32:                             ;   in Loop: Header=BB399_14 Depth=1
	s_or_b64 exec, exec, s[14:15]
	v_mov_b32_e32 v38, 0
	s_waitcnt lgkmcnt(0)
	s_barrier
	s_and_saveexec_b64 s[14:15], s[4:5]
	s_cbranch_execnz .LBB399_54
; %bb.33:                               ;   in Loop: Header=BB399_14 Depth=1
	s_or_b64 exec, exec, s[14:15]
	s_and_saveexec_b64 s[14:15], s[0:1]
	s_cbranch_execnz .LBB399_55
.LBB399_34:                             ;   in Loop: Header=BB399_14 Depth=1
	s_or_b64 exec, exec, s[14:15]
	s_and_saveexec_b64 s[14:15], s[0:1]
	s_cbranch_execz .LBB399_36
.LBB399_35:                             ;   in Loop: Header=BB399_14 Depth=1
	ds_write_b32 v35, v13
.LBB399_36:                             ;   in Loop: Header=BB399_14 Depth=1
	s_or_b64 exec, exec, s[14:15]
	ds_bpermute_b32 v39, v29, v37
	s_waitcnt lgkmcnt(0)
	s_barrier
	v_add_f32_e32 v37, v37, v39
	ds_bpermute_b32 v39, v30, v37
	s_waitcnt lgkmcnt(0)
	v_add_f32_e32 v37, v37, v39
	ds_bpermute_b32 v39, v31, v37
	s_waitcnt lgkmcnt(0)
	;; [unrolled: 3-line block ×4, first 2 shown]
	v_add_f32_e32 v37, v37, v39
	ds_bpermute_b32 v39, v34, v37
	s_and_saveexec_b64 s[14:15], s[10:11]
	s_cbranch_execz .LBB399_38
; %bb.37:                               ;   in Loop: Header=BB399_14 Depth=1
	s_waitcnt lgkmcnt(0)
	v_add_f32_e32 v37, v37, v39
	ds_write_b32 v36, v37
.LBB399_38:                             ;   in Loop: Header=BB399_14 Depth=1
	s_or_b64 exec, exec, s[14:15]
	v_mov_b32_e32 v37, 0
	s_waitcnt lgkmcnt(0)
	s_barrier
	s_and_saveexec_b64 s[14:15], s[4:5]
	s_cbranch_execnz .LBB399_56
; %bb.39:                               ;   in Loop: Header=BB399_14 Depth=1
	s_or_b64 exec, exec, s[14:15]
	s_and_saveexec_b64 s[14:15], s[0:1]
	s_cbranch_execnz .LBB399_57
.LBB399_40:                             ;   in Loop: Header=BB399_14 Depth=1
	s_or_b64 exec, exec, s[14:15]
	s_and_saveexec_b64 s[14:15], s[12:13]
	s_cbranch_execz .LBB399_13
	s_branch .LBB399_58
.LBB399_41:                             ;   in Loop: Header=BB399_14 Depth=1
	s_mul_i32 s16, s33, s34
	s_ashr_i32 s17, s16, 31
	v_lshl_add_u64 v[2:3], s[16:17], 1, v[6:7]
	s_add_i32 s16, s16, s34
	s_ashr_i32 s17, s16, 31
	v_lshl_add_u64 v[4:5], s[16:17], 1, v[6:7]
	s_add_i32 s16, s16, s34
	;; [unrolled: 3-line block ×3, first 2 shown]
	s_ashr_i32 s17, s16, 31
	s_waitcnt lgkmcnt(0)
	global_load_ushort v37, v[14:15], off
	global_load_ushort v44, v[16:17], off
	;; [unrolled: 1-line block ×4, first 2 shown]
	global_load_dwordx2 v[38:39], v[2:3], off
	global_load_dwordx2 v[40:41], v[4:5], off
	v_lshl_add_u64 v[2:3], s[16:17], 1, v[6:7]
	global_load_dwordx2 v[24:25], v[24:25], off
	s_waitcnt vmcnt(4)
	v_cvt_f32_f16_e32 v4, v45
	global_load_dwordx2 v[42:43], v[2:3], off
	s_waitcnt vmcnt(3)
	v_fma_mix_f32 v47, v37, v38, 0 op_sel_hi:[1,1,0]
	v_cvt_f32_f16_e32 v2, v37
	v_cvt_f32_f16_e32 v3, v44
	;; [unrolled: 1-line block ×3, first 2 shown]
	s_waitcnt vmcnt(2)
	v_fma_mix_f32 v48, v37, v40, 0 op_sel_hi:[1,1,0]
	v_fma_mix_f32 v38, v44, v38, v47 op_sel:[0,1,0] op_sel_hi:[1,1,0]
	s_waitcnt vmcnt(1)
	v_fma_mix_f32 v47, v37, v24, 0 op_sel_hi:[1,1,0]
	v_fma_mix_f32 v40, v44, v40, v48 op_sel:[0,1,0] op_sel_hi:[1,1,0]
	v_fma_mix_f32 v24, v44, v24, v47 op_sel:[0,1,0] op_sel_hi:[1,1,0]
	v_fma_mix_f32 v38, v45, v39, v38 op_sel_hi:[1,1,0]
	v_fma_mix_f32 v47, v45, v41, v40 op_sel_hi:[1,1,0]
	;; [unrolled: 1-line block ×3, first 2 shown]
	v_fma_mix_f32 v40, v46, v39, v38 op_sel:[0,1,0] op_sel_hi:[1,1,0]
	v_fma_mix_f32 v39, v46, v41, v47 op_sel:[0,1,0] op_sel_hi:[1,1,0]
	;; [unrolled: 1-line block ×3, first 2 shown]
	s_waitcnt vmcnt(0)
	v_fma_mix_f32 v37, v37, v42, 0 op_sel_hi:[1,1,0]
	s_nop 0
	v_fma_mix_f32 v37, v44, v42, v37 op_sel:[0,1,0] op_sel_hi:[1,1,0]
	s_nop 0
	v_fma_mix_f32 v37, v45, v43, v37 op_sel_hi:[1,1,0]
	s_nop 0
	v_fma_mix_f32 v37, v46, v43, v37 op_sel:[0,1,0] op_sel_hi:[1,1,0]
	s_andn2_saveexec_b64 s[50:51], s[14:15]
	s_cbranch_execz .LBB399_16
.LBB399_42:                             ;   in Loop: Header=BB399_14 Depth=1
	s_waitcnt lgkmcnt(0)
	v_mov_b32_e32 v37, 0
	v_mov_b32_e32 v38, 0
	;; [unrolled: 1-line block ×4, first 2 shown]
	s_and_saveexec_b64 s[52:53], s[8:9]
	s_cbranch_execz .LBB399_49
; %bb.43:                               ;   in Loop: Header=BB399_14 Depth=1
	v_cndmask_b32_e64 v24, 0, 1, s[42:43]
	v_cmp_ne_u32_e64 s[14:15], 1, v24
	s_andn2_b64 vcc, exec, s[42:43]
	s_cbranch_vccnz .LBB399_46
; %bb.44:                               ;   in Loop: Header=BB399_14 Depth=1
	s_mov_b64 s[54:55], 0
	v_mov_b32_e32 v24, v12
.LBB399_45:                             ;   Parent Loop BB399_14 Depth=1
                                        ; =>  This Inner Loop Header: Depth=2
	v_ashrrev_i32_e32 v25, 31, v24
	v_lshl_add_u64 v[38:39], v[24:25], 1, s[36:37]
	global_load_ushort v25, v[38:39], off
	s_cmp_eq_u32 s54, 3
	s_cselect_b64 vcc, -1, 0
	s_cmp_eq_u32 s54, 2
	s_cselect_b64 s[16:17], -1, 0
	s_cmp_eq_u32 s54, 1
	s_cselect_b64 s[18:19], -1, 0
	;; [unrolled: 2-line block ×3, first 2 shown]
	s_add_u32 s54, s54, 1
	s_addc_u32 s55, s55, 0
	v_add_u32_e32 v24, s23, v24
	s_cmp_eq_u32 s27, s54
	s_waitcnt vmcnt(0)
	v_cvt_f32_f16_e32 v25, v25
	v_cndmask_b32_e32 v5, v5, v25, vcc
	v_cndmask_b32_e64 v4, v4, v25, s[16:17]
	v_cndmask_b32_e64 v3, v3, v25, s[18:19]
	;; [unrolled: 1-line block ×3, first 2 shown]
	s_cbranch_scc0 .LBB399_45
.LBB399_46:                             ;   in Loop: Header=BB399_14 Depth=1
	s_and_b64 vcc, exec, s[14:15]
	v_mov_b32_e32 v37, 0
	v_mov_b32_e32 v38, 0
	;; [unrolled: 1-line block ×4, first 2 shown]
	s_cbranch_vccnz .LBB399_49
; %bb.47:                               ;   in Loop: Header=BB399_14 Depth=1
	s_ashr_i32 s45, s44, 31
	v_lshl_add_u64 v[24:25], s[44:45], 1, v[22:23]
	s_mov_b64 s[14:15], 0
	v_mov_b32_e32 v40, 0
	v_mov_b32_e32 v39, 0
	;; [unrolled: 1-line block ×4, first 2 shown]
.LBB399_48:                             ;   Parent Loop BB399_14 Depth=1
                                        ; =>  This Inner Loop Header: Depth=2
	s_cmp_eq_u32 s14, 1
	s_cselect_b64 vcc, -1, 0
	s_cmp_eq_u32 s14, 2
	v_cndmask_b32_e32 v42, v2, v3, vcc
	s_cselect_b64 vcc, -1, 0
	s_cmp_eq_u32 s14, 3
	v_cndmask_b32_e32 v48, v42, v4, vcc
	s_cselect_b64 vcc, -1, 0
	s_add_i32 s16, s48, s14
	s_add_i32 s18, s46, s14
	;; [unrolled: 1-line block ×3, first 2 shown]
	s_ashr_i32 s17, s16, 31
	s_ashr_i32 s19, s18, 31
	s_ashr_i32 s21, s20, 31
	v_lshl_add_u64 v[42:43], s[16:17], 1, v[6:7]
	v_lshl_add_u64 v[44:45], s[18:19], 1, v[6:7]
	global_load_ushort v41, v[24:25], off
	v_lshl_add_u64 v[46:47], s[20:21], 1, v[6:7]
	global_load_ushort v42, v[42:43], off
	s_nop 0
	global_load_ushort v43, v[44:45], off
	s_nop 0
	global_load_ushort v44, v[46:47], off
	s_add_u32 s14, s14, 1
	v_cndmask_b32_e32 v45, v48, v5, vcc
	s_addc_u32 s15, s15, 0
	v_lshl_add_u64 v[24:25], v[24:25], 0, 2
	s_cmp_lg_u32 s27, s14
	s_waitcnt vmcnt(3)
	v_fma_mix_f32 v40, v45, v41, v40 op_sel_hi:[0,1,0]
	s_waitcnt vmcnt(2)
	v_fma_mix_f32 v39, v45, v42, v39 op_sel_hi:[0,1,0]
	;; [unrolled: 2-line block ×4, first 2 shown]
	s_cbranch_scc1 .LBB399_48
.LBB399_49:                             ;   in Loop: Header=BB399_14 Depth=1
	s_or_b64 exec, exec, s[52:53]
	s_or_b64 exec, exec, s[50:51]
	s_and_saveexec_b64 s[14:15], s[0:1]
	s_cbranch_execnz .LBB399_17
	s_branch .LBB399_18
.LBB399_50:                             ;   in Loop: Header=BB399_14 Depth=1
	ds_read_b32 v24, v35
	s_or_b64 exec, exec, s[14:15]
	s_and_saveexec_b64 s[14:15], s[0:1]
	s_cbranch_execz .LBB399_22
.LBB399_51:                             ;   in Loop: Header=BB399_14 Depth=1
	s_waitcnt lgkmcnt(0)
	ds_bpermute_b32 v25, v33, v24
	s_waitcnt lgkmcnt(0)
	v_add_f32_e32 v24, v24, v25
	ds_bpermute_b32 v25, v34, v24
	s_waitcnt lgkmcnt(0)
	v_add_f32_e32 v24, v24, v25
	s_or_b64 exec, exec, s[14:15]
	s_and_saveexec_b64 s[14:15], s[0:1]
	s_cbranch_execnz .LBB399_23
	s_branch .LBB399_24
.LBB399_52:                             ;   in Loop: Header=BB399_14 Depth=1
	ds_read_b32 v25, v35
	s_or_b64 exec, exec, s[14:15]
	s_and_saveexec_b64 s[14:15], s[0:1]
	s_cbranch_execz .LBB399_28
.LBB399_53:                             ;   in Loop: Header=BB399_14 Depth=1
	s_waitcnt lgkmcnt(0)
	ds_bpermute_b32 v39, v33, v25
	s_waitcnt lgkmcnt(0)
	v_add_f32_e32 v25, v25, v39
	ds_bpermute_b32 v39, v34, v25
	s_waitcnt lgkmcnt(0)
	v_add_f32_e32 v25, v25, v39
	s_or_b64 exec, exec, s[14:15]
	s_and_saveexec_b64 s[14:15], s[0:1]
	s_cbranch_execnz .LBB399_29
	s_branch .LBB399_30
.LBB399_54:                             ;   in Loop: Header=BB399_14 Depth=1
	ds_read_b32 v38, v35
	s_or_b64 exec, exec, s[14:15]
	s_and_saveexec_b64 s[14:15], s[0:1]
	s_cbranch_execz .LBB399_34
.LBB399_55:                             ;   in Loop: Header=BB399_14 Depth=1
	s_waitcnt lgkmcnt(0)
	ds_bpermute_b32 v39, v33, v38
	s_waitcnt lgkmcnt(0)
	v_add_f32_e32 v38, v38, v39
	ds_bpermute_b32 v39, v34, v38
	s_waitcnt lgkmcnt(0)
	v_add_f32_e32 v38, v38, v39
	s_or_b64 exec, exec, s[14:15]
	s_and_saveexec_b64 s[14:15], s[0:1]
	s_cbranch_execnz .LBB399_35
	s_branch .LBB399_36
.LBB399_56:                             ;   in Loop: Header=BB399_14 Depth=1
	ds_read_b32 v37, v35
	s_or_b64 exec, exec, s[14:15]
	s_and_saveexec_b64 s[14:15], s[0:1]
	s_cbranch_execz .LBB399_40
.LBB399_57:                             ;   in Loop: Header=BB399_14 Depth=1
	s_waitcnt lgkmcnt(0)
	ds_bpermute_b32 v39, v33, v37
	s_waitcnt lgkmcnt(0)
	v_add_f32_e32 v37, v37, v39
	ds_bpermute_b32 v39, v34, v37
	s_waitcnt lgkmcnt(0)
	v_add_f32_e32 v37, v37, v39
	s_or_b64 exec, exec, s[14:15]
	s_and_saveexec_b64 s[14:15], s[12:13]
	s_cbranch_execz .LBB399_13
.LBB399_58:                             ;   in Loop: Header=BB399_14 Depth=1
	s_mul_i32 s16, s33, s22
	s_add_i32 s40, s16, s2
	s_lshl_b64 s[16:17], s[40:41], 2
	s_add_u32 s16, s56, s16
	v_mul_f32_e32 v24, s26, v24
	s_addc_u32 s17, s57, s17
	s_add_i32 s40, s40, s22
	global_store_dword v13, v24, s[16:17]
	s_lshl_b64 s[16:17], s[40:41], 2
	s_add_u32 s16, s56, s16
	v_mul_f32_e32 v24, s26, v25
	s_addc_u32 s17, s57, s17
	s_add_i32 s40, s40, s22
	global_store_dword v13, v24, s[16:17]
	;; [unrolled: 6-line block ×3, first 2 shown]
	s_lshl_b64 s[16:17], s[40:41], 2
	s_add_u32 s16, s56, s16
	s_waitcnt lgkmcnt(0)
	v_mul_f32_e32 v24, s26, v37
	s_addc_u32 s17, s57, s17
	global_store_dword v13, v24, s[16:17]
	s_branch .LBB399_13
.LBB399_59:
	s_mov_b32 s33, 0
                                        ; implicit-def: $vgpr2_vgpr3_vgpr4_vgpr5
.LBB399_60:
	s_cmp_ge_i32 s33, s25
	s_cbranch_scc1 .LBB399_84
; %bb.61:
	v_mbcnt_hi_u32_b32 v12, -1, v26
	v_and_b32_e32 v13, 63, v12
	v_cmp_gt_u32_e32 vcc, 32, v13
	s_mov_b32 s3, 0
	s_cmp_gt_i32 s27, 0
	v_cndmask_b32_e64 v14, 0, 1, vcc
	v_lshlrev_b32_e32 v14, 5, v14
	v_cmp_gt_u32_e32 vcc, 48, v13
	v_add_lshl_u32 v23, v14, v12, 2
	s_cselect_b64 s[40:41], -1, 0
	v_cndmask_b32_e64 v14, 0, 1, vcc
	v_lshlrev_b32_e32 v14, 4, v14
	v_cmp_gt_u32_e32 vcc, 56, v13
	v_add_lshl_u32 v24, v14, v12, 2
	s_lshl_b64 s[14:15], s[2:3], 2
	v_cndmask_b32_e64 v14, 0, 1, vcc
	v_lshlrev_b32_e32 v14, 3, v14
	v_cmp_gt_u32_e32 vcc, 60, v13
	v_add_lshl_u32 v25, v14, v12, 2
	s_add_u32 s2, s56, s14
	v_cndmask_b32_e64 v14, 0, 1, vcc
	v_cmp_ge_i32_e64 s[0:1], s24, v27
	v_cmp_ge_i32_e64 s[4:5], s24, v28
	v_lshlrev_b32_e32 v14, 2, v14
	v_cmp_gt_u32_e32 vcc, 62, v13
	s_addc_u32 s24, s57, s15
	v_add_u32_e32 v16, s23, v8
	v_add_lshl_u32 v26, v14, v12, 2
	v_cndmask_b32_e64 v14, 0, 1, vcc
	v_add_u32_e32 v18, s23, v16
	s_add_u32 s14, s38, s30
	v_lshlrev_b32_e32 v14, 1, v14
	v_ashrrev_i32_e32 v17, 31, v16
	v_ashrrev_i32_e32 v19, 31, v18
	s_addc_u32 s15, s39, s31
	v_add_lshl_u32 v27, v14, v12, 2
	v_cmp_ne_u32_e32 vcc, 63, v13
	v_lshl_add_u64 v[14:15], v[16:17], 1, s[36:37]
	v_lshl_add_u64 v[16:17], v[18:19], 1, s[36:37]
	v_add_u32_e32 v18, s23, v18
	s_add_u32 s14, s28, s14
	v_lshlrev_b32_e32 v22, 2, v1
	v_addc_co_u32_e32 v12, vcc, 0, v12, vcc
	v_cmp_eq_u32_e64 s[8:9], 0, v1
	v_and_b32_e32 v1, 12, v9
	v_ashrrev_i32_e32 v9, 31, v8
	v_ashrrev_i32_e32 v19, 31, v18
	s_addc_u32 s15, s29, s15
	v_cmp_gt_u32_e64 s[6:7], 64, v0
	v_lshlrev_b32_e32 v28, 2, v12
	v_cmp_gt_u32_e64 s[10:11], 4, v0
	v_cmp_eq_u32_e64 s[12:13], 0, v0
	v_lshl_add_u64 v[12:13], v[8:9], 1, s[36:37]
	v_lshl_add_u64 v[18:19], v[18:19], 1, s[36:37]
	;; [unrolled: 1-line block ×3, first 2 shown]
	s_mul_i32 s28, s33, s34
	v_mov_b32_e32 v9, 0
	s_branch .LBB399_63
.LBB399_62:                             ;   in Loop: Header=BB399_63 Depth=1
	s_or_b64 exec, exec, s[14:15]
	s_add_i32 s33, s33, 1
	s_add_i32 s28, s28, s34
	s_cmp_ge_i32 s33, s25
	s_cbranch_scc1 .LBB399_84
.LBB399_63:                             ; =>This Loop Header: Depth=1
                                        ;     Child Loop BB399_76 Depth 2
                                        ;     Child Loop BB399_79 Depth 2
	s_waitcnt lgkmcnt(0)
	v_mov_b32_e32 v0, s3
	s_and_saveexec_b64 s[14:15], s[0:1]
	s_xor_b64 s[14:15], exec, s[14:15]
	s_cbranch_execnz .LBB399_72
; %bb.64:                               ;   in Loop: Header=BB399_63 Depth=1
	s_andn2_saveexec_b64 s[30:31], s[14:15]
	s_cbranch_execnz .LBB399_73
.LBB399_65:                             ;   in Loop: Header=BB399_63 Depth=1
	s_or_b64 exec, exec, s[30:31]
	s_and_saveexec_b64 s[14:15], s[6:7]
	s_cbranch_execz .LBB399_67
.LBB399_66:                             ;   in Loop: Header=BB399_63 Depth=1
	ds_write_b32 v22, v9
.LBB399_67:                             ;   in Loop: Header=BB399_63 Depth=1
	s_or_b64 exec, exec, s[14:15]
	ds_bpermute_b32 v20, v23, v0
	s_waitcnt lgkmcnt(0)
	s_barrier
	v_add_f32_e32 v0, v0, v20
	ds_bpermute_b32 v20, v24, v0
	s_waitcnt lgkmcnt(0)
	v_add_f32_e32 v0, v0, v20
	ds_bpermute_b32 v20, v25, v0
	s_waitcnt lgkmcnt(0)
	;; [unrolled: 3-line block ×4, first 2 shown]
	v_add_f32_e32 v0, v0, v20
	ds_bpermute_b32 v20, v28, v0
	s_and_saveexec_b64 s[14:15], s[8:9]
	s_cbranch_execz .LBB399_69
; %bb.68:                               ;   in Loop: Header=BB399_63 Depth=1
	s_waitcnt lgkmcnt(0)
	v_add_f32_e32 v0, v0, v20
	ds_write_b32 v1, v0
.LBB399_69:                             ;   in Loop: Header=BB399_63 Depth=1
	s_or_b64 exec, exec, s[14:15]
	v_mov_b32_e32 v0, 0
	s_waitcnt lgkmcnt(0)
	s_barrier
	s_and_saveexec_b64 s[14:15], s[10:11]
	s_cbranch_execnz .LBB399_81
; %bb.70:                               ;   in Loop: Header=BB399_63 Depth=1
	s_or_b64 exec, exec, s[14:15]
	s_and_saveexec_b64 s[14:15], s[6:7]
	s_cbranch_execnz .LBB399_82
.LBB399_71:                             ;   in Loop: Header=BB399_63 Depth=1
	s_or_b64 exec, exec, s[14:15]
	s_and_saveexec_b64 s[14:15], s[12:13]
	s_cbranch_execz .LBB399_62
	s_branch .LBB399_83
.LBB399_72:                             ;   in Loop: Header=BB399_63 Depth=1
	s_mul_i32 s16, s33, s34
	s_ashr_i32 s17, s16, 31
	global_load_ushort v0, v[18:19], off
	global_load_ushort v4, v[12:13], off
	;; [unrolled: 1-line block ×3, first 2 shown]
	v_lshl_add_u64 v[2:3], s[16:17], 1, v[6:7]
	global_load_dwordx2 v[20:21], v[2:3], off
	global_load_ushort v29, v[16:17], off
	s_waitcnt vmcnt(3)
	v_cvt_f32_f16_e32 v2, v4
	s_waitcnt vmcnt(2)
	v_cvt_f32_f16_e32 v3, v5
	;; [unrolled: 2-line block ×3, first 2 shown]
	v_cvt_f32_f16_sdwa v31, v20 dst_sel:DWORD dst_unused:UNUSED_PAD src0_sel:WORD_1
	v_cvt_f32_f16_e32 v5, v0
	s_waitcnt vmcnt(0)
	v_cvt_f32_f16_e32 v4, v29
	v_cvt_f32_f16_e32 v20, v21
	v_cvt_f32_f16_sdwa v21, v21 dst_sel:DWORD dst_unused:UNUSED_PAD src0_sel:WORD_1
	v_pk_mul_f32 v[30:31], v[2:3], v[30:31]
	v_pk_mul_f32 v[20:21], v[4:5], v[20:21]
	v_add_f32_e32 v0, 0, v30
	v_add_f32_e32 v0, v0, v31
	;; [unrolled: 1-line block ×4, first 2 shown]
	s_andn2_saveexec_b64 s[30:31], s[14:15]
	s_cbranch_execz .LBB399_65
.LBB399_73:                             ;   in Loop: Header=BB399_63 Depth=1
	s_and_saveexec_b64 s[38:39], s[4:5]
	s_cbranch_execz .LBB399_80
; %bb.74:                               ;   in Loop: Header=BB399_63 Depth=1
	v_cndmask_b32_e64 v20, 0, 1, s[40:41]
	v_cmp_ne_u32_e64 s[14:15], 1, v20
	s_andn2_b64 vcc, exec, s[40:41]
	s_cbranch_vccnz .LBB399_77
; %bb.75:                               ;   in Loop: Header=BB399_63 Depth=1
	s_mov_b64 s[42:43], 0
	v_mov_b32_e32 v20, v8
.LBB399_76:                             ;   Parent Loop BB399_63 Depth=1
                                        ; =>  This Inner Loop Header: Depth=2
	v_ashrrev_i32_e32 v21, 31, v20
	v_lshl_add_u64 v[30:31], v[20:21], 1, s[36:37]
	global_load_ushort v21, v[30:31], off
	s_cmp_eq_u32 s42, 3
	s_cselect_b64 vcc, -1, 0
	s_cmp_eq_u32 s42, 2
	s_cselect_b64 s[16:17], -1, 0
	s_cmp_eq_u32 s42, 1
	s_cselect_b64 s[18:19], -1, 0
	;; [unrolled: 2-line block ×3, first 2 shown]
	s_add_u32 s42, s42, 1
	s_addc_u32 s43, s43, 0
	v_add_u32_e32 v20, s23, v20
	s_cmp_eq_u32 s27, s42
	s_waitcnt vmcnt(0)
	v_cvt_f32_f16_e32 v21, v21
	v_cndmask_b32_e32 v5, v5, v21, vcc
	v_cndmask_b32_e64 v4, v4, v21, s[16:17]
	v_cndmask_b32_e64 v3, v3, v21, s[18:19]
	;; [unrolled: 1-line block ×3, first 2 shown]
	s_cbranch_scc0 .LBB399_76
.LBB399_77:                             ;   in Loop: Header=BB399_63 Depth=1
	s_and_b64 vcc, exec, s[14:15]
	s_cbranch_vccnz .LBB399_80
; %bb.78:                               ;   in Loop: Header=BB399_63 Depth=1
	s_ashr_i32 s29, s28, 31
	v_lshl_add_u64 v[20:21], s[28:29], 1, v[10:11]
	s_mov_b64 s[14:15], 0
.LBB399_79:                             ;   Parent Loop BB399_63 Depth=1
                                        ; =>  This Inner Loop Header: Depth=2
	global_load_ushort v29, v[20:21], off
	s_cmp_eq_u32 s14, 1
	s_cselect_b64 vcc, -1, 0
	s_cmp_eq_u32 s14, 2
	v_cndmask_b32_e32 v30, v2, v3, vcc
	s_cselect_b64 vcc, -1, 0
	s_cmp_eq_u32 s14, 3
	v_cndmask_b32_e32 v30, v30, v4, vcc
	s_cselect_b64 vcc, -1, 0
	s_add_u32 s14, s14, 1
	v_cndmask_b32_e32 v30, v30, v5, vcc
	s_addc_u32 s15, s15, 0
	v_lshl_add_u64 v[20:21], v[20:21], 0, 2
	s_cmp_lg_u32 s27, s14
	s_waitcnt vmcnt(0)
	v_fma_mix_f32 v0, v30, v29, v0 op_sel_hi:[0,1,0]
	s_cbranch_scc1 .LBB399_79
.LBB399_80:                             ;   in Loop: Header=BB399_63 Depth=1
	s_or_b64 exec, exec, s[38:39]
	s_or_b64 exec, exec, s[30:31]
	s_and_saveexec_b64 s[14:15], s[6:7]
	s_cbranch_execnz .LBB399_66
	s_branch .LBB399_67
.LBB399_81:                             ;   in Loop: Header=BB399_63 Depth=1
	ds_read_b32 v0, v22
	s_or_b64 exec, exec, s[14:15]
	s_and_saveexec_b64 s[14:15], s[6:7]
	s_cbranch_execz .LBB399_71
.LBB399_82:                             ;   in Loop: Header=BB399_63 Depth=1
	s_waitcnt lgkmcnt(0)
	ds_bpermute_b32 v20, v27, v0
	s_waitcnt lgkmcnt(0)
	v_add_f32_e32 v0, v0, v20
	ds_bpermute_b32 v20, v28, v0
	s_waitcnt lgkmcnt(0)
	v_add_f32_e32 v0, v0, v20
	s_or_b64 exec, exec, s[14:15]
	s_and_saveexec_b64 s[14:15], s[12:13]
	s_cbranch_execz .LBB399_62
.LBB399_83:                             ;   in Loop: Header=BB399_63 Depth=1
	s_mul_hi_u32 s17, s33, s22
	s_mul_i32 s16, s33, s22
	s_lshl_b64 s[16:17], s[16:17], 2
	s_add_u32 s16, s2, s16
	s_waitcnt lgkmcnt(0)
	v_mul_f32_e32 v0, s26, v0
	s_addc_u32 s17, s24, s17
	global_store_dword v9, v0, s[16:17]
	s_branch .LBB399_62
.LBB399_84:
	s_endpgm
	.section	.rodata,"a",@progbits
	.p2align	6, 0x0
	.amdhsa_kernel _ZL23rocblas_gemvt_sn_kernelILb0ELi256ELi4EiDF16_ffEviiT4_lPKT3_lilS3_lilPT5_i
		.amdhsa_group_segment_fixed_size 256
		.amdhsa_private_segment_fixed_size 0
		.amdhsa_kernarg_size 360
		.amdhsa_user_sgpr_count 2
		.amdhsa_user_sgpr_dispatch_ptr 0
		.amdhsa_user_sgpr_queue_ptr 0
		.amdhsa_user_sgpr_kernarg_segment_ptr 1
		.amdhsa_user_sgpr_dispatch_id 0
		.amdhsa_user_sgpr_kernarg_preload_length 0
		.amdhsa_user_sgpr_kernarg_preload_offset 0
		.amdhsa_user_sgpr_private_segment_size 0
		.amdhsa_uses_dynamic_stack 0
		.amdhsa_enable_private_segment 0
		.amdhsa_system_sgpr_workgroup_id_x 1
		.amdhsa_system_sgpr_workgroup_id_y 0
		.amdhsa_system_sgpr_workgroup_id_z 1
		.amdhsa_system_sgpr_workgroup_info 0
		.amdhsa_system_vgpr_workitem_id 0
		.amdhsa_next_free_vgpr 49
		.amdhsa_next_free_sgpr 61
		.amdhsa_accum_offset 52
		.amdhsa_reserve_vcc 1
		.amdhsa_float_round_mode_32 0
		.amdhsa_float_round_mode_16_64 0
		.amdhsa_float_denorm_mode_32 3
		.amdhsa_float_denorm_mode_16_64 3
		.amdhsa_dx10_clamp 1
		.amdhsa_ieee_mode 1
		.amdhsa_fp16_overflow 0
		.amdhsa_tg_split 0
		.amdhsa_exception_fp_ieee_invalid_op 0
		.amdhsa_exception_fp_denorm_src 0
		.amdhsa_exception_fp_ieee_div_zero 0
		.amdhsa_exception_fp_ieee_overflow 0
		.amdhsa_exception_fp_ieee_underflow 0
		.amdhsa_exception_fp_ieee_inexact 0
		.amdhsa_exception_int_div_zero 0
	.end_amdhsa_kernel
	.section	.text._ZL23rocblas_gemvt_sn_kernelILb0ELi256ELi4EiDF16_ffEviiT4_lPKT3_lilS3_lilPT5_i,"axG",@progbits,_ZL23rocblas_gemvt_sn_kernelILb0ELi256ELi4EiDF16_ffEviiT4_lPKT3_lilS3_lilPT5_i,comdat
.Lfunc_end399:
	.size	_ZL23rocblas_gemvt_sn_kernelILb0ELi256ELi4EiDF16_ffEviiT4_lPKT3_lilS3_lilPT5_i, .Lfunc_end399-_ZL23rocblas_gemvt_sn_kernelILb0ELi256ELi4EiDF16_ffEviiT4_lPKT3_lilS3_lilPT5_i
                                        ; -- End function
	.section	.AMDGPU.csdata,"",@progbits
; Kernel info:
; codeLenInByte = 3976
; NumSgprs: 67
; NumVgprs: 49
; NumAgprs: 0
; TotalNumVgprs: 49
; ScratchSize: 0
; MemoryBound: 0
; FloatMode: 240
; IeeeMode: 1
; LDSByteSize: 256 bytes/workgroup (compile time only)
; SGPRBlocks: 8
; VGPRBlocks: 6
; NumSGPRsForWavesPerEU: 67
; NumVGPRsForWavesPerEU: 49
; AccumOffset: 52
; Occupancy: 8
; WaveLimiterHint : 1
; COMPUTE_PGM_RSRC2:SCRATCH_EN: 0
; COMPUTE_PGM_RSRC2:USER_SGPR: 2
; COMPUTE_PGM_RSRC2:TRAP_HANDLER: 0
; COMPUTE_PGM_RSRC2:TGID_X_EN: 1
; COMPUTE_PGM_RSRC2:TGID_Y_EN: 0
; COMPUTE_PGM_RSRC2:TGID_Z_EN: 1
; COMPUTE_PGM_RSRC2:TIDIG_COMP_CNT: 0
; COMPUTE_PGM_RSRC3_GFX90A:ACCUM_OFFSET: 12
; COMPUTE_PGM_RSRC3_GFX90A:TG_SPLIT: 0
	.section	.text._ZL23rocblas_gemvt_sn_kernelILb0ELi256ELi4ElDF16_ffEviiT4_lPKT3_lilS3_lilPT5_i,"axG",@progbits,_ZL23rocblas_gemvt_sn_kernelILb0ELi256ELi4ElDF16_ffEviiT4_lPKT3_lilS3_lilPT5_i,comdat
	.globl	_ZL23rocblas_gemvt_sn_kernelILb0ELi256ELi4ElDF16_ffEviiT4_lPKT3_lilS3_lilPT5_i ; -- Begin function _ZL23rocblas_gemvt_sn_kernelILb0ELi256ELi4ElDF16_ffEviiT4_lPKT3_lilS3_lilPT5_i
	.p2align	8
	.type	_ZL23rocblas_gemvt_sn_kernelILb0ELi256ELi4ElDF16_ffEviiT4_lPKT3_lilS3_lilPT5_i,@function
_ZL23rocblas_gemvt_sn_kernelILb0ELi256ELi4ElDF16_ffEviiT4_lPKT3_lilS3_lilPT5_i: ; @_ZL23rocblas_gemvt_sn_kernelILb0ELi256ELi4ElDF16_ffEviiT4_lPKT3_lilS3_lilPT5_i
; %bb.0:
	s_load_dwordx4 s[24:27], s[0:1], 0x0
	s_load_dwordx4 s[8:11], s[0:1], 0x50
	s_load_dword s34, s[0:1], 0x68
	s_mov_b32 s6, s3
	s_mov_b32 s35, 0
	s_waitcnt lgkmcnt(0)
	s_ashr_i32 s7, s25, 31
	s_mul_hi_u32 s3, s25, s3
	s_mul_i32 s4, s7, s6
	s_add_i32 s13, s3, s4
	s_mul_i32 s12, s25, s6
	s_mul_i32 s3, s13, s34
	s_mul_hi_u32 s4, s12, s34
	s_add_i32 s5, s4, s3
	s_mul_i32 s4, s12, s34
	s_lshl_b64 s[4:5], s[4:5], 2
	s_add_u32 s33, s10, s4
	s_addc_u32 s66, s11, s5
	v_cmp_neq_f32_e64 s[4:5], s26, 0
	s_and_b64 vcc, exec, s[4:5]
	v_cmp_eq_u32_e64 s[4:5], 0, v0
	s_cbranch_vccnz .LBB400_10
; %bb.1:
	s_cmp_gt_i32 s25, 0
	s_cselect_b64 s[14:15], -1, 0
	s_and_b64 s[14:15], s[4:5], s[14:15]
	s_and_saveexec_b64 s[4:5], s[14:15]
	s_cbranch_execz .LBB400_9
; %bb.2:
	s_cmp_gt_u32 s25, 1
	s_cselect_b64 s[14:15], -1, 0
	s_cmp_eq_u32 s34, 1
	s_cselect_b64 s[18:19], -1, 0
	s_mov_b32 s3, 0
	s_and_b64 s[14:15], s[14:15], s[18:19]
	s_mov_b64 s[16:17], -1
	s_andn2_b64 vcc, exec, s[14:15]
	s_mov_b32 s14, s3
	s_cbranch_vccnz .LBB400_6
; %bb.3:
	s_lshl_b64 s[14:15], s[2:3], 2
	s_add_u32 s16, s33, s14
	s_addc_u32 s17, s66, s15
	s_and_b32 s14, s25, 0x7ffffffe
	v_mov_b32_e32 v2, 0
	v_mov_b32_e32 v3, v2
	s_mov_b32 s15, s14
.LBB400_4:                              ; =>This Inner Loop Header: Depth=1
	global_store_dwordx2 v2, v[2:3], s[16:17]
	s_add_u32 s16, s16, 8
	s_addc_u32 s17, s17, 0
	s_add_i32 s15, s15, -2
	s_cmp_lg_u32 s15, 0
	s_cbranch_scc1 .LBB400_4
; %bb.5:
	s_cmp_lg_u32 s14, s25
	s_cselect_b64 s[16:17], -1, 0
.LBB400_6:
	s_and_b64 vcc, exec, s[16:17]
	s_cbranch_vccz .LBB400_9
; %bb.7:
	s_mov_b32 s15, 0
	s_sub_i32 s16, s25, s14
	s_lshl_b64 s[12:13], s[12:13], 2
	s_lshl_b64 s[14:15], s[14:15], 2
	s_add_u32 s12, s12, s14
	s_addc_u32 s13, s13, s15
	s_mul_i32 s13, s13, s34
	s_mul_hi_u32 s14, s12, s34
	s_add_i32 s14, s14, s13
	s_mul_i32 s15, s12, s34
	s_lshl_b64 s[12:13], s[2:3], 2
	s_add_u32 s3, s15, s12
	s_addc_u32 s12, s14, s13
	s_add_u32 s10, s10, s3
	s_addc_u32 s11, s11, s12
	s_lshl_b64 s[12:13], s[34:35], 2
	v_mov_b32_e32 v1, 0
.LBB400_8:                              ; =>This Inner Loop Header: Depth=1
	s_add_i32 s16, s16, -1
	global_store_dword v1, v1, s[10:11]
	s_add_u32 s10, s10, s12
	s_addc_u32 s11, s11, s13
	s_cmp_eq_u32 s16, 0
	s_cbranch_scc0 .LBB400_8
.LBB400_9:
	s_or_b64 exec, exec, s[4:5]
	s_cbranch_execz .LBB400_11
	s_branch .LBB400_84
.LBB400_10:
.LBB400_11:
	s_load_dword s36, s[0:1], 0x28
	s_load_dword s38, s[0:1], 0x48
	s_load_dwordx4 s[28:31], s[0:1], 0x18
	s_load_dwordx4 s[20:23], s[0:1], 0x30
	s_load_dwordx2 s[4:5], s[0:1], 0x40
	s_mul_i32 s0, s6, s9
	s_mul_hi_u32 s1, s6, s8
	s_add_i32 s1, s1, s0
	s_mul_i32 s0, s6, s8
	s_waitcnt lgkmcnt(0)
	s_ashr_i32 s37, s36, 31
	s_ashr_i32 s39, s38, 31
	s_lshl_b64 s[40:41], s[0:1], 1
	s_add_u32 s0, s22, s40
	s_addc_u32 s1, s23, s41
	s_lshl_b64 s[44:45], s[4:5], 1
	s_add_u32 s46, s0, s44
	s_addc_u32 s47, s1, s45
	s_mul_i32 s0, s6, s21
	s_mul_hi_u32 s1, s6, s20
	s_add_i32 s1, s1, s0
	s_mul_i32 s0, s6, s20
	s_lshl_b64 s[42:43], s[0:1], 1
	s_add_u32 s0, s28, s42
	s_addc_u32 s1, s29, s43
	s_lshl_b64 s[30:31], s[30:31], 1
	s_add_u32 s0, s0, s30
	s_addc_u32 s1, s1, s31
	s_lshl_b32 s3, s2, 10
	v_lshl_or_b32 v8, v0, 2, s3
	v_ashrrev_i32_e32 v9, 31, v8
	v_lshl_add_u64 v[6:7], v[8:9], 1, s[0:1]
	s_lshr_b32 s0, s7, 30
	s_add_i32 s0, s25, s0
	s_and_b32 s35, s0, -4
	s_ashr_i32 s0, s24, 31
	s_lshr_b32 s0, s0, 30
	s_add_i32 s0, s24, s0
	s_and_b32 s0, s0, -4
	s_sub_i32 s27, s24, s0
	s_cmp_lt_i32 s35, 1
	v_add_u32_e32 v29, 4, v8
	v_add_u32_e32 v30, s27, v8
	v_and_b32_e32 v26, 63, v0
	v_cmp_gt_u32_e64 s[0:1], 64, v0
	v_mbcnt_lo_u32_b32 v28, -1, 0
	v_cmp_gt_u32_e64 s[4:5], 4, v0
	v_lshrrev_b32_e32 v27, 4, v0
	v_or_b32_e32 v25, 1, v8
	v_or_b32_e32 v24, 2, v8
	;; [unrolled: 1-line block ×3, first 2 shown]
	s_cbranch_scc1 .LBB400_59
; %bb.12:
	v_mbcnt_hi_u32_b32 v2, -1, v28
	v_and_b32_e32 v3, 63, v2
	v_cmp_gt_u32_e32 vcc, 32, v3
	s_mov_b32 s3, 0
	s_cmp_gt_i32 s27, 0
	v_cndmask_b32_e64 v4, 0, 1, vcc
	v_lshlrev_b32_e32 v4, 5, v4
	v_cmp_gt_u32_e32 vcc, 48, v3
	v_add_lshl_u32 v31, v4, v2, 2
	s_cselect_b64 s[48:49], -1, 0
	v_cndmask_b32_e64 v4, 0, 1, vcc
	v_lshlrev_b32_e32 v4, 4, v4
	v_cmp_gt_u32_e32 vcc, 56, v3
	v_add_lshl_u32 v32, v4, v2, 2
	s_lshl_b64 s[14:15], s[2:3], 2
	v_cndmask_b32_e64 v4, 0, 1, vcc
	v_lshlrev_b32_e32 v4, 3, v4
	v_cmp_gt_u32_e32 vcc, 60, v3
	v_add_lshl_u32 v33, v4, v2, 2
	s_add_u32 s67, s33, s14
	v_cndmask_b32_e64 v4, 0, 1, vcc
	v_lshlrev_b32_e32 v4, 2, v4
	v_cmp_gt_u32_e32 vcc, 62, v3
	v_add_lshl_u32 v34, v4, v2, 2
	s_addc_u32 s68, s66, s15
	v_cndmask_b32_e64 v4, 0, 1, vcc
	v_lshlrev_b32_e32 v4, 1, v4
	v_add_lshl_u32 v35, v4, v2, 2
	v_cmp_ne_u32_e32 vcc, 63, v3
	v_mad_i64_i32 v[4:5], s[14:15], s38, v25, 0
	s_nop 0
	v_addc_co_u32_e32 v2, vcc, 0, v2, vcc
	v_lshl_add_u64 v[12:13], v[4:5], 1, s[46:47]
	v_mad_i64_i32 v[4:5], s[14:15], s38, v24, 0
	v_lshlrev_b32_e32 v36, 2, v2
	v_mad_i64_i32 v[2:3], s[14:15], s38, v8, 0
	v_lshl_add_u64 v[14:15], v[4:5], 1, s[46:47]
	v_mad_i64_i32 v[4:5], s[14:15], s38, v1, 0
	s_add_u32 s14, s22, s44
	s_addc_u32 s15, s23, s45
	s_add_u32 s14, s14, s40
	v_lshlrev_b64 v[2:3], 1, v[2:3]
	s_addc_u32 s15, s15, s41
	v_cmp_ge_i32_e64 s[6:7], s24, v29
	v_cmp_ge_i32_e64 s[8:9], s24, v30
	v_cmp_eq_u32_e64 s[10:11], 0, v26
	v_lshlrev_b32_e32 v37, 2, v26
	v_and_b32_e32 v38, 12, v27
	v_cmp_eq_u32_e64 s[12:13], 0, v0
	v_lshl_add_u64 v[10:11], s[46:47], 0, v[2:3]
	v_lshl_add_u64 v[16:17], v[4:5], 1, s[46:47]
	;; [unrolled: 1-line block ×3, first 2 shown]
	s_lshl_b64 s[50:51], s[38:39], 1
	s_lshl_b64 s[52:53], s[36:37], 3
	;; [unrolled: 1-line block ×4, first 2 shown]
	s_mul_hi_i32 s59, s36, 6
	s_mul_i32 s58, s36, 6
	v_mov_b32_e32 v39, 0
	v_mov_b64_e32 v[20:21], v[6:7]
                                        ; implicit-def: $vgpr2_vgpr3_vgpr4_vgpr5
	s_branch .LBB400_14
.LBB400_13:                             ;   in Loop: Header=BB400_14 Depth=1
	s_or_b64 exec, exec, s[14:15]
	s_add_i32 s3, s3, 4
	s_cmp_ge_i32 s3, s35
	v_lshl_add_u64 v[20:21], v[20:21], 0, s[52:53]
	s_cbranch_scc1 .LBB400_60
.LBB400_14:                             ; =>This Loop Header: Depth=1
                                        ;     Child Loop BB400_45 Depth 2
                                        ;     Child Loop BB400_48 Depth 2
                                        ; implicit-def: $vgpr40
                                        ; implicit-def: $vgpr41
                                        ; implicit-def: $vgpr42
                                        ; implicit-def: $vgpr43
	s_and_saveexec_b64 s[14:15], s[6:7]
	s_xor_b64 s[14:15], exec, s[14:15]
	s_cbranch_execnz .LBB400_41
; %bb.15:                               ;   in Loop: Header=BB400_14 Depth=1
	s_andn2_saveexec_b64 s[60:61], s[14:15]
	s_cbranch_execnz .LBB400_42
.LBB400_16:                             ;   in Loop: Header=BB400_14 Depth=1
	s_or_b64 exec, exec, s[60:61]
	s_and_saveexec_b64 s[14:15], s[0:1]
	s_cbranch_execz .LBB400_18
.LBB400_17:                             ;   in Loop: Header=BB400_14 Depth=1
	ds_write_b32 v37, v39
.LBB400_18:                             ;   in Loop: Header=BB400_14 Depth=1
	s_or_b64 exec, exec, s[14:15]
	ds_bpermute_b32 v22, v31, v43
	s_waitcnt lgkmcnt(0)
	s_barrier
	v_add_f32_e32 v22, v43, v22
	ds_bpermute_b32 v23, v32, v22
	s_waitcnt lgkmcnt(0)
	v_add_f32_e32 v22, v22, v23
	ds_bpermute_b32 v23, v33, v22
	s_waitcnt lgkmcnt(0)
	;; [unrolled: 3-line block ×4, first 2 shown]
	v_add_f32_e32 v22, v22, v23
	ds_bpermute_b32 v23, v36, v22
	s_and_saveexec_b64 s[14:15], s[10:11]
	s_cbranch_execz .LBB400_20
; %bb.19:                               ;   in Loop: Header=BB400_14 Depth=1
	s_waitcnt lgkmcnt(0)
	v_add_f32_e32 v22, v22, v23
	ds_write_b32 v38, v22
.LBB400_20:                             ;   in Loop: Header=BB400_14 Depth=1
	s_or_b64 exec, exec, s[14:15]
	v_mov_b32_e32 v22, 0
	s_waitcnt lgkmcnt(0)
	s_barrier
	s_and_saveexec_b64 s[14:15], s[4:5]
	s_cbranch_execnz .LBB400_50
; %bb.21:                               ;   in Loop: Header=BB400_14 Depth=1
	s_or_b64 exec, exec, s[14:15]
	s_and_saveexec_b64 s[14:15], s[0:1]
	s_cbranch_execnz .LBB400_51
.LBB400_22:                             ;   in Loop: Header=BB400_14 Depth=1
	s_or_b64 exec, exec, s[14:15]
	s_and_saveexec_b64 s[14:15], s[0:1]
	s_cbranch_execz .LBB400_24
.LBB400_23:                             ;   in Loop: Header=BB400_14 Depth=1
	ds_write_b32 v37, v39
.LBB400_24:                             ;   in Loop: Header=BB400_14 Depth=1
	s_or_b64 exec, exec, s[14:15]
	ds_bpermute_b32 v23, v31, v42
	s_waitcnt lgkmcnt(0)
	s_barrier
	v_add_f32_e32 v23, v42, v23
	ds_bpermute_b32 v42, v32, v23
	s_waitcnt lgkmcnt(0)
	v_add_f32_e32 v23, v23, v42
	ds_bpermute_b32 v42, v33, v23
	s_waitcnt lgkmcnt(0)
	;; [unrolled: 3-line block ×4, first 2 shown]
	v_add_f32_e32 v23, v23, v42
	ds_bpermute_b32 v42, v36, v23
	s_and_saveexec_b64 s[14:15], s[10:11]
	s_cbranch_execz .LBB400_26
; %bb.25:                               ;   in Loop: Header=BB400_14 Depth=1
	s_waitcnt lgkmcnt(0)
	v_add_f32_e32 v23, v23, v42
	ds_write_b32 v38, v23
.LBB400_26:                             ;   in Loop: Header=BB400_14 Depth=1
	s_or_b64 exec, exec, s[14:15]
	v_mov_b32_e32 v23, 0
	s_waitcnt lgkmcnt(0)
	s_barrier
	s_and_saveexec_b64 s[14:15], s[4:5]
	s_cbranch_execnz .LBB400_52
; %bb.27:                               ;   in Loop: Header=BB400_14 Depth=1
	s_or_b64 exec, exec, s[14:15]
	s_and_saveexec_b64 s[14:15], s[0:1]
	s_cbranch_execnz .LBB400_53
.LBB400_28:                             ;   in Loop: Header=BB400_14 Depth=1
	s_or_b64 exec, exec, s[14:15]
	s_and_saveexec_b64 s[14:15], s[0:1]
	s_cbranch_execz .LBB400_30
.LBB400_29:                             ;   in Loop: Header=BB400_14 Depth=1
	ds_write_b32 v37, v39
.LBB400_30:                             ;   in Loop: Header=BB400_14 Depth=1
	s_or_b64 exec, exec, s[14:15]
	ds_bpermute_b32 v42, v31, v41
	s_waitcnt lgkmcnt(0)
	s_barrier
	v_add_f32_e32 v41, v41, v42
	ds_bpermute_b32 v42, v32, v41
	s_waitcnt lgkmcnt(0)
	v_add_f32_e32 v41, v41, v42
	ds_bpermute_b32 v42, v33, v41
	s_waitcnt lgkmcnt(0)
	;; [unrolled: 3-line block ×4, first 2 shown]
	v_add_f32_e32 v41, v41, v42
	ds_bpermute_b32 v42, v36, v41
	s_and_saveexec_b64 s[14:15], s[10:11]
	s_cbranch_execz .LBB400_32
; %bb.31:                               ;   in Loop: Header=BB400_14 Depth=1
	s_waitcnt lgkmcnt(0)
	v_add_f32_e32 v41, v41, v42
	ds_write_b32 v38, v41
.LBB400_32:                             ;   in Loop: Header=BB400_14 Depth=1
	s_or_b64 exec, exec, s[14:15]
	v_mov_b32_e32 v41, 0
	s_waitcnt lgkmcnt(0)
	s_barrier
	s_and_saveexec_b64 s[14:15], s[4:5]
	s_cbranch_execnz .LBB400_54
; %bb.33:                               ;   in Loop: Header=BB400_14 Depth=1
	s_or_b64 exec, exec, s[14:15]
	s_and_saveexec_b64 s[14:15], s[0:1]
	s_cbranch_execnz .LBB400_55
.LBB400_34:                             ;   in Loop: Header=BB400_14 Depth=1
	s_or_b64 exec, exec, s[14:15]
	s_and_saveexec_b64 s[14:15], s[0:1]
	s_cbranch_execz .LBB400_36
.LBB400_35:                             ;   in Loop: Header=BB400_14 Depth=1
	ds_write_b32 v37, v39
.LBB400_36:                             ;   in Loop: Header=BB400_14 Depth=1
	s_or_b64 exec, exec, s[14:15]
	ds_bpermute_b32 v42, v31, v40
	s_waitcnt lgkmcnt(0)
	s_barrier
	v_add_f32_e32 v40, v40, v42
	ds_bpermute_b32 v42, v32, v40
	s_waitcnt lgkmcnt(0)
	v_add_f32_e32 v40, v40, v42
	ds_bpermute_b32 v42, v33, v40
	s_waitcnt lgkmcnt(0)
	;; [unrolled: 3-line block ×4, first 2 shown]
	v_add_f32_e32 v40, v40, v42
	ds_bpermute_b32 v42, v36, v40
	s_and_saveexec_b64 s[14:15], s[10:11]
	s_cbranch_execz .LBB400_38
; %bb.37:                               ;   in Loop: Header=BB400_14 Depth=1
	s_waitcnt lgkmcnt(0)
	v_add_f32_e32 v40, v40, v42
	ds_write_b32 v38, v40
.LBB400_38:                             ;   in Loop: Header=BB400_14 Depth=1
	s_or_b64 exec, exec, s[14:15]
	v_mov_b32_e32 v40, 0
	s_waitcnt lgkmcnt(0)
	s_barrier
	s_and_saveexec_b64 s[14:15], s[4:5]
	s_cbranch_execnz .LBB400_56
; %bb.39:                               ;   in Loop: Header=BB400_14 Depth=1
	s_or_b64 exec, exec, s[14:15]
	s_and_saveexec_b64 s[14:15], s[0:1]
	s_cbranch_execnz .LBB400_57
.LBB400_40:                             ;   in Loop: Header=BB400_14 Depth=1
	s_or_b64 exec, exec, s[14:15]
	s_and_saveexec_b64 s[14:15], s[12:13]
	s_cbranch_execz .LBB400_13
	s_branch .LBB400_58
.LBB400_41:                             ;   in Loop: Header=BB400_14 Depth=1
	s_mul_i32 s16, s3, s37
	s_mul_hi_u32 s17, s3, s36
	s_add_i32 s17, s17, s16
	s_mul_i32 s16, s3, s36
	v_lshl_add_u64 v[2:3], s[16:17], 1, v[6:7]
	s_or_b32 s16, s3, 1
	s_mul_i32 s17, s16, s37
	s_mul_hi_u32 s18, s16, s36
	s_add_i32 s17, s18, s17
	s_mul_i32 s16, s16, s36
	v_lshl_add_u64 v[4:5], s[16:17], 1, v[6:7]
	s_or_b32 s16, s3, 2
	;; [unrolled: 6-line block ×3, first 2 shown]
	s_mul_i32 s17, s16, s37
	s_mul_hi_u32 s18, s16, s36
	s_add_i32 s17, s18, s17
	s_mul_i32 s16, s16, s36
	global_load_ushort v48, v[10:11], off
	global_load_ushort v49, v[12:13], off
	global_load_ushort v50, v[14:15], off
	global_load_ushort v51, v[16:17], off
	s_waitcnt lgkmcnt(0)
	v_lshl_add_u64 v[40:41], s[16:17], 1, v[6:7]
	global_load_dwordx2 v[42:43], v[2:3], off
	global_load_dwordx2 v[44:45], v[4:5], off
	s_nop 0
	global_load_dwordx2 v[22:23], v[22:23], off
	s_nop 0
	global_load_dwordx2 v[46:47], v[40:41], off
	s_waitcnt vmcnt(7)
	v_cvt_f32_f16_e32 v2, v48
	s_waitcnt vmcnt(6)
	v_cvt_f32_f16_e32 v3, v49
	;; [unrolled: 2-line block ×4, first 2 shown]
	s_waitcnt vmcnt(3)
	v_fma_mix_f32 v40, v48, v42, 0 op_sel_hi:[1,1,0]
	s_waitcnt vmcnt(2)
	v_fma_mix_f32 v41, v48, v44, 0 op_sel_hi:[1,1,0]
	;; [unrolled: 2-line block ×4, first 2 shown]
	v_fma_mix_f32 v40, v49, v42, v40 op_sel:[0,1,0] op_sel_hi:[1,1,0]
	v_fma_mix_f32 v41, v49, v44, v41 op_sel:[0,1,0] op_sel_hi:[1,1,0]
	;; [unrolled: 1-line block ×4, first 2 shown]
	v_fma_mix_f32 v40, v50, v43, v40 op_sel_hi:[1,1,0]
	v_fma_mix_f32 v41, v50, v45, v41 op_sel_hi:[1,1,0]
	;; [unrolled: 1-line block ×4, first 2 shown]
	v_fma_mix_f32 v43, v51, v43, v40 op_sel:[0,1,0] op_sel_hi:[1,1,0]
	v_fma_mix_f32 v42, v51, v45, v41 op_sel:[0,1,0] op_sel_hi:[1,1,0]
	;; [unrolled: 1-line block ×4, first 2 shown]
	s_andn2_saveexec_b64 s[60:61], s[14:15]
	s_cbranch_execz .LBB400_16
.LBB400_42:                             ;   in Loop: Header=BB400_14 Depth=1
	s_waitcnt lgkmcnt(0)
	v_mov_b32_e32 v40, 0
	v_mov_b32_e32 v41, 0
	;; [unrolled: 1-line block ×4, first 2 shown]
	s_and_saveexec_b64 s[62:63], s[8:9]
	s_cbranch_execz .LBB400_49
; %bb.43:                               ;   in Loop: Header=BB400_14 Depth=1
	v_cndmask_b32_e64 v22, 0, 1, s[48:49]
	v_cmp_ne_u32_e64 s[14:15], 1, v22
	s_andn2_b64 vcc, exec, s[48:49]
	s_cbranch_vccnz .LBB400_46
; %bb.44:                               ;   in Loop: Header=BB400_14 Depth=1
	s_mov_b64 s[64:65], 0
	v_mov_b64_e32 v[22:23], v[18:19]
.LBB400_45:                             ;   Parent Loop BB400_14 Depth=1
                                        ; =>  This Inner Loop Header: Depth=2
	global_load_ushort v40, v[22:23], off
	s_cmp_eq_u32 s64, 3
	s_cselect_b64 vcc, -1, 0
	s_cmp_eq_u32 s64, 2
	s_cselect_b64 s[16:17], -1, 0
	s_cmp_eq_u32 s64, 1
	s_cselect_b64 s[18:19], -1, 0
	;; [unrolled: 2-line block ×3, first 2 shown]
	s_add_u32 s64, s64, 1
	s_addc_u32 s65, s65, 0
	v_lshl_add_u64 v[22:23], v[22:23], 0, s[50:51]
	s_cmp_eq_u32 s27, s64
	s_waitcnt vmcnt(0)
	v_cvt_f32_f16_e32 v40, v40
	v_cndmask_b32_e32 v5, v5, v40, vcc
	v_cndmask_b32_e64 v4, v4, v40, s[16:17]
	v_cndmask_b32_e64 v3, v3, v40, s[18:19]
	;; [unrolled: 1-line block ×3, first 2 shown]
	s_cbranch_scc0 .LBB400_45
.LBB400_46:                             ;   in Loop: Header=BB400_14 Depth=1
	s_and_b64 vcc, exec, s[14:15]
	v_mov_b32_e32 v40, 0
	v_mov_b32_e32 v41, 0
	;; [unrolled: 1-line block ×4, first 2 shown]
	s_cbranch_vccnz .LBB400_49
; %bb.47:                               ;   in Loop: Header=BB400_14 Depth=1
	s_mov_b64 s[14:15], 0
	v_mov_b32_e32 v43, 0
	v_mov_b64_e32 v[22:23], v[20:21]
	v_mov_b32_e32 v42, 0
	v_mov_b32_e32 v41, 0
	;; [unrolled: 1-line block ×3, first 2 shown]
.LBB400_48:                             ;   Parent Loop BB400_14 Depth=1
                                        ; =>  This Inner Loop Header: Depth=2
	v_lshl_add_u64 v[44:45], v[22:23], 0, s[54:55]
	v_lshl_add_u64 v[46:47], v[22:23], 0, s[56:57]
	global_load_ushort v50, v[22:23], off
	v_lshl_add_u64 v[48:49], v[22:23], 0, s[58:59]
	global_load_ushort v44, v[44:45], off
	s_nop 0
	global_load_ushort v45, v[46:47], off
	s_nop 0
	global_load_ushort v46, v[48:49], off
	s_cmp_eq_u32 s14, 1
	s_cselect_b64 vcc, -1, 0
	s_cmp_eq_u32 s14, 2
	v_cndmask_b32_e32 v47, v2, v3, vcc
	s_cselect_b64 vcc, -1, 0
	s_cmp_eq_u32 s14, 3
	v_cndmask_b32_e32 v47, v47, v4, vcc
	s_cselect_b64 vcc, -1, 0
	s_add_u32 s14, s14, 1
	v_cndmask_b32_e32 v47, v47, v5, vcc
	s_addc_u32 s15, s15, 0
	v_lshl_add_u64 v[22:23], v[22:23], 0, 2
	s_cmp_lg_u32 s27, s14
	s_waitcnt vmcnt(2)
	v_fma_mix_f32 v42, v47, v44, v42 op_sel_hi:[0,1,0]
	v_fma_mix_f32 v43, v47, v50, v43 op_sel_hi:[0,1,0]
	s_waitcnt vmcnt(1)
	v_fma_mix_f32 v41, v47, v45, v41 op_sel_hi:[0,1,0]
	s_waitcnt vmcnt(0)
	v_fma_mix_f32 v40, v47, v46, v40 op_sel_hi:[0,1,0]
	s_cbranch_scc1 .LBB400_48
.LBB400_49:                             ;   in Loop: Header=BB400_14 Depth=1
	s_or_b64 exec, exec, s[62:63]
	s_or_b64 exec, exec, s[60:61]
	s_and_saveexec_b64 s[14:15], s[0:1]
	s_cbranch_execnz .LBB400_17
	s_branch .LBB400_18
.LBB400_50:                             ;   in Loop: Header=BB400_14 Depth=1
	ds_read_b32 v22, v37
	s_or_b64 exec, exec, s[14:15]
	s_and_saveexec_b64 s[14:15], s[0:1]
	s_cbranch_execz .LBB400_22
.LBB400_51:                             ;   in Loop: Header=BB400_14 Depth=1
	s_waitcnt lgkmcnt(0)
	ds_bpermute_b32 v23, v35, v22
	s_waitcnt lgkmcnt(0)
	v_add_f32_e32 v22, v22, v23
	ds_bpermute_b32 v23, v36, v22
	s_waitcnt lgkmcnt(0)
	v_add_f32_e32 v22, v22, v23
	s_or_b64 exec, exec, s[14:15]
	s_and_saveexec_b64 s[14:15], s[0:1]
	s_cbranch_execnz .LBB400_23
	s_branch .LBB400_24
.LBB400_52:                             ;   in Loop: Header=BB400_14 Depth=1
	ds_read_b32 v23, v37
	s_or_b64 exec, exec, s[14:15]
	s_and_saveexec_b64 s[14:15], s[0:1]
	s_cbranch_execz .LBB400_28
.LBB400_53:                             ;   in Loop: Header=BB400_14 Depth=1
	s_waitcnt lgkmcnt(0)
	ds_bpermute_b32 v42, v35, v23
	s_waitcnt lgkmcnt(0)
	v_add_f32_e32 v23, v23, v42
	ds_bpermute_b32 v42, v36, v23
	s_waitcnt lgkmcnt(0)
	v_add_f32_e32 v23, v23, v42
	s_or_b64 exec, exec, s[14:15]
	s_and_saveexec_b64 s[14:15], s[0:1]
	s_cbranch_execnz .LBB400_29
	s_branch .LBB400_30
.LBB400_54:                             ;   in Loop: Header=BB400_14 Depth=1
	ds_read_b32 v41, v37
	s_or_b64 exec, exec, s[14:15]
	s_and_saveexec_b64 s[14:15], s[0:1]
	s_cbranch_execz .LBB400_34
.LBB400_55:                             ;   in Loop: Header=BB400_14 Depth=1
	s_waitcnt lgkmcnt(0)
	ds_bpermute_b32 v42, v35, v41
	s_waitcnt lgkmcnt(0)
	v_add_f32_e32 v41, v41, v42
	ds_bpermute_b32 v42, v36, v41
	s_waitcnt lgkmcnt(0)
	v_add_f32_e32 v41, v41, v42
	s_or_b64 exec, exec, s[14:15]
	s_and_saveexec_b64 s[14:15], s[0:1]
	s_cbranch_execnz .LBB400_35
	s_branch .LBB400_36
.LBB400_56:                             ;   in Loop: Header=BB400_14 Depth=1
	ds_read_b32 v40, v37
	s_or_b64 exec, exec, s[14:15]
	s_and_saveexec_b64 s[14:15], s[0:1]
	s_cbranch_execz .LBB400_40
.LBB400_57:                             ;   in Loop: Header=BB400_14 Depth=1
	s_waitcnt lgkmcnt(0)
	ds_bpermute_b32 v42, v35, v40
	s_waitcnt lgkmcnt(0)
	v_add_f32_e32 v40, v40, v42
	ds_bpermute_b32 v42, v36, v40
	s_waitcnt lgkmcnt(0)
	v_add_f32_e32 v40, v40, v42
	s_or_b64 exec, exec, s[14:15]
	s_and_saveexec_b64 s[14:15], s[12:13]
	s_cbranch_execz .LBB400_13
.LBB400_58:                             ;   in Loop: Header=BB400_14 Depth=1
	s_mul_hi_u32 s17, s3, s34
	s_mul_i32 s16, s3, s34
	s_lshl_b64 s[16:17], s[16:17], 2
	s_add_u32 s16, s67, s16
	v_mul_f32_e32 v22, s26, v22
	s_addc_u32 s17, s68, s17
	global_store_dword v39, v22, s[16:17]
	s_or_b32 s16, s3, 1
	s_mul_hi_u32 s17, s16, s34
	s_mul_i32 s16, s16, s34
	s_lshl_b64 s[16:17], s[16:17], 2
	s_add_u32 s16, s67, s16
	v_mul_f32_e32 v22, s26, v23
	s_addc_u32 s17, s68, s17
	global_store_dword v39, v22, s[16:17]
	s_or_b32 s16, s3, 2
	;; [unrolled: 8-line block ×3, first 2 shown]
	s_mul_hi_u32 s17, s16, s34
	s_mul_i32 s16, s16, s34
	s_lshl_b64 s[16:17], s[16:17], 2
	s_add_u32 s16, s67, s16
	s_waitcnt lgkmcnt(0)
	v_mul_f32_e32 v22, s26, v40
	s_addc_u32 s17, s68, s17
	global_store_dword v39, v22, s[16:17]
	s_branch .LBB400_13
.LBB400_59:
	s_mov_b32 s3, 0
                                        ; implicit-def: $vgpr2_vgpr3_vgpr4_vgpr5
.LBB400_60:
	s_cmp_ge_i32 s3, s25
	s_cbranch_scc1 .LBB400_84
; %bb.61:
	v_mbcnt_hi_u32_b32 v10, -1, v28
	v_and_b32_e32 v11, 63, v10
	v_cmp_gt_u32_e32 vcc, 32, v11
	v_cmp_ge_i32_e64 s[0:1], s24, v29
	v_cmp_ge_i32_e64 s[4:5], s24, v30
	v_cndmask_b32_e64 v12, 0, 1, vcc
	v_lshlrev_b32_e32 v12, 5, v12
	v_cmp_gt_u32_e32 vcc, 48, v11
	v_add_lshl_u32 v23, v12, v10, 2
	s_mov_b32 s49, 0
	v_cndmask_b32_e64 v12, 0, 1, vcc
	v_lshlrev_b32_e32 v12, 4, v12
	v_cmp_gt_u32_e32 vcc, 56, v11
	v_add_lshl_u32 v28, v12, v10, 2
	s_cmp_gt_i32 s27, 0
	v_cndmask_b32_e64 v12, 0, 1, vcc
	v_lshlrev_b32_e32 v12, 3, v12
	v_cmp_gt_u32_e32 vcc, 60, v11
	v_add_lshl_u32 v29, v12, v10, 2
	s_mov_b32 s48, s2
	v_cndmask_b32_e64 v12, 0, 1, vcc
	v_lshlrev_b32_e32 v12, 2, v12
	v_cmp_gt_u32_e32 vcc, 62, v11
	v_add_lshl_u32 v30, v12, v10, 2
	s_cselect_b64 s[50:51], -1, 0
	v_cndmask_b32_e64 v12, 0, 1, vcc
	v_lshlrev_b32_e32 v12, 1, v12
	v_cmp_ne_u32_e32 vcc, 63, v11
	s_lshl_b64 s[14:15], s[48:49], 2
	v_add_lshl_u32 v31, v12, v10, 2
	v_addc_co_u32_e32 v10, vcc, 0, v10, vcc
	s_add_u32 s2, s33, s14
	v_cmp_gt_u32_e64 s[6:7], 64, v0
	v_lshlrev_b32_e32 v32, 2, v10
	v_cmp_gt_u32_e64 s[10:11], 4, v0
	v_cmp_eq_u32_e64 s[12:13], 0, v0
	s_addc_u32 s24, s66, s15
	v_mad_i64_i32 v[10:11], s[14:15], s38, v8, 0
	v_mad_i64_i32 v[12:13], s[14:15], s38, v25, 0
	;; [unrolled: 1-line block ×4, first 2 shown]
	s_add_u32 s14, s22, s44
	s_addc_u32 s15, s23, s45
	s_add_u32 s14, s14, s40
	v_lshlrev_b64 v[18:19], 1, v[10:11]
	s_addc_u32 s15, s15, s41
	v_lshl_add_u64 v[10:11], s[46:47], 0, v[18:19]
	v_lshl_add_u64 v[18:19], s[14:15], 0, v[18:19]
	s_mul_i32 s14, s37, s3
	s_mul_hi_u32 s15, s36, s3
	s_add_i32 s15, s15, s14
	s_mul_i32 s14, s36, s3
	s_lshl_b64 s[22:23], s[38:39], 1
	s_lshl_b64 s[14:15], s[14:15], 1
	s_add_u32 s14, s42, s14
	s_addc_u32 s15, s43, s15
	s_add_u32 s14, s14, s30
	s_addc_u32 s15, s15, s31
	;; [unrolled: 2-line block ×3, first 2 shown]
	v_lshlrev_b32_e32 v22, 2, v26
	v_cmp_eq_u32_e64 s[8:9], 0, v26
	v_and_b32_e32 v26, 12, v27
	v_lshl_add_u64 v[12:13], v[12:13], 1, s[46:47]
	v_lshl_add_u64 v[14:15], v[14:15], 1, s[46:47]
	;; [unrolled: 1-line block ×4, first 2 shown]
	s_lshl_b64 s[28:29], s[36:37], 1
	v_mov_b32_e32 v1, 0
	s_branch .LBB400_63
.LBB400_62:                             ;   in Loop: Header=BB400_63 Depth=1
	s_or_b64 exec, exec, s[14:15]
	s_add_i32 s3, s3, 1
	s_cmp_ge_i32 s3, s25
	v_lshl_add_u64 v[8:9], v[8:9], 0, s[28:29]
	s_cbranch_scc1 .LBB400_84
.LBB400_63:                             ; =>This Loop Header: Depth=1
                                        ;     Child Loop BB400_76 Depth 2
                                        ;     Child Loop BB400_79 Depth 2
	s_waitcnt lgkmcnt(0)
	v_mov_b32_e32 v0, s49
	s_and_saveexec_b64 s[14:15], s[0:1]
	s_xor_b64 s[14:15], exec, s[14:15]
	s_cbranch_execnz .LBB400_72
; %bb.64:                               ;   in Loop: Header=BB400_63 Depth=1
	s_andn2_saveexec_b64 s[30:31], s[14:15]
	s_cbranch_execnz .LBB400_73
.LBB400_65:                             ;   in Loop: Header=BB400_63 Depth=1
	s_or_b64 exec, exec, s[30:31]
	s_and_saveexec_b64 s[14:15], s[6:7]
	s_cbranch_execz .LBB400_67
.LBB400_66:                             ;   in Loop: Header=BB400_63 Depth=1
	ds_write_b32 v22, v1
.LBB400_67:                             ;   in Loop: Header=BB400_63 Depth=1
	s_or_b64 exec, exec, s[14:15]
	ds_bpermute_b32 v20, v23, v0
	s_waitcnt lgkmcnt(0)
	s_barrier
	v_add_f32_e32 v0, v0, v20
	ds_bpermute_b32 v20, v28, v0
	s_waitcnt lgkmcnt(0)
	v_add_f32_e32 v0, v0, v20
	ds_bpermute_b32 v20, v29, v0
	s_waitcnt lgkmcnt(0)
	;; [unrolled: 3-line block ×4, first 2 shown]
	v_add_f32_e32 v0, v0, v20
	ds_bpermute_b32 v20, v32, v0
	s_and_saveexec_b64 s[14:15], s[8:9]
	s_cbranch_execz .LBB400_69
; %bb.68:                               ;   in Loop: Header=BB400_63 Depth=1
	s_waitcnt lgkmcnt(0)
	v_add_f32_e32 v0, v0, v20
	ds_write_b32 v26, v0
.LBB400_69:                             ;   in Loop: Header=BB400_63 Depth=1
	s_or_b64 exec, exec, s[14:15]
	v_mov_b32_e32 v0, 0
	s_waitcnt lgkmcnt(0)
	s_barrier
	s_and_saveexec_b64 s[14:15], s[10:11]
	s_cbranch_execnz .LBB400_81
; %bb.70:                               ;   in Loop: Header=BB400_63 Depth=1
	s_or_b64 exec, exec, s[14:15]
	s_and_saveexec_b64 s[14:15], s[6:7]
	s_cbranch_execnz .LBB400_82
.LBB400_71:                             ;   in Loop: Header=BB400_63 Depth=1
	s_or_b64 exec, exec, s[14:15]
	s_and_saveexec_b64 s[14:15], s[12:13]
	s_cbranch_execz .LBB400_62
	s_branch .LBB400_83
.LBB400_72:                             ;   in Loop: Header=BB400_63 Depth=1
	s_mul_i32 s16, s3, s37
	s_mul_hi_u32 s17, s3, s36
	s_add_i32 s17, s17, s16
	s_mul_i32 s16, s3, s36
	v_lshl_add_u64 v[2:3], s[16:17], 1, v[6:7]
	global_load_ushort v0, v[10:11], off
	global_load_ushort v24, v[12:13], off
	;; [unrolled: 1-line block ×4, first 2 shown]
	global_load_dwordx2 v[20:21], v[2:3], off
	s_waitcnt vmcnt(4)
	v_cvt_f32_f16_e32 v2, v0
	s_waitcnt vmcnt(3)
	v_cvt_f32_f16_e32 v3, v24
	;; [unrolled: 2-line block ×4, first 2 shown]
	s_waitcnt vmcnt(0)
	v_fma_mix_f32 v0, v0, v20, 0 op_sel_hi:[1,1,0]
	s_nop 0
	v_fma_mix_f32 v0, v24, v20, v0 op_sel:[0,1,0] op_sel_hi:[1,1,0]
	s_nop 0
	v_fma_mix_f32 v0, v25, v21, v0 op_sel_hi:[1,1,0]
	s_nop 0
	v_fma_mix_f32 v0, v27, v21, v0 op_sel:[0,1,0] op_sel_hi:[1,1,0]
	s_andn2_saveexec_b64 s[30:31], s[14:15]
	s_cbranch_execz .LBB400_65
.LBB400_73:                             ;   in Loop: Header=BB400_63 Depth=1
	s_and_saveexec_b64 s[38:39], s[4:5]
	s_cbranch_execz .LBB400_80
; %bb.74:                               ;   in Loop: Header=BB400_63 Depth=1
	v_cndmask_b32_e64 v20, 0, 1, s[50:51]
	v_cmp_ne_u32_e64 s[14:15], 1, v20
	s_andn2_b64 vcc, exec, s[50:51]
	s_cbranch_vccnz .LBB400_77
; %bb.75:                               ;   in Loop: Header=BB400_63 Depth=1
	s_mov_b64 s[40:41], 0
	v_mov_b64_e32 v[20:21], v[18:19]
.LBB400_76:                             ;   Parent Loop BB400_63 Depth=1
                                        ; =>  This Inner Loop Header: Depth=2
	global_load_ushort v24, v[20:21], off
	s_cmp_eq_u32 s40, 3
	s_cselect_b64 vcc, -1, 0
	s_cmp_eq_u32 s40, 2
	s_cselect_b64 s[16:17], -1, 0
	s_cmp_eq_u32 s40, 1
	s_cselect_b64 s[18:19], -1, 0
	;; [unrolled: 2-line block ×3, first 2 shown]
	s_add_u32 s40, s40, 1
	s_addc_u32 s41, s41, 0
	v_lshl_add_u64 v[20:21], v[20:21], 0, s[22:23]
	s_cmp_eq_u32 s27, s40
	s_waitcnt vmcnt(0)
	v_cvt_f32_f16_e32 v24, v24
	v_cndmask_b32_e32 v5, v5, v24, vcc
	v_cndmask_b32_e64 v4, v4, v24, s[16:17]
	v_cndmask_b32_e64 v3, v3, v24, s[18:19]
	;; [unrolled: 1-line block ×3, first 2 shown]
	s_cbranch_scc0 .LBB400_76
.LBB400_77:                             ;   in Loop: Header=BB400_63 Depth=1
	s_and_b64 vcc, exec, s[14:15]
	s_cbranch_vccnz .LBB400_80
; %bb.78:                               ;   in Loop: Header=BB400_63 Depth=1
	s_mov_b64 s[14:15], 0
	v_mov_b64_e32 v[20:21], v[8:9]
.LBB400_79:                             ;   Parent Loop BB400_63 Depth=1
                                        ; =>  This Inner Loop Header: Depth=2
	global_load_ushort v24, v[20:21], off
	s_cmp_eq_u32 s14, 1
	s_cselect_b64 vcc, -1, 0
	s_cmp_eq_u32 s14, 2
	v_cndmask_b32_e32 v25, v2, v3, vcc
	s_cselect_b64 vcc, -1, 0
	s_cmp_eq_u32 s14, 3
	v_cndmask_b32_e32 v25, v25, v4, vcc
	s_cselect_b64 vcc, -1, 0
	s_add_u32 s14, s14, 1
	v_cndmask_b32_e32 v25, v25, v5, vcc
	s_addc_u32 s15, s15, 0
	v_lshl_add_u64 v[20:21], v[20:21], 0, 2
	s_cmp_lg_u32 s27, s14
	s_waitcnt vmcnt(0)
	v_fma_mix_f32 v0, v25, v24, v0 op_sel_hi:[0,1,0]
	s_cbranch_scc1 .LBB400_79
.LBB400_80:                             ;   in Loop: Header=BB400_63 Depth=1
	s_or_b64 exec, exec, s[38:39]
	s_or_b64 exec, exec, s[30:31]
	s_and_saveexec_b64 s[14:15], s[6:7]
	s_cbranch_execnz .LBB400_66
	s_branch .LBB400_67
.LBB400_81:                             ;   in Loop: Header=BB400_63 Depth=1
	ds_read_b32 v0, v22
	s_or_b64 exec, exec, s[14:15]
	s_and_saveexec_b64 s[14:15], s[6:7]
	s_cbranch_execz .LBB400_71
.LBB400_82:                             ;   in Loop: Header=BB400_63 Depth=1
	s_waitcnt lgkmcnt(0)
	ds_bpermute_b32 v20, v31, v0
	s_waitcnt lgkmcnt(0)
	v_add_f32_e32 v0, v0, v20
	ds_bpermute_b32 v20, v32, v0
	s_waitcnt lgkmcnt(0)
	v_add_f32_e32 v0, v0, v20
	s_or_b64 exec, exec, s[14:15]
	s_and_saveexec_b64 s[14:15], s[12:13]
	s_cbranch_execz .LBB400_62
.LBB400_83:                             ;   in Loop: Header=BB400_63 Depth=1
	s_mul_hi_u32 s17, s3, s34
	s_mul_i32 s16, s3, s34
	s_lshl_b64 s[16:17], s[16:17], 2
	s_add_u32 s16, s2, s16
	s_waitcnt lgkmcnt(0)
	v_mul_f32_e32 v0, s26, v0
	s_addc_u32 s17, s24, s17
	global_store_dword v1, v0, s[16:17]
	s_branch .LBB400_62
.LBB400_84:
	s_endpgm
	.section	.rodata,"a",@progbits
	.p2align	6, 0x0
	.amdhsa_kernel _ZL23rocblas_gemvt_sn_kernelILb0ELi256ELi4ElDF16_ffEviiT4_lPKT3_lilS3_lilPT5_i
		.amdhsa_group_segment_fixed_size 256
		.amdhsa_private_segment_fixed_size 0
		.amdhsa_kernarg_size 360
		.amdhsa_user_sgpr_count 2
		.amdhsa_user_sgpr_dispatch_ptr 0
		.amdhsa_user_sgpr_queue_ptr 0
		.amdhsa_user_sgpr_kernarg_segment_ptr 1
		.amdhsa_user_sgpr_dispatch_id 0
		.amdhsa_user_sgpr_kernarg_preload_length 0
		.amdhsa_user_sgpr_kernarg_preload_offset 0
		.amdhsa_user_sgpr_private_segment_size 0
		.amdhsa_uses_dynamic_stack 0
		.amdhsa_enable_private_segment 0
		.amdhsa_system_sgpr_workgroup_id_x 1
		.amdhsa_system_sgpr_workgroup_id_y 0
		.amdhsa_system_sgpr_workgroup_id_z 1
		.amdhsa_system_sgpr_workgroup_info 0
		.amdhsa_system_vgpr_workitem_id 0
		.amdhsa_next_free_vgpr 53
		.amdhsa_next_free_sgpr 69
		.amdhsa_accum_offset 56
		.amdhsa_reserve_vcc 1
		.amdhsa_float_round_mode_32 0
		.amdhsa_float_round_mode_16_64 0
		.amdhsa_float_denorm_mode_32 3
		.amdhsa_float_denorm_mode_16_64 3
		.amdhsa_dx10_clamp 1
		.amdhsa_ieee_mode 1
		.amdhsa_fp16_overflow 0
		.amdhsa_tg_split 0
		.amdhsa_exception_fp_ieee_invalid_op 0
		.amdhsa_exception_fp_denorm_src 0
		.amdhsa_exception_fp_ieee_div_zero 0
		.amdhsa_exception_fp_ieee_overflow 0
		.amdhsa_exception_fp_ieee_underflow 0
		.amdhsa_exception_fp_ieee_inexact 0
		.amdhsa_exception_int_div_zero 0
	.end_amdhsa_kernel
	.section	.text._ZL23rocblas_gemvt_sn_kernelILb0ELi256ELi4ElDF16_ffEviiT4_lPKT3_lilS3_lilPT5_i,"axG",@progbits,_ZL23rocblas_gemvt_sn_kernelILb0ELi256ELi4ElDF16_ffEviiT4_lPKT3_lilS3_lilPT5_i,comdat
.Lfunc_end400:
	.size	_ZL23rocblas_gemvt_sn_kernelILb0ELi256ELi4ElDF16_ffEviiT4_lPKT3_lilS3_lilPT5_i, .Lfunc_end400-_ZL23rocblas_gemvt_sn_kernelILb0ELi256ELi4ElDF16_ffEviiT4_lPKT3_lilS3_lilPT5_i
                                        ; -- End function
	.section	.AMDGPU.csdata,"",@progbits
; Kernel info:
; codeLenInByte = 4072
; NumSgprs: 75
; NumVgprs: 53
; NumAgprs: 0
; TotalNumVgprs: 53
; ScratchSize: 0
; MemoryBound: 0
; FloatMode: 240
; IeeeMode: 1
; LDSByteSize: 256 bytes/workgroup (compile time only)
; SGPRBlocks: 9
; VGPRBlocks: 6
; NumSGPRsForWavesPerEU: 75
; NumVGPRsForWavesPerEU: 53
; AccumOffset: 56
; Occupancy: 8
; WaveLimiterHint : 1
; COMPUTE_PGM_RSRC2:SCRATCH_EN: 0
; COMPUTE_PGM_RSRC2:USER_SGPR: 2
; COMPUTE_PGM_RSRC2:TRAP_HANDLER: 0
; COMPUTE_PGM_RSRC2:TGID_X_EN: 1
; COMPUTE_PGM_RSRC2:TGID_Y_EN: 0
; COMPUTE_PGM_RSRC2:TGID_Z_EN: 1
; COMPUTE_PGM_RSRC2:TIDIG_COMP_CNT: 0
; COMPUTE_PGM_RSRC3_GFX90A:ACCUM_OFFSET: 13
; COMPUTE_PGM_RSRC3_GFX90A:TG_SPLIT: 0
	.section	.text._ZL23rocblas_gemvt_sn_reduceILi256ELi8EffDF16_EviT2_lPT3_lilPT1_i,"axG",@progbits,_ZL23rocblas_gemvt_sn_reduceILi256ELi8EffDF16_EviT2_lPT3_lilPT1_i,comdat
	.globl	_ZL23rocblas_gemvt_sn_reduceILi256ELi8EffDF16_EviT2_lPT3_lilPT1_i ; -- Begin function _ZL23rocblas_gemvt_sn_reduceILi256ELi8EffDF16_EviT2_lPT3_lilPT1_i
	.p2align	8
	.type	_ZL23rocblas_gemvt_sn_reduceILi256ELi8EffDF16_EviT2_lPT3_lilPT1_i,@function
_ZL23rocblas_gemvt_sn_reduceILi256ELi8EffDF16_EviT2_lPT3_lilPT1_i: ; @_ZL23rocblas_gemvt_sn_reduceILi256ELi8EffDF16_EviT2_lPT3_lilPT1_i
; %bb.0:
	s_load_dwordx2 s[8:9], s[0:1], 0x0
	s_load_dword s2, s[0:1], 0x44
	s_load_dwordx2 s[6:7], s[0:1], 0x30
	v_lshlrev_b32_e32 v1, 3, v0
	v_mov_b32_e32 v3, 0
	s_waitcnt lgkmcnt(0)
	s_ashr_i32 s5, s8, 31
	s_add_u32 s14, s0, 64
	s_mul_i32 s2, s2, s4
	s_addc_u32 s15, s1, 0
	s_add_i32 s2, s2, s3
	s_mul_i32 s10, s2, s5
	s_mul_hi_u32 s11, s2, s8
	s_add_i32 s11, s11, s10
	s_mul_i32 s10, s2, s8
	s_lshr_b32 s2, s5, 29
	s_add_i32 s2, s8, s2
	s_and_b32 s2, s2, -8
	v_cmp_gt_i32_e32 vcc, s2, v1
	s_and_saveexec_b64 s[12:13], vcc
	s_cbranch_execz .LBB401_4
; %bb.1:
	s_load_dword s5, s[14:15], 0xc
	s_lshl_b64 s[16:17], s[10:11], 2
	v_lshlrev_b32_e32 v2, 5, v0
	v_mov_b32_e32 v3, 0
	s_mov_b32 s15, 0
	s_waitcnt lgkmcnt(0)
	s_and_b32 s14, s5, 0xffff
	s_lshl_b32 s5, s14, 3
	s_add_u32 s16, s6, s16
	s_addc_u32 s17, s7, s17
	v_lshl_add_u64 v[4:5], s[16:17], 0, v[2:3]
	v_lshl_add_u64 v[4:5], v[4:5], 0, 28
	s_lshl_b32 s14, s14, 5
	s_mov_b64 s[16:17], 0
.LBB401_2:                              ; =>This Inner Loop Header: Depth=1
	global_load_dwordx4 v[6:9], v[4:5], off offset:-28
	global_load_dwordx4 v[10:13], v[4:5], off offset:-12
	v_add_u32_e32 v1, s5, v1
	v_cmp_le_i32_e32 vcc, s2, v1
	v_lshl_add_u64 v[4:5], v[4:5], 0, s[14:15]
	s_or_b64 s[16:17], vcc, s[16:17]
	s_waitcnt vmcnt(1)
	v_add_f32_e32 v2, v3, v6
	v_add_f32_e32 v2, v2, v7
	;; [unrolled: 1-line block ×4, first 2 shown]
	s_waitcnt vmcnt(0)
	v_add_f32_e32 v2, v2, v10
	v_add_f32_e32 v2, v2, v11
	v_add_f32_e32 v2, v2, v12
	v_add_f32_e32 v3, v2, v13
	s_andn2_b64 exec, exec, s[16:17]
	s_cbranch_execnz .LBB401_2
; %bb.3:
	s_or_b64 exec, exec, s[16:17]
.LBB401_4:
	s_or_b64 exec, exec, s[12:13]
	s_sub_i32 s2, s8, s2
	v_cmp_gt_u32_e32 vcc, s2, v0
	s_and_saveexec_b64 s[12:13], vcc
	s_cbranch_execz .LBB401_6
; %bb.5:
	s_lshl_b64 s[10:11], s[10:11], 2
	s_add_u32 s6, s6, s10
	s_addc_u32 s7, s7, s11
	v_xad_u32 v4, v0, -1, s8
	v_mov_b32_e32 v5, 0
	v_lshl_add_u64 v[4:5], v[4:5], 2, s[6:7]
	global_load_dword v1, v[4:5], off
	s_waitcnt vmcnt(0)
	v_add_f32_e32 v3, v3, v1
.LBB401_6:
	s_or_b64 exec, exec, s[12:13]
	v_and_b32_e32 v2, 63, v0
	v_cmp_gt_u32_e32 vcc, 64, v0
	v_lshlrev_b32_e32 v1, 2, v2
	s_and_saveexec_b64 s[6:7], vcc
	s_cbranch_execz .LBB401_8
; %bb.7:
	v_mov_b32_e32 v4, 0
	ds_write_b32 v1, v4
.LBB401_8:
	s_or_b64 exec, exec, s[6:7]
	v_mbcnt_lo_u32_b32 v4, -1, 0
	v_mbcnt_hi_u32_b32 v4, -1, v4
	v_and_b32_e32 v5, 63, v4
	v_cmp_gt_u32_e64 s[6:7], 32, v5
	s_waitcnt lgkmcnt(0)
	s_barrier
	v_cndmask_b32_e64 v6, 0, 1, s[6:7]
	v_lshlrev_b32_e32 v6, 5, v6
	v_add_lshl_u32 v6, v6, v4, 2
	ds_bpermute_b32 v6, v6, v3
	v_cmp_gt_u32_e64 s[6:7], 48, v5
	s_waitcnt lgkmcnt(0)
	v_add_f32_e32 v3, v3, v6
	v_cndmask_b32_e64 v7, 0, 1, s[6:7]
	v_lshlrev_b32_e32 v7, 4, v7
	v_add_lshl_u32 v6, v7, v4, 2
	ds_bpermute_b32 v6, v6, v3
	v_cmp_gt_u32_e64 s[6:7], 56, v5
	s_waitcnt lgkmcnt(0)
	v_add_f32_e32 v3, v3, v6
	v_cndmask_b32_e64 v7, 0, 1, s[6:7]
	v_lshlrev_b32_e32 v7, 3, v7
	v_add_lshl_u32 v6, v7, v4, 2
	ds_bpermute_b32 v6, v6, v3
	v_cmp_gt_u32_e64 s[6:7], 60, v5
	s_waitcnt lgkmcnt(0)
	v_add_f32_e32 v3, v3, v6
	v_cndmask_b32_e64 v7, 0, 1, s[6:7]
	v_lshlrev_b32_e32 v7, 2, v7
	v_add_lshl_u32 v6, v7, v4, 2
	ds_bpermute_b32 v6, v6, v3
	v_cmp_gt_u32_e64 s[6:7], 62, v5
	s_waitcnt lgkmcnt(0)
	v_add_f32_e32 v6, v3, v6
	v_cndmask_b32_e64 v7, 0, 1, s[6:7]
	v_lshlrev_b32_e32 v7, 1, v7
	v_add_lshl_u32 v3, v7, v4, 2
	ds_bpermute_b32 v7, v3, v6
	v_cmp_ne_u32_e64 s[6:7], 63, v5
	s_waitcnt lgkmcnt(0)
	v_add_f32_e32 v5, v6, v7
	v_addc_co_u32_e64 v4, s[6:7], 0, v4, s[6:7]
	v_lshlrev_b32_e32 v4, 2, v4
	ds_bpermute_b32 v6, v4, v5
	v_cmp_eq_u32_e64 s[6:7], 0, v2
	s_and_saveexec_b64 s[10:11], s[6:7]
	s_cbranch_execz .LBB401_10
; %bb.9:
	v_lshrrev_b32_e32 v2, 4, v0
	v_and_b32_e32 v2, 12, v2
	s_waitcnt lgkmcnt(0)
	v_add_f32_e32 v5, v5, v6
	ds_write_b32 v2, v5
.LBB401_10:
	s_or_b64 exec, exec, s[10:11]
	v_cmp_gt_u32_e64 s[6:7], 4, v0
	v_mov_b32_e32 v2, 0
	s_waitcnt lgkmcnt(0)
	s_barrier
	s_and_saveexec_b64 s[10:11], s[6:7]
	s_cbranch_execnz .LBB401_14
; %bb.11:
	s_or_b64 exec, exec, s[10:11]
	s_and_saveexec_b64 s[6:7], vcc
	s_cbranch_execnz .LBB401_15
.LBB401_12:
	s_or_b64 exec, exec, s[6:7]
	v_cmp_eq_u32_e32 vcc, 0, v0
	s_and_saveexec_b64 s[6:7], vcc
	s_cbranch_execnz .LBB401_16
.LBB401_13:
	s_endpgm
.LBB401_14:
	ds_read_b32 v2, v1
	s_or_b64 exec, exec, s[10:11]
	s_and_saveexec_b64 s[6:7], vcc
	s_cbranch_execz .LBB401_12
.LBB401_15:
	s_waitcnt lgkmcnt(0)
	ds_bpermute_b32 v1, v3, v2
	s_waitcnt lgkmcnt(0)
	v_add_f32_e32 v1, v2, v1
	ds_bpermute_b32 v2, v4, v1
	s_waitcnt lgkmcnt(0)
	v_add_f32_e32 v2, v1, v2
	s_or_b64 exec, exec, s[6:7]
	v_cmp_eq_u32_e32 vcc, 0, v0
	s_and_saveexec_b64 s[6:7], vcc
	s_cbranch_execz .LBB401_13
.LBB401_16:
	s_load_dword s5, s[0:1], 0x20
	s_load_dwordx2 s[6:7], s[0:1], 0x28
	s_load_dwordx4 s[12:15], s[0:1], 0x10
	s_waitcnt lgkmcnt(0)
	s_ashr_i32 s8, s5, 31
	s_mul_i32 s0, s4, s7
	s_mul_hi_u32 s1, s4, s6
	s_add_i32 s1, s1, s0
	s_mul_i32 s0, s4, s6
	s_lshl_b64 s[0:1], s[0:1], 1
	s_add_u32 s2, s12, s0
	s_addc_u32 s4, s13, s1
	s_lshl_b64 s[0:1], s[14:15], 1
	s_add_u32 s2, s2, s0
	v_cmp_eq_f32_e64 s[6:7], s9, 0
	s_mul_hi_u32 s0, s5, s3
	s_mul_i32 s8, s8, s3
	s_addc_u32 s4, s4, s1
	s_add_i32 s1, s0, s8
	s_mul_i32 s0, s5, s3
	s_and_b64 vcc, exec, s[6:7]
	s_cbranch_vccnz .LBB401_18
; %bb.17:
	s_lshl_b64 s[6:7], s[0:1], 1
	s_add_u32 s6, s2, s6
	s_addc_u32 s7, s4, s7
	v_mov_b32_e32 v0, 0
	global_load_ushort v0, v0, s[6:7]
	s_waitcnt vmcnt(0)
	v_fma_mix_f32 v2, v0, s9, v2 op_sel_hi:[1,0,0]
.LBB401_18:
	s_nop 0
	v_cvt_f16_f32_e32 v0, v2
	s_lshl_b64 s[0:1], s[0:1], 1
	s_add_u32 s0, s2, s0
	s_addc_u32 s1, s4, s1
	v_mov_b32_e32 v1, 0
	global_store_short v1, v0, s[0:1]
	s_endpgm
	.section	.rodata,"a",@progbits
	.p2align	6, 0x0
	.amdhsa_kernel _ZL23rocblas_gemvt_sn_reduceILi256ELi8EffDF16_EviT2_lPT3_lilPT1_i
		.amdhsa_group_segment_fixed_size 256
		.amdhsa_private_segment_fixed_size 0
		.amdhsa_kernarg_size 320
		.amdhsa_user_sgpr_count 2
		.amdhsa_user_sgpr_dispatch_ptr 0
		.amdhsa_user_sgpr_queue_ptr 0
		.amdhsa_user_sgpr_kernarg_segment_ptr 1
		.amdhsa_user_sgpr_dispatch_id 0
		.amdhsa_user_sgpr_kernarg_preload_length 0
		.amdhsa_user_sgpr_kernarg_preload_offset 0
		.amdhsa_user_sgpr_private_segment_size 0
		.amdhsa_uses_dynamic_stack 0
		.amdhsa_enable_private_segment 0
		.amdhsa_system_sgpr_workgroup_id_x 1
		.amdhsa_system_sgpr_workgroup_id_y 1
		.amdhsa_system_sgpr_workgroup_id_z 1
		.amdhsa_system_sgpr_workgroup_info 0
		.amdhsa_system_vgpr_workitem_id 0
		.amdhsa_next_free_vgpr 14
		.amdhsa_next_free_sgpr 18
		.amdhsa_accum_offset 16
		.amdhsa_reserve_vcc 1
		.amdhsa_float_round_mode_32 0
		.amdhsa_float_round_mode_16_64 0
		.amdhsa_float_denorm_mode_32 3
		.amdhsa_float_denorm_mode_16_64 3
		.amdhsa_dx10_clamp 1
		.amdhsa_ieee_mode 1
		.amdhsa_fp16_overflow 0
		.amdhsa_tg_split 0
		.amdhsa_exception_fp_ieee_invalid_op 0
		.amdhsa_exception_fp_denorm_src 0
		.amdhsa_exception_fp_ieee_div_zero 0
		.amdhsa_exception_fp_ieee_overflow 0
		.amdhsa_exception_fp_ieee_underflow 0
		.amdhsa_exception_fp_ieee_inexact 0
		.amdhsa_exception_int_div_zero 0
	.end_amdhsa_kernel
	.section	.text._ZL23rocblas_gemvt_sn_reduceILi256ELi8EffDF16_EviT2_lPT3_lilPT1_i,"axG",@progbits,_ZL23rocblas_gemvt_sn_reduceILi256ELi8EffDF16_EviT2_lPT3_lilPT1_i,comdat
.Lfunc_end401:
	.size	_ZL23rocblas_gemvt_sn_reduceILi256ELi8EffDF16_EviT2_lPT3_lilPT1_i, .Lfunc_end401-_ZL23rocblas_gemvt_sn_reduceILi256ELi8EffDF16_EviT2_lPT3_lilPT1_i
                                        ; -- End function
	.section	.AMDGPU.csdata,"",@progbits
; Kernel info:
; codeLenInByte = 992
; NumSgprs: 24
; NumVgprs: 14
; NumAgprs: 0
; TotalNumVgprs: 14
; ScratchSize: 0
; MemoryBound: 0
; FloatMode: 240
; IeeeMode: 1
; LDSByteSize: 256 bytes/workgroup (compile time only)
; SGPRBlocks: 2
; VGPRBlocks: 1
; NumSGPRsForWavesPerEU: 24
; NumVGPRsForWavesPerEU: 14
; AccumOffset: 16
; Occupancy: 8
; WaveLimiterHint : 0
; COMPUTE_PGM_RSRC2:SCRATCH_EN: 0
; COMPUTE_PGM_RSRC2:USER_SGPR: 2
; COMPUTE_PGM_RSRC2:TRAP_HANDLER: 0
; COMPUTE_PGM_RSRC2:TGID_X_EN: 1
; COMPUTE_PGM_RSRC2:TGID_Y_EN: 1
; COMPUTE_PGM_RSRC2:TGID_Z_EN: 1
; COMPUTE_PGM_RSRC2:TIDIG_COMP_CNT: 0
; COMPUTE_PGM_RSRC3_GFX90A:ACCUM_OFFSET: 3
; COMPUTE_PGM_RSRC3_GFX90A:TG_SPLIT: 0
	.section	.text._ZL32rocblas_gemvt_warp_reduce_kernelILb0ELi256EiDF16_PKfDF16_EviiT3_lPKT2_lT1_lS5_lS6_lS2_lPT4_lS6_li,"axG",@progbits,_ZL32rocblas_gemvt_warp_reduce_kernelILb0ELi256EiDF16_PKfDF16_EviiT3_lPKT2_lT1_lS5_lS6_lS2_lPT4_lS6_li,comdat
	.globl	_ZL32rocblas_gemvt_warp_reduce_kernelILb0ELi256EiDF16_PKfDF16_EviiT3_lPKT2_lT1_lS5_lS6_lS2_lPT4_lS6_li ; -- Begin function _ZL32rocblas_gemvt_warp_reduce_kernelILb0ELi256EiDF16_PKfDF16_EviiT3_lPKT2_lT1_lS5_lS6_lS2_lPT4_lS6_li
	.p2align	8
	.type	_ZL32rocblas_gemvt_warp_reduce_kernelILb0ELi256EiDF16_PKfDF16_EviiT3_lPKT2_lT1_lS5_lS6_lS2_lPT4_lS6_li,@function
_ZL32rocblas_gemvt_warp_reduce_kernelILb0ELi256EiDF16_PKfDF16_EviiT3_lPKT2_lT1_lS5_lS6_lS2_lPT4_lS6_li: ; @_ZL32rocblas_gemvt_warp_reduce_kernelILb0ELi256EiDF16_PKfDF16_EviiT3_lPKT2_lT1_lS5_lS6_lS2_lPT4_lS6_li
; %bb.0:
	s_load_dwordx8 s[4:11], s[0:1], 0x8
	s_load_dwordx8 s[12:19], s[0:1], 0x50
	s_waitcnt lgkmcnt(0)
	s_mul_i32 s7, s3, s7
	s_mul_hi_u32 s20, s3, s6
	s_add_i32 s7, s20, s7
	s_mul_i32 s6, s3, s6
	s_lshl_b64 s[6:7], s[6:7], 2
	s_add_u32 s4, s4, s6
	s_addc_u32 s5, s5, s7
	s_load_dword s23, s[4:5], 0x0
	s_mul_i32 s4, s3, s17
	s_mul_hi_u32 s5, s3, s16
	s_add_i32 s5, s5, s4
	s_mul_i32 s4, s3, s16
	s_lshl_b64 s[4:5], s[4:5], 2
	s_add_u32 s4, s14, s4
	s_addc_u32 s5, s15, s5
	s_load_dword s22, s[4:5], 0x0
	s_waitcnt lgkmcnt(0)
	v_cmp_eq_f32_e64 s[4:5], s23, 0
	v_cmp_eq_f32_e64 s[6:7], s22, 1.0
	s_and_b64 s[4:5], s[4:5], s[6:7]
	s_and_b64 vcc, exec, s[4:5]
	s_cbranch_vccnz .LBB402_29
; %bb.1:
	s_load_dwordx2 s[4:5], s[0:1], 0x80
	s_load_dwordx2 s[6:7], s[0:1], 0x70
	s_load_dword s24, s[0:1], 0x78
	s_waitcnt lgkmcnt(0)
	s_mul_i32 s5, s3, s5
	s_mul_hi_u32 s14, s3, s4
	s_mul_i32 s4, s3, s4
	s_add_i32 s5, s14, s5
	s_lshl_b64 s[4:5], s[4:5], 1
	s_add_u32 s14, s18, s4
	s_addc_u32 s15, s19, s5
	s_lshl_b64 s[4:5], s[6:7], 1
	s_add_u32 s20, s14, s4
	s_addc_u32 s21, s15, s5
	v_cmp_neq_f32_e64 s[4:5], s23, 0
	s_and_b64 vcc, exec, s[4:5]
	v_cmp_eq_u32_e64 s[4:5], 0, v0
	s_cbranch_vccnz .LBB402_5
; %bb.2:
	s_mov_b64 s[16:17], 0
	s_mov_b64 s[6:7], 0
                                        ; implicit-def: $vgpr1
                                        ; implicit-def: $sgpr14_sgpr15
	s_and_saveexec_b64 s[18:19], s[4:5]
	s_cbranch_execz .LBB402_6
; %bb.3:
	v_cmp_eq_f32_e64 s[4:5], s22, 0
	s_mul_i32 s14, s2, s24
	s_ashr_i32 s15, s14, 31
	s_and_b64 vcc, exec, s[4:5]
	s_cbranch_vccnz .LBB402_7
; %bb.4:
	s_lshl_b64 s[4:5], s[14:15], 1
	s_add_u32 s4, s20, s4
	s_addc_u32 s5, s21, s5
	v_mov_b32_e32 v1, 0
	global_load_ushort v1, v1, s[4:5]
	s_waitcnt vmcnt(0)
	v_fma_mixlo_f16 v1, s22, v1, 0 op_sel_hi:[0,1,0]
	s_mov_b64 s[6:7], exec
	s_or_b64 exec, exec, s[18:19]
	s_and_b64 vcc, exec, s[16:17]
	s_cbranch_vccz .LBB402_27
	s_branch .LBB402_8
.LBB402_5:
	s_mov_b64 s[6:7], 0
                                        ; implicit-def: $vgpr1
                                        ; implicit-def: $sgpr14_sgpr15
	s_cbranch_execnz .LBB402_8
	s_branch .LBB402_27
.LBB402_6:
	s_or_b64 exec, exec, s[18:19]
	s_and_b64 vcc, exec, s[16:17]
	s_cbranch_vccnz .LBB402_8
	s_branch .LBB402_27
.LBB402_7:
	v_mov_b32_e32 v1, 0
	s_mov_b64 s[6:7], exec
	s_or_b64 exec, exec, s[18:19]
	s_and_b64 vcc, exec, s[16:17]
	s_cbranch_vccz .LBB402_27
.LBB402_8:
	s_load_dword s14, s[0:1], 0x0
	s_load_dword s25, s[0:1], 0x28
	s_load_dwordx4 s[16:19], s[0:1], 0x30
	s_load_dwordx2 s[4:5], s[0:1], 0x40
	s_mul_i32 s13, s3, s13
	s_mul_hi_u32 s15, s3, s12
	s_add_i32 s13, s15, s13
	s_mul_i32 s12, s3, s12
	s_lshl_b64 s[12:13], s[12:13], 1
	s_waitcnt lgkmcnt(0)
	s_add_u32 s12, s18, s12
	s_addc_u32 s13, s19, s13
	s_lshl_b64 s[4:5], s[4:5], 1
	s_add_u32 s4, s12, s4
	s_load_dword s15, s[0:1], 0x48
	s_mul_i32 s0, s3, s17
	s_mul_hi_u32 s1, s3, s16
	s_addc_u32 s5, s13, s5
	s_add_i32 s1, s1, s0
	s_mul_i32 s0, s3, s16
	s_lshl_b64 s[0:1], s[0:1], 1
	s_add_u32 s3, s8, s0
	s_addc_u32 s8, s9, s1
	s_lshl_b64 s[0:1], s[10:11], 1
	s_add_u32 s3, s3, s0
	s_mul_i32 s0, s2, s25
	s_addc_u32 s8, s8, s1
	s_ashr_i32 s1, s0, 31
	v_cmp_gt_i32_e32 vcc, s14, v0
	s_lshl_b64 s[0:1], s[0:1], 1
	s_add_u32 s0, s0, s3
	v_cndmask_b32_e32 v1, 0, v0, vcc
	v_lshlrev_b32_e32 v2, 1, v1
	v_mov_b32_e32 v3, 0
	s_addc_u32 s1, s1, s8
	v_lshl_add_u64 v[4:5], s[0:1], 0, v[2:3]
	s_ashr_i32 s0, s14, 31
	s_lshr_b32 s0, s0, 24
	s_add_i32 s0, s14, s0
	s_and_b32 s0, s0, 0xffffff00
	v_cmp_gt_i32_e32 vcc, s0, v0
	s_and_saveexec_b64 s[8:9], vcc
	s_cbranch_execz .LBB402_12
; %bb.9:
	s_waitcnt lgkmcnt(0)
	v_mul_lo_u32 v6, v0, s15
	s_lshl_b32 s1, s15, 8
	s_mov_b64 s[10:11], 0
	v_mov_b32_e32 v3, 0
	s_mov_b64 s[12:13], 0x200
	v_mov_b64_e32 v[8:9], v[4:5]
	v_mov_b32_e32 v1, v0
.LBB402_10:                             ; =>This Inner Loop Header: Depth=1
	v_ashrrev_i32_e32 v7, 31, v6
	v_lshl_add_u64 v[10:11], v[6:7], 1, s[4:5]
	global_load_ushort v2, v[8:9], off
	global_load_ushort v7, v[10:11], off
	v_add_u32_e32 v1, 0x100, v1
	v_cmp_le_i32_e32 vcc, s0, v1
	v_lshl_add_u64 v[8:9], v[8:9], 0, s[12:13]
	v_add_u32_e32 v6, s1, v6
	s_or_b64 s[10:11], vcc, s[10:11]
	s_waitcnt vmcnt(0)
	v_mul_f16_e32 v2, v2, v7
	v_cvt_f32_f16_e32 v2, v2
	v_add_f32_e32 v3, v3, v2
	s_andn2_b64 exec, exec, s[10:11]
	s_cbranch_execnz .LBB402_10
; %bb.11:
	s_or_b64 exec, exec, s[10:11]
.LBB402_12:
	s_or_b64 exec, exec, s[8:9]
	v_add_u32_e32 v1, s0, v0
	v_cmp_gt_i32_e32 vcc, s14, v1
	s_and_saveexec_b64 s[8:9], vcc
	s_cbranch_execz .LBB402_14
; %bb.13:
	s_ashr_i32 s1, s0, 31
	v_lshl_add_u64 v[4:5], s[0:1], 1, v[4:5]
	global_load_ushort v2, v[4:5], off
	s_waitcnt lgkmcnt(0)
	v_mul_lo_u32 v4, v1, s15
	v_ashrrev_i32_e32 v5, 31, v4
	v_lshl_add_u64 v[4:5], v[4:5], 1, s[4:5]
	global_load_ushort v1, v[4:5], off
	s_waitcnt vmcnt(0)
	v_mul_f16_e32 v1, v2, v1
	v_cvt_f32_f16_e32 v1, v1
	v_add_f32_e32 v3, v3, v1
.LBB402_14:
	s_or_b64 exec, exec, s[8:9]
	v_and_b32_e32 v2, 63, v0
	v_cmp_gt_u32_e32 vcc, 64, v0
	v_lshlrev_b32_e32 v1, 2, v2
	s_and_saveexec_b64 s[0:1], vcc
	s_cbranch_execz .LBB402_16
; %bb.15:
	v_mov_b32_e32 v4, 0
	ds_write_b32 v1, v4
.LBB402_16:
	s_or_b64 exec, exec, s[0:1]
	v_mbcnt_lo_u32_b32 v4, -1, 0
	v_mbcnt_hi_u32_b32 v4, -1, v4
	v_and_b32_e32 v5, 63, v4
	v_cmp_gt_u32_e64 s[0:1], 32, v5
	s_waitcnt lgkmcnt(0)
	s_barrier
	v_cndmask_b32_e64 v6, 0, 1, s[0:1]
	v_lshlrev_b32_e32 v6, 5, v6
	v_add_lshl_u32 v6, v6, v4, 2
	ds_bpermute_b32 v6, v6, v3
	v_cmp_gt_u32_e64 s[0:1], 48, v5
	s_waitcnt lgkmcnt(0)
	v_add_f32_e32 v3, v3, v6
	v_cndmask_b32_e64 v7, 0, 1, s[0:1]
	v_lshlrev_b32_e32 v7, 4, v7
	v_add_lshl_u32 v6, v7, v4, 2
	ds_bpermute_b32 v6, v6, v3
	v_cmp_gt_u32_e64 s[0:1], 56, v5
	s_waitcnt lgkmcnt(0)
	v_add_f32_e32 v3, v3, v6
	;; [unrolled: 7-line block ×4, first 2 shown]
	v_cndmask_b32_e64 v7, 0, 1, s[0:1]
	v_lshlrev_b32_e32 v7, 1, v7
	v_add_lshl_u32 v3, v7, v4, 2
	ds_bpermute_b32 v7, v3, v6
	v_cmp_ne_u32_e64 s[0:1], 63, v5
	s_waitcnt lgkmcnt(0)
	v_add_f32_e32 v5, v6, v7
	v_addc_co_u32_e64 v4, s[0:1], 0, v4, s[0:1]
	v_lshlrev_b32_e32 v4, 2, v4
	ds_bpermute_b32 v6, v4, v5
	v_cmp_eq_u32_e64 s[0:1], 0, v2
	s_and_saveexec_b64 s[4:5], s[0:1]
	s_cbranch_execz .LBB402_18
; %bb.17:
	v_lshrrev_b32_e32 v2, 4, v0
	v_and_b32_e32 v2, 12, v2
	s_waitcnt lgkmcnt(0)
	v_add_f32_e32 v5, v5, v6
	ds_write_b32 v2, v5
.LBB402_18:
	s_or_b64 exec, exec, s[4:5]
	v_cmp_gt_u32_e64 s[0:1], 4, v0
	v_mov_b32_e32 v2, 0
	s_waitcnt lgkmcnt(0)
	s_barrier
	s_and_saveexec_b64 s[4:5], s[0:1]
	s_cbranch_execz .LBB402_20
; %bb.19:
	ds_read_b32 v2, v1
	s_or_b64 exec, exec, s[4:5]
	s_and_saveexec_b64 s[0:1], vcc
	s_cbranch_execz .LBB402_22
	s_branch .LBB402_21
.LBB402_20:
	s_or_b64 exec, exec, s[4:5]
	s_and_saveexec_b64 s[0:1], vcc
	s_cbranch_execz .LBB402_22
.LBB402_21:
	s_waitcnt lgkmcnt(0)
	ds_bpermute_b32 v1, v3, v2
	s_waitcnt lgkmcnt(0)
	v_add_f32_e32 v1, v2, v1
	ds_bpermute_b32 v2, v4, v1
	s_waitcnt lgkmcnt(0)
	v_add_f32_e32 v2, v1, v2
.LBB402_22:
	s_or_b64 exec, exec, s[0:1]
	v_cmp_eq_u32_e32 vcc, 0, v0
                                        ; implicit-def: $vgpr1
                                        ; implicit-def: $sgpr14_sgpr15
	s_and_saveexec_b64 s[0:1], vcc
	s_cbranch_execz .LBB402_26
; %bb.23:
	v_cmp_eq_f32_e64 s[4:5], s22, 0
	s_mul_i32 s14, s2, s24
	s_waitcnt lgkmcnt(0)
	v_mul_f32_e32 v0, s23, v2
	s_ashr_i32 s15, s14, 31
	s_and_b64 vcc, exec, s[4:5]
	s_cbranch_vccnz .LBB402_25
; %bb.24:
	s_lshl_b64 s[2:3], s[14:15], 1
	s_add_u32 s2, s20, s2
	s_addc_u32 s3, s21, s3
	v_mov_b32_e32 v1, 0
	global_load_ushort v1, v1, s[2:3]
	s_waitcnt vmcnt(0)
	v_fma_mix_f32 v0, s22, v1, v0 op_sel_hi:[0,1,0]
.LBB402_25:
	v_cvt_f16_f32_e32 v1, v0
	s_or_b64 s[6:7], s[6:7], exec
.LBB402_26:
	s_or_b64 exec, exec, s[0:1]
.LBB402_27:
	s_and_saveexec_b64 s[0:1], s[6:7]
	s_cbranch_execz .LBB402_29
; %bb.28:
	s_lshl_b64 s[0:1], s[14:15], 1
	s_add_u32 s0, s20, s0
	s_addc_u32 s1, s21, s1
	v_mov_b32_e32 v0, 0
	global_store_short v0, v1, s[0:1]
.LBB402_29:
	s_endpgm
	.section	.rodata,"a",@progbits
	.p2align	6, 0x0
	.amdhsa_kernel _ZL32rocblas_gemvt_warp_reduce_kernelILb0ELi256EiDF16_PKfDF16_EviiT3_lPKT2_lT1_lS5_lS6_lS2_lPT4_lS6_li
		.amdhsa_group_segment_fixed_size 256
		.amdhsa_private_segment_fixed_size 0
		.amdhsa_kernarg_size 140
		.amdhsa_user_sgpr_count 2
		.amdhsa_user_sgpr_dispatch_ptr 0
		.amdhsa_user_sgpr_queue_ptr 0
		.amdhsa_user_sgpr_kernarg_segment_ptr 1
		.amdhsa_user_sgpr_dispatch_id 0
		.amdhsa_user_sgpr_kernarg_preload_length 0
		.amdhsa_user_sgpr_kernarg_preload_offset 0
		.amdhsa_user_sgpr_private_segment_size 0
		.amdhsa_uses_dynamic_stack 0
		.amdhsa_enable_private_segment 0
		.amdhsa_system_sgpr_workgroup_id_x 1
		.amdhsa_system_sgpr_workgroup_id_y 0
		.amdhsa_system_sgpr_workgroup_id_z 1
		.amdhsa_system_sgpr_workgroup_info 0
		.amdhsa_system_vgpr_workitem_id 0
		.amdhsa_next_free_vgpr 12
		.amdhsa_next_free_sgpr 26
		.amdhsa_accum_offset 12
		.amdhsa_reserve_vcc 1
		.amdhsa_float_round_mode_32 0
		.amdhsa_float_round_mode_16_64 0
		.amdhsa_float_denorm_mode_32 3
		.amdhsa_float_denorm_mode_16_64 3
		.amdhsa_dx10_clamp 1
		.amdhsa_ieee_mode 1
		.amdhsa_fp16_overflow 0
		.amdhsa_tg_split 0
		.amdhsa_exception_fp_ieee_invalid_op 0
		.amdhsa_exception_fp_denorm_src 0
		.amdhsa_exception_fp_ieee_div_zero 0
		.amdhsa_exception_fp_ieee_overflow 0
		.amdhsa_exception_fp_ieee_underflow 0
		.amdhsa_exception_fp_ieee_inexact 0
		.amdhsa_exception_int_div_zero 0
	.end_amdhsa_kernel
	.section	.text._ZL32rocblas_gemvt_warp_reduce_kernelILb0ELi256EiDF16_PKfDF16_EviiT3_lPKT2_lT1_lS5_lS6_lS2_lPT4_lS6_li,"axG",@progbits,_ZL32rocblas_gemvt_warp_reduce_kernelILb0ELi256EiDF16_PKfDF16_EviiT3_lPKT2_lT1_lS5_lS6_lS2_lPT4_lS6_li,comdat
.Lfunc_end402:
	.size	_ZL32rocblas_gemvt_warp_reduce_kernelILb0ELi256EiDF16_PKfDF16_EviiT3_lPKT2_lT1_lS5_lS6_lS2_lPT4_lS6_li, .Lfunc_end402-_ZL32rocblas_gemvt_warp_reduce_kernelILb0ELi256EiDF16_PKfDF16_EviiT3_lPKT2_lT1_lS5_lS6_lS2_lPT4_lS6_li
                                        ; -- End function
	.section	.AMDGPU.csdata,"",@progbits
; Kernel info:
; codeLenInByte = 1364
; NumSgprs: 32
; NumVgprs: 12
; NumAgprs: 0
; TotalNumVgprs: 12
; ScratchSize: 0
; MemoryBound: 0
; FloatMode: 240
; IeeeMode: 1
; LDSByteSize: 256 bytes/workgroup (compile time only)
; SGPRBlocks: 3
; VGPRBlocks: 1
; NumSGPRsForWavesPerEU: 32
; NumVGPRsForWavesPerEU: 12
; AccumOffset: 12
; Occupancy: 8
; WaveLimiterHint : 1
; COMPUTE_PGM_RSRC2:SCRATCH_EN: 0
; COMPUTE_PGM_RSRC2:USER_SGPR: 2
; COMPUTE_PGM_RSRC2:TRAP_HANDLER: 0
; COMPUTE_PGM_RSRC2:TGID_X_EN: 1
; COMPUTE_PGM_RSRC2:TGID_Y_EN: 0
; COMPUTE_PGM_RSRC2:TGID_Z_EN: 1
; COMPUTE_PGM_RSRC2:TIDIG_COMP_CNT: 0
; COMPUTE_PGM_RSRC3_GFX90A:ACCUM_OFFSET: 2
; COMPUTE_PGM_RSRC3_GFX90A:TG_SPLIT: 0
	.section	.text._ZL32rocblas_gemvt_warp_reduce_kernelILb0ELi256ElDF16_PKfDF16_EviiT3_lPKT2_lT1_lS5_lS6_lS2_lPT4_lS6_li,"axG",@progbits,_ZL32rocblas_gemvt_warp_reduce_kernelILb0ELi256ElDF16_PKfDF16_EviiT3_lPKT2_lT1_lS5_lS6_lS2_lPT4_lS6_li,comdat
	.globl	_ZL32rocblas_gemvt_warp_reduce_kernelILb0ELi256ElDF16_PKfDF16_EviiT3_lPKT2_lT1_lS5_lS6_lS2_lPT4_lS6_li ; -- Begin function _ZL32rocblas_gemvt_warp_reduce_kernelILb0ELi256ElDF16_PKfDF16_EviiT3_lPKT2_lT1_lS5_lS6_lS2_lPT4_lS6_li
	.p2align	8
	.type	_ZL32rocblas_gemvt_warp_reduce_kernelILb0ELi256ElDF16_PKfDF16_EviiT3_lPKT2_lT1_lS5_lS6_lS2_lPT4_lS6_li,@function
_ZL32rocblas_gemvt_warp_reduce_kernelILb0ELi256ElDF16_PKfDF16_EviiT3_lPKT2_lT1_lS5_lS6_lS2_lPT4_lS6_li: ; @_ZL32rocblas_gemvt_warp_reduce_kernelILb0ELi256ElDF16_PKfDF16_EviiT3_lPKT2_lT1_lS5_lS6_lS2_lPT4_lS6_li
; %bb.0:
	s_load_dwordx16 s[36:51], s[0:1], 0x8
	s_load_dwordx16 s[8:23], s[0:1], 0x48
	s_waitcnt lgkmcnt(0)
	s_mul_i32 s4, s3, s39
	s_mul_hi_u32 s5, s3, s38
	s_add_i32 s5, s5, s4
	s_mul_i32 s4, s3, s38
	s_lshl_b64 s[4:5], s[4:5], 2
	s_add_u32 s4, s36, s4
	s_addc_u32 s5, s37, s5
	s_load_dword s25, s[4:5], 0x0
	s_mul_i32 s4, s3, s15
	s_mul_hi_u32 s5, s3, s14
	s_add_i32 s5, s5, s4
	s_mul_i32 s4, s3, s14
	s_lshl_b64 s[4:5], s[4:5], 2
	s_add_u32 s4, s12, s4
	s_addc_u32 s5, s13, s5
	s_load_dword s24, s[4:5], 0x0
	s_waitcnt lgkmcnt(0)
	v_cmp_eq_f32_e64 s[4:5], s25, 0
	v_cmp_eq_f32_e64 s[6:7], s24, 1.0
	s_and_b64 s[4:5], s[4:5], s[6:7]
	s_and_b64 vcc, exec, s[4:5]
	s_cbranch_vccnz .LBB403_29
; %bb.1:
	s_mul_i32 s4, s3, s23
	s_mul_hi_u32 s5, s3, s22
	s_add_i32 s5, s5, s4
	s_mul_i32 s4, s3, s22
	s_lshl_b64 s[4:5], s[4:5], 1
	s_add_u32 s6, s16, s4
	s_addc_u32 s7, s17, s5
	s_lshl_b64 s[4:5], s[18:19], 1
	s_add_u32 s18, s6, s4
	s_addc_u32 s19, s7, s5
	v_cmp_neq_f32_e64 s[4:5], s25, 0
	s_and_b64 vcc, exec, s[4:5]
	v_cmp_eq_u32_e64 s[4:5], 0, v0
	s_cbranch_vccnz .LBB403_5
; %bb.2:
	s_mov_b64 s[14:15], 0
	s_mov_b64 s[6:7], 0
                                        ; implicit-def: $vgpr1
                                        ; implicit-def: $sgpr12_sgpr13
	s_and_saveexec_b64 s[16:17], s[4:5]
	s_cbranch_execz .LBB403_6
; %bb.3:
	s_ashr_i32 s6, s2, 31
	s_mul_i32 s7, s2, s21
	s_mul_hi_u32 s12, s2, s20
	v_cmp_eq_f32_e64 s[4:5], s24, 0
	s_add_i32 s7, s12, s7
	s_mul_i32 s6, s6, s20
	s_add_i32 s13, s7, s6
	s_mul_i32 s12, s2, s20
	s_and_b64 vcc, exec, s[4:5]
	s_cbranch_vccnz .LBB403_7
; %bb.4:
	s_lshl_b64 s[4:5], s[12:13], 1
	s_add_u32 s4, s18, s4
	s_addc_u32 s5, s19, s5
	v_mov_b32_e32 v1, 0
	global_load_ushort v1, v1, s[4:5]
	s_waitcnt vmcnt(0)
	v_fma_mixlo_f16 v1, s24, v1, 0 op_sel_hi:[0,1,0]
	s_mov_b64 s[6:7], exec
	s_or_b64 exec, exec, s[16:17]
	s_and_b64 vcc, exec, s[14:15]
	s_cbranch_vccz .LBB403_27
	s_branch .LBB403_8
.LBB403_5:
	s_mov_b64 s[6:7], 0
                                        ; implicit-def: $vgpr1
                                        ; implicit-def: $sgpr12_sgpr13
	s_cbranch_execnz .LBB403_8
	s_branch .LBB403_27
.LBB403_6:
	s_or_b64 exec, exec, s[16:17]
	s_and_b64 vcc, exec, s[14:15]
	s_cbranch_vccnz .LBB403_8
	s_branch .LBB403_27
.LBB403_7:
	v_mov_b32_e32 v1, 0
	s_mov_b64 s[6:7], exec
	s_or_b64 exec, exec, s[16:17]
	s_and_b64 vcc, exec, s[14:15]
	s_cbranch_vccz .LBB403_27
.LBB403_8:
	s_mul_i32 s4, s3, s11
	s_mul_hi_u32 s5, s3, s10
	s_add_i32 s5, s5, s4
	s_mul_i32 s4, s3, s10
	s_load_dword s1, s[0:1], 0x0
	s_mul_i32 s0, s3, s47
	s_mul_hi_u32 s10, s3, s46
	s_add_i32 s11, s10, s0
	s_mul_i32 s10, s3, s46
	s_lshl_b64 s[10:11], s[10:11], 1
	s_add_u32 s0, s40, s10
	s_addc_u32 s3, s41, s11
	s_lshl_b64 s[10:11], s[42:43], 1
	s_add_u32 s0, s0, s10
	s_addc_u32 s12, s3, s11
	s_ashr_i32 s3, s2, 31
	s_mul_i32 s10, s2, s45
	s_mul_hi_u32 s11, s2, s44
	s_add_i32 s10, s11, s10
	s_mul_i32 s11, s3, s44
	s_add_i32 s11, s10, s11
	s_mul_i32 s10, s2, s44
	s_lshl_b64 s[10:11], s[10:11], 1
	s_add_u32 s10, s10, s0
	s_addc_u32 s11, s11, s12
	s_waitcnt lgkmcnt(0)
	s_ashr_i32 s0, s1, 31
	v_cmp_gt_i32_e32 vcc, s1, v0
	s_lshr_b32 s0, s0, 24
	s_add_i32 s0, s1, s0
	v_cndmask_b32_e32 v1, 0, v0, vcc
	v_lshlrev_b32_e32 v2, 1, v1
	v_mov_b32_e32 v3, 0
	s_and_b32 s0, s0, 0xffffff00
	v_lshl_add_u64 v[4:5], s[10:11], 0, v[2:3]
	v_cmp_gt_i32_e32 vcc, s0, v0
	s_and_saveexec_b64 s[10:11], vcc
	s_cbranch_execz .LBB403_12
; %bb.9:
	v_mad_u64_u32 v[2:3], s[14:15], s8, v0, 0
	v_mov_b32_e32 v6, v3
	v_mad_u64_u32 v[6:7], s[14:15], s9, v0, v[6:7]
	s_lshl_b64 s[12:13], s[4:5], 1
	s_lshl_b64 s[14:15], s[50:51], 1
	s_add_u32 s14, s48, s14
	s_addc_u32 s15, s49, s15
	s_add_u32 s12, s14, s12
	v_mov_b32_e32 v3, v6
	s_addc_u32 s13, s15, s13
	v_lshl_add_u64 v[6:7], v[2:3], 1, s[12:13]
	s_lshl_b64 s[14:15], s[8:9], 9
	s_mov_b64 s[12:13], 0
	v_mov_b32_e32 v3, 0
	s_mov_b64 s[16:17], 0x200
	v_mov_b64_e32 v[8:9], v[4:5]
	v_mov_b32_e32 v1, v0
.LBB403_10:                             ; =>This Inner Loop Header: Depth=1
	global_load_ushort v2, v[8:9], off
	global_load_ushort v10, v[6:7], off
	v_add_u32_e32 v1, 0x100, v1
	v_cmp_le_i32_e32 vcc, s0, v1
	v_lshl_add_u64 v[8:9], v[8:9], 0, s[16:17]
	v_lshl_add_u64 v[6:7], v[6:7], 0, s[14:15]
	s_or_b64 s[12:13], vcc, s[12:13]
	s_waitcnt vmcnt(0)
	v_mul_f16_e32 v2, v2, v10
	v_cvt_f32_f16_e32 v2, v2
	v_add_f32_e32 v3, v3, v2
	s_andn2_b64 exec, exec, s[12:13]
	s_cbranch_execnz .LBB403_10
; %bb.11:
	s_or_b64 exec, exec, s[12:13]
.LBB403_12:
	s_or_b64 exec, exec, s[10:11]
	v_add_u32_e32 v1, s0, v0
	v_cmp_gt_i32_e32 vcc, s1, v1
	s_and_saveexec_b64 s[10:11], vcc
	s_cbranch_execz .LBB403_14
; %bb.13:
	s_lshl_b64 s[4:5], s[4:5], 1
	s_add_u32 s1, s48, s4
	s_addc_u32 s12, s49, s5
	s_lshl_b64 s[4:5], s[50:51], 1
	s_add_u32 s4, s1, s4
	s_addc_u32 s5, s12, s5
	s_ashr_i32 s1, s0, 31
	v_lshl_add_u64 v[4:5], s[0:1], 1, v[4:5]
	global_load_ushort v2, v[4:5], off
	v_ashrrev_i32_e32 v4, 31, v1
	v_mul_lo_u32 v6, v1, s9
	v_mul_lo_u32 v7, v4, s8
	v_mad_u64_u32 v[4:5], s[0:1], v1, s8, 0
	v_add3_u32 v5, v5, v6, v7
	v_lshl_add_u64 v[4:5], v[4:5], 1, s[4:5]
	global_load_ushort v1, v[4:5], off
	s_waitcnt vmcnt(0)
	v_mul_f16_e32 v1, v2, v1
	v_cvt_f32_f16_e32 v1, v1
	v_add_f32_e32 v3, v3, v1
.LBB403_14:
	s_or_b64 exec, exec, s[10:11]
	v_and_b32_e32 v2, 63, v0
	v_cmp_gt_u32_e32 vcc, 64, v0
	v_lshlrev_b32_e32 v1, 2, v2
	s_and_saveexec_b64 s[0:1], vcc
	s_cbranch_execz .LBB403_16
; %bb.15:
	v_mov_b32_e32 v4, 0
	ds_write_b32 v1, v4
.LBB403_16:
	s_or_b64 exec, exec, s[0:1]
	v_mbcnt_lo_u32_b32 v4, -1, 0
	v_mbcnt_hi_u32_b32 v4, -1, v4
	v_and_b32_e32 v5, 63, v4
	v_cmp_gt_u32_e64 s[0:1], 32, v5
	s_waitcnt lgkmcnt(0)
	s_barrier
	v_cndmask_b32_e64 v6, 0, 1, s[0:1]
	v_lshlrev_b32_e32 v6, 5, v6
	v_add_lshl_u32 v6, v6, v4, 2
	ds_bpermute_b32 v6, v6, v3
	v_cmp_gt_u32_e64 s[0:1], 48, v5
	s_waitcnt lgkmcnt(0)
	v_add_f32_e32 v3, v3, v6
	v_cndmask_b32_e64 v7, 0, 1, s[0:1]
	v_lshlrev_b32_e32 v7, 4, v7
	v_add_lshl_u32 v6, v7, v4, 2
	ds_bpermute_b32 v6, v6, v3
	v_cmp_gt_u32_e64 s[0:1], 56, v5
	s_waitcnt lgkmcnt(0)
	v_add_f32_e32 v3, v3, v6
	;; [unrolled: 7-line block ×4, first 2 shown]
	v_cndmask_b32_e64 v7, 0, 1, s[0:1]
	v_lshlrev_b32_e32 v7, 1, v7
	v_add_lshl_u32 v3, v7, v4, 2
	ds_bpermute_b32 v7, v3, v6
	v_cmp_ne_u32_e64 s[0:1], 63, v5
	s_waitcnt lgkmcnt(0)
	v_add_f32_e32 v5, v6, v7
	v_addc_co_u32_e64 v4, s[0:1], 0, v4, s[0:1]
	v_lshlrev_b32_e32 v4, 2, v4
	ds_bpermute_b32 v6, v4, v5
	v_cmp_eq_u32_e64 s[0:1], 0, v2
	s_and_saveexec_b64 s[4:5], s[0:1]
	s_cbranch_execz .LBB403_18
; %bb.17:
	v_lshrrev_b32_e32 v2, 4, v0
	v_and_b32_e32 v2, 12, v2
	s_waitcnt lgkmcnt(0)
	v_add_f32_e32 v5, v5, v6
	ds_write_b32 v2, v5
.LBB403_18:
	s_or_b64 exec, exec, s[4:5]
	v_cmp_gt_u32_e64 s[0:1], 4, v0
	v_mov_b32_e32 v2, 0
	s_waitcnt lgkmcnt(0)
	s_barrier
	s_and_saveexec_b64 s[4:5], s[0:1]
	s_cbranch_execz .LBB403_20
; %bb.19:
	ds_read_b32 v2, v1
	s_or_b64 exec, exec, s[4:5]
	s_and_saveexec_b64 s[0:1], vcc
	s_cbranch_execz .LBB403_22
	s_branch .LBB403_21
.LBB403_20:
	s_or_b64 exec, exec, s[4:5]
	s_and_saveexec_b64 s[0:1], vcc
	s_cbranch_execz .LBB403_22
.LBB403_21:
	s_waitcnt lgkmcnt(0)
	ds_bpermute_b32 v1, v3, v2
	s_waitcnt lgkmcnt(0)
	v_add_f32_e32 v1, v2, v1
	ds_bpermute_b32 v2, v4, v1
	s_waitcnt lgkmcnt(0)
	v_add_f32_e32 v2, v1, v2
.LBB403_22:
	s_or_b64 exec, exec, s[0:1]
	v_cmp_eq_u32_e32 vcc, 0, v0
                                        ; implicit-def: $vgpr1
                                        ; implicit-def: $sgpr12_sgpr13
	s_and_saveexec_b64 s[0:1], vcc
	s_cbranch_execz .LBB403_26
; %bb.23:
	s_mul_i32 s8, s2, s21
	s_mul_hi_u32 s9, s2, s20
	v_cmp_eq_f32_e64 s[4:5], s24, 0
	s_add_i32 s8, s9, s8
	s_mul_i32 s3, s3, s20
	s_waitcnt lgkmcnt(0)
	v_mul_f32_e32 v0, s25, v2
	s_add_i32 s13, s8, s3
	s_mul_i32 s12, s2, s20
	s_and_b64 vcc, exec, s[4:5]
	s_cbranch_vccnz .LBB403_25
; %bb.24:
	s_lshl_b64 s[2:3], s[12:13], 1
	s_add_u32 s2, s18, s2
	s_addc_u32 s3, s19, s3
	v_mov_b32_e32 v1, 0
	global_load_ushort v1, v1, s[2:3]
	s_waitcnt vmcnt(0)
	v_fma_mix_f32 v0, s24, v1, v0 op_sel_hi:[0,1,0]
.LBB403_25:
	v_cvt_f16_f32_e32 v1, v0
	s_or_b64 s[6:7], s[6:7], exec
.LBB403_26:
	s_or_b64 exec, exec, s[0:1]
.LBB403_27:
	s_and_saveexec_b64 s[0:1], s[6:7]
	s_cbranch_execz .LBB403_29
; %bb.28:
	s_lshl_b64 s[0:1], s[12:13], 1
	s_add_u32 s0, s18, s0
	s_addc_u32 s1, s19, s1
	v_mov_b32_e32 v0, 0
	global_store_short v0, v1, s[0:1]
.LBB403_29:
	s_endpgm
	.section	.rodata,"a",@progbits
	.p2align	6, 0x0
	.amdhsa_kernel _ZL32rocblas_gemvt_warp_reduce_kernelILb0ELi256ElDF16_PKfDF16_EviiT3_lPKT2_lT1_lS5_lS6_lS2_lPT4_lS6_li
		.amdhsa_group_segment_fixed_size 256
		.amdhsa_private_segment_fixed_size 0
		.amdhsa_kernarg_size 140
		.amdhsa_user_sgpr_count 2
		.amdhsa_user_sgpr_dispatch_ptr 0
		.amdhsa_user_sgpr_queue_ptr 0
		.amdhsa_user_sgpr_kernarg_segment_ptr 1
		.amdhsa_user_sgpr_dispatch_id 0
		.amdhsa_user_sgpr_kernarg_preload_length 0
		.amdhsa_user_sgpr_kernarg_preload_offset 0
		.amdhsa_user_sgpr_private_segment_size 0
		.amdhsa_uses_dynamic_stack 0
		.amdhsa_enable_private_segment 0
		.amdhsa_system_sgpr_workgroup_id_x 1
		.amdhsa_system_sgpr_workgroup_id_y 0
		.amdhsa_system_sgpr_workgroup_id_z 1
		.amdhsa_system_sgpr_workgroup_info 0
		.amdhsa_system_vgpr_workitem_id 0
		.amdhsa_next_free_vgpr 11
		.amdhsa_next_free_sgpr 52
		.amdhsa_accum_offset 12
		.amdhsa_reserve_vcc 1
		.amdhsa_float_round_mode_32 0
		.amdhsa_float_round_mode_16_64 0
		.amdhsa_float_denorm_mode_32 3
		.amdhsa_float_denorm_mode_16_64 3
		.amdhsa_dx10_clamp 1
		.amdhsa_ieee_mode 1
		.amdhsa_fp16_overflow 0
		.amdhsa_tg_split 0
		.amdhsa_exception_fp_ieee_invalid_op 0
		.amdhsa_exception_fp_denorm_src 0
		.amdhsa_exception_fp_ieee_div_zero 0
		.amdhsa_exception_fp_ieee_overflow 0
		.amdhsa_exception_fp_ieee_underflow 0
		.amdhsa_exception_fp_ieee_inexact 0
		.amdhsa_exception_int_div_zero 0
	.end_amdhsa_kernel
	.section	.text._ZL32rocblas_gemvt_warp_reduce_kernelILb0ELi256ElDF16_PKfDF16_EviiT3_lPKT2_lT1_lS5_lS6_lS2_lPT4_lS6_li,"axG",@progbits,_ZL32rocblas_gemvt_warp_reduce_kernelILb0ELi256ElDF16_PKfDF16_EviiT3_lPKT2_lT1_lS5_lS6_lS2_lPT4_lS6_li,comdat
.Lfunc_end403:
	.size	_ZL32rocblas_gemvt_warp_reduce_kernelILb0ELi256ElDF16_PKfDF16_EviiT3_lPKT2_lT1_lS5_lS6_lS2_lPT4_lS6_li, .Lfunc_end403-_ZL32rocblas_gemvt_warp_reduce_kernelILb0ELi256ElDF16_PKfDF16_EviiT3_lPKT2_lT1_lS5_lS6_lS2_lPT4_lS6_li
                                        ; -- End function
	.section	.AMDGPU.csdata,"",@progbits
; Kernel info:
; codeLenInByte = 1416
; NumSgprs: 58
; NumVgprs: 11
; NumAgprs: 0
; TotalNumVgprs: 11
; ScratchSize: 0
; MemoryBound: 0
; FloatMode: 240
; IeeeMode: 1
; LDSByteSize: 256 bytes/workgroup (compile time only)
; SGPRBlocks: 7
; VGPRBlocks: 1
; NumSGPRsForWavesPerEU: 58
; NumVGPRsForWavesPerEU: 11
; AccumOffset: 12
; Occupancy: 8
; WaveLimiterHint : 0
; COMPUTE_PGM_RSRC2:SCRATCH_EN: 0
; COMPUTE_PGM_RSRC2:USER_SGPR: 2
; COMPUTE_PGM_RSRC2:TRAP_HANDLER: 0
; COMPUTE_PGM_RSRC2:TGID_X_EN: 1
; COMPUTE_PGM_RSRC2:TGID_Y_EN: 0
; COMPUTE_PGM_RSRC2:TGID_Z_EN: 1
; COMPUTE_PGM_RSRC2:TIDIG_COMP_CNT: 0
; COMPUTE_PGM_RSRC3_GFX90A:ACCUM_OFFSET: 2
; COMPUTE_PGM_RSRC3_GFX90A:TG_SPLIT: 0
	.section	.text._ZL32rocblas_gemvt_warp_reduce_kernelILb0ELi256EiDF16_fDF16_EviiT3_lPKT2_lT1_lS3_lS4_lS0_lPT4_lS4_li,"axG",@progbits,_ZL32rocblas_gemvt_warp_reduce_kernelILb0ELi256EiDF16_fDF16_EviiT3_lPKT2_lT1_lS3_lS4_lS0_lPT4_lS4_li,comdat
	.globl	_ZL32rocblas_gemvt_warp_reduce_kernelILb0ELi256EiDF16_fDF16_EviiT3_lPKT2_lT1_lS3_lS4_lS0_lPT4_lS4_li ; -- Begin function _ZL32rocblas_gemvt_warp_reduce_kernelILb0ELi256EiDF16_fDF16_EviiT3_lPKT2_lT1_lS3_lS4_lS0_lPT4_lS4_li
	.p2align	8
	.type	_ZL32rocblas_gemvt_warp_reduce_kernelILb0ELi256EiDF16_fDF16_EviiT3_lPKT2_lT1_lS3_lS4_lS0_lPT4_lS4_li,@function
_ZL32rocblas_gemvt_warp_reduce_kernelILb0ELi256EiDF16_fDF16_EviiT3_lPKT2_lT1_lS3_lS4_lS0_lPT4_lS4_li: ; @_ZL32rocblas_gemvt_warp_reduce_kernelILb0ELi256EiDF16_fDF16_EviiT3_lPKT2_lT1_lS3_lS4_lS0_lPT4_lS4_li
; %bb.0:
	s_load_dword s17, s[0:1], 0x8
	s_load_dword s16, s[0:1], 0x58
	s_waitcnt lgkmcnt(0)
	v_cmp_eq_f32_e64 s[4:5], s17, 0
	v_cmp_eq_f32_e64 s[6:7], s16, 1.0
	s_and_b64 s[4:5], s[4:5], s[6:7]
	s_and_b64 vcc, exec, s[4:5]
	s_cbranch_vccnz .LBB404_29
; %bb.1:
	s_load_dwordx2 s[8:9], s[0:1], 0x80
	s_load_dwordx4 s[4:7], s[0:1], 0x68
	s_load_dword s18, s[0:1], 0x78
	s_waitcnt lgkmcnt(0)
	s_mul_i32 s9, s3, s9
	s_mul_hi_u32 s10, s3, s8
	s_mul_i32 s8, s3, s8
	s_add_i32 s9, s10, s9
	s_lshl_b64 s[8:9], s[8:9], 1
	s_add_u32 s8, s4, s8
	s_addc_u32 s9, s5, s9
	s_lshl_b64 s[4:5], s[6:7], 1
	s_add_u32 s14, s8, s4
	s_addc_u32 s15, s9, s5
	v_cmp_neq_f32_e64 s[4:5], s17, 0
	s_and_b64 vcc, exec, s[4:5]
	v_cmp_eq_u32_e64 s[4:5], 0, v0
	s_cbranch_vccnz .LBB404_5
; %bb.2:
	s_mov_b64 s[10:11], 0
	s_mov_b64 s[6:7], 0
                                        ; implicit-def: $vgpr1
                                        ; implicit-def: $sgpr8_sgpr9
	s_and_saveexec_b64 s[12:13], s[4:5]
	s_cbranch_execz .LBB404_6
; %bb.3:
	v_cmp_eq_f32_e64 s[4:5], s16, 0
	s_mul_i32 s8, s2, s18
	s_ashr_i32 s9, s8, 31
	s_and_b64 vcc, exec, s[4:5]
	s_cbranch_vccnz .LBB404_7
; %bb.4:
	s_lshl_b64 s[4:5], s[8:9], 1
	s_add_u32 s4, s14, s4
	s_addc_u32 s5, s15, s5
	v_mov_b32_e32 v1, 0
	global_load_ushort v1, v1, s[4:5]
	s_waitcnt vmcnt(0)
	v_fma_mixlo_f16 v1, v1, s16, 0 op_sel_hi:[1,0,0]
	s_mov_b64 s[6:7], exec
	s_or_b64 exec, exec, s[12:13]
	s_and_b64 vcc, exec, s[10:11]
	s_cbranch_vccz .LBB404_27
	s_branch .LBB404_8
.LBB404_5:
	s_mov_b64 s[6:7], 0
                                        ; implicit-def: $vgpr1
                                        ; implicit-def: $sgpr8_sgpr9
	s_cbranch_execnz .LBB404_8
	s_branch .LBB404_27
.LBB404_6:
	s_or_b64 exec, exec, s[12:13]
	s_and_b64 vcc, exec, s[10:11]
	s_cbranch_vccnz .LBB404_8
	s_branch .LBB404_27
.LBB404_7:
	v_mov_b32_e32 v1, 0
	s_mov_b64 s[6:7], exec
	s_or_b64 exec, exec, s[12:13]
	s_and_b64 vcc, exec, s[10:11]
	s_cbranch_vccz .LBB404_27
.LBB404_8:
	s_load_dwordx2 s[12:13], s[0:1], 0x50
	s_load_dword s5, s[0:1], 0x0
	s_load_dwordx4 s[8:11], s[0:1], 0x18
	s_load_dword s4, s[0:1], 0x28
	s_load_dwordx4 s[20:23], s[0:1], 0x30
	s_load_dwordx2 s[24:25], s[0:1], 0x40
	s_load_dword s19, s[0:1], 0x48
	s_waitcnt lgkmcnt(0)
	s_mul_i32 s0, s3, s13
	s_mul_hi_u32 s1, s3, s12
	s_add_i32 s1, s1, s0
	s_mul_i32 s0, s3, s12
	s_lshl_b64 s[0:1], s[0:1], 1
	s_add_u32 s12, s22, s0
	s_addc_u32 s13, s23, s1
	s_lshl_b64 s[0:1], s[24:25], 1
	s_add_u32 s0, s12, s0
	s_addc_u32 s1, s13, s1
	s_mul_i32 s12, s3, s21
	s_mul_hi_u32 s13, s3, s20
	s_add_i32 s13, s13, s12
	s_mul_i32 s12, s3, s20
	s_lshl_b64 s[12:13], s[12:13], 1
	s_add_u32 s3, s8, s12
	s_addc_u32 s12, s9, s13
	s_lshl_b64 s[8:9], s[10:11], 1
	s_add_u32 s3, s3, s8
	s_mul_i32 s8, s2, s4
	s_addc_u32 s10, s12, s9
	s_ashr_i32 s9, s8, 31
	s_lshl_b64 s[8:9], s[8:9], 1
	s_add_u32 s8, s8, s3
	s_addc_u32 s9, s9, s10
	s_ashr_i32 s3, s5, 31
	v_cmp_gt_i32_e32 vcc, s5, v0
	s_lshr_b32 s3, s3, 24
	s_add_i32 s3, s5, s3
	v_cndmask_b32_e32 v1, 0, v0, vcc
	v_lshlrev_b32_e32 v2, 1, v1
	v_mov_b32_e32 v3, 0
	s_and_b32 s4, s3, 0xffffff00
	v_lshl_add_u64 v[4:5], s[8:9], 0, v[2:3]
	v_cmp_gt_i32_e32 vcc, s4, v0
	s_and_saveexec_b64 s[8:9], vcc
	s_cbranch_execz .LBB404_12
; %bb.9:
	v_mul_lo_u32 v6, v0, s19
	s_lshl_b32 s3, s19, 8
	s_mov_b64 s[10:11], 0
	v_mov_b32_e32 v3, 0
	s_mov_b64 s[12:13], 0x200
	v_mov_b64_e32 v[8:9], v[4:5]
	v_mov_b32_e32 v1, v0
.LBB404_10:                             ; =>This Inner Loop Header: Depth=1
	v_ashrrev_i32_e32 v7, 31, v6
	v_lshl_add_u64 v[10:11], v[6:7], 1, s[0:1]
	global_load_ushort v2, v[8:9], off
	global_load_ushort v7, v[10:11], off
	v_add_u32_e32 v1, 0x100, v1
	v_cmp_le_i32_e32 vcc, s4, v1
	v_lshl_add_u64 v[8:9], v[8:9], 0, s[12:13]
	v_add_u32_e32 v6, s3, v6
	s_or_b64 s[10:11], vcc, s[10:11]
	s_waitcnt vmcnt(0)
	v_mul_f16_e32 v2, v2, v7
	v_cvt_f32_f16_e32 v2, v2
	v_add_f32_e32 v3, v3, v2
	s_andn2_b64 exec, exec, s[10:11]
	s_cbranch_execnz .LBB404_10
; %bb.11:
	s_or_b64 exec, exec, s[10:11]
.LBB404_12:
	s_or_b64 exec, exec, s[8:9]
	v_add_u32_e32 v1, s4, v0
	v_cmp_gt_i32_e32 vcc, s5, v1
	s_and_saveexec_b64 s[8:9], vcc
	s_cbranch_execz .LBB404_14
; %bb.13:
	s_ashr_i32 s5, s4, 31
	v_lshl_add_u64 v[4:5], s[4:5], 1, v[4:5]
	global_load_ushort v2, v[4:5], off
	v_mul_lo_u32 v4, v1, s19
	v_ashrrev_i32_e32 v5, 31, v4
	v_lshl_add_u64 v[4:5], v[4:5], 1, s[0:1]
	global_load_ushort v1, v[4:5], off
	s_waitcnt vmcnt(0)
	v_mul_f16_e32 v1, v2, v1
	v_cvt_f32_f16_e32 v1, v1
	v_add_f32_e32 v3, v3, v1
.LBB404_14:
	s_or_b64 exec, exec, s[8:9]
	v_and_b32_e32 v2, 63, v0
	v_cmp_gt_u32_e32 vcc, 64, v0
	v_lshlrev_b32_e32 v1, 2, v2
	s_and_saveexec_b64 s[0:1], vcc
	s_cbranch_execz .LBB404_16
; %bb.15:
	v_mov_b32_e32 v4, 0
	ds_write_b32 v1, v4
.LBB404_16:
	s_or_b64 exec, exec, s[0:1]
	v_mbcnt_lo_u32_b32 v4, -1, 0
	v_mbcnt_hi_u32_b32 v4, -1, v4
	v_and_b32_e32 v5, 63, v4
	v_cmp_gt_u32_e64 s[0:1], 32, v5
	s_waitcnt lgkmcnt(0)
	s_barrier
	v_cndmask_b32_e64 v6, 0, 1, s[0:1]
	v_lshlrev_b32_e32 v6, 5, v6
	v_add_lshl_u32 v6, v6, v4, 2
	ds_bpermute_b32 v6, v6, v3
	v_cmp_gt_u32_e64 s[0:1], 48, v5
	s_waitcnt lgkmcnt(0)
	v_add_f32_e32 v3, v3, v6
	v_cndmask_b32_e64 v7, 0, 1, s[0:1]
	v_lshlrev_b32_e32 v7, 4, v7
	v_add_lshl_u32 v6, v7, v4, 2
	ds_bpermute_b32 v6, v6, v3
	v_cmp_gt_u32_e64 s[0:1], 56, v5
	s_waitcnt lgkmcnt(0)
	v_add_f32_e32 v3, v3, v6
	;; [unrolled: 7-line block ×4, first 2 shown]
	v_cndmask_b32_e64 v7, 0, 1, s[0:1]
	v_lshlrev_b32_e32 v7, 1, v7
	v_add_lshl_u32 v3, v7, v4, 2
	ds_bpermute_b32 v7, v3, v6
	v_cmp_ne_u32_e64 s[0:1], 63, v5
	s_waitcnt lgkmcnt(0)
	v_add_f32_e32 v5, v6, v7
	v_addc_co_u32_e64 v4, s[0:1], 0, v4, s[0:1]
	v_lshlrev_b32_e32 v4, 2, v4
	ds_bpermute_b32 v6, v4, v5
	v_cmp_eq_u32_e64 s[0:1], 0, v2
	s_and_saveexec_b64 s[4:5], s[0:1]
	s_cbranch_execz .LBB404_18
; %bb.17:
	v_lshrrev_b32_e32 v2, 4, v0
	v_and_b32_e32 v2, 12, v2
	s_waitcnt lgkmcnt(0)
	v_add_f32_e32 v5, v5, v6
	ds_write_b32 v2, v5
.LBB404_18:
	s_or_b64 exec, exec, s[4:5]
	v_cmp_gt_u32_e64 s[0:1], 4, v0
	v_mov_b32_e32 v2, 0
	s_waitcnt lgkmcnt(0)
	s_barrier
	s_and_saveexec_b64 s[4:5], s[0:1]
	s_cbranch_execz .LBB404_20
; %bb.19:
	ds_read_b32 v2, v1
	s_or_b64 exec, exec, s[4:5]
	s_and_saveexec_b64 s[0:1], vcc
	s_cbranch_execz .LBB404_22
	s_branch .LBB404_21
.LBB404_20:
	s_or_b64 exec, exec, s[4:5]
	s_and_saveexec_b64 s[0:1], vcc
	s_cbranch_execz .LBB404_22
.LBB404_21:
	s_waitcnt lgkmcnt(0)
	ds_bpermute_b32 v1, v3, v2
	s_waitcnt lgkmcnt(0)
	v_add_f32_e32 v1, v2, v1
	ds_bpermute_b32 v2, v4, v1
	s_waitcnt lgkmcnt(0)
	v_add_f32_e32 v2, v1, v2
.LBB404_22:
	s_or_b64 exec, exec, s[0:1]
	v_cmp_eq_u32_e32 vcc, 0, v0
                                        ; implicit-def: $vgpr1
                                        ; implicit-def: $sgpr8_sgpr9
	s_and_saveexec_b64 s[0:1], vcc
	s_cbranch_execz .LBB404_26
; %bb.23:
	v_cmp_eq_f32_e64 s[4:5], s16, 0
	s_mul_i32 s8, s2, s18
	s_waitcnt lgkmcnt(0)
	v_mul_f32_e32 v0, s17, v2
	s_ashr_i32 s9, s8, 31
	s_and_b64 vcc, exec, s[4:5]
	s_cbranch_vccnz .LBB404_25
; %bb.24:
	s_lshl_b64 s[2:3], s[8:9], 1
	s_add_u32 s2, s14, s2
	s_addc_u32 s3, s15, s3
	v_mov_b32_e32 v1, 0
	global_load_ushort v1, v1, s[2:3]
	s_waitcnt vmcnt(0)
	v_fma_mix_f32 v0, v1, s16, v0 op_sel_hi:[1,0,0]
.LBB404_25:
	s_nop 0
	v_cvt_f16_f32_e32 v1, v0
	s_or_b64 s[6:7], s[6:7], exec
.LBB404_26:
	s_or_b64 exec, exec, s[0:1]
.LBB404_27:
	s_and_saveexec_b64 s[0:1], s[6:7]
	s_cbranch_execz .LBB404_29
; %bb.28:
	s_lshl_b64 s[0:1], s[8:9], 1
	s_add_u32 s0, s14, s0
	s_addc_u32 s1, s15, s1
	v_mov_b32_e32 v0, 0
	global_store_short v0, v1, s[0:1]
.LBB404_29:
	s_endpgm
	.section	.rodata,"a",@progbits
	.p2align	6, 0x0
	.amdhsa_kernel _ZL32rocblas_gemvt_warp_reduce_kernelILb0ELi256EiDF16_fDF16_EviiT3_lPKT2_lT1_lS3_lS4_lS0_lPT4_lS4_li
		.amdhsa_group_segment_fixed_size 256
		.amdhsa_private_segment_fixed_size 0
		.amdhsa_kernarg_size 140
		.amdhsa_user_sgpr_count 2
		.amdhsa_user_sgpr_dispatch_ptr 0
		.amdhsa_user_sgpr_queue_ptr 0
		.amdhsa_user_sgpr_kernarg_segment_ptr 1
		.amdhsa_user_sgpr_dispatch_id 0
		.amdhsa_user_sgpr_kernarg_preload_length 0
		.amdhsa_user_sgpr_kernarg_preload_offset 0
		.amdhsa_user_sgpr_private_segment_size 0
		.amdhsa_uses_dynamic_stack 0
		.amdhsa_enable_private_segment 0
		.amdhsa_system_sgpr_workgroup_id_x 1
		.amdhsa_system_sgpr_workgroup_id_y 0
		.amdhsa_system_sgpr_workgroup_id_z 1
		.amdhsa_system_sgpr_workgroup_info 0
		.amdhsa_system_vgpr_workitem_id 0
		.amdhsa_next_free_vgpr 12
		.amdhsa_next_free_sgpr 26
		.amdhsa_accum_offset 12
		.amdhsa_reserve_vcc 1
		.amdhsa_float_round_mode_32 0
		.amdhsa_float_round_mode_16_64 0
		.amdhsa_float_denorm_mode_32 3
		.amdhsa_float_denorm_mode_16_64 3
		.amdhsa_dx10_clamp 1
		.amdhsa_ieee_mode 1
		.amdhsa_fp16_overflow 0
		.amdhsa_tg_split 0
		.amdhsa_exception_fp_ieee_invalid_op 0
		.amdhsa_exception_fp_denorm_src 0
		.amdhsa_exception_fp_ieee_div_zero 0
		.amdhsa_exception_fp_ieee_overflow 0
		.amdhsa_exception_fp_ieee_underflow 0
		.amdhsa_exception_fp_ieee_inexact 0
		.amdhsa_exception_int_div_zero 0
	.end_amdhsa_kernel
	.section	.text._ZL32rocblas_gemvt_warp_reduce_kernelILb0ELi256EiDF16_fDF16_EviiT3_lPKT2_lT1_lS3_lS4_lS0_lPT4_lS4_li,"axG",@progbits,_ZL32rocblas_gemvt_warp_reduce_kernelILb0ELi256EiDF16_fDF16_EviiT3_lPKT2_lT1_lS3_lS4_lS0_lPT4_lS4_li,comdat
.Lfunc_end404:
	.size	_ZL32rocblas_gemvt_warp_reduce_kernelILb0ELi256EiDF16_fDF16_EviiT3_lPKT2_lT1_lS3_lS4_lS0_lPT4_lS4_li, .Lfunc_end404-_ZL32rocblas_gemvt_warp_reduce_kernelILb0ELi256EiDF16_fDF16_EviiT3_lPKT2_lT1_lS3_lS4_lS0_lPT4_lS4_li
                                        ; -- End function
	.section	.AMDGPU.csdata,"",@progbits
; Kernel info:
; codeLenInByte = 1300
; NumSgprs: 32
; NumVgprs: 12
; NumAgprs: 0
; TotalNumVgprs: 12
; ScratchSize: 0
; MemoryBound: 0
; FloatMode: 240
; IeeeMode: 1
; LDSByteSize: 256 bytes/workgroup (compile time only)
; SGPRBlocks: 3
; VGPRBlocks: 1
; NumSGPRsForWavesPerEU: 32
; NumVGPRsForWavesPerEU: 12
; AccumOffset: 12
; Occupancy: 8
; WaveLimiterHint : 1
; COMPUTE_PGM_RSRC2:SCRATCH_EN: 0
; COMPUTE_PGM_RSRC2:USER_SGPR: 2
; COMPUTE_PGM_RSRC2:TRAP_HANDLER: 0
; COMPUTE_PGM_RSRC2:TGID_X_EN: 1
; COMPUTE_PGM_RSRC2:TGID_Y_EN: 0
; COMPUTE_PGM_RSRC2:TGID_Z_EN: 1
; COMPUTE_PGM_RSRC2:TIDIG_COMP_CNT: 0
; COMPUTE_PGM_RSRC3_GFX90A:ACCUM_OFFSET: 2
; COMPUTE_PGM_RSRC3_GFX90A:TG_SPLIT: 0
	.section	.text._ZL32rocblas_gemvt_warp_reduce_kernelILb0ELi256ElDF16_fDF16_EviiT3_lPKT2_lT1_lS3_lS4_lS0_lPT4_lS4_li,"axG",@progbits,_ZL32rocblas_gemvt_warp_reduce_kernelILb0ELi256ElDF16_fDF16_EviiT3_lPKT2_lT1_lS3_lS4_lS0_lPT4_lS4_li,comdat
	.globl	_ZL32rocblas_gemvt_warp_reduce_kernelILb0ELi256ElDF16_fDF16_EviiT3_lPKT2_lT1_lS3_lS4_lS0_lPT4_lS4_li ; -- Begin function _ZL32rocblas_gemvt_warp_reduce_kernelILb0ELi256ElDF16_fDF16_EviiT3_lPKT2_lT1_lS3_lS4_lS0_lPT4_lS4_li
	.p2align	8
	.type	_ZL32rocblas_gemvt_warp_reduce_kernelILb0ELi256ElDF16_fDF16_EviiT3_lPKT2_lT1_lS3_lS4_lS0_lPT4_lS4_li,@function
_ZL32rocblas_gemvt_warp_reduce_kernelILb0ELi256ElDF16_fDF16_EviiT3_lPKT2_lT1_lS3_lS4_lS0_lPT4_lS4_li: ; @_ZL32rocblas_gemvt_warp_reduce_kernelILb0ELi256ElDF16_fDF16_EviiT3_lPKT2_lT1_lS3_lS4_lS0_lPT4_lS4_li
; %bb.0:
	s_load_dword s27, s[0:1], 0x8
	s_load_dword s26, s[0:1], 0x58
	s_waitcnt lgkmcnt(0)
	v_cmp_eq_f32_e64 s[4:5], s27, 0
	v_cmp_eq_f32_e64 s[6:7], s26, 1.0
	s_and_b64 s[4:5], s[4:5], s[6:7]
	s_and_b64 vcc, exec, s[4:5]
	s_cbranch_vccnz .LBB405_29
; %bb.1:
	s_load_dwordx8 s[16:23], s[0:1], 0x68
	v_cmp_neq_f32_e64 s[4:5], s27, 0
	s_waitcnt lgkmcnt(0)
	s_mul_i32 s7, s3, s23
	s_mul_hi_u32 s8, s3, s22
	s_mul_i32 s6, s3, s22
	s_add_i32 s7, s8, s7
	s_lshl_b64 s[6:7], s[6:7], 1
	s_add_u32 s8, s16, s6
	s_addc_u32 s9, s17, s7
	s_lshl_b64 s[6:7], s[18:19], 1
	s_add_u32 s24, s8, s6
	s_addc_u32 s25, s9, s7
	s_and_b64 vcc, exec, s[4:5]
	v_cmp_eq_u32_e64 s[4:5], 0, v0
	s_cbranch_vccnz .LBB405_5
; %bb.2:
	s_mov_b64 s[8:9], 0
	s_mov_b64 s[22:23], 0
                                        ; implicit-def: $vgpr1
                                        ; implicit-def: $sgpr6_sgpr7
	s_and_saveexec_b64 s[10:11], s[4:5]
	s_cbranch_execz .LBB405_6
; %bb.3:
	s_ashr_i32 s6, s2, 31
	s_mul_i32 s7, s2, s21
	s_mul_hi_u32 s12, s2, s20
	v_cmp_eq_f32_e64 s[4:5], s26, 0
	s_add_i32 s7, s12, s7
	s_mul_i32 s6, s6, s20
	s_add_i32 s7, s7, s6
	s_mul_i32 s6, s2, s20
	s_and_b64 vcc, exec, s[4:5]
	s_cbranch_vccnz .LBB405_7
; %bb.4:
	s_lshl_b64 s[4:5], s[6:7], 1
	s_add_u32 s4, s24, s4
	s_addc_u32 s5, s25, s5
	v_mov_b32_e32 v1, 0
	global_load_ushort v1, v1, s[4:5]
	s_waitcnt vmcnt(0)
	v_fma_mixlo_f16 v1, v1, s26, 0 op_sel_hi:[1,0,0]
	s_mov_b64 s[22:23], exec
	s_or_b64 exec, exec, s[10:11]
	s_and_b64 vcc, exec, s[8:9]
	s_cbranch_vccz .LBB405_27
	s_branch .LBB405_8
.LBB405_5:
	s_mov_b64 s[22:23], 0
                                        ; implicit-def: $vgpr1
                                        ; implicit-def: $sgpr6_sgpr7
	s_cbranch_execnz .LBB405_8
	s_branch .LBB405_27
.LBB405_6:
	s_or_b64 exec, exec, s[10:11]
	s_and_b64 vcc, exec, s[8:9]
	s_cbranch_vccnz .LBB405_8
	s_branch .LBB405_27
.LBB405_7:
	v_mov_b32_e32 v1, 0
	s_mov_b64 s[22:23], exec
	s_or_b64 exec, exec, s[10:11]
	s_and_b64 vcc, exec, s[8:9]
	s_cbranch_vccz .LBB405_27
.LBB405_8:
	s_load_dwordx16 s[4:19], s[0:1], 0x18
	s_load_dword s28, s[0:1], 0x0
	v_mov_b32_e32 v3, 0
	s_waitcnt lgkmcnt(0)
	s_mul_i32 s1, s3, s19
	s_mul_hi_u32 s19, s3, s18
	s_mul_i32 s0, s3, s18
	s_mul_i32 s11, s3, s11
	s_mul_hi_u32 s18, s3, s10
	s_add_i32 s11, s18, s11
	s_mul_i32 s10, s3, s10
	s_add_i32 s1, s19, s1
	s_lshl_b64 s[10:11], s[10:11], 1
	s_add_u32 s3, s4, s10
	s_addc_u32 s10, s5, s11
	s_lshl_b64 s[4:5], s[6:7], 1
	s_add_u32 s6, s3, s4
	s_addc_u32 s7, s10, s5
	s_ashr_i32 s3, s2, 31
	s_mul_i32 s4, s2, s9
	s_mul_hi_u32 s5, s2, s8
	s_add_i32 s4, s5, s4
	s_mul_i32 s5, s3, s8
	s_add_i32 s5, s4, s5
	s_mul_i32 s4, s2, s8
	v_cmp_gt_i32_e32 vcc, s28, v0
	s_lshl_b64 s[4:5], s[4:5], 1
	s_add_u32 s4, s4, s6
	v_cndmask_b32_e32 v1, 0, v0, vcc
	v_lshlrev_b32_e32 v2, 1, v1
	s_addc_u32 s5, s5, s7
	v_lshl_add_u64 v[4:5], s[4:5], 0, v[2:3]
	s_ashr_i32 s4, s28, 31
	s_lshr_b32 s4, s4, 24
	s_add_i32 s4, s28, s4
	s_and_b32 s4, s4, 0xffffff00
	v_cmp_gt_i32_e32 vcc, s4, v0
	s_and_saveexec_b64 s[6:7], vcc
	s_cbranch_execz .LBB405_12
; %bb.9:
	v_mad_u64_u32 v[2:3], s[10:11], s16, v0, 0
	v_mov_b32_e32 v6, v3
	v_mad_u64_u32 v[6:7], s[10:11], s17, v0, v[6:7]
	s_lshl_b64 s[8:9], s[0:1], 1
	s_lshl_b64 s[10:11], s[14:15], 1
	s_add_u32 s5, s12, s10
	s_addc_u32 s10, s13, s11
	s_add_u32 s8, s5, s8
	v_mov_b32_e32 v3, v6
	s_addc_u32 s9, s10, s9
	v_lshl_add_u64 v[6:7], v[2:3], 1, s[8:9]
	s_lshl_b64 s[10:11], s[16:17], 9
	s_mov_b64 s[8:9], 0
	v_mov_b32_e32 v3, 0
	s_mov_b64 s[18:19], 0x200
	v_mov_b64_e32 v[8:9], v[4:5]
	v_mov_b32_e32 v1, v0
.LBB405_10:                             ; =>This Inner Loop Header: Depth=1
	global_load_ushort v2, v[8:9], off
	global_load_ushort v10, v[6:7], off
	v_add_u32_e32 v1, 0x100, v1
	v_cmp_le_i32_e32 vcc, s4, v1
	v_lshl_add_u64 v[8:9], v[8:9], 0, s[18:19]
	v_lshl_add_u64 v[6:7], v[6:7], 0, s[10:11]
	s_or_b64 s[8:9], vcc, s[8:9]
	s_waitcnt vmcnt(0)
	v_mul_f16_e32 v2, v2, v10
	v_cvt_f32_f16_e32 v2, v2
	v_add_f32_e32 v3, v3, v2
	s_andn2_b64 exec, exec, s[8:9]
	s_cbranch_execnz .LBB405_10
; %bb.11:
	s_or_b64 exec, exec, s[8:9]
.LBB405_12:
	s_or_b64 exec, exec, s[6:7]
	v_add_u32_e32 v1, s4, v0
	v_cmp_gt_i32_e32 vcc, s28, v1
	s_and_saveexec_b64 s[6:7], vcc
	s_cbranch_execz .LBB405_14
; %bb.13:
	s_lshl_b64 s[0:1], s[0:1], 1
	s_add_u32 s5, s12, s0
	s_addc_u32 s8, s13, s1
	s_lshl_b64 s[0:1], s[14:15], 1
	s_add_u32 s0, s5, s0
	s_addc_u32 s1, s8, s1
	s_ashr_i32 s5, s4, 31
	v_lshl_add_u64 v[4:5], s[4:5], 1, v[4:5]
	global_load_ushort v2, v[4:5], off
	v_ashrrev_i32_e32 v4, 31, v1
	v_mul_lo_u32 v6, v1, s17
	v_mul_lo_u32 v7, v4, s16
	v_mad_u64_u32 v[4:5], s[4:5], v1, s16, 0
	v_add3_u32 v5, v5, v6, v7
	v_lshl_add_u64 v[4:5], v[4:5], 1, s[0:1]
	global_load_ushort v1, v[4:5], off
	s_waitcnt vmcnt(0)
	v_mul_f16_e32 v1, v2, v1
	v_cvt_f32_f16_e32 v1, v1
	v_add_f32_e32 v3, v3, v1
.LBB405_14:
	s_or_b64 exec, exec, s[6:7]
	v_and_b32_e32 v2, 63, v0
	v_cmp_gt_u32_e32 vcc, 64, v0
	v_lshlrev_b32_e32 v1, 2, v2
	s_and_saveexec_b64 s[0:1], vcc
	s_cbranch_execz .LBB405_16
; %bb.15:
	v_mov_b32_e32 v4, 0
	ds_write_b32 v1, v4
.LBB405_16:
	s_or_b64 exec, exec, s[0:1]
	v_mbcnt_lo_u32_b32 v4, -1, 0
	v_mbcnt_hi_u32_b32 v4, -1, v4
	v_and_b32_e32 v5, 63, v4
	v_cmp_gt_u32_e64 s[0:1], 32, v5
	s_waitcnt lgkmcnt(0)
	s_barrier
	v_cndmask_b32_e64 v6, 0, 1, s[0:1]
	v_lshlrev_b32_e32 v6, 5, v6
	v_add_lshl_u32 v6, v6, v4, 2
	ds_bpermute_b32 v6, v6, v3
	v_cmp_gt_u32_e64 s[0:1], 48, v5
	s_waitcnt lgkmcnt(0)
	v_add_f32_e32 v3, v3, v6
	v_cndmask_b32_e64 v7, 0, 1, s[0:1]
	v_lshlrev_b32_e32 v7, 4, v7
	v_add_lshl_u32 v6, v7, v4, 2
	ds_bpermute_b32 v6, v6, v3
	v_cmp_gt_u32_e64 s[0:1], 56, v5
	s_waitcnt lgkmcnt(0)
	v_add_f32_e32 v3, v3, v6
	;; [unrolled: 7-line block ×4, first 2 shown]
	v_cndmask_b32_e64 v7, 0, 1, s[0:1]
	v_lshlrev_b32_e32 v7, 1, v7
	v_add_lshl_u32 v3, v7, v4, 2
	ds_bpermute_b32 v7, v3, v6
	v_cmp_ne_u32_e64 s[0:1], 63, v5
	s_waitcnt lgkmcnt(0)
	v_add_f32_e32 v5, v6, v7
	v_addc_co_u32_e64 v4, s[0:1], 0, v4, s[0:1]
	v_lshlrev_b32_e32 v4, 2, v4
	ds_bpermute_b32 v6, v4, v5
	v_cmp_eq_u32_e64 s[0:1], 0, v2
	s_and_saveexec_b64 s[4:5], s[0:1]
	s_cbranch_execz .LBB405_18
; %bb.17:
	v_lshrrev_b32_e32 v2, 4, v0
	v_and_b32_e32 v2, 12, v2
	s_waitcnt lgkmcnt(0)
	v_add_f32_e32 v5, v5, v6
	ds_write_b32 v2, v5
.LBB405_18:
	s_or_b64 exec, exec, s[4:5]
	v_cmp_gt_u32_e64 s[0:1], 4, v0
	v_mov_b32_e32 v2, 0
	s_waitcnt lgkmcnt(0)
	s_barrier
	s_and_saveexec_b64 s[4:5], s[0:1]
	s_cbranch_execz .LBB405_20
; %bb.19:
	ds_read_b32 v2, v1
	s_or_b64 exec, exec, s[4:5]
	s_and_saveexec_b64 s[0:1], vcc
	s_cbranch_execz .LBB405_22
	s_branch .LBB405_21
.LBB405_20:
	s_or_b64 exec, exec, s[4:5]
	s_and_saveexec_b64 s[0:1], vcc
	s_cbranch_execz .LBB405_22
.LBB405_21:
	s_waitcnt lgkmcnt(0)
	ds_bpermute_b32 v1, v3, v2
	s_waitcnt lgkmcnt(0)
	v_add_f32_e32 v1, v2, v1
	ds_bpermute_b32 v2, v4, v1
	s_waitcnt lgkmcnt(0)
	v_add_f32_e32 v2, v1, v2
.LBB405_22:
	s_or_b64 exec, exec, s[0:1]
	v_cmp_eq_u32_e32 vcc, 0, v0
                                        ; implicit-def: $vgpr1
                                        ; implicit-def: $sgpr6_sgpr7
	s_and_saveexec_b64 s[0:1], vcc
	s_cbranch_execz .LBB405_26
; %bb.23:
	s_mul_i32 s6, s2, s21
	s_mul_hi_u32 s7, s2, s20
	v_cmp_eq_f32_e64 s[4:5], s26, 0
	s_add_i32 s6, s7, s6
	s_mul_i32 s3, s3, s20
	s_waitcnt lgkmcnt(0)
	v_mul_f32_e32 v0, s27, v2
	s_add_i32 s7, s6, s3
	s_mul_i32 s6, s2, s20
	s_and_b64 vcc, exec, s[4:5]
	s_cbranch_vccnz .LBB405_25
; %bb.24:
	s_lshl_b64 s[2:3], s[6:7], 1
	s_add_u32 s2, s24, s2
	s_addc_u32 s3, s25, s3
	v_mov_b32_e32 v1, 0
	global_load_ushort v1, v1, s[2:3]
	s_waitcnt vmcnt(0)
	v_fma_mix_f32 v0, v1, s26, v0 op_sel_hi:[1,0,0]
.LBB405_25:
	s_nop 0
	v_cvt_f16_f32_e32 v1, v0
	s_or_b64 s[22:23], s[22:23], exec
.LBB405_26:
	s_or_b64 exec, exec, s[0:1]
.LBB405_27:
	s_and_saveexec_b64 s[0:1], s[22:23]
	s_cbranch_execz .LBB405_29
; %bb.28:
	s_lshl_b64 s[0:1], s[6:7], 1
	s_add_u32 s0, s24, s0
	s_addc_u32 s1, s25, s1
	v_mov_b32_e32 v0, 0
	global_store_short v0, v1, s[0:1]
.LBB405_29:
	s_endpgm
	.section	.rodata,"a",@progbits
	.p2align	6, 0x0
	.amdhsa_kernel _ZL32rocblas_gemvt_warp_reduce_kernelILb0ELi256ElDF16_fDF16_EviiT3_lPKT2_lT1_lS3_lS4_lS0_lPT4_lS4_li
		.amdhsa_group_segment_fixed_size 256
		.amdhsa_private_segment_fixed_size 0
		.amdhsa_kernarg_size 140
		.amdhsa_user_sgpr_count 2
		.amdhsa_user_sgpr_dispatch_ptr 0
		.amdhsa_user_sgpr_queue_ptr 0
		.amdhsa_user_sgpr_kernarg_segment_ptr 1
		.amdhsa_user_sgpr_dispatch_id 0
		.amdhsa_user_sgpr_kernarg_preload_length 0
		.amdhsa_user_sgpr_kernarg_preload_offset 0
		.amdhsa_user_sgpr_private_segment_size 0
		.amdhsa_uses_dynamic_stack 0
		.amdhsa_enable_private_segment 0
		.amdhsa_system_sgpr_workgroup_id_x 1
		.amdhsa_system_sgpr_workgroup_id_y 0
		.amdhsa_system_sgpr_workgroup_id_z 1
		.amdhsa_system_sgpr_workgroup_info 0
		.amdhsa_system_vgpr_workitem_id 0
		.amdhsa_next_free_vgpr 11
		.amdhsa_next_free_sgpr 29
		.amdhsa_accum_offset 12
		.amdhsa_reserve_vcc 1
		.amdhsa_float_round_mode_32 0
		.amdhsa_float_round_mode_16_64 0
		.amdhsa_float_denorm_mode_32 3
		.amdhsa_float_denorm_mode_16_64 3
		.amdhsa_dx10_clamp 1
		.amdhsa_ieee_mode 1
		.amdhsa_fp16_overflow 0
		.amdhsa_tg_split 0
		.amdhsa_exception_fp_ieee_invalid_op 0
		.amdhsa_exception_fp_denorm_src 0
		.amdhsa_exception_fp_ieee_div_zero 0
		.amdhsa_exception_fp_ieee_overflow 0
		.amdhsa_exception_fp_ieee_underflow 0
		.amdhsa_exception_fp_ieee_inexact 0
		.amdhsa_exception_int_div_zero 0
	.end_amdhsa_kernel
	.section	.text._ZL32rocblas_gemvt_warp_reduce_kernelILb0ELi256ElDF16_fDF16_EviiT3_lPKT2_lT1_lS3_lS4_lS0_lPT4_lS4_li,"axG",@progbits,_ZL32rocblas_gemvt_warp_reduce_kernelILb0ELi256ElDF16_fDF16_EviiT3_lPKT2_lT1_lS3_lS4_lS0_lPT4_lS4_li,comdat
.Lfunc_end405:
	.size	_ZL32rocblas_gemvt_warp_reduce_kernelILb0ELi256ElDF16_fDF16_EviiT3_lPKT2_lT1_lS3_lS4_lS0_lPT4_lS4_li, .Lfunc_end405-_ZL32rocblas_gemvt_warp_reduce_kernelILb0ELi256ElDF16_fDF16_EviiT3_lPKT2_lT1_lS3_lS4_lS0_lPT4_lS4_li
                                        ; -- End function
	.section	.AMDGPU.csdata,"",@progbits
; Kernel info:
; codeLenInByte = 1364
; NumSgprs: 35
; NumVgprs: 11
; NumAgprs: 0
; TotalNumVgprs: 11
; ScratchSize: 0
; MemoryBound: 0
; FloatMode: 240
; IeeeMode: 1
; LDSByteSize: 256 bytes/workgroup (compile time only)
; SGPRBlocks: 4
; VGPRBlocks: 1
; NumSGPRsForWavesPerEU: 35
; NumVGPRsForWavesPerEU: 11
; AccumOffset: 12
; Occupancy: 8
; WaveLimiterHint : 1
; COMPUTE_PGM_RSRC2:SCRATCH_EN: 0
; COMPUTE_PGM_RSRC2:USER_SGPR: 2
; COMPUTE_PGM_RSRC2:TRAP_HANDLER: 0
; COMPUTE_PGM_RSRC2:TGID_X_EN: 1
; COMPUTE_PGM_RSRC2:TGID_Y_EN: 0
; COMPUTE_PGM_RSRC2:TGID_Z_EN: 1
; COMPUTE_PGM_RSRC2:TIDIG_COMP_CNT: 0
; COMPUTE_PGM_RSRC3_GFX90A:ACCUM_OFFSET: 2
; COMPUTE_PGM_RSRC3_GFX90A:TG_SPLIT: 0
	.section	.text._ZL20rocblas_gemvt_kernelILb0ELi256EDF16_PKfDF16_EviiT2_lPKT1_lilS5_lilS2_lPT3_lili,"axG",@progbits,_ZL20rocblas_gemvt_kernelILb0ELi256EDF16_PKfDF16_EviiT2_lPKT1_lilS5_lilS2_lPT3_lili,comdat
	.globl	_ZL20rocblas_gemvt_kernelILb0ELi256EDF16_PKfDF16_EviiT2_lPKT1_lilS5_lilS2_lPT3_lili ; -- Begin function _ZL20rocblas_gemvt_kernelILb0ELi256EDF16_PKfDF16_EviiT2_lPKT1_lilS5_lilS2_lPT3_lili
	.p2align	8
	.type	_ZL20rocblas_gemvt_kernelILb0ELi256EDF16_PKfDF16_EviiT2_lPKT1_lilS5_lilS2_lPT3_lili,@function
_ZL20rocblas_gemvt_kernelILb0ELi256EDF16_PKfDF16_EviiT2_lPKT1_lilS5_lilS2_lPT3_lili: ; @_ZL20rocblas_gemvt_kernelILb0ELi256EDF16_PKfDF16_EviiT2_lPKT1_lilS5_lilS2_lPT3_lili
; %bb.0:
	s_load_dwordx8 s[4:11], s[0:1], 0x8
	s_load_dwordx8 s[12:19], s[0:1], 0x50
	s_waitcnt lgkmcnt(0)
	s_mul_i32 s7, s3, s7
	s_mul_hi_u32 s20, s3, s6
	s_add_i32 s7, s20, s7
	s_mul_i32 s6, s3, s6
	s_lshl_b64 s[6:7], s[6:7], 2
	s_add_u32 s4, s4, s6
	s_addc_u32 s5, s5, s7
	s_load_dword s22, s[4:5], 0x0
	s_mul_i32 s4, s3, s17
	s_mul_hi_u32 s5, s3, s16
	s_add_i32 s5, s5, s4
	s_mul_i32 s4, s3, s16
	s_lshl_b64 s[4:5], s[4:5], 2
	s_add_u32 s4, s14, s4
	s_addc_u32 s5, s15, s5
	s_load_dword s23, s[4:5], 0x0
	s_waitcnt lgkmcnt(0)
	v_cmp_eq_f32_e64 s[4:5], s22, 0
	v_cmp_eq_f32_e64 s[6:7], s23, 1.0
	s_and_b64 s[4:5], s[4:5], s[6:7]
	s_and_b64 vcc, exec, s[4:5]
	s_cbranch_vccnz .LBB406_37
; %bb.1:
	s_load_dwordx2 s[4:5], s[0:1], 0x80
	s_load_dwordx2 s[6:7], s[0:1], 0x70
	s_load_dword s24, s[0:1], 0x78
	s_waitcnt lgkmcnt(0)
	s_mul_i32 s5, s3, s5
	s_mul_hi_u32 s14, s3, s4
	s_mul_i32 s4, s3, s4
	s_add_i32 s5, s14, s5
	s_lshl_b64 s[4:5], s[4:5], 1
	s_add_u32 s14, s18, s4
	s_addc_u32 s15, s19, s5
	s_lshl_b64 s[4:5], s[6:7], 1
	s_add_u32 s20, s14, s4
	s_addc_u32 s21, s15, s5
	v_cmp_neq_f32_e64 s[4:5], s22, 0
	s_and_b64 vcc, exec, s[4:5]
	v_cmp_eq_u32_e64 s[4:5], 0, v0
	s_cbranch_vccnz .LBB406_5
; %bb.2:
	s_mov_b64 s[16:17], 0
	s_mov_b64 s[14:15], 0
                                        ; implicit-def: $vgpr1
                                        ; implicit-def: $sgpr6_sgpr7
	s_and_saveexec_b64 s[18:19], s[4:5]
	s_cbranch_execz .LBB406_6
; %bb.3:
	v_cmp_eq_f32_e64 s[4:5], s23, 0
	s_mul_hi_i32 s7, s24, s2
	s_mul_i32 s6, s24, s2
	s_and_b64 vcc, exec, s[4:5]
	s_cbranch_vccnz .LBB406_7
; %bb.4:
	s_lshl_b64 s[4:5], s[6:7], 1
	s_add_u32 s4, s20, s4
	s_addc_u32 s5, s21, s5
	v_mov_b32_e32 v1, 0
	global_load_ushort v1, v1, s[4:5]
	s_waitcnt vmcnt(0)
	v_fma_mixlo_f16 v1, s23, v1, 0 op_sel_hi:[0,1,0]
	s_branch .LBB406_8
.LBB406_5:
	s_mov_b64 s[14:15], 0
                                        ; implicit-def: $vgpr1
                                        ; implicit-def: $sgpr6_sgpr7
	s_cbranch_execnz .LBB406_9
	s_branch .LBB406_35
.LBB406_6:
	s_or_b64 exec, exec, s[18:19]
	s_and_b64 vcc, exec, s[16:17]
	s_cbranch_vccnz .LBB406_9
	s_branch .LBB406_35
.LBB406_7:
	v_mov_b32_e32 v1, 0
.LBB406_8:
	s_mov_b64 s[14:15], exec
	s_or_b64 exec, exec, s[18:19]
	s_and_b64 vcc, exec, s[16:17]
	s_cbranch_vccz .LBB406_35
.LBB406_9:
	s_load_dword s18, s[0:1], 0x0
	s_load_dword s19, s[0:1], 0x28
	s_load_dwordx4 s[4:7], s[0:1], 0x30
	s_load_dwordx2 s[16:17], s[0:1], 0x40
	s_mul_i32 s13, s3, s13
	s_load_dword s0, s[0:1], 0x48
	s_mul_hi_u32 s25, s3, s12
	s_waitcnt lgkmcnt(0)
	s_mul_i32 s1, s3, s5
	s_mul_hi_u32 s5, s3, s4
	s_add_i32 s5, s5, s1
	s_mul_i32 s4, s3, s4
	s_add_i32 s13, s25, s13
	s_lshl_b64 s[4:5], s[4:5], 1
	s_add_u32 s1, s8, s4
	s_mul_i32 s12, s3, s12
	s_addc_u32 s3, s9, s5
	s_lshl_b64 s[4:5], s[10:11], 1
	s_add_u32 s1, s1, s4
	s_addc_u32 s9, s3, s5
	s_mul_hi_i32 s5, s19, s2
	s_mul_i32 s4, s19, s2
	s_lshl_b64 s[4:5], s[4:5], 1
	s_add_u32 s8, s4, s1
	s_addc_u32 s9, s5, s9
	s_ashr_i32 s1, s18, 31
	v_cmp_gt_i32_e32 vcc, s18, v0
	s_lshr_b32 s1, s1, 24
	s_add_i32 s1, s18, s1
	v_cndmask_b32_e32 v1, 0, v0, vcc
	v_lshlrev_b32_e32 v2, 1, v1
	v_mov_b32_e32 v3, 0
	s_and_b32 s4, s1, 0xffffff00
	s_mov_b32 s3, 0
	s_cmpk_lt_i32 s18, 0x100
	v_lshl_add_u64 v[4:5], s[8:9], 0, v[2:3]
	s_cbranch_scc1 .LBB406_12
; %bb.10:
	v_mad_i64_i32 v[2:3], s[10:11], s0, v0, 0
	s_ashr_i32 s1, s0, 31
	s_lshl_b64 s[8:9], s[12:13], 1
	s_lshl_b64 s[10:11], s[16:17], 1
	s_add_u32 s5, s6, s10
	s_addc_u32 s10, s7, s11
	s_add_u32 s8, s5, s8
	s_addc_u32 s9, s10, s9
	v_lshl_add_u64 v[6:7], v[2:3], 1, s[8:9]
	s_lshl_b64 s[8:9], s[0:1], 9
	v_mov_b32_e32 v3, 0
	s_mov_b64 s[10:11], 0x200
	v_mov_b64_e32 v[8:9], v[4:5]
.LBB406_11:                             ; =>This Inner Loop Header: Depth=1
	global_load_ushort v1, v[8:9], off
	global_load_ushort v2, v[6:7], off
	s_addk_i32 s3, 0x100
	v_lshl_add_u64 v[6:7], v[6:7], 0, s[8:9]
	v_lshl_add_u64 v[8:9], v[8:9], 0, s[10:11]
	s_cmp_ge_i32 s3, s4
	s_waitcnt vmcnt(0)
	v_mul_f16_e32 v1, v1, v2
	v_cvt_f32_f16_e32 v1, v1
	v_add_f32_e32 v3, v3, v1
	s_cbranch_scc0 .LBB406_11
.LBB406_12:
	v_add_u32_e32 v1, s4, v0
	v_cmp_gt_i32_e32 vcc, s18, v1
	s_and_saveexec_b64 s[8:9], vcc
	s_cbranch_execz .LBB406_14
; %bb.13:
	s_lshl_b64 s[10:11], s[12:13], 1
	s_add_u32 s1, s6, s10
	s_addc_u32 s3, s7, s11
	s_lshl_b64 s[6:7], s[16:17], 1
	s_add_u32 s6, s1, s6
	s_addc_u32 s7, s3, s7
	s_ashr_i32 s5, s4, 31
	v_lshl_add_u64 v[4:5], s[4:5], 1, v[4:5]
	global_load_ushort v2, v[4:5], off
	v_mad_i64_i32 v[4:5], s[0:1], s0, v1, 0
	v_lshl_add_u64 v[4:5], v[4:5], 1, s[6:7]
	global_load_ushort v1, v[4:5], off
	s_waitcnt vmcnt(0)
	v_mul_f16_e32 v1, v2, v1
	v_cvt_f32_f16_e32 v1, v1
	v_add_f32_e32 v3, v3, v1
.LBB406_14:
	s_or_b64 exec, exec, s[8:9]
	s_movk_i32 s0, 0x80
	v_lshlrev_b32_e32 v1, 2, v0
	v_cmp_gt_u32_e32 vcc, s0, v0
	ds_write_b32 v1, v3
	s_waitcnt lgkmcnt(0)
	s_barrier
	s_and_saveexec_b64 s[0:1], vcc
	s_cbranch_execz .LBB406_16
; %bb.15:
	ds_read2st64_b32 v[2:3], v1 offset1:2
	s_waitcnt lgkmcnt(0)
	v_add_f32_e32 v2, v3, v2
	ds_write_b32 v1, v2
.LBB406_16:
	s_or_b64 exec, exec, s[0:1]
	v_cmp_gt_u32_e32 vcc, 64, v0
	s_waitcnt lgkmcnt(0)
	s_barrier
	s_and_saveexec_b64 s[0:1], vcc
	s_cbranch_execz .LBB406_18
; %bb.17:
	ds_read2st64_b32 v[2:3], v1 offset1:1
	s_waitcnt lgkmcnt(0)
	v_add_f32_e32 v2, v3, v2
	ds_write_b32 v1, v2
.LBB406_18:
	s_or_b64 exec, exec, s[0:1]
	v_cmp_gt_u32_e32 vcc, 32, v0
	s_waitcnt lgkmcnt(0)
	s_barrier
	s_and_saveexec_b64 s[0:1], vcc
	s_cbranch_execz .LBB406_20
; %bb.19:
	ds_read2_b32 v[2:3], v1 offset1:32
	s_waitcnt lgkmcnt(0)
	v_add_f32_e32 v2, v3, v2
	ds_write_b32 v1, v2
.LBB406_20:
	s_or_b64 exec, exec, s[0:1]
	v_cmp_gt_u32_e32 vcc, 16, v0
	s_waitcnt lgkmcnt(0)
	s_barrier
	s_and_saveexec_b64 s[0:1], vcc
	s_cbranch_execz .LBB406_22
; %bb.21:
	ds_read2_b32 v[2:3], v1 offset1:16
	s_waitcnt lgkmcnt(0)
	v_add_f32_e32 v2, v3, v2
	ds_write_b32 v1, v2
.LBB406_22:
	;; [unrolled: 12-line block ×5, first 2 shown]
	s_or_b64 exec, exec, s[0:1]
	v_cmp_eq_u32_e32 vcc, 0, v0
	s_waitcnt lgkmcnt(0)
	s_barrier
	s_and_saveexec_b64 s[0:1], vcc
	s_cbranch_execz .LBB406_30
; %bb.29:
	v_mov_b32_e32 v2, 0
	ds_read_b64 v[0:1], v2
	s_waitcnt lgkmcnt(0)
	v_add_f32_e32 v0, v1, v0
	ds_write_b32 v2, v0
.LBB406_30:
	s_or_b64 exec, exec, s[0:1]
	s_waitcnt lgkmcnt(0)
	s_barrier
	s_waitcnt lgkmcnt(0)
                                        ; implicit-def: $vgpr1
                                        ; implicit-def: $sgpr6_sgpr7
	s_and_saveexec_b64 s[0:1], vcc
	s_cbranch_execz .LBB406_34
; %bb.31:
	v_mov_b32_e32 v1, 0
	ds_read_b32 v0, v1
	v_cmp_eq_f32_e64 s[4:5], s23, 0
	s_mul_hi_i32 s7, s24, s2
	s_mul_i32 s6, s24, s2
	s_and_b64 vcc, exec, s[4:5]
	s_waitcnt lgkmcnt(0)
	v_mul_f32_e32 v0, s22, v0
	s_cbranch_vccnz .LBB406_33
; %bb.32:
	s_lshl_b64 s[2:3], s[6:7], 1
	s_add_u32 s2, s20, s2
	s_addc_u32 s3, s21, s3
	global_load_ushort v1, v1, s[2:3]
	s_waitcnt vmcnt(0)
	v_fma_mix_f32 v0, s23, v1, v0 op_sel_hi:[0,1,0]
.LBB406_33:
	v_cvt_f16_f32_e32 v1, v0
	s_or_b64 s[14:15], s[14:15], exec
.LBB406_34:
	s_or_b64 exec, exec, s[0:1]
.LBB406_35:
	s_and_saveexec_b64 s[0:1], s[14:15]
	s_cbranch_execz .LBB406_37
; %bb.36:
	s_lshl_b64 s[0:1], s[6:7], 1
	s_add_u32 s0, s20, s0
	s_addc_u32 s1, s21, s1
	v_mov_b32_e32 v0, 0
	global_store_short v0, v1, s[0:1]
.LBB406_37:
	s_endpgm
	.section	.rodata,"a",@progbits
	.p2align	6, 0x0
	.amdhsa_kernel _ZL20rocblas_gemvt_kernelILb0ELi256EDF16_PKfDF16_EviiT2_lPKT1_lilS5_lilS2_lPT3_lili
		.amdhsa_group_segment_fixed_size 1024
		.amdhsa_private_segment_fixed_size 0
		.amdhsa_kernarg_size 140
		.amdhsa_user_sgpr_count 2
		.amdhsa_user_sgpr_dispatch_ptr 0
		.amdhsa_user_sgpr_queue_ptr 0
		.amdhsa_user_sgpr_kernarg_segment_ptr 1
		.amdhsa_user_sgpr_dispatch_id 0
		.amdhsa_user_sgpr_kernarg_preload_length 0
		.amdhsa_user_sgpr_kernarg_preload_offset 0
		.amdhsa_user_sgpr_private_segment_size 0
		.amdhsa_uses_dynamic_stack 0
		.amdhsa_enable_private_segment 0
		.amdhsa_system_sgpr_workgroup_id_x 1
		.amdhsa_system_sgpr_workgroup_id_y 0
		.amdhsa_system_sgpr_workgroup_id_z 1
		.amdhsa_system_sgpr_workgroup_info 0
		.amdhsa_system_vgpr_workitem_id 0
		.amdhsa_next_free_vgpr 10
		.amdhsa_next_free_sgpr 26
		.amdhsa_accum_offset 12
		.amdhsa_reserve_vcc 1
		.amdhsa_float_round_mode_32 0
		.amdhsa_float_round_mode_16_64 0
		.amdhsa_float_denorm_mode_32 3
		.amdhsa_float_denorm_mode_16_64 3
		.amdhsa_dx10_clamp 1
		.amdhsa_ieee_mode 1
		.amdhsa_fp16_overflow 0
		.amdhsa_tg_split 0
		.amdhsa_exception_fp_ieee_invalid_op 0
		.amdhsa_exception_fp_denorm_src 0
		.amdhsa_exception_fp_ieee_div_zero 0
		.amdhsa_exception_fp_ieee_overflow 0
		.amdhsa_exception_fp_ieee_underflow 0
		.amdhsa_exception_fp_ieee_inexact 0
		.amdhsa_exception_int_div_zero 0
	.end_amdhsa_kernel
	.section	.text._ZL20rocblas_gemvt_kernelILb0ELi256EDF16_PKfDF16_EviiT2_lPKT1_lilS5_lilS2_lPT3_lili,"axG",@progbits,_ZL20rocblas_gemvt_kernelILb0ELi256EDF16_PKfDF16_EviiT2_lPKT1_lilS5_lilS2_lPT3_lili,comdat
.Lfunc_end406:
	.size	_ZL20rocblas_gemvt_kernelILb0ELi256EDF16_PKfDF16_EviiT2_lPKT1_lilS5_lilS2_lPT3_lili, .Lfunc_end406-_ZL20rocblas_gemvt_kernelILb0ELi256EDF16_PKfDF16_EviiT2_lPKT1_lilS5_lilS2_lPT3_lili
                                        ; -- End function
	.section	.AMDGPU.csdata,"",@progbits
; Kernel info:
; codeLenInByte = 1296
; NumSgprs: 32
; NumVgprs: 10
; NumAgprs: 0
; TotalNumVgprs: 10
; ScratchSize: 0
; MemoryBound: 0
; FloatMode: 240
; IeeeMode: 1
; LDSByteSize: 1024 bytes/workgroup (compile time only)
; SGPRBlocks: 3
; VGPRBlocks: 1
; NumSGPRsForWavesPerEU: 32
; NumVGPRsForWavesPerEU: 10
; AccumOffset: 12
; Occupancy: 8
; WaveLimiterHint : 1
; COMPUTE_PGM_RSRC2:SCRATCH_EN: 0
; COMPUTE_PGM_RSRC2:USER_SGPR: 2
; COMPUTE_PGM_RSRC2:TRAP_HANDLER: 0
; COMPUTE_PGM_RSRC2:TGID_X_EN: 1
; COMPUTE_PGM_RSRC2:TGID_Y_EN: 0
; COMPUTE_PGM_RSRC2:TGID_Z_EN: 1
; COMPUTE_PGM_RSRC2:TIDIG_COMP_CNT: 0
; COMPUTE_PGM_RSRC3_GFX90A:ACCUM_OFFSET: 2
; COMPUTE_PGM_RSRC3_GFX90A:TG_SPLIT: 0
	.section	.text._ZL20rocblas_gemvt_kernelILb0ELi256EDF16_fDF16_EviiT2_lPKT1_lilS3_lilS0_lPT3_lili,"axG",@progbits,_ZL20rocblas_gemvt_kernelILb0ELi256EDF16_fDF16_EviiT2_lPKT1_lilS3_lilS0_lPT3_lili,comdat
	.globl	_ZL20rocblas_gemvt_kernelILb0ELi256EDF16_fDF16_EviiT2_lPKT1_lilS3_lilS0_lPT3_lili ; -- Begin function _ZL20rocblas_gemvt_kernelILb0ELi256EDF16_fDF16_EviiT2_lPKT1_lilS3_lilS0_lPT3_lili
	.p2align	8
	.type	_ZL20rocblas_gemvt_kernelILb0ELi256EDF16_fDF16_EviiT2_lPKT1_lilS3_lilS0_lPT3_lili,@function
_ZL20rocblas_gemvt_kernelILb0ELi256EDF16_fDF16_EviiT2_lPKT1_lilS3_lilS0_lPT3_lili: ; @_ZL20rocblas_gemvt_kernelILb0ELi256EDF16_fDF16_EviiT2_lPKT1_lilS3_lilS0_lPT3_lili
; %bb.0:
	s_load_dword s21, s[0:1], 0x8
	s_load_dword s20, s[0:1], 0x58
	s_waitcnt lgkmcnt(0)
	v_cmp_eq_f32_e64 s[4:5], s21, 0
	v_cmp_eq_f32_e64 s[6:7], s20, 1.0
	s_and_b64 s[4:5], s[4:5], s[6:7]
	s_and_b64 vcc, exec, s[4:5]
	s_cbranch_vccnz .LBB407_37
; %bb.1:
	s_load_dwordx2 s[8:9], s[0:1], 0x80
	s_load_dwordx4 s[4:7], s[0:1], 0x68
	s_load_dword s22, s[0:1], 0x78
	s_waitcnt lgkmcnt(0)
	s_mul_i32 s9, s3, s9
	s_mul_hi_u32 s10, s3, s8
	s_mul_i32 s8, s3, s8
	s_add_i32 s9, s10, s9
	s_lshl_b64 s[8:9], s[8:9], 1
	s_add_u32 s8, s4, s8
	s_addc_u32 s9, s5, s9
	s_lshl_b64 s[4:5], s[6:7], 1
	s_add_u32 s18, s8, s4
	s_addc_u32 s19, s9, s5
	v_cmp_neq_f32_e64 s[4:5], s21, 0
	s_and_b64 vcc, exec, s[4:5]
	v_cmp_eq_u32_e64 s[4:5], 0, v0
	s_cbranch_vccnz .LBB407_5
; %bb.2:
	s_mov_b64 s[10:11], 0
	s_mov_b64 s[8:9], 0
                                        ; implicit-def: $vgpr1
                                        ; implicit-def: $sgpr6_sgpr7
	s_and_saveexec_b64 s[12:13], s[4:5]
	s_cbranch_execz .LBB407_6
; %bb.3:
	v_cmp_eq_f32_e64 s[4:5], s20, 0
	s_mul_hi_i32 s7, s22, s2
	s_mul_i32 s6, s22, s2
	s_and_b64 vcc, exec, s[4:5]
	s_cbranch_vccnz .LBB407_7
; %bb.4:
	s_lshl_b64 s[4:5], s[6:7], 1
	s_add_u32 s4, s18, s4
	s_addc_u32 s5, s19, s5
	v_mov_b32_e32 v1, 0
	global_load_ushort v1, v1, s[4:5]
	s_waitcnt vmcnt(0)
	v_fma_mixlo_f16 v1, v1, s20, 0 op_sel_hi:[1,0,0]
	s_branch .LBB407_8
.LBB407_5:
	s_mov_b64 s[8:9], 0
                                        ; implicit-def: $vgpr1
                                        ; implicit-def: $sgpr6_sgpr7
	s_cbranch_execnz .LBB407_9
	s_branch .LBB407_35
.LBB407_6:
	s_or_b64 exec, exec, s[12:13]
	s_and_b64 vcc, exec, s[10:11]
	s_cbranch_vccnz .LBB407_9
	s_branch .LBB407_35
.LBB407_7:
	v_mov_b32_e32 v1, 0
.LBB407_8:
	s_mov_b64 s[8:9], exec
	s_or_b64 exec, exec, s[12:13]
	s_and_b64 vcc, exec, s[10:11]
	s_cbranch_vccz .LBB407_35
.LBB407_9:
	s_load_dwordx2 s[14:15], s[0:1], 0x50
	s_load_dword s23, s[0:1], 0x0
	s_load_dwordx4 s[24:27], s[0:1], 0x18
	s_load_dword s13, s[0:1], 0x28
	s_load_dwordx4 s[4:7], s[0:1], 0x30
	s_load_dwordx2 s[10:11], s[0:1], 0x40
	s_load_dword s12, s[0:1], 0x48
	s_waitcnt lgkmcnt(0)
	s_mul_i32 s0, s3, s15
	s_mul_hi_u32 s1, s3, s14
	s_add_i32 s1, s1, s0
	s_mul_i32 s0, s3, s14
	s_mul_i32 s5, s3, s5
	s_mul_hi_u32 s14, s3, s4
	s_add_i32 s5, s14, s5
	s_mul_i32 s4, s3, s4
	s_lshl_b64 s[4:5], s[4:5], 1
	s_add_u32 s3, s24, s4
	s_addc_u32 s14, s25, s5
	s_lshl_b64 s[4:5], s[26:27], 1
	s_add_u32 s15, s3, s4
	s_addc_u32 s16, s14, s5
	s_mul_hi_i32 s5, s13, s2
	s_mul_i32 s4, s13, s2
	s_lshl_b64 s[4:5], s[4:5], 1
	s_add_u32 s14, s4, s15
	s_addc_u32 s15, s5, s16
	s_ashr_i32 s4, s23, 31
	v_cmp_gt_i32_e32 vcc, s23, v0
	s_lshr_b32 s4, s4, 24
	s_add_i32 s4, s23, s4
	v_cndmask_b32_e32 v1, 0, v0, vcc
	v_lshlrev_b32_e32 v2, 1, v1
	v_mov_b32_e32 v3, 0
	s_and_b32 s4, s4, 0xffffff00
	s_mov_b32 s3, 0
	s_cmpk_lt_i32 s23, 0x100
	v_lshl_add_u64 v[4:5], s[14:15], 0, v[2:3]
	s_cbranch_scc1 .LBB407_12
; %bb.10:
	v_mad_i64_i32 v[2:3], s[16:17], s12, v0, 0
	s_ashr_i32 s13, s12, 31
	s_lshl_b64 s[14:15], s[0:1], 1
	s_lshl_b64 s[16:17], s[10:11], 1
	s_add_u32 s5, s6, s16
	s_addc_u32 s16, s7, s17
	s_add_u32 s14, s5, s14
	s_addc_u32 s15, s16, s15
	v_lshl_add_u64 v[6:7], v[2:3], 1, s[14:15]
	s_lshl_b64 s[14:15], s[12:13], 9
	v_mov_b32_e32 v3, 0
	s_mov_b64 s[16:17], 0x200
	v_mov_b64_e32 v[8:9], v[4:5]
.LBB407_11:                             ; =>This Inner Loop Header: Depth=1
	global_load_ushort v1, v[8:9], off
	global_load_ushort v2, v[6:7], off
	s_addk_i32 s3, 0x100
	v_lshl_add_u64 v[6:7], v[6:7], 0, s[14:15]
	v_lshl_add_u64 v[8:9], v[8:9], 0, s[16:17]
	s_cmp_ge_i32 s3, s4
	s_waitcnt vmcnt(0)
	v_mul_f16_e32 v1, v1, v2
	v_cvt_f32_f16_e32 v1, v1
	v_add_f32_e32 v3, v3, v1
	s_cbranch_scc0 .LBB407_11
.LBB407_12:
	v_add_u32_e32 v1, s4, v0
	v_cmp_gt_i32_e32 vcc, s23, v1
	s_and_saveexec_b64 s[14:15], vcc
	s_cbranch_execz .LBB407_14
; %bb.13:
	s_lshl_b64 s[0:1], s[0:1], 1
	s_add_u32 s3, s6, s0
	s_addc_u32 s5, s7, s1
	s_lshl_b64 s[0:1], s[10:11], 1
	s_add_u32 s0, s3, s0
	s_addc_u32 s1, s5, s1
	s_ashr_i32 s5, s4, 31
	v_lshl_add_u64 v[4:5], s[4:5], 1, v[4:5]
	global_load_ushort v2, v[4:5], off
	v_mad_i64_i32 v[4:5], s[4:5], s12, v1, 0
	v_lshl_add_u64 v[4:5], v[4:5], 1, s[0:1]
	global_load_ushort v1, v[4:5], off
	s_waitcnt vmcnt(0)
	v_mul_f16_e32 v1, v2, v1
	v_cvt_f32_f16_e32 v1, v1
	v_add_f32_e32 v3, v3, v1
.LBB407_14:
	s_or_b64 exec, exec, s[14:15]
	s_movk_i32 s0, 0x80
	v_lshlrev_b32_e32 v1, 2, v0
	v_cmp_gt_u32_e32 vcc, s0, v0
	ds_write_b32 v1, v3
	s_waitcnt lgkmcnt(0)
	s_barrier
	s_and_saveexec_b64 s[0:1], vcc
	s_cbranch_execz .LBB407_16
; %bb.15:
	ds_read2st64_b32 v[2:3], v1 offset1:2
	s_waitcnt lgkmcnt(0)
	v_add_f32_e32 v2, v3, v2
	ds_write_b32 v1, v2
.LBB407_16:
	s_or_b64 exec, exec, s[0:1]
	v_cmp_gt_u32_e32 vcc, 64, v0
	s_waitcnt lgkmcnt(0)
	s_barrier
	s_and_saveexec_b64 s[0:1], vcc
	s_cbranch_execz .LBB407_18
; %bb.17:
	ds_read2st64_b32 v[2:3], v1 offset1:1
	s_waitcnt lgkmcnt(0)
	v_add_f32_e32 v2, v3, v2
	ds_write_b32 v1, v2
.LBB407_18:
	s_or_b64 exec, exec, s[0:1]
	v_cmp_gt_u32_e32 vcc, 32, v0
	s_waitcnt lgkmcnt(0)
	s_barrier
	s_and_saveexec_b64 s[0:1], vcc
	s_cbranch_execz .LBB407_20
; %bb.19:
	ds_read2_b32 v[2:3], v1 offset1:32
	s_waitcnt lgkmcnt(0)
	v_add_f32_e32 v2, v3, v2
	ds_write_b32 v1, v2
.LBB407_20:
	s_or_b64 exec, exec, s[0:1]
	v_cmp_gt_u32_e32 vcc, 16, v0
	s_waitcnt lgkmcnt(0)
	s_barrier
	s_and_saveexec_b64 s[0:1], vcc
	s_cbranch_execz .LBB407_22
; %bb.21:
	ds_read2_b32 v[2:3], v1 offset1:16
	s_waitcnt lgkmcnt(0)
	v_add_f32_e32 v2, v3, v2
	ds_write_b32 v1, v2
.LBB407_22:
	;; [unrolled: 12-line block ×5, first 2 shown]
	s_or_b64 exec, exec, s[0:1]
	v_cmp_eq_u32_e32 vcc, 0, v0
	s_waitcnt lgkmcnt(0)
	s_barrier
	s_and_saveexec_b64 s[0:1], vcc
	s_cbranch_execz .LBB407_30
; %bb.29:
	v_mov_b32_e32 v2, 0
	ds_read_b64 v[0:1], v2
	s_waitcnt lgkmcnt(0)
	v_add_f32_e32 v0, v1, v0
	ds_write_b32 v2, v0
.LBB407_30:
	s_or_b64 exec, exec, s[0:1]
	s_waitcnt lgkmcnt(0)
	s_barrier
	s_waitcnt lgkmcnt(0)
                                        ; implicit-def: $vgpr1
                                        ; implicit-def: $sgpr6_sgpr7
	s_and_saveexec_b64 s[0:1], vcc
	s_cbranch_execz .LBB407_34
; %bb.31:
	v_mov_b32_e32 v1, 0
	ds_read_b32 v0, v1
	v_cmp_eq_f32_e64 s[4:5], s20, 0
	s_mul_hi_i32 s7, s22, s2
	s_mul_i32 s6, s22, s2
	s_and_b64 vcc, exec, s[4:5]
	s_waitcnt lgkmcnt(0)
	v_mul_f32_e32 v0, s21, v0
	s_cbranch_vccnz .LBB407_33
; %bb.32:
	s_lshl_b64 s[2:3], s[6:7], 1
	s_add_u32 s2, s18, s2
	s_addc_u32 s3, s19, s3
	global_load_ushort v1, v1, s[2:3]
	s_waitcnt vmcnt(0)
	v_fma_mix_f32 v0, v1, s20, v0 op_sel_hi:[1,0,0]
.LBB407_33:
	s_nop 0
	v_cvt_f16_f32_e32 v1, v0
	s_or_b64 s[8:9], s[8:9], exec
.LBB407_34:
	s_or_b64 exec, exec, s[0:1]
.LBB407_35:
	s_and_saveexec_b64 s[0:1], s[8:9]
	s_cbranch_execz .LBB407_37
; %bb.36:
	s_lshl_b64 s[0:1], s[6:7], 1
	s_add_u32 s0, s18, s0
	s_addc_u32 s1, s19, s1
	v_mov_b32_e32 v0, 0
	global_store_short v0, v1, s[0:1]
.LBB407_37:
	s_endpgm
	.section	.rodata,"a",@progbits
	.p2align	6, 0x0
	.amdhsa_kernel _ZL20rocblas_gemvt_kernelILb0ELi256EDF16_fDF16_EviiT2_lPKT1_lilS3_lilS0_lPT3_lili
		.amdhsa_group_segment_fixed_size 1024
		.amdhsa_private_segment_fixed_size 0
		.amdhsa_kernarg_size 140
		.amdhsa_user_sgpr_count 2
		.amdhsa_user_sgpr_dispatch_ptr 0
		.amdhsa_user_sgpr_queue_ptr 0
		.amdhsa_user_sgpr_kernarg_segment_ptr 1
		.amdhsa_user_sgpr_dispatch_id 0
		.amdhsa_user_sgpr_kernarg_preload_length 0
		.amdhsa_user_sgpr_kernarg_preload_offset 0
		.amdhsa_user_sgpr_private_segment_size 0
		.amdhsa_uses_dynamic_stack 0
		.amdhsa_enable_private_segment 0
		.amdhsa_system_sgpr_workgroup_id_x 1
		.amdhsa_system_sgpr_workgroup_id_y 0
		.amdhsa_system_sgpr_workgroup_id_z 1
		.amdhsa_system_sgpr_workgroup_info 0
		.amdhsa_system_vgpr_workitem_id 0
		.amdhsa_next_free_vgpr 10
		.amdhsa_next_free_sgpr 28
		.amdhsa_accum_offset 12
		.amdhsa_reserve_vcc 1
		.amdhsa_float_round_mode_32 0
		.amdhsa_float_round_mode_16_64 0
		.amdhsa_float_denorm_mode_32 3
		.amdhsa_float_denorm_mode_16_64 3
		.amdhsa_dx10_clamp 1
		.amdhsa_ieee_mode 1
		.amdhsa_fp16_overflow 0
		.amdhsa_tg_split 0
		.amdhsa_exception_fp_ieee_invalid_op 0
		.amdhsa_exception_fp_denorm_src 0
		.amdhsa_exception_fp_ieee_div_zero 0
		.amdhsa_exception_fp_ieee_overflow 0
		.amdhsa_exception_fp_ieee_underflow 0
		.amdhsa_exception_fp_ieee_inexact 0
		.amdhsa_exception_int_div_zero 0
	.end_amdhsa_kernel
	.section	.text._ZL20rocblas_gemvt_kernelILb0ELi256EDF16_fDF16_EviiT2_lPKT1_lilS3_lilS0_lPT3_lili,"axG",@progbits,_ZL20rocblas_gemvt_kernelILb0ELi256EDF16_fDF16_EviiT2_lPKT1_lilS3_lilS0_lPT3_lili,comdat
.Lfunc_end407:
	.size	_ZL20rocblas_gemvt_kernelILb0ELi256EDF16_fDF16_EviiT2_lPKT1_lilS3_lilS0_lPT3_lili, .Lfunc_end407-_ZL20rocblas_gemvt_kernelILb0ELi256EDF16_fDF16_EviiT2_lPKT1_lilS3_lilS0_lPT3_lili
                                        ; -- End function
	.section	.AMDGPU.csdata,"",@progbits
; Kernel info:
; codeLenInByte = 1240
; NumSgprs: 34
; NumVgprs: 10
; NumAgprs: 0
; TotalNumVgprs: 10
; ScratchSize: 0
; MemoryBound: 0
; FloatMode: 240
; IeeeMode: 1
; LDSByteSize: 1024 bytes/workgroup (compile time only)
; SGPRBlocks: 4
; VGPRBlocks: 1
; NumSGPRsForWavesPerEU: 34
; NumVGPRsForWavesPerEU: 10
; AccumOffset: 12
; Occupancy: 8
; WaveLimiterHint : 1
; COMPUTE_PGM_RSRC2:SCRATCH_EN: 0
; COMPUTE_PGM_RSRC2:USER_SGPR: 2
; COMPUTE_PGM_RSRC2:TRAP_HANDLER: 0
; COMPUTE_PGM_RSRC2:TGID_X_EN: 1
; COMPUTE_PGM_RSRC2:TGID_Y_EN: 0
; COMPUTE_PGM_RSRC2:TGID_Z_EN: 1
; COMPUTE_PGM_RSRC2:TIDIG_COMP_CNT: 0
; COMPUTE_PGM_RSRC3_GFX90A:ACCUM_OFFSET: 2
; COMPUTE_PGM_RSRC3_GFX90A:TG_SPLIT: 0
	.section	.text._ZL32rocblas_gemvt_warp_reduce_kernelILb0ELi1024EiDF16_PKfDF16_EviiT3_lPKT2_lT1_lS5_lS6_lS2_lPT4_lS6_li,"axG",@progbits,_ZL32rocblas_gemvt_warp_reduce_kernelILb0ELi1024EiDF16_PKfDF16_EviiT3_lPKT2_lT1_lS5_lS6_lS2_lPT4_lS6_li,comdat
	.globl	_ZL32rocblas_gemvt_warp_reduce_kernelILb0ELi1024EiDF16_PKfDF16_EviiT3_lPKT2_lT1_lS5_lS6_lS2_lPT4_lS6_li ; -- Begin function _ZL32rocblas_gemvt_warp_reduce_kernelILb0ELi1024EiDF16_PKfDF16_EviiT3_lPKT2_lT1_lS5_lS6_lS2_lPT4_lS6_li
	.p2align	8
	.type	_ZL32rocblas_gemvt_warp_reduce_kernelILb0ELi1024EiDF16_PKfDF16_EviiT3_lPKT2_lT1_lS5_lS6_lS2_lPT4_lS6_li,@function
_ZL32rocblas_gemvt_warp_reduce_kernelILb0ELi1024EiDF16_PKfDF16_EviiT3_lPKT2_lT1_lS5_lS6_lS2_lPT4_lS6_li: ; @_ZL32rocblas_gemvt_warp_reduce_kernelILb0ELi1024EiDF16_PKfDF16_EviiT3_lPKT2_lT1_lS5_lS6_lS2_lPT4_lS6_li
; %bb.0:
	s_load_dwordx8 s[4:11], s[0:1], 0x8
	s_load_dwordx8 s[12:19], s[0:1], 0x50
	s_waitcnt lgkmcnt(0)
	s_mul_i32 s7, s3, s7
	s_mul_hi_u32 s20, s3, s6
	s_add_i32 s7, s20, s7
	s_mul_i32 s6, s3, s6
	s_lshl_b64 s[6:7], s[6:7], 2
	s_add_u32 s4, s4, s6
	s_addc_u32 s5, s5, s7
	s_load_dword s23, s[4:5], 0x0
	s_mul_i32 s4, s3, s17
	s_mul_hi_u32 s5, s3, s16
	s_add_i32 s5, s5, s4
	s_mul_i32 s4, s3, s16
	s_lshl_b64 s[4:5], s[4:5], 2
	s_add_u32 s4, s14, s4
	s_addc_u32 s5, s15, s5
	s_load_dword s22, s[4:5], 0x0
	s_waitcnt lgkmcnt(0)
	v_cmp_eq_f32_e64 s[4:5], s23, 0
	v_cmp_eq_f32_e64 s[6:7], s22, 1.0
	s_and_b64 s[4:5], s[4:5], s[6:7]
	s_and_b64 vcc, exec, s[4:5]
	s_cbranch_vccnz .LBB408_29
; %bb.1:
	s_load_dwordx2 s[4:5], s[0:1], 0x80
	s_load_dwordx2 s[6:7], s[0:1], 0x70
	s_load_dword s24, s[0:1], 0x78
	s_waitcnt lgkmcnt(0)
	s_mul_i32 s5, s3, s5
	s_mul_hi_u32 s14, s3, s4
	s_mul_i32 s4, s3, s4
	s_add_i32 s5, s14, s5
	s_lshl_b64 s[4:5], s[4:5], 1
	s_add_u32 s14, s18, s4
	s_addc_u32 s15, s19, s5
	s_lshl_b64 s[4:5], s[6:7], 1
	s_add_u32 s20, s14, s4
	s_addc_u32 s21, s15, s5
	v_cmp_neq_f32_e64 s[4:5], s23, 0
	s_and_b64 vcc, exec, s[4:5]
	v_cmp_eq_u32_e64 s[4:5], 0, v0
	s_cbranch_vccnz .LBB408_5
; %bb.2:
	s_mov_b64 s[16:17], 0
	s_mov_b64 s[6:7], 0
                                        ; implicit-def: $vgpr1
                                        ; implicit-def: $sgpr14_sgpr15
	s_and_saveexec_b64 s[18:19], s[4:5]
	s_cbranch_execz .LBB408_6
; %bb.3:
	v_cmp_eq_f32_e64 s[4:5], s22, 0
	s_mul_i32 s14, s2, s24
	s_ashr_i32 s15, s14, 31
	s_and_b64 vcc, exec, s[4:5]
	s_cbranch_vccnz .LBB408_7
; %bb.4:
	s_lshl_b64 s[4:5], s[14:15], 1
	s_add_u32 s4, s20, s4
	s_addc_u32 s5, s21, s5
	v_mov_b32_e32 v1, 0
	global_load_ushort v1, v1, s[4:5]
	s_waitcnt vmcnt(0)
	v_fma_mixlo_f16 v1, s22, v1, 0 op_sel_hi:[0,1,0]
	s_mov_b64 s[6:7], exec
	s_or_b64 exec, exec, s[18:19]
	s_and_b64 vcc, exec, s[16:17]
	s_cbranch_vccz .LBB408_27
	s_branch .LBB408_8
.LBB408_5:
	s_mov_b64 s[6:7], 0
                                        ; implicit-def: $vgpr1
                                        ; implicit-def: $sgpr14_sgpr15
	s_cbranch_execnz .LBB408_8
	s_branch .LBB408_27
.LBB408_6:
	s_or_b64 exec, exec, s[18:19]
	s_and_b64 vcc, exec, s[16:17]
	s_cbranch_vccnz .LBB408_8
	s_branch .LBB408_27
.LBB408_7:
	v_mov_b32_e32 v1, 0
	s_mov_b64 s[6:7], exec
	s_or_b64 exec, exec, s[18:19]
	s_and_b64 vcc, exec, s[16:17]
	s_cbranch_vccz .LBB408_27
.LBB408_8:
	s_load_dword s14, s[0:1], 0x0
	s_load_dword s25, s[0:1], 0x28
	s_load_dwordx4 s[16:19], s[0:1], 0x30
	s_load_dwordx2 s[4:5], s[0:1], 0x40
	s_mul_i32 s13, s3, s13
	s_mul_hi_u32 s15, s3, s12
	s_add_i32 s13, s15, s13
	s_mul_i32 s12, s3, s12
	s_lshl_b64 s[12:13], s[12:13], 1
	s_waitcnt lgkmcnt(0)
	s_add_u32 s12, s18, s12
	s_addc_u32 s13, s19, s13
	s_lshl_b64 s[4:5], s[4:5], 1
	s_add_u32 s4, s12, s4
	s_load_dword s15, s[0:1], 0x48
	s_mul_i32 s0, s3, s17
	s_mul_hi_u32 s1, s3, s16
	s_addc_u32 s5, s13, s5
	s_add_i32 s1, s1, s0
	s_mul_i32 s0, s3, s16
	s_lshl_b64 s[0:1], s[0:1], 1
	s_add_u32 s3, s8, s0
	s_addc_u32 s8, s9, s1
	s_lshl_b64 s[0:1], s[10:11], 1
	s_add_u32 s3, s3, s0
	s_mul_i32 s0, s2, s25
	s_addc_u32 s8, s8, s1
	s_ashr_i32 s1, s0, 31
	v_cmp_gt_i32_e32 vcc, s14, v0
	s_lshl_b64 s[0:1], s[0:1], 1
	s_add_u32 s0, s0, s3
	v_cndmask_b32_e32 v1, 0, v0, vcc
	v_lshlrev_b32_e32 v2, 1, v1
	v_mov_b32_e32 v3, 0
	s_addc_u32 s1, s1, s8
	v_lshl_add_u64 v[4:5], s[0:1], 0, v[2:3]
	s_ashr_i32 s0, s14, 31
	s_lshr_b32 s0, s0, 22
	s_add_i32 s0, s14, s0
	s_and_b32 s0, s0, 0xfffffc00
	v_cmp_gt_i32_e32 vcc, s0, v0
	s_and_saveexec_b64 s[8:9], vcc
	s_cbranch_execz .LBB408_12
; %bb.9:
	s_waitcnt lgkmcnt(0)
	v_mul_lo_u32 v6, v0, s15
	s_lshl_b32 s1, s15, 10
	s_mov_b64 s[10:11], 0
	v_mov_b32_e32 v3, 0
	s_mov_b64 s[12:13], 0x800
	v_mov_b64_e32 v[8:9], v[4:5]
	v_mov_b32_e32 v1, v0
.LBB408_10:                             ; =>This Inner Loop Header: Depth=1
	v_ashrrev_i32_e32 v7, 31, v6
	v_lshl_add_u64 v[10:11], v[6:7], 1, s[4:5]
	global_load_ushort v2, v[8:9], off
	global_load_ushort v7, v[10:11], off
	v_add_u32_e32 v1, 0x400, v1
	v_cmp_le_i32_e32 vcc, s0, v1
	v_lshl_add_u64 v[8:9], v[8:9], 0, s[12:13]
	v_add_u32_e32 v6, s1, v6
	s_or_b64 s[10:11], vcc, s[10:11]
	s_waitcnt vmcnt(0)
	v_mul_f16_e32 v2, v2, v7
	v_cvt_f32_f16_e32 v2, v2
	v_add_f32_e32 v3, v3, v2
	s_andn2_b64 exec, exec, s[10:11]
	s_cbranch_execnz .LBB408_10
; %bb.11:
	s_or_b64 exec, exec, s[10:11]
.LBB408_12:
	s_or_b64 exec, exec, s[8:9]
	v_or_b32_e32 v1, s0, v0
	v_cmp_gt_i32_e32 vcc, s14, v1
	s_and_saveexec_b64 s[8:9], vcc
	s_cbranch_execz .LBB408_14
; %bb.13:
	s_ashr_i32 s1, s0, 31
	v_lshl_add_u64 v[4:5], s[0:1], 1, v[4:5]
	global_load_ushort v2, v[4:5], off
	s_waitcnt lgkmcnt(0)
	v_mul_lo_u32 v4, v1, s15
	v_ashrrev_i32_e32 v5, 31, v4
	v_lshl_add_u64 v[4:5], v[4:5], 1, s[4:5]
	global_load_ushort v1, v[4:5], off
	s_waitcnt vmcnt(0)
	v_mul_f16_e32 v1, v2, v1
	v_cvt_f32_f16_e32 v1, v1
	v_add_f32_e32 v3, v3, v1
.LBB408_14:
	s_or_b64 exec, exec, s[8:9]
	v_and_b32_e32 v2, 63, v0
	v_cmp_gt_u32_e32 vcc, 64, v0
	v_lshlrev_b32_e32 v1, 2, v2
	s_and_saveexec_b64 s[0:1], vcc
	s_cbranch_execz .LBB408_16
; %bb.15:
	v_mov_b32_e32 v4, 0
	ds_write_b32 v1, v4
.LBB408_16:
	s_or_b64 exec, exec, s[0:1]
	v_mbcnt_lo_u32_b32 v4, -1, 0
	v_mbcnt_hi_u32_b32 v6, -1, v4
	v_and_b32_e32 v7, 63, v6
	v_cmp_gt_u32_e64 s[0:1], 32, v7
	s_waitcnt lgkmcnt(0)
	s_barrier
	v_cndmask_b32_e64 v4, 0, 1, s[0:1]
	v_lshlrev_b32_e32 v4, 5, v4
	v_add_lshl_u32 v4, v4, v6, 2
	ds_bpermute_b32 v4, v4, v3
	v_cmp_gt_u32_e64 s[0:1], 48, v7
	s_waitcnt lgkmcnt(0)
	v_add_f32_e32 v3, v3, v4
	v_cndmask_b32_e64 v5, 0, 1, s[0:1]
	v_lshlrev_b32_e32 v5, 4, v5
	v_add_lshl_u32 v4, v5, v6, 2
	ds_bpermute_b32 v4, v4, v3
	v_cmp_gt_u32_e64 s[0:1], 56, v7
	s_waitcnt lgkmcnt(0)
	v_add_f32_e32 v4, v3, v4
	;; [unrolled: 7-line block ×4, first 2 shown]
	v_cndmask_b32_e64 v9, 0, 1, s[0:1]
	v_lshlrev_b32_e32 v9, 1, v9
	v_add_lshl_u32 v5, v9, v6, 2
	ds_bpermute_b32 v9, v5, v8
	v_cmp_ne_u32_e64 s[0:1], 63, v7
	s_waitcnt lgkmcnt(0)
	v_add_f32_e32 v7, v8, v9
	v_addc_co_u32_e64 v6, s[0:1], 0, v6, s[0:1]
	v_lshlrev_b32_e32 v6, 2, v6
	ds_bpermute_b32 v8, v6, v7
	v_cmp_eq_u32_e64 s[0:1], 0, v2
	s_and_saveexec_b64 s[4:5], s[0:1]
	s_cbranch_execz .LBB408_18
; %bb.17:
	v_lshrrev_b32_e32 v2, 4, v0
	v_and_b32_e32 v2, 60, v2
	s_waitcnt lgkmcnt(0)
	v_add_f32_e32 v7, v7, v8
	ds_write_b32 v2, v7
.LBB408_18:
	s_or_b64 exec, exec, s[4:5]
	v_cmp_gt_u32_e64 s[0:1], 16, v0
	v_mov_b32_e32 v2, 0
	s_waitcnt lgkmcnt(0)
	s_barrier
	s_and_saveexec_b64 s[4:5], s[0:1]
	s_cbranch_execz .LBB408_20
; %bb.19:
	ds_read_b32 v2, v1
	s_or_b64 exec, exec, s[4:5]
	s_and_saveexec_b64 s[0:1], vcc
	s_cbranch_execz .LBB408_22
	s_branch .LBB408_21
.LBB408_20:
	s_or_b64 exec, exec, s[4:5]
	s_and_saveexec_b64 s[0:1], vcc
	s_cbranch_execz .LBB408_22
.LBB408_21:
	s_waitcnt lgkmcnt(0)
	ds_bpermute_b32 v1, v3, v2
	s_waitcnt lgkmcnt(0)
	v_add_f32_e32 v1, v2, v1
	ds_bpermute_b32 v2, v4, v1
	s_waitcnt lgkmcnt(0)
	v_add_f32_e32 v1, v1, v2
	;; [unrolled: 3-line block ×4, first 2 shown]
.LBB408_22:
	s_or_b64 exec, exec, s[0:1]
	v_cmp_eq_u32_e32 vcc, 0, v0
                                        ; implicit-def: $vgpr1
                                        ; implicit-def: $sgpr14_sgpr15
	s_and_saveexec_b64 s[0:1], vcc
	s_cbranch_execz .LBB408_26
; %bb.23:
	v_cmp_eq_f32_e64 s[4:5], s22, 0
	s_mul_i32 s14, s2, s24
	s_waitcnt lgkmcnt(0)
	v_mul_f32_e32 v0, s23, v2
	s_ashr_i32 s15, s14, 31
	s_and_b64 vcc, exec, s[4:5]
	s_cbranch_vccnz .LBB408_25
; %bb.24:
	s_lshl_b64 s[2:3], s[14:15], 1
	s_add_u32 s2, s20, s2
	s_addc_u32 s3, s21, s3
	v_mov_b32_e32 v1, 0
	global_load_ushort v1, v1, s[2:3]
	s_waitcnt vmcnt(0)
	v_fma_mix_f32 v0, s22, v1, v0 op_sel_hi:[0,1,0]
.LBB408_25:
	v_cvt_f16_f32_e32 v1, v0
	s_or_b64 s[6:7], s[6:7], exec
.LBB408_26:
	s_or_b64 exec, exec, s[0:1]
.LBB408_27:
	s_and_saveexec_b64 s[0:1], s[6:7]
	s_cbranch_execz .LBB408_29
; %bb.28:
	s_lshl_b64 s[0:1], s[14:15], 1
	s_add_u32 s0, s20, s0
	s_addc_u32 s1, s21, s1
	v_mov_b32_e32 v0, 0
	global_store_short v0, v1, s[0:1]
.LBB408_29:
	s_endpgm
	.section	.rodata,"a",@progbits
	.p2align	6, 0x0
	.amdhsa_kernel _ZL32rocblas_gemvt_warp_reduce_kernelILb0ELi1024EiDF16_PKfDF16_EviiT3_lPKT2_lT1_lS5_lS6_lS2_lPT4_lS6_li
		.amdhsa_group_segment_fixed_size 256
		.amdhsa_private_segment_fixed_size 0
		.amdhsa_kernarg_size 140
		.amdhsa_user_sgpr_count 2
		.amdhsa_user_sgpr_dispatch_ptr 0
		.amdhsa_user_sgpr_queue_ptr 0
		.amdhsa_user_sgpr_kernarg_segment_ptr 1
		.amdhsa_user_sgpr_dispatch_id 0
		.amdhsa_user_sgpr_kernarg_preload_length 0
		.amdhsa_user_sgpr_kernarg_preload_offset 0
		.amdhsa_user_sgpr_private_segment_size 0
		.amdhsa_uses_dynamic_stack 0
		.amdhsa_enable_private_segment 0
		.amdhsa_system_sgpr_workgroup_id_x 1
		.amdhsa_system_sgpr_workgroup_id_y 0
		.amdhsa_system_sgpr_workgroup_id_z 1
		.amdhsa_system_sgpr_workgroup_info 0
		.amdhsa_system_vgpr_workitem_id 0
		.amdhsa_next_free_vgpr 12
		.amdhsa_next_free_sgpr 26
		.amdhsa_accum_offset 12
		.amdhsa_reserve_vcc 1
		.amdhsa_float_round_mode_32 0
		.amdhsa_float_round_mode_16_64 0
		.amdhsa_float_denorm_mode_32 3
		.amdhsa_float_denorm_mode_16_64 3
		.amdhsa_dx10_clamp 1
		.amdhsa_ieee_mode 1
		.amdhsa_fp16_overflow 0
		.amdhsa_tg_split 0
		.amdhsa_exception_fp_ieee_invalid_op 0
		.amdhsa_exception_fp_denorm_src 0
		.amdhsa_exception_fp_ieee_div_zero 0
		.amdhsa_exception_fp_ieee_overflow 0
		.amdhsa_exception_fp_ieee_underflow 0
		.amdhsa_exception_fp_ieee_inexact 0
		.amdhsa_exception_int_div_zero 0
	.end_amdhsa_kernel
	.section	.text._ZL32rocblas_gemvt_warp_reduce_kernelILb0ELi1024EiDF16_PKfDF16_EviiT3_lPKT2_lT1_lS5_lS6_lS2_lPT4_lS6_li,"axG",@progbits,_ZL32rocblas_gemvt_warp_reduce_kernelILb0ELi1024EiDF16_PKfDF16_EviiT3_lPKT2_lT1_lS5_lS6_lS2_lPT4_lS6_li,comdat
.Lfunc_end408:
	.size	_ZL32rocblas_gemvt_warp_reduce_kernelILb0ELi1024EiDF16_PKfDF16_EviiT3_lPKT2_lT1_lS5_lS6_lS2_lPT4_lS6_li, .Lfunc_end408-_ZL32rocblas_gemvt_warp_reduce_kernelILb0ELi1024EiDF16_PKfDF16_EviiT3_lPKT2_lT1_lS5_lS6_lS2_lPT4_lS6_li
                                        ; -- End function
	.section	.AMDGPU.csdata,"",@progbits
; Kernel info:
; codeLenInByte = 1396
; NumSgprs: 32
; NumVgprs: 12
; NumAgprs: 0
; TotalNumVgprs: 12
; ScratchSize: 0
; MemoryBound: 0
; FloatMode: 240
; IeeeMode: 1
; LDSByteSize: 256 bytes/workgroup (compile time only)
; SGPRBlocks: 3
; VGPRBlocks: 1
; NumSGPRsForWavesPerEU: 32
; NumVGPRsForWavesPerEU: 12
; AccumOffset: 12
; Occupancy: 8
; WaveLimiterHint : 1
; COMPUTE_PGM_RSRC2:SCRATCH_EN: 0
; COMPUTE_PGM_RSRC2:USER_SGPR: 2
; COMPUTE_PGM_RSRC2:TRAP_HANDLER: 0
; COMPUTE_PGM_RSRC2:TGID_X_EN: 1
; COMPUTE_PGM_RSRC2:TGID_Y_EN: 0
; COMPUTE_PGM_RSRC2:TGID_Z_EN: 1
; COMPUTE_PGM_RSRC2:TIDIG_COMP_CNT: 0
; COMPUTE_PGM_RSRC3_GFX90A:ACCUM_OFFSET: 2
; COMPUTE_PGM_RSRC3_GFX90A:TG_SPLIT: 0
	.section	.text._ZL32rocblas_gemvt_warp_reduce_kernelILb0ELi1024ElDF16_PKfDF16_EviiT3_lPKT2_lT1_lS5_lS6_lS2_lPT4_lS6_li,"axG",@progbits,_ZL32rocblas_gemvt_warp_reduce_kernelILb0ELi1024ElDF16_PKfDF16_EviiT3_lPKT2_lT1_lS5_lS6_lS2_lPT4_lS6_li,comdat
	.globl	_ZL32rocblas_gemvt_warp_reduce_kernelILb0ELi1024ElDF16_PKfDF16_EviiT3_lPKT2_lT1_lS5_lS6_lS2_lPT4_lS6_li ; -- Begin function _ZL32rocblas_gemvt_warp_reduce_kernelILb0ELi1024ElDF16_PKfDF16_EviiT3_lPKT2_lT1_lS5_lS6_lS2_lPT4_lS6_li
	.p2align	8
	.type	_ZL32rocblas_gemvt_warp_reduce_kernelILb0ELi1024ElDF16_PKfDF16_EviiT3_lPKT2_lT1_lS5_lS6_lS2_lPT4_lS6_li,@function
_ZL32rocblas_gemvt_warp_reduce_kernelILb0ELi1024ElDF16_PKfDF16_EviiT3_lPKT2_lT1_lS5_lS6_lS2_lPT4_lS6_li: ; @_ZL32rocblas_gemvt_warp_reduce_kernelILb0ELi1024ElDF16_PKfDF16_EviiT3_lPKT2_lT1_lS5_lS6_lS2_lPT4_lS6_li
; %bb.0:
	s_load_dwordx16 s[36:51], s[0:1], 0x8
	s_load_dwordx16 s[8:23], s[0:1], 0x48
	s_waitcnt lgkmcnt(0)
	s_mul_i32 s4, s3, s39
	s_mul_hi_u32 s5, s3, s38
	s_add_i32 s5, s5, s4
	s_mul_i32 s4, s3, s38
	s_lshl_b64 s[4:5], s[4:5], 2
	s_add_u32 s4, s36, s4
	s_addc_u32 s5, s37, s5
	s_load_dword s25, s[4:5], 0x0
	s_mul_i32 s4, s3, s15
	s_mul_hi_u32 s5, s3, s14
	s_add_i32 s5, s5, s4
	s_mul_i32 s4, s3, s14
	s_lshl_b64 s[4:5], s[4:5], 2
	s_add_u32 s4, s12, s4
	s_addc_u32 s5, s13, s5
	s_load_dword s24, s[4:5], 0x0
	s_waitcnt lgkmcnt(0)
	v_cmp_eq_f32_e64 s[4:5], s25, 0
	v_cmp_eq_f32_e64 s[6:7], s24, 1.0
	s_and_b64 s[4:5], s[4:5], s[6:7]
	s_and_b64 vcc, exec, s[4:5]
	s_cbranch_vccnz .LBB409_29
; %bb.1:
	s_mul_i32 s4, s3, s23
	s_mul_hi_u32 s5, s3, s22
	s_add_i32 s5, s5, s4
	s_mul_i32 s4, s3, s22
	s_lshl_b64 s[4:5], s[4:5], 1
	s_add_u32 s6, s16, s4
	s_addc_u32 s7, s17, s5
	s_lshl_b64 s[4:5], s[18:19], 1
	s_add_u32 s18, s6, s4
	s_addc_u32 s19, s7, s5
	v_cmp_neq_f32_e64 s[4:5], s25, 0
	s_and_b64 vcc, exec, s[4:5]
	v_cmp_eq_u32_e64 s[4:5], 0, v0
	s_cbranch_vccnz .LBB409_5
; %bb.2:
	s_mov_b64 s[14:15], 0
	s_mov_b64 s[6:7], 0
                                        ; implicit-def: $vgpr1
                                        ; implicit-def: $sgpr12_sgpr13
	s_and_saveexec_b64 s[16:17], s[4:5]
	s_cbranch_execz .LBB409_6
; %bb.3:
	s_ashr_i32 s6, s2, 31
	s_mul_i32 s7, s2, s21
	s_mul_hi_u32 s12, s2, s20
	v_cmp_eq_f32_e64 s[4:5], s24, 0
	s_add_i32 s7, s12, s7
	s_mul_i32 s6, s6, s20
	s_add_i32 s13, s7, s6
	s_mul_i32 s12, s2, s20
	s_and_b64 vcc, exec, s[4:5]
	s_cbranch_vccnz .LBB409_7
; %bb.4:
	s_lshl_b64 s[4:5], s[12:13], 1
	s_add_u32 s4, s18, s4
	s_addc_u32 s5, s19, s5
	v_mov_b32_e32 v1, 0
	global_load_ushort v1, v1, s[4:5]
	s_waitcnt vmcnt(0)
	v_fma_mixlo_f16 v1, s24, v1, 0 op_sel_hi:[0,1,0]
	s_mov_b64 s[6:7], exec
	s_or_b64 exec, exec, s[16:17]
	s_and_b64 vcc, exec, s[14:15]
	s_cbranch_vccz .LBB409_27
	s_branch .LBB409_8
.LBB409_5:
	s_mov_b64 s[6:7], 0
                                        ; implicit-def: $vgpr1
                                        ; implicit-def: $sgpr12_sgpr13
	s_cbranch_execnz .LBB409_8
	s_branch .LBB409_27
.LBB409_6:
	s_or_b64 exec, exec, s[16:17]
	s_and_b64 vcc, exec, s[14:15]
	s_cbranch_vccnz .LBB409_8
	s_branch .LBB409_27
.LBB409_7:
	v_mov_b32_e32 v1, 0
	s_mov_b64 s[6:7], exec
	s_or_b64 exec, exec, s[16:17]
	s_and_b64 vcc, exec, s[14:15]
	s_cbranch_vccz .LBB409_27
.LBB409_8:
	s_mul_i32 s4, s3, s11
	s_mul_hi_u32 s5, s3, s10
	s_add_i32 s5, s5, s4
	s_mul_i32 s4, s3, s10
	s_load_dword s1, s[0:1], 0x0
	s_mul_i32 s0, s3, s47
	s_mul_hi_u32 s10, s3, s46
	s_add_i32 s11, s10, s0
	s_mul_i32 s10, s3, s46
	s_lshl_b64 s[10:11], s[10:11], 1
	s_add_u32 s0, s40, s10
	s_addc_u32 s3, s41, s11
	s_lshl_b64 s[10:11], s[42:43], 1
	s_add_u32 s0, s0, s10
	s_addc_u32 s12, s3, s11
	s_ashr_i32 s3, s2, 31
	s_mul_i32 s10, s2, s45
	s_mul_hi_u32 s11, s2, s44
	s_add_i32 s10, s11, s10
	s_mul_i32 s11, s3, s44
	s_add_i32 s11, s10, s11
	s_mul_i32 s10, s2, s44
	s_lshl_b64 s[10:11], s[10:11], 1
	s_add_u32 s10, s10, s0
	s_addc_u32 s11, s11, s12
	s_waitcnt lgkmcnt(0)
	s_ashr_i32 s0, s1, 31
	v_cmp_gt_i32_e32 vcc, s1, v0
	s_lshr_b32 s0, s0, 22
	s_add_i32 s0, s1, s0
	v_cndmask_b32_e32 v1, 0, v0, vcc
	v_lshlrev_b32_e32 v2, 1, v1
	v_mov_b32_e32 v3, 0
	s_and_b32 s0, s0, 0xfffffc00
	v_lshl_add_u64 v[4:5], s[10:11], 0, v[2:3]
	v_cmp_gt_i32_e32 vcc, s0, v0
	s_and_saveexec_b64 s[10:11], vcc
	s_cbranch_execz .LBB409_12
; %bb.9:
	v_mad_u64_u32 v[2:3], s[14:15], s8, v0, 0
	v_mov_b32_e32 v6, v3
	v_mad_u64_u32 v[6:7], s[14:15], s9, v0, v[6:7]
	s_lshl_b64 s[12:13], s[4:5], 1
	s_lshl_b64 s[14:15], s[50:51], 1
	s_add_u32 s14, s48, s14
	s_addc_u32 s15, s49, s15
	s_add_u32 s12, s14, s12
	v_mov_b32_e32 v3, v6
	s_addc_u32 s13, s15, s13
	v_lshl_add_u64 v[6:7], v[2:3], 1, s[12:13]
	s_lshl_b64 s[14:15], s[8:9], 11
	s_mov_b64 s[12:13], 0
	v_mov_b32_e32 v3, 0
	s_mov_b64 s[16:17], 0x800
	v_mov_b64_e32 v[8:9], v[4:5]
	v_mov_b32_e32 v1, v0
.LBB409_10:                             ; =>This Inner Loop Header: Depth=1
	global_load_ushort v2, v[8:9], off
	global_load_ushort v10, v[6:7], off
	v_add_u32_e32 v1, 0x400, v1
	v_cmp_le_i32_e32 vcc, s0, v1
	v_lshl_add_u64 v[8:9], v[8:9], 0, s[16:17]
	v_lshl_add_u64 v[6:7], v[6:7], 0, s[14:15]
	s_or_b64 s[12:13], vcc, s[12:13]
	s_waitcnt vmcnt(0)
	v_mul_f16_e32 v2, v2, v10
	v_cvt_f32_f16_e32 v2, v2
	v_add_f32_e32 v3, v3, v2
	s_andn2_b64 exec, exec, s[12:13]
	s_cbranch_execnz .LBB409_10
; %bb.11:
	s_or_b64 exec, exec, s[12:13]
.LBB409_12:
	s_or_b64 exec, exec, s[10:11]
	v_or_b32_e32 v1, s0, v0
	v_cmp_gt_i32_e32 vcc, s1, v1
	s_and_saveexec_b64 s[10:11], vcc
	s_cbranch_execz .LBB409_14
; %bb.13:
	s_lshl_b64 s[4:5], s[4:5], 1
	s_add_u32 s1, s48, s4
	s_addc_u32 s12, s49, s5
	s_lshl_b64 s[4:5], s[50:51], 1
	s_add_u32 s4, s1, s4
	s_addc_u32 s5, s12, s5
	s_ashr_i32 s1, s0, 31
	v_lshl_add_u64 v[4:5], s[0:1], 1, v[4:5]
	global_load_ushort v2, v[4:5], off
	v_ashrrev_i32_e32 v4, 31, v1
	v_mul_lo_u32 v6, v1, s9
	v_mul_lo_u32 v7, v4, s8
	v_mad_u64_u32 v[4:5], s[0:1], v1, s8, 0
	v_add3_u32 v5, v5, v6, v7
	v_lshl_add_u64 v[4:5], v[4:5], 1, s[4:5]
	global_load_ushort v1, v[4:5], off
	s_waitcnt vmcnt(0)
	v_mul_f16_e32 v1, v2, v1
	v_cvt_f32_f16_e32 v1, v1
	v_add_f32_e32 v3, v3, v1
.LBB409_14:
	s_or_b64 exec, exec, s[10:11]
	v_and_b32_e32 v2, 63, v0
	v_cmp_gt_u32_e32 vcc, 64, v0
	v_lshlrev_b32_e32 v1, 2, v2
	s_and_saveexec_b64 s[0:1], vcc
	s_cbranch_execz .LBB409_16
; %bb.15:
	v_mov_b32_e32 v4, 0
	ds_write_b32 v1, v4
.LBB409_16:
	s_or_b64 exec, exec, s[0:1]
	v_mbcnt_lo_u32_b32 v4, -1, 0
	v_mbcnt_hi_u32_b32 v6, -1, v4
	v_and_b32_e32 v7, 63, v6
	v_cmp_gt_u32_e64 s[0:1], 32, v7
	s_waitcnt lgkmcnt(0)
	s_barrier
	v_cndmask_b32_e64 v4, 0, 1, s[0:1]
	v_lshlrev_b32_e32 v4, 5, v4
	v_add_lshl_u32 v4, v4, v6, 2
	ds_bpermute_b32 v4, v4, v3
	v_cmp_gt_u32_e64 s[0:1], 48, v7
	s_waitcnt lgkmcnt(0)
	v_add_f32_e32 v3, v3, v4
	v_cndmask_b32_e64 v5, 0, 1, s[0:1]
	v_lshlrev_b32_e32 v5, 4, v5
	v_add_lshl_u32 v4, v5, v6, 2
	ds_bpermute_b32 v4, v4, v3
	v_cmp_gt_u32_e64 s[0:1], 56, v7
	s_waitcnt lgkmcnt(0)
	v_add_f32_e32 v4, v3, v4
	;; [unrolled: 7-line block ×4, first 2 shown]
	v_cndmask_b32_e64 v9, 0, 1, s[0:1]
	v_lshlrev_b32_e32 v9, 1, v9
	v_add_lshl_u32 v5, v9, v6, 2
	ds_bpermute_b32 v9, v5, v8
	v_cmp_ne_u32_e64 s[0:1], 63, v7
	s_waitcnt lgkmcnt(0)
	v_add_f32_e32 v7, v8, v9
	v_addc_co_u32_e64 v6, s[0:1], 0, v6, s[0:1]
	v_lshlrev_b32_e32 v6, 2, v6
	ds_bpermute_b32 v8, v6, v7
	v_cmp_eq_u32_e64 s[0:1], 0, v2
	s_and_saveexec_b64 s[4:5], s[0:1]
	s_cbranch_execz .LBB409_18
; %bb.17:
	v_lshrrev_b32_e32 v2, 4, v0
	v_and_b32_e32 v2, 60, v2
	s_waitcnt lgkmcnt(0)
	v_add_f32_e32 v7, v7, v8
	ds_write_b32 v2, v7
.LBB409_18:
	s_or_b64 exec, exec, s[4:5]
	v_cmp_gt_u32_e64 s[0:1], 16, v0
	v_mov_b32_e32 v2, 0
	s_waitcnt lgkmcnt(0)
	s_barrier
	s_and_saveexec_b64 s[4:5], s[0:1]
	s_cbranch_execz .LBB409_20
; %bb.19:
	ds_read_b32 v2, v1
	s_or_b64 exec, exec, s[4:5]
	s_and_saveexec_b64 s[0:1], vcc
	s_cbranch_execz .LBB409_22
	s_branch .LBB409_21
.LBB409_20:
	s_or_b64 exec, exec, s[4:5]
	s_and_saveexec_b64 s[0:1], vcc
	s_cbranch_execz .LBB409_22
.LBB409_21:
	s_waitcnt lgkmcnt(0)
	ds_bpermute_b32 v1, v3, v2
	s_waitcnt lgkmcnt(0)
	v_add_f32_e32 v1, v2, v1
	ds_bpermute_b32 v2, v4, v1
	s_waitcnt lgkmcnt(0)
	v_add_f32_e32 v1, v1, v2
	;; [unrolled: 3-line block ×4, first 2 shown]
.LBB409_22:
	s_or_b64 exec, exec, s[0:1]
	v_cmp_eq_u32_e32 vcc, 0, v0
                                        ; implicit-def: $vgpr1
                                        ; implicit-def: $sgpr12_sgpr13
	s_and_saveexec_b64 s[0:1], vcc
	s_cbranch_execz .LBB409_26
; %bb.23:
	s_mul_i32 s8, s2, s21
	s_mul_hi_u32 s9, s2, s20
	v_cmp_eq_f32_e64 s[4:5], s24, 0
	s_add_i32 s8, s9, s8
	s_mul_i32 s3, s3, s20
	s_waitcnt lgkmcnt(0)
	v_mul_f32_e32 v0, s25, v2
	s_add_i32 s13, s8, s3
	s_mul_i32 s12, s2, s20
	s_and_b64 vcc, exec, s[4:5]
	s_cbranch_vccnz .LBB409_25
; %bb.24:
	s_lshl_b64 s[2:3], s[12:13], 1
	s_add_u32 s2, s18, s2
	s_addc_u32 s3, s19, s3
	v_mov_b32_e32 v1, 0
	global_load_ushort v1, v1, s[2:3]
	s_waitcnt vmcnt(0)
	v_fma_mix_f32 v0, s24, v1, v0 op_sel_hi:[0,1,0]
.LBB409_25:
	v_cvt_f16_f32_e32 v1, v0
	s_or_b64 s[6:7], s[6:7], exec
.LBB409_26:
	s_or_b64 exec, exec, s[0:1]
.LBB409_27:
	s_and_saveexec_b64 s[0:1], s[6:7]
	s_cbranch_execz .LBB409_29
; %bb.28:
	s_lshl_b64 s[0:1], s[12:13], 1
	s_add_u32 s0, s18, s0
	s_addc_u32 s1, s19, s1
	v_mov_b32_e32 v0, 0
	global_store_short v0, v1, s[0:1]
.LBB409_29:
	s_endpgm
	.section	.rodata,"a",@progbits
	.p2align	6, 0x0
	.amdhsa_kernel _ZL32rocblas_gemvt_warp_reduce_kernelILb0ELi1024ElDF16_PKfDF16_EviiT3_lPKT2_lT1_lS5_lS6_lS2_lPT4_lS6_li
		.amdhsa_group_segment_fixed_size 256
		.amdhsa_private_segment_fixed_size 0
		.amdhsa_kernarg_size 140
		.amdhsa_user_sgpr_count 2
		.amdhsa_user_sgpr_dispatch_ptr 0
		.amdhsa_user_sgpr_queue_ptr 0
		.amdhsa_user_sgpr_kernarg_segment_ptr 1
		.amdhsa_user_sgpr_dispatch_id 0
		.amdhsa_user_sgpr_kernarg_preload_length 0
		.amdhsa_user_sgpr_kernarg_preload_offset 0
		.amdhsa_user_sgpr_private_segment_size 0
		.amdhsa_uses_dynamic_stack 0
		.amdhsa_enable_private_segment 0
		.amdhsa_system_sgpr_workgroup_id_x 1
		.amdhsa_system_sgpr_workgroup_id_y 0
		.amdhsa_system_sgpr_workgroup_id_z 1
		.amdhsa_system_sgpr_workgroup_info 0
		.amdhsa_system_vgpr_workitem_id 0
		.amdhsa_next_free_vgpr 11
		.amdhsa_next_free_sgpr 52
		.amdhsa_accum_offset 12
		.amdhsa_reserve_vcc 1
		.amdhsa_float_round_mode_32 0
		.amdhsa_float_round_mode_16_64 0
		.amdhsa_float_denorm_mode_32 3
		.amdhsa_float_denorm_mode_16_64 3
		.amdhsa_dx10_clamp 1
		.amdhsa_ieee_mode 1
		.amdhsa_fp16_overflow 0
		.amdhsa_tg_split 0
		.amdhsa_exception_fp_ieee_invalid_op 0
		.amdhsa_exception_fp_denorm_src 0
		.amdhsa_exception_fp_ieee_div_zero 0
		.amdhsa_exception_fp_ieee_overflow 0
		.amdhsa_exception_fp_ieee_underflow 0
		.amdhsa_exception_fp_ieee_inexact 0
		.amdhsa_exception_int_div_zero 0
	.end_amdhsa_kernel
	.section	.text._ZL32rocblas_gemvt_warp_reduce_kernelILb0ELi1024ElDF16_PKfDF16_EviiT3_lPKT2_lT1_lS5_lS6_lS2_lPT4_lS6_li,"axG",@progbits,_ZL32rocblas_gemvt_warp_reduce_kernelILb0ELi1024ElDF16_PKfDF16_EviiT3_lPKT2_lT1_lS5_lS6_lS2_lPT4_lS6_li,comdat
.Lfunc_end409:
	.size	_ZL32rocblas_gemvt_warp_reduce_kernelILb0ELi1024ElDF16_PKfDF16_EviiT3_lPKT2_lT1_lS5_lS6_lS2_lPT4_lS6_li, .Lfunc_end409-_ZL32rocblas_gemvt_warp_reduce_kernelILb0ELi1024ElDF16_PKfDF16_EviiT3_lPKT2_lT1_lS5_lS6_lS2_lPT4_lS6_li
                                        ; -- End function
	.section	.AMDGPU.csdata,"",@progbits
; Kernel info:
; codeLenInByte = 1448
; NumSgprs: 58
; NumVgprs: 11
; NumAgprs: 0
; TotalNumVgprs: 11
; ScratchSize: 0
; MemoryBound: 0
; FloatMode: 240
; IeeeMode: 1
; LDSByteSize: 256 bytes/workgroup (compile time only)
; SGPRBlocks: 7
; VGPRBlocks: 1
; NumSGPRsForWavesPerEU: 58
; NumVGPRsForWavesPerEU: 11
; AccumOffset: 12
; Occupancy: 8
; WaveLimiterHint : 0
; COMPUTE_PGM_RSRC2:SCRATCH_EN: 0
; COMPUTE_PGM_RSRC2:USER_SGPR: 2
; COMPUTE_PGM_RSRC2:TRAP_HANDLER: 0
; COMPUTE_PGM_RSRC2:TGID_X_EN: 1
; COMPUTE_PGM_RSRC2:TGID_Y_EN: 0
; COMPUTE_PGM_RSRC2:TGID_Z_EN: 1
; COMPUTE_PGM_RSRC2:TIDIG_COMP_CNT: 0
; COMPUTE_PGM_RSRC3_GFX90A:ACCUM_OFFSET: 2
; COMPUTE_PGM_RSRC3_GFX90A:TG_SPLIT: 0
	.section	.text._ZL32rocblas_gemvt_warp_reduce_kernelILb0ELi1024EiDF16_fDF16_EviiT3_lPKT2_lT1_lS3_lS4_lS0_lPT4_lS4_li,"axG",@progbits,_ZL32rocblas_gemvt_warp_reduce_kernelILb0ELi1024EiDF16_fDF16_EviiT3_lPKT2_lT1_lS3_lS4_lS0_lPT4_lS4_li,comdat
	.globl	_ZL32rocblas_gemvt_warp_reduce_kernelILb0ELi1024EiDF16_fDF16_EviiT3_lPKT2_lT1_lS3_lS4_lS0_lPT4_lS4_li ; -- Begin function _ZL32rocblas_gemvt_warp_reduce_kernelILb0ELi1024EiDF16_fDF16_EviiT3_lPKT2_lT1_lS3_lS4_lS0_lPT4_lS4_li
	.p2align	8
	.type	_ZL32rocblas_gemvt_warp_reduce_kernelILb0ELi1024EiDF16_fDF16_EviiT3_lPKT2_lT1_lS3_lS4_lS0_lPT4_lS4_li,@function
_ZL32rocblas_gemvt_warp_reduce_kernelILb0ELi1024EiDF16_fDF16_EviiT3_lPKT2_lT1_lS3_lS4_lS0_lPT4_lS4_li: ; @_ZL32rocblas_gemvt_warp_reduce_kernelILb0ELi1024EiDF16_fDF16_EviiT3_lPKT2_lT1_lS3_lS4_lS0_lPT4_lS4_li
; %bb.0:
	s_load_dword s17, s[0:1], 0x8
	s_load_dword s16, s[0:1], 0x58
	s_waitcnt lgkmcnt(0)
	v_cmp_eq_f32_e64 s[4:5], s17, 0
	v_cmp_eq_f32_e64 s[6:7], s16, 1.0
	s_and_b64 s[4:5], s[4:5], s[6:7]
	s_and_b64 vcc, exec, s[4:5]
	s_cbranch_vccnz .LBB410_29
; %bb.1:
	s_load_dwordx2 s[8:9], s[0:1], 0x80
	s_load_dwordx4 s[4:7], s[0:1], 0x68
	s_load_dword s18, s[0:1], 0x78
	s_waitcnt lgkmcnt(0)
	s_mul_i32 s9, s3, s9
	s_mul_hi_u32 s10, s3, s8
	s_mul_i32 s8, s3, s8
	s_add_i32 s9, s10, s9
	s_lshl_b64 s[8:9], s[8:9], 1
	s_add_u32 s8, s4, s8
	s_addc_u32 s9, s5, s9
	s_lshl_b64 s[4:5], s[6:7], 1
	s_add_u32 s14, s8, s4
	s_addc_u32 s15, s9, s5
	v_cmp_neq_f32_e64 s[4:5], s17, 0
	s_and_b64 vcc, exec, s[4:5]
	v_cmp_eq_u32_e64 s[4:5], 0, v0
	s_cbranch_vccnz .LBB410_5
; %bb.2:
	s_mov_b64 s[10:11], 0
	s_mov_b64 s[6:7], 0
                                        ; implicit-def: $vgpr1
                                        ; implicit-def: $sgpr8_sgpr9
	s_and_saveexec_b64 s[12:13], s[4:5]
	s_cbranch_execz .LBB410_6
; %bb.3:
	v_cmp_eq_f32_e64 s[4:5], s16, 0
	s_mul_i32 s8, s2, s18
	s_ashr_i32 s9, s8, 31
	s_and_b64 vcc, exec, s[4:5]
	s_cbranch_vccnz .LBB410_7
; %bb.4:
	s_lshl_b64 s[4:5], s[8:9], 1
	s_add_u32 s4, s14, s4
	s_addc_u32 s5, s15, s5
	v_mov_b32_e32 v1, 0
	global_load_ushort v1, v1, s[4:5]
	s_waitcnt vmcnt(0)
	v_fma_mixlo_f16 v1, v1, s16, 0 op_sel_hi:[1,0,0]
	s_mov_b64 s[6:7], exec
	s_or_b64 exec, exec, s[12:13]
	s_and_b64 vcc, exec, s[10:11]
	s_cbranch_vccz .LBB410_27
	s_branch .LBB410_8
.LBB410_5:
	s_mov_b64 s[6:7], 0
                                        ; implicit-def: $vgpr1
                                        ; implicit-def: $sgpr8_sgpr9
	s_cbranch_execnz .LBB410_8
	s_branch .LBB410_27
.LBB410_6:
	s_or_b64 exec, exec, s[12:13]
	s_and_b64 vcc, exec, s[10:11]
	s_cbranch_vccnz .LBB410_8
	s_branch .LBB410_27
.LBB410_7:
	v_mov_b32_e32 v1, 0
	s_mov_b64 s[6:7], exec
	s_or_b64 exec, exec, s[12:13]
	s_and_b64 vcc, exec, s[10:11]
	s_cbranch_vccz .LBB410_27
.LBB410_8:
	s_load_dwordx2 s[12:13], s[0:1], 0x50
	s_load_dword s5, s[0:1], 0x0
	s_load_dwordx4 s[8:11], s[0:1], 0x18
	s_load_dword s4, s[0:1], 0x28
	s_load_dwordx4 s[20:23], s[0:1], 0x30
	s_load_dwordx2 s[24:25], s[0:1], 0x40
	s_load_dword s19, s[0:1], 0x48
	s_waitcnt lgkmcnt(0)
	s_mul_i32 s0, s3, s13
	s_mul_hi_u32 s1, s3, s12
	s_add_i32 s1, s1, s0
	s_mul_i32 s0, s3, s12
	s_lshl_b64 s[0:1], s[0:1], 1
	s_add_u32 s12, s22, s0
	s_addc_u32 s13, s23, s1
	s_lshl_b64 s[0:1], s[24:25], 1
	s_add_u32 s0, s12, s0
	s_addc_u32 s1, s13, s1
	s_mul_i32 s12, s3, s21
	s_mul_hi_u32 s13, s3, s20
	s_add_i32 s13, s13, s12
	s_mul_i32 s12, s3, s20
	s_lshl_b64 s[12:13], s[12:13], 1
	s_add_u32 s3, s8, s12
	s_addc_u32 s12, s9, s13
	s_lshl_b64 s[8:9], s[10:11], 1
	s_add_u32 s3, s3, s8
	s_mul_i32 s8, s2, s4
	s_addc_u32 s10, s12, s9
	s_ashr_i32 s9, s8, 31
	s_lshl_b64 s[8:9], s[8:9], 1
	s_add_u32 s8, s8, s3
	s_addc_u32 s9, s9, s10
	s_ashr_i32 s3, s5, 31
	v_cmp_gt_i32_e32 vcc, s5, v0
	s_lshr_b32 s3, s3, 22
	s_add_i32 s3, s5, s3
	v_cndmask_b32_e32 v1, 0, v0, vcc
	v_lshlrev_b32_e32 v2, 1, v1
	v_mov_b32_e32 v3, 0
	s_and_b32 s4, s3, 0xfffffc00
	v_lshl_add_u64 v[4:5], s[8:9], 0, v[2:3]
	v_cmp_gt_i32_e32 vcc, s4, v0
	s_and_saveexec_b64 s[8:9], vcc
	s_cbranch_execz .LBB410_12
; %bb.9:
	v_mul_lo_u32 v6, v0, s19
	s_lshl_b32 s3, s19, 10
	s_mov_b64 s[10:11], 0
	v_mov_b32_e32 v3, 0
	s_mov_b64 s[12:13], 0x800
	v_mov_b64_e32 v[8:9], v[4:5]
	v_mov_b32_e32 v1, v0
.LBB410_10:                             ; =>This Inner Loop Header: Depth=1
	v_ashrrev_i32_e32 v7, 31, v6
	v_lshl_add_u64 v[10:11], v[6:7], 1, s[0:1]
	global_load_ushort v2, v[8:9], off
	global_load_ushort v7, v[10:11], off
	v_add_u32_e32 v1, 0x400, v1
	v_cmp_le_i32_e32 vcc, s4, v1
	v_lshl_add_u64 v[8:9], v[8:9], 0, s[12:13]
	v_add_u32_e32 v6, s3, v6
	s_or_b64 s[10:11], vcc, s[10:11]
	s_waitcnt vmcnt(0)
	v_mul_f16_e32 v2, v2, v7
	v_cvt_f32_f16_e32 v2, v2
	v_add_f32_e32 v3, v3, v2
	s_andn2_b64 exec, exec, s[10:11]
	s_cbranch_execnz .LBB410_10
; %bb.11:
	s_or_b64 exec, exec, s[10:11]
.LBB410_12:
	s_or_b64 exec, exec, s[8:9]
	v_or_b32_e32 v1, s4, v0
	v_cmp_gt_i32_e32 vcc, s5, v1
	s_and_saveexec_b64 s[8:9], vcc
	s_cbranch_execz .LBB410_14
; %bb.13:
	s_ashr_i32 s5, s4, 31
	v_lshl_add_u64 v[4:5], s[4:5], 1, v[4:5]
	global_load_ushort v2, v[4:5], off
	v_mul_lo_u32 v4, v1, s19
	v_ashrrev_i32_e32 v5, 31, v4
	v_lshl_add_u64 v[4:5], v[4:5], 1, s[0:1]
	global_load_ushort v1, v[4:5], off
	s_waitcnt vmcnt(0)
	v_mul_f16_e32 v1, v2, v1
	v_cvt_f32_f16_e32 v1, v1
	v_add_f32_e32 v3, v3, v1
.LBB410_14:
	s_or_b64 exec, exec, s[8:9]
	v_and_b32_e32 v2, 63, v0
	v_cmp_gt_u32_e32 vcc, 64, v0
	v_lshlrev_b32_e32 v1, 2, v2
	s_and_saveexec_b64 s[0:1], vcc
	s_cbranch_execz .LBB410_16
; %bb.15:
	v_mov_b32_e32 v4, 0
	ds_write_b32 v1, v4
.LBB410_16:
	s_or_b64 exec, exec, s[0:1]
	v_mbcnt_lo_u32_b32 v4, -1, 0
	v_mbcnt_hi_u32_b32 v6, -1, v4
	v_and_b32_e32 v7, 63, v6
	v_cmp_gt_u32_e64 s[0:1], 32, v7
	s_waitcnt lgkmcnt(0)
	s_barrier
	v_cndmask_b32_e64 v4, 0, 1, s[0:1]
	v_lshlrev_b32_e32 v4, 5, v4
	v_add_lshl_u32 v4, v4, v6, 2
	ds_bpermute_b32 v4, v4, v3
	v_cmp_gt_u32_e64 s[0:1], 48, v7
	s_waitcnt lgkmcnt(0)
	v_add_f32_e32 v3, v3, v4
	v_cndmask_b32_e64 v5, 0, 1, s[0:1]
	v_lshlrev_b32_e32 v5, 4, v5
	v_add_lshl_u32 v4, v5, v6, 2
	ds_bpermute_b32 v4, v4, v3
	v_cmp_gt_u32_e64 s[0:1], 56, v7
	s_waitcnt lgkmcnt(0)
	v_add_f32_e32 v4, v3, v4
	;; [unrolled: 7-line block ×4, first 2 shown]
	v_cndmask_b32_e64 v9, 0, 1, s[0:1]
	v_lshlrev_b32_e32 v9, 1, v9
	v_add_lshl_u32 v5, v9, v6, 2
	ds_bpermute_b32 v9, v5, v8
	v_cmp_ne_u32_e64 s[0:1], 63, v7
	s_waitcnt lgkmcnt(0)
	v_add_f32_e32 v7, v8, v9
	v_addc_co_u32_e64 v6, s[0:1], 0, v6, s[0:1]
	v_lshlrev_b32_e32 v6, 2, v6
	ds_bpermute_b32 v8, v6, v7
	v_cmp_eq_u32_e64 s[0:1], 0, v2
	s_and_saveexec_b64 s[4:5], s[0:1]
	s_cbranch_execz .LBB410_18
; %bb.17:
	v_lshrrev_b32_e32 v2, 4, v0
	v_and_b32_e32 v2, 60, v2
	s_waitcnt lgkmcnt(0)
	v_add_f32_e32 v7, v7, v8
	ds_write_b32 v2, v7
.LBB410_18:
	s_or_b64 exec, exec, s[4:5]
	v_cmp_gt_u32_e64 s[0:1], 16, v0
	v_mov_b32_e32 v2, 0
	s_waitcnt lgkmcnt(0)
	s_barrier
	s_and_saveexec_b64 s[4:5], s[0:1]
	s_cbranch_execz .LBB410_20
; %bb.19:
	ds_read_b32 v2, v1
	s_or_b64 exec, exec, s[4:5]
	s_and_saveexec_b64 s[0:1], vcc
	s_cbranch_execz .LBB410_22
	s_branch .LBB410_21
.LBB410_20:
	s_or_b64 exec, exec, s[4:5]
	s_and_saveexec_b64 s[0:1], vcc
	s_cbranch_execz .LBB410_22
.LBB410_21:
	s_waitcnt lgkmcnt(0)
	ds_bpermute_b32 v1, v3, v2
	s_waitcnt lgkmcnt(0)
	v_add_f32_e32 v1, v2, v1
	ds_bpermute_b32 v2, v4, v1
	s_waitcnt lgkmcnt(0)
	v_add_f32_e32 v1, v1, v2
	;; [unrolled: 3-line block ×4, first 2 shown]
.LBB410_22:
	s_or_b64 exec, exec, s[0:1]
	v_cmp_eq_u32_e32 vcc, 0, v0
                                        ; implicit-def: $vgpr1
                                        ; implicit-def: $sgpr8_sgpr9
	s_and_saveexec_b64 s[0:1], vcc
	s_cbranch_execz .LBB410_26
; %bb.23:
	v_cmp_eq_f32_e64 s[4:5], s16, 0
	s_mul_i32 s8, s2, s18
	s_waitcnt lgkmcnt(0)
	v_mul_f32_e32 v0, s17, v2
	s_ashr_i32 s9, s8, 31
	s_and_b64 vcc, exec, s[4:5]
	s_cbranch_vccnz .LBB410_25
; %bb.24:
	s_lshl_b64 s[2:3], s[8:9], 1
	s_add_u32 s2, s14, s2
	s_addc_u32 s3, s15, s3
	v_mov_b32_e32 v1, 0
	global_load_ushort v1, v1, s[2:3]
	s_waitcnt vmcnt(0)
	v_fma_mix_f32 v0, v1, s16, v0 op_sel_hi:[1,0,0]
.LBB410_25:
	s_nop 0
	v_cvt_f16_f32_e32 v1, v0
	s_or_b64 s[6:7], s[6:7], exec
.LBB410_26:
	s_or_b64 exec, exec, s[0:1]
.LBB410_27:
	s_and_saveexec_b64 s[0:1], s[6:7]
	s_cbranch_execz .LBB410_29
; %bb.28:
	s_lshl_b64 s[0:1], s[8:9], 1
	s_add_u32 s0, s14, s0
	s_addc_u32 s1, s15, s1
	v_mov_b32_e32 v0, 0
	global_store_short v0, v1, s[0:1]
.LBB410_29:
	s_endpgm
	.section	.rodata,"a",@progbits
	.p2align	6, 0x0
	.amdhsa_kernel _ZL32rocblas_gemvt_warp_reduce_kernelILb0ELi1024EiDF16_fDF16_EviiT3_lPKT2_lT1_lS3_lS4_lS0_lPT4_lS4_li
		.amdhsa_group_segment_fixed_size 256
		.amdhsa_private_segment_fixed_size 0
		.amdhsa_kernarg_size 140
		.amdhsa_user_sgpr_count 2
		.amdhsa_user_sgpr_dispatch_ptr 0
		.amdhsa_user_sgpr_queue_ptr 0
		.amdhsa_user_sgpr_kernarg_segment_ptr 1
		.amdhsa_user_sgpr_dispatch_id 0
		.amdhsa_user_sgpr_kernarg_preload_length 0
		.amdhsa_user_sgpr_kernarg_preload_offset 0
		.amdhsa_user_sgpr_private_segment_size 0
		.amdhsa_uses_dynamic_stack 0
		.amdhsa_enable_private_segment 0
		.amdhsa_system_sgpr_workgroup_id_x 1
		.amdhsa_system_sgpr_workgroup_id_y 0
		.amdhsa_system_sgpr_workgroup_id_z 1
		.amdhsa_system_sgpr_workgroup_info 0
		.amdhsa_system_vgpr_workitem_id 0
		.amdhsa_next_free_vgpr 12
		.amdhsa_next_free_sgpr 26
		.amdhsa_accum_offset 12
		.amdhsa_reserve_vcc 1
		.amdhsa_float_round_mode_32 0
		.amdhsa_float_round_mode_16_64 0
		.amdhsa_float_denorm_mode_32 3
		.amdhsa_float_denorm_mode_16_64 3
		.amdhsa_dx10_clamp 1
		.amdhsa_ieee_mode 1
		.amdhsa_fp16_overflow 0
		.amdhsa_tg_split 0
		.amdhsa_exception_fp_ieee_invalid_op 0
		.amdhsa_exception_fp_denorm_src 0
		.amdhsa_exception_fp_ieee_div_zero 0
		.amdhsa_exception_fp_ieee_overflow 0
		.amdhsa_exception_fp_ieee_underflow 0
		.amdhsa_exception_fp_ieee_inexact 0
		.amdhsa_exception_int_div_zero 0
	.end_amdhsa_kernel
	.section	.text._ZL32rocblas_gemvt_warp_reduce_kernelILb0ELi1024EiDF16_fDF16_EviiT3_lPKT2_lT1_lS3_lS4_lS0_lPT4_lS4_li,"axG",@progbits,_ZL32rocblas_gemvt_warp_reduce_kernelILb0ELi1024EiDF16_fDF16_EviiT3_lPKT2_lT1_lS3_lS4_lS0_lPT4_lS4_li,comdat
.Lfunc_end410:
	.size	_ZL32rocblas_gemvt_warp_reduce_kernelILb0ELi1024EiDF16_fDF16_EviiT3_lPKT2_lT1_lS3_lS4_lS0_lPT4_lS4_li, .Lfunc_end410-_ZL32rocblas_gemvt_warp_reduce_kernelILb0ELi1024EiDF16_fDF16_EviiT3_lPKT2_lT1_lS3_lS4_lS0_lPT4_lS4_li
                                        ; -- End function
	.section	.AMDGPU.csdata,"",@progbits
; Kernel info:
; codeLenInByte = 1332
; NumSgprs: 32
; NumVgprs: 12
; NumAgprs: 0
; TotalNumVgprs: 12
; ScratchSize: 0
; MemoryBound: 0
; FloatMode: 240
; IeeeMode: 1
; LDSByteSize: 256 bytes/workgroup (compile time only)
; SGPRBlocks: 3
; VGPRBlocks: 1
; NumSGPRsForWavesPerEU: 32
; NumVGPRsForWavesPerEU: 12
; AccumOffset: 12
; Occupancy: 8
; WaveLimiterHint : 1
; COMPUTE_PGM_RSRC2:SCRATCH_EN: 0
; COMPUTE_PGM_RSRC2:USER_SGPR: 2
; COMPUTE_PGM_RSRC2:TRAP_HANDLER: 0
; COMPUTE_PGM_RSRC2:TGID_X_EN: 1
; COMPUTE_PGM_RSRC2:TGID_Y_EN: 0
; COMPUTE_PGM_RSRC2:TGID_Z_EN: 1
; COMPUTE_PGM_RSRC2:TIDIG_COMP_CNT: 0
; COMPUTE_PGM_RSRC3_GFX90A:ACCUM_OFFSET: 2
; COMPUTE_PGM_RSRC3_GFX90A:TG_SPLIT: 0
	.section	.text._ZL32rocblas_gemvt_warp_reduce_kernelILb0ELi1024ElDF16_fDF16_EviiT3_lPKT2_lT1_lS3_lS4_lS0_lPT4_lS4_li,"axG",@progbits,_ZL32rocblas_gemvt_warp_reduce_kernelILb0ELi1024ElDF16_fDF16_EviiT3_lPKT2_lT1_lS3_lS4_lS0_lPT4_lS4_li,comdat
	.globl	_ZL32rocblas_gemvt_warp_reduce_kernelILb0ELi1024ElDF16_fDF16_EviiT3_lPKT2_lT1_lS3_lS4_lS0_lPT4_lS4_li ; -- Begin function _ZL32rocblas_gemvt_warp_reduce_kernelILb0ELi1024ElDF16_fDF16_EviiT3_lPKT2_lT1_lS3_lS4_lS0_lPT4_lS4_li
	.p2align	8
	.type	_ZL32rocblas_gemvt_warp_reduce_kernelILb0ELi1024ElDF16_fDF16_EviiT3_lPKT2_lT1_lS3_lS4_lS0_lPT4_lS4_li,@function
_ZL32rocblas_gemvt_warp_reduce_kernelILb0ELi1024ElDF16_fDF16_EviiT3_lPKT2_lT1_lS3_lS4_lS0_lPT4_lS4_li: ; @_ZL32rocblas_gemvt_warp_reduce_kernelILb0ELi1024ElDF16_fDF16_EviiT3_lPKT2_lT1_lS3_lS4_lS0_lPT4_lS4_li
; %bb.0:
	s_load_dword s27, s[0:1], 0x8
	s_load_dword s26, s[0:1], 0x58
	s_waitcnt lgkmcnt(0)
	v_cmp_eq_f32_e64 s[4:5], s27, 0
	v_cmp_eq_f32_e64 s[6:7], s26, 1.0
	s_and_b64 s[4:5], s[4:5], s[6:7]
	s_and_b64 vcc, exec, s[4:5]
	s_cbranch_vccnz .LBB411_29
; %bb.1:
	s_load_dwordx8 s[16:23], s[0:1], 0x68
	v_cmp_neq_f32_e64 s[4:5], s27, 0
	s_waitcnt lgkmcnt(0)
	s_mul_i32 s7, s3, s23
	s_mul_hi_u32 s8, s3, s22
	s_mul_i32 s6, s3, s22
	s_add_i32 s7, s8, s7
	s_lshl_b64 s[6:7], s[6:7], 1
	s_add_u32 s8, s16, s6
	s_addc_u32 s9, s17, s7
	s_lshl_b64 s[6:7], s[18:19], 1
	s_add_u32 s24, s8, s6
	s_addc_u32 s25, s9, s7
	s_and_b64 vcc, exec, s[4:5]
	v_cmp_eq_u32_e64 s[4:5], 0, v0
	s_cbranch_vccnz .LBB411_5
; %bb.2:
	s_mov_b64 s[8:9], 0
	s_mov_b64 s[22:23], 0
                                        ; implicit-def: $vgpr1
                                        ; implicit-def: $sgpr6_sgpr7
	s_and_saveexec_b64 s[10:11], s[4:5]
	s_cbranch_execz .LBB411_6
; %bb.3:
	s_ashr_i32 s6, s2, 31
	s_mul_i32 s7, s2, s21
	s_mul_hi_u32 s12, s2, s20
	v_cmp_eq_f32_e64 s[4:5], s26, 0
	s_add_i32 s7, s12, s7
	s_mul_i32 s6, s6, s20
	s_add_i32 s7, s7, s6
	s_mul_i32 s6, s2, s20
	s_and_b64 vcc, exec, s[4:5]
	s_cbranch_vccnz .LBB411_7
; %bb.4:
	s_lshl_b64 s[4:5], s[6:7], 1
	s_add_u32 s4, s24, s4
	s_addc_u32 s5, s25, s5
	v_mov_b32_e32 v1, 0
	global_load_ushort v1, v1, s[4:5]
	s_waitcnt vmcnt(0)
	v_fma_mixlo_f16 v1, v1, s26, 0 op_sel_hi:[1,0,0]
	s_mov_b64 s[22:23], exec
	s_or_b64 exec, exec, s[10:11]
	s_and_b64 vcc, exec, s[8:9]
	s_cbranch_vccz .LBB411_27
	s_branch .LBB411_8
.LBB411_5:
	s_mov_b64 s[22:23], 0
                                        ; implicit-def: $vgpr1
                                        ; implicit-def: $sgpr6_sgpr7
	s_cbranch_execnz .LBB411_8
	s_branch .LBB411_27
.LBB411_6:
	s_or_b64 exec, exec, s[10:11]
	s_and_b64 vcc, exec, s[8:9]
	s_cbranch_vccnz .LBB411_8
	s_branch .LBB411_27
.LBB411_7:
	v_mov_b32_e32 v1, 0
	s_mov_b64 s[22:23], exec
	s_or_b64 exec, exec, s[10:11]
	s_and_b64 vcc, exec, s[8:9]
	s_cbranch_vccz .LBB411_27
.LBB411_8:
	s_load_dwordx16 s[4:19], s[0:1], 0x18
	s_load_dword s28, s[0:1], 0x0
	v_mov_b32_e32 v3, 0
	s_waitcnt lgkmcnt(0)
	s_mul_i32 s1, s3, s19
	s_mul_hi_u32 s19, s3, s18
	s_mul_i32 s0, s3, s18
	s_mul_i32 s11, s3, s11
	s_mul_hi_u32 s18, s3, s10
	s_add_i32 s11, s18, s11
	s_mul_i32 s10, s3, s10
	s_add_i32 s1, s19, s1
	s_lshl_b64 s[10:11], s[10:11], 1
	s_add_u32 s3, s4, s10
	s_addc_u32 s10, s5, s11
	s_lshl_b64 s[4:5], s[6:7], 1
	s_add_u32 s6, s3, s4
	s_addc_u32 s7, s10, s5
	s_ashr_i32 s3, s2, 31
	s_mul_i32 s4, s2, s9
	s_mul_hi_u32 s5, s2, s8
	s_add_i32 s4, s5, s4
	s_mul_i32 s5, s3, s8
	s_add_i32 s5, s4, s5
	s_mul_i32 s4, s2, s8
	v_cmp_gt_i32_e32 vcc, s28, v0
	s_lshl_b64 s[4:5], s[4:5], 1
	s_add_u32 s4, s4, s6
	v_cndmask_b32_e32 v1, 0, v0, vcc
	v_lshlrev_b32_e32 v2, 1, v1
	s_addc_u32 s5, s5, s7
	v_lshl_add_u64 v[4:5], s[4:5], 0, v[2:3]
	s_ashr_i32 s4, s28, 31
	s_lshr_b32 s4, s4, 22
	s_add_i32 s4, s28, s4
	s_and_b32 s4, s4, 0xfffffc00
	v_cmp_gt_i32_e32 vcc, s4, v0
	s_and_saveexec_b64 s[6:7], vcc
	s_cbranch_execz .LBB411_12
; %bb.9:
	v_mad_u64_u32 v[2:3], s[10:11], s16, v0, 0
	v_mov_b32_e32 v6, v3
	v_mad_u64_u32 v[6:7], s[10:11], s17, v0, v[6:7]
	s_lshl_b64 s[8:9], s[0:1], 1
	s_lshl_b64 s[10:11], s[14:15], 1
	s_add_u32 s5, s12, s10
	s_addc_u32 s10, s13, s11
	s_add_u32 s8, s5, s8
	v_mov_b32_e32 v3, v6
	s_addc_u32 s9, s10, s9
	v_lshl_add_u64 v[6:7], v[2:3], 1, s[8:9]
	s_lshl_b64 s[10:11], s[16:17], 11
	s_mov_b64 s[8:9], 0
	v_mov_b32_e32 v3, 0
	s_mov_b64 s[18:19], 0x800
	v_mov_b64_e32 v[8:9], v[4:5]
	v_mov_b32_e32 v1, v0
.LBB411_10:                             ; =>This Inner Loop Header: Depth=1
	global_load_ushort v2, v[8:9], off
	global_load_ushort v10, v[6:7], off
	v_add_u32_e32 v1, 0x400, v1
	v_cmp_le_i32_e32 vcc, s4, v1
	v_lshl_add_u64 v[8:9], v[8:9], 0, s[18:19]
	v_lshl_add_u64 v[6:7], v[6:7], 0, s[10:11]
	s_or_b64 s[8:9], vcc, s[8:9]
	s_waitcnt vmcnt(0)
	v_mul_f16_e32 v2, v2, v10
	v_cvt_f32_f16_e32 v2, v2
	v_add_f32_e32 v3, v3, v2
	s_andn2_b64 exec, exec, s[8:9]
	s_cbranch_execnz .LBB411_10
; %bb.11:
	s_or_b64 exec, exec, s[8:9]
.LBB411_12:
	s_or_b64 exec, exec, s[6:7]
	v_or_b32_e32 v1, s4, v0
	v_cmp_gt_i32_e32 vcc, s28, v1
	s_and_saveexec_b64 s[6:7], vcc
	s_cbranch_execz .LBB411_14
; %bb.13:
	s_lshl_b64 s[0:1], s[0:1], 1
	s_add_u32 s5, s12, s0
	s_addc_u32 s8, s13, s1
	s_lshl_b64 s[0:1], s[14:15], 1
	s_add_u32 s0, s5, s0
	s_addc_u32 s1, s8, s1
	s_ashr_i32 s5, s4, 31
	v_lshl_add_u64 v[4:5], s[4:5], 1, v[4:5]
	global_load_ushort v2, v[4:5], off
	v_ashrrev_i32_e32 v4, 31, v1
	v_mul_lo_u32 v6, v1, s17
	v_mul_lo_u32 v7, v4, s16
	v_mad_u64_u32 v[4:5], s[4:5], v1, s16, 0
	v_add3_u32 v5, v5, v6, v7
	v_lshl_add_u64 v[4:5], v[4:5], 1, s[0:1]
	global_load_ushort v1, v[4:5], off
	s_waitcnt vmcnt(0)
	v_mul_f16_e32 v1, v2, v1
	v_cvt_f32_f16_e32 v1, v1
	v_add_f32_e32 v3, v3, v1
.LBB411_14:
	s_or_b64 exec, exec, s[6:7]
	v_and_b32_e32 v2, 63, v0
	v_cmp_gt_u32_e32 vcc, 64, v0
	v_lshlrev_b32_e32 v1, 2, v2
	s_and_saveexec_b64 s[0:1], vcc
	s_cbranch_execz .LBB411_16
; %bb.15:
	v_mov_b32_e32 v4, 0
	ds_write_b32 v1, v4
.LBB411_16:
	s_or_b64 exec, exec, s[0:1]
	v_mbcnt_lo_u32_b32 v4, -1, 0
	v_mbcnt_hi_u32_b32 v6, -1, v4
	v_and_b32_e32 v7, 63, v6
	v_cmp_gt_u32_e64 s[0:1], 32, v7
	s_waitcnt lgkmcnt(0)
	s_barrier
	v_cndmask_b32_e64 v4, 0, 1, s[0:1]
	v_lshlrev_b32_e32 v4, 5, v4
	v_add_lshl_u32 v4, v4, v6, 2
	ds_bpermute_b32 v4, v4, v3
	v_cmp_gt_u32_e64 s[0:1], 48, v7
	s_waitcnt lgkmcnt(0)
	v_add_f32_e32 v3, v3, v4
	v_cndmask_b32_e64 v5, 0, 1, s[0:1]
	v_lshlrev_b32_e32 v5, 4, v5
	v_add_lshl_u32 v4, v5, v6, 2
	ds_bpermute_b32 v4, v4, v3
	v_cmp_gt_u32_e64 s[0:1], 56, v7
	s_waitcnt lgkmcnt(0)
	v_add_f32_e32 v4, v3, v4
	;; [unrolled: 7-line block ×4, first 2 shown]
	v_cndmask_b32_e64 v9, 0, 1, s[0:1]
	v_lshlrev_b32_e32 v9, 1, v9
	v_add_lshl_u32 v5, v9, v6, 2
	ds_bpermute_b32 v9, v5, v8
	v_cmp_ne_u32_e64 s[0:1], 63, v7
	s_waitcnt lgkmcnt(0)
	v_add_f32_e32 v7, v8, v9
	v_addc_co_u32_e64 v6, s[0:1], 0, v6, s[0:1]
	v_lshlrev_b32_e32 v6, 2, v6
	ds_bpermute_b32 v8, v6, v7
	v_cmp_eq_u32_e64 s[0:1], 0, v2
	s_and_saveexec_b64 s[4:5], s[0:1]
	s_cbranch_execz .LBB411_18
; %bb.17:
	v_lshrrev_b32_e32 v2, 4, v0
	v_and_b32_e32 v2, 60, v2
	s_waitcnt lgkmcnt(0)
	v_add_f32_e32 v7, v7, v8
	ds_write_b32 v2, v7
.LBB411_18:
	s_or_b64 exec, exec, s[4:5]
	v_cmp_gt_u32_e64 s[0:1], 16, v0
	v_mov_b32_e32 v2, 0
	s_waitcnt lgkmcnt(0)
	s_barrier
	s_and_saveexec_b64 s[4:5], s[0:1]
	s_cbranch_execz .LBB411_20
; %bb.19:
	ds_read_b32 v2, v1
	s_or_b64 exec, exec, s[4:5]
	s_and_saveexec_b64 s[0:1], vcc
	s_cbranch_execz .LBB411_22
	s_branch .LBB411_21
.LBB411_20:
	s_or_b64 exec, exec, s[4:5]
	s_and_saveexec_b64 s[0:1], vcc
	s_cbranch_execz .LBB411_22
.LBB411_21:
	s_waitcnt lgkmcnt(0)
	ds_bpermute_b32 v1, v3, v2
	s_waitcnt lgkmcnt(0)
	v_add_f32_e32 v1, v2, v1
	ds_bpermute_b32 v2, v4, v1
	s_waitcnt lgkmcnt(0)
	v_add_f32_e32 v1, v1, v2
	;; [unrolled: 3-line block ×4, first 2 shown]
.LBB411_22:
	s_or_b64 exec, exec, s[0:1]
	v_cmp_eq_u32_e32 vcc, 0, v0
                                        ; implicit-def: $vgpr1
                                        ; implicit-def: $sgpr6_sgpr7
	s_and_saveexec_b64 s[0:1], vcc
	s_cbranch_execz .LBB411_26
; %bb.23:
	s_mul_i32 s6, s2, s21
	s_mul_hi_u32 s7, s2, s20
	v_cmp_eq_f32_e64 s[4:5], s26, 0
	s_add_i32 s6, s7, s6
	s_mul_i32 s3, s3, s20
	s_waitcnt lgkmcnt(0)
	v_mul_f32_e32 v0, s27, v2
	s_add_i32 s7, s6, s3
	s_mul_i32 s6, s2, s20
	s_and_b64 vcc, exec, s[4:5]
	s_cbranch_vccnz .LBB411_25
; %bb.24:
	s_lshl_b64 s[2:3], s[6:7], 1
	s_add_u32 s2, s24, s2
	s_addc_u32 s3, s25, s3
	v_mov_b32_e32 v1, 0
	global_load_ushort v1, v1, s[2:3]
	s_waitcnt vmcnt(0)
	v_fma_mix_f32 v0, v1, s26, v0 op_sel_hi:[1,0,0]
.LBB411_25:
	s_nop 0
	v_cvt_f16_f32_e32 v1, v0
	s_or_b64 s[22:23], s[22:23], exec
.LBB411_26:
	s_or_b64 exec, exec, s[0:1]
.LBB411_27:
	s_and_saveexec_b64 s[0:1], s[22:23]
	s_cbranch_execz .LBB411_29
; %bb.28:
	s_lshl_b64 s[0:1], s[6:7], 1
	s_add_u32 s0, s24, s0
	s_addc_u32 s1, s25, s1
	v_mov_b32_e32 v0, 0
	global_store_short v0, v1, s[0:1]
.LBB411_29:
	s_endpgm
	.section	.rodata,"a",@progbits
	.p2align	6, 0x0
	.amdhsa_kernel _ZL32rocblas_gemvt_warp_reduce_kernelILb0ELi1024ElDF16_fDF16_EviiT3_lPKT2_lT1_lS3_lS4_lS0_lPT4_lS4_li
		.amdhsa_group_segment_fixed_size 256
		.amdhsa_private_segment_fixed_size 0
		.amdhsa_kernarg_size 140
		.amdhsa_user_sgpr_count 2
		.amdhsa_user_sgpr_dispatch_ptr 0
		.amdhsa_user_sgpr_queue_ptr 0
		.amdhsa_user_sgpr_kernarg_segment_ptr 1
		.amdhsa_user_sgpr_dispatch_id 0
		.amdhsa_user_sgpr_kernarg_preload_length 0
		.amdhsa_user_sgpr_kernarg_preload_offset 0
		.amdhsa_user_sgpr_private_segment_size 0
		.amdhsa_uses_dynamic_stack 0
		.amdhsa_enable_private_segment 0
		.amdhsa_system_sgpr_workgroup_id_x 1
		.amdhsa_system_sgpr_workgroup_id_y 0
		.amdhsa_system_sgpr_workgroup_id_z 1
		.amdhsa_system_sgpr_workgroup_info 0
		.amdhsa_system_vgpr_workitem_id 0
		.amdhsa_next_free_vgpr 11
		.amdhsa_next_free_sgpr 29
		.amdhsa_accum_offset 12
		.amdhsa_reserve_vcc 1
		.amdhsa_float_round_mode_32 0
		.amdhsa_float_round_mode_16_64 0
		.amdhsa_float_denorm_mode_32 3
		.amdhsa_float_denorm_mode_16_64 3
		.amdhsa_dx10_clamp 1
		.amdhsa_ieee_mode 1
		.amdhsa_fp16_overflow 0
		.amdhsa_tg_split 0
		.amdhsa_exception_fp_ieee_invalid_op 0
		.amdhsa_exception_fp_denorm_src 0
		.amdhsa_exception_fp_ieee_div_zero 0
		.amdhsa_exception_fp_ieee_overflow 0
		.amdhsa_exception_fp_ieee_underflow 0
		.amdhsa_exception_fp_ieee_inexact 0
		.amdhsa_exception_int_div_zero 0
	.end_amdhsa_kernel
	.section	.text._ZL32rocblas_gemvt_warp_reduce_kernelILb0ELi1024ElDF16_fDF16_EviiT3_lPKT2_lT1_lS3_lS4_lS0_lPT4_lS4_li,"axG",@progbits,_ZL32rocblas_gemvt_warp_reduce_kernelILb0ELi1024ElDF16_fDF16_EviiT3_lPKT2_lT1_lS3_lS4_lS0_lPT4_lS4_li,comdat
.Lfunc_end411:
	.size	_ZL32rocblas_gemvt_warp_reduce_kernelILb0ELi1024ElDF16_fDF16_EviiT3_lPKT2_lT1_lS3_lS4_lS0_lPT4_lS4_li, .Lfunc_end411-_ZL32rocblas_gemvt_warp_reduce_kernelILb0ELi1024ElDF16_fDF16_EviiT3_lPKT2_lT1_lS3_lS4_lS0_lPT4_lS4_li
                                        ; -- End function
	.section	.AMDGPU.csdata,"",@progbits
; Kernel info:
; codeLenInByte = 1396
; NumSgprs: 35
; NumVgprs: 11
; NumAgprs: 0
; TotalNumVgprs: 11
; ScratchSize: 0
; MemoryBound: 0
; FloatMode: 240
; IeeeMode: 1
; LDSByteSize: 256 bytes/workgroup (compile time only)
; SGPRBlocks: 4
; VGPRBlocks: 1
; NumSGPRsForWavesPerEU: 35
; NumVGPRsForWavesPerEU: 11
; AccumOffset: 12
; Occupancy: 8
; WaveLimiterHint : 1
; COMPUTE_PGM_RSRC2:SCRATCH_EN: 0
; COMPUTE_PGM_RSRC2:USER_SGPR: 2
; COMPUTE_PGM_RSRC2:TRAP_HANDLER: 0
; COMPUTE_PGM_RSRC2:TGID_X_EN: 1
; COMPUTE_PGM_RSRC2:TGID_Y_EN: 0
; COMPUTE_PGM_RSRC2:TGID_Z_EN: 1
; COMPUTE_PGM_RSRC2:TIDIG_COMP_CNT: 0
; COMPUTE_PGM_RSRC3_GFX90A:ACCUM_OFFSET: 2
; COMPUTE_PGM_RSRC3_GFX90A:TG_SPLIT: 0
	.section	.text._ZL22rocblas_gemvtsm_kernelILb1ELi256EDF16_PKfDF16_EviiT2_lPKT1_lilS5_lilS2_lPT3_lil,"axG",@progbits,_ZL22rocblas_gemvtsm_kernelILb1ELi256EDF16_PKfDF16_EviiT2_lPKT1_lilS5_lilS2_lPT3_lil,comdat
	.globl	_ZL22rocblas_gemvtsm_kernelILb1ELi256EDF16_PKfDF16_EviiT2_lPKT1_lilS5_lilS2_lPT3_lil ; -- Begin function _ZL22rocblas_gemvtsm_kernelILb1ELi256EDF16_PKfDF16_EviiT2_lPKT1_lilS5_lilS2_lPT3_lil
	.p2align	8
	.type	_ZL22rocblas_gemvtsm_kernelILb1ELi256EDF16_PKfDF16_EviiT2_lPKT1_lilS5_lilS2_lPT3_lil,@function
_ZL22rocblas_gemvtsm_kernelILb1ELi256EDF16_PKfDF16_EviiT2_lPKT1_lilS5_lilS2_lPT3_lil: ; @_ZL22rocblas_gemvtsm_kernelILb1ELi256EDF16_PKfDF16_EviiT2_lPKT1_lilS5_lilS2_lPT3_lil
; %bb.0:
	s_load_dwordx8 s[4:11], s[0:1], 0x8
	s_load_dwordx8 s[12:19], s[0:1], 0x50
	s_waitcnt lgkmcnt(0)
	s_mul_i32 s3, s2, s7
	s_mul_hi_u32 s7, s2, s6
	s_add_i32 s7, s7, s3
	s_mul_i32 s6, s2, s6
	s_lshl_b64 s[6:7], s[6:7], 2
	s_add_u32 s4, s4, s6
	s_addc_u32 s5, s5, s7
	s_load_dword s3, s[4:5], 0x0
	s_mul_i32 s4, s2, s17
	s_mul_hi_u32 s5, s2, s16
	s_add_i32 s5, s5, s4
	s_mul_i32 s4, s2, s16
	s_lshl_b64 s[4:5], s[4:5], 2
	s_add_u32 s4, s14, s4
	s_addc_u32 s5, s15, s5
	s_load_dword s28, s[4:5], 0x0
	s_waitcnt lgkmcnt(0)
	v_cmp_eq_f32_e64 s[4:5], s3, 0
	v_cmp_eq_f32_e64 s[6:7], s28, 1.0
	s_and_b64 s[4:5], s[4:5], s[6:7]
	s_and_b64 vcc, exec, s[4:5]
	s_cbranch_vccnz .LBB412_34
; %bb.1:
	s_load_dwordx2 s[4:5], s[0:1], 0x80
	s_load_dword s14, s[0:1], 0x78
	s_load_dwordx2 s[20:21], s[0:1], 0x70
	s_load_dwordx2 s[16:17], s[0:1], 0x0
	s_waitcnt lgkmcnt(0)
	s_mul_i32 s5, s2, s5
	s_mul_hi_u32 s6, s2, s4
	s_add_i32 s23, s6, s5
	s_mul_i32 s22, s2, s4
	v_cmp_neq_f32_e64 s[4:5], s3, 0
	s_and_b64 vcc, exec, s[4:5]
	s_cbranch_vccnz .LBB412_9
; %bb.2:
	s_cmp_gt_i32 s17, 0
	s_cselect_b64 s[6:7], -1, 0
	v_cmp_neq_f32_e64 s[4:5], s28, 0
	v_cndmask_b32_e64 v1, 0, 1, s[6:7]
	s_and_b64 vcc, exec, s[4:5]
	v_cmp_ne_u32_e64 s[4:5], 1, v1
	s_cbranch_vccnz .LBB412_10
; %bb.3:
	s_and_b64 vcc, exec, s[4:5]
	s_cbranch_vccnz .LBB412_8
; %bb.4:
	v_mad_i64_i32 v[2:3], s[24:25], s14, v0, 0
	s_ashr_i32 s15, s14, 31
	s_lshl_b64 s[6:7], s[22:23], 1
	s_lshl_b64 s[24:25], s[20:21], 1
	s_add_u32 s24, s18, s24
	s_addc_u32 s25, s19, s25
	s_add_u32 s6, s24, s6
	s_addc_u32 s7, s25, s7
	v_lshl_add_u64 v[2:3], v[2:3], 1, s[6:7]
	s_lshl_b64 s[6:7], s[14:15], 9
	s_mov_b32 s15, 0
	v_mov_b32_e32 v1, 0
	s_branch .LBB412_6
.LBB412_5:                              ;   in Loop: Header=BB412_6 Depth=1
	s_or_b64 exec, exec, s[24:25]
	s_addk_i32 s15, 0x100
	s_cmp_ge_i32 s15, s17
	v_lshl_add_u64 v[2:3], v[2:3], 0, s[6:7]
	s_cbranch_scc1 .LBB412_8
.LBB412_6:                              ; =>This Inner Loop Header: Depth=1
	v_add_u32_e32 v4, s15, v0
	v_cmp_gt_i32_e32 vcc, s17, v4
	s_and_saveexec_b64 s[24:25], vcc
	s_cbranch_execz .LBB412_5
; %bb.7:                                ;   in Loop: Header=BB412_6 Depth=1
	global_store_short v[2:3], v1, off
	s_branch .LBB412_5
.LBB412_8:
	s_cbranch_execz .LBB412_11
	s_branch .LBB412_16
.LBB412_9:
	s_branch .LBB412_17
.LBB412_10:
.LBB412_11:
	s_and_b64 vcc, exec, s[4:5]
	s_cbranch_vccnz .LBB412_16
; %bb.12:
	v_mad_i64_i32 v[2:3], s[6:7], s14, v0, 0
	s_ashr_i32 s15, s14, 31
	s_lshl_b64 s[4:5], s[22:23], 1
	s_lshl_b64 s[6:7], s[20:21], 1
	s_add_u32 s6, s18, s6
	s_addc_u32 s7, s19, s7
	s_add_u32 s4, s6, s4
	s_addc_u32 s5, s7, s5
	v_lshl_add_u64 v[2:3], v[2:3], 1, s[4:5]
	s_lshl_b64 s[4:5], s[14:15], 9
	s_mov_b32 s15, 0
	s_branch .LBB412_14
.LBB412_13:                             ;   in Loop: Header=BB412_14 Depth=1
	s_or_b64 exec, exec, s[6:7]
	s_addk_i32 s15, 0x100
	s_cmp_ge_i32 s15, s17
	v_lshl_add_u64 v[2:3], v[2:3], 0, s[4:5]
	s_cbranch_scc1 .LBB412_16
.LBB412_14:                             ; =>This Inner Loop Header: Depth=1
	v_add_u32_e32 v1, s15, v0
	v_cmp_gt_i32_e32 vcc, s17, v1
	s_and_saveexec_b64 s[6:7], vcc
	s_cbranch_execz .LBB412_13
; %bb.15:                               ;   in Loop: Header=BB412_14 Depth=1
	global_load_ushort v1, v[2:3], off
	s_waitcnt vmcnt(0)
	v_fma_mixlo_f16 v1, s28, v1, 0 op_sel_hi:[0,1,0]
	global_store_short v[2:3], v1, off
	s_branch .LBB412_13
.LBB412_16:
	s_cbranch_execnz .LBB412_34
.LBB412_17:
	s_load_dwordx4 s[4:7], s[0:1], 0x30
	s_load_dwordx2 s[26:27], s[0:1], 0x40
	v_cmp_gt_i32_e32 vcc, s16, v0
	s_and_saveexec_b64 s[24:25], vcc
	s_cbranch_execz .LBB412_19
; %bb.18:
	s_mul_i32 s13, s2, s13
	s_mul_hi_u32 s15, s2, s12
	s_add_i32 s13, s15, s13
	s_mul_i32 s12, s2, s12
	s_load_dword s15, s[0:1], 0x48
	s_lshl_b64 s[12:13], s[12:13], 1
	s_waitcnt lgkmcnt(0)
	s_add_u32 s12, s6, s12
	s_addc_u32 s13, s7, s13
	s_lshl_b64 s[6:7], s[26:27], 1
	s_add_u32 s6, s12, s6
	s_addc_u32 s7, s13, s7
	v_mad_i64_i32 v[2:3], s[12:13], s15, v0, 0
	v_lshl_add_u64 v[2:3], v[2:3], 1, s[6:7]
	global_load_ushort v1, v[2:3], off
	v_lshlrev_b32_e32 v2, 2, v0
	s_waitcnt vmcnt(0)
	v_cvt_f32_f16_e32 v1, v1
	v_mul_f32_e32 v1, s3, v1
	ds_write_b32 v2, v1
.LBB412_19:
	s_or_b64 exec, exec, s[24:25]
	s_cmp_lt_i32 s17, 1
	s_waitcnt lgkmcnt(0)
	s_barrier
	s_cbranch_scc1 .LBB412_34
; %bb.20:
	s_load_dword s0, s[0:1], 0x28
	s_lshl_b64 s[6:7], s[22:23], 1
	s_add_u32 s3, s18, s6
	s_addc_u32 s1, s19, s7
	s_lshl_b64 s[6:7], s[20:21], 1
	s_add_u32 s12, s3, s6
	s_addc_u32 s13, s1, s7
	s_waitcnt lgkmcnt(0)
	s_ashr_i32 s1, s0, 31
	s_ashr_i32 s15, s14, 31
	s_cmp_gt_i32 s16, 0
	s_cselect_b64 s[6:7], -1, 0
	s_and_b32 s20, s16, 7
	s_cmp_gt_u32 s16, 7
	s_cselect_b64 s[22:23], -1, 0
	s_and_b32 s16, s16, 0x7ffffff8
	s_cmp_lg_u32 s20, 0
	s_mul_i32 s3, s5, s2
	s_mul_hi_u32 s5, s4, s2
	s_cselect_b64 s[24:25], -1, 0
	s_add_i32 s3, s5, s3
	s_mul_i32 s2, s4, s2
	v_mad_i64_i32 v[2:3], s[4:5], s0, v0, 0
	s_lshl_b64 s[2:3], s[2:3], 1
	s_lshl_b64 s[4:5], s[10:11], 1
	s_add_u32 s4, s8, s4
	s_addc_u32 s5, s9, s5
	s_add_u32 s2, s4, s2
	s_addc_u32 s3, s5, s3
	s_lshl_b64 s[8:9], s[0:1], 9
	v_cmp_neq_f32_e64 s[0:1], s28, 0
	v_cndmask_b32_e64 v6, 0, 1, s[22:23]
	v_lshl_add_u64 v[2:3], v[2:3], 1, s[2:3]
	v_cndmask_b32_e64 v1, 0, 1, s[0:1]
	v_cmp_ne_u32_e64 s[0:1], 1, v1
	v_cndmask_b32_e64 v1, 0, 1, s[6:7]
	v_cmp_ne_u32_e64 s[2:3], 1, v6
	v_cndmask_b32_e64 v6, 0, 1, s[24:25]
	s_mov_b32 s19, 0
	v_lshl_add_u64 v[4:5], v[2:3], 0, 14
	v_cmp_ne_u32_e64 s[4:5], 1, v1
	v_cmp_ne_u32_e64 s[6:7], 1, v6
	s_mov_b32 s21, 0
	s_branch .LBB412_23
.LBB412_21:                             ;   in Loop: Header=BB412_23 Depth=1
	v_cvt_f16_f32_e32 v1, v1
	global_store_short v[6:7], v1, off
.LBB412_22:                             ;   in Loop: Header=BB412_23 Depth=1
	s_or_b64 exec, exec, s[10:11]
	s_addk_i32 s21, 0x100
	v_lshl_add_u64 v[4:5], v[4:5], 0, s[8:9]
	s_cmp_ge_i32 s21, s17
	v_lshl_add_u64 v[2:3], v[2:3], 0, s[8:9]
	s_cbranch_scc1 .LBB412_34
.LBB412_23:                             ; =>This Loop Header: Depth=1
                                        ;     Child Loop BB412_29 Depth 2
                                        ;     Child Loop BB412_33 Depth 2
	v_add_u32_e32 v1, s21, v0
	v_cmp_gt_i32_e32 vcc, s17, v1
	s_and_saveexec_b64 s[10:11], vcc
	s_cbranch_execz .LBB412_22
; %bb.24:                               ;   in Loop: Header=BB412_23 Depth=1
	v_mad_u64_u32 v[6:7], s[22:23], v1, s14, 0
	v_mov_b32_e32 v8, v7
	v_mad_u64_u32 v[8:9], s[22:23], v1, s15, v[8:9]
	v_mov_b32_e32 v7, v8
	s_and_b64 vcc, exec, s[0:1]
	v_lshl_add_u64 v[6:7], v[6:7], 1, s[12:13]
	s_cbranch_vccnz .LBB412_26
; %bb.25:                               ;   in Loop: Header=BB412_23 Depth=1
	global_load_ushort v1, v[6:7], off
	s_waitcnt vmcnt(0)
	v_cvt_f32_f16_e32 v1, v1
	v_mul_f32_e32 v1, s28, v1
	s_and_b64 vcc, exec, s[4:5]
	s_cbranch_vccz .LBB412_27
	s_branch .LBB412_21
.LBB412_26:                             ;   in Loop: Header=BB412_23 Depth=1
	v_mov_b32_e32 v1, 0
	s_and_b64 vcc, exec, s[4:5]
	s_cbranch_vccnz .LBB412_21
.LBB412_27:                             ;   in Loop: Header=BB412_23 Depth=1
	s_mov_b32 s18, 0
	s_and_b64 vcc, exec, s[2:3]
	s_cbranch_vccnz .LBB412_31
; %bb.28:                               ;   in Loop: Header=BB412_23 Depth=1
	s_mov_b32 s22, 0
	v_mov_b64_e32 v[8:9], v[4:5]
.LBB412_29:                             ;   Parent Loop BB412_23 Depth=1
                                        ; =>  This Inner Loop Header: Depth=2
	global_load_dwordx4 v[10:13], v[8:9], off offset:-14
	v_mov_b32_e32 v18, s18
	ds_read_b128 v[14:17], v18
	ds_read_b128 v[18:21], v18 offset:16
	s_add_i32 s22, s22, 8
	s_add_i32 s18, s18, 32
	v_lshl_add_u64 v[8:9], v[8:9], 0, 16
	s_cmp_eq_u32 s16, s22
	s_waitcnt vmcnt(0) lgkmcnt(1)
	v_fma_mix_f32 v1, v14, v10, v1 op_sel_hi:[0,1,0]
	v_fma_mix_f32 v1, v15, v10, v1 op_sel:[0,1,0] op_sel_hi:[0,1,0]
	v_fma_mix_f32 v1, v16, v11, v1 op_sel_hi:[0,1,0]
	v_fma_mix_f32 v1, v17, v11, v1 op_sel:[0,1,0] op_sel_hi:[0,1,0]
	s_waitcnt lgkmcnt(0)
	v_fma_mix_f32 v1, v18, v12, v1 op_sel_hi:[0,1,0]
	v_fma_mix_f32 v1, v19, v12, v1 op_sel:[0,1,0] op_sel_hi:[0,1,0]
	v_fma_mix_f32 v1, v20, v13, v1 op_sel_hi:[0,1,0]
	v_fma_mix_f32 v1, v21, v13, v1 op_sel:[0,1,0] op_sel_hi:[0,1,0]
	s_cbranch_scc0 .LBB412_29
; %bb.30:                               ;   in Loop: Header=BB412_23 Depth=1
	s_mov_b32 s18, s16
.LBB412_31:                             ;   in Loop: Header=BB412_23 Depth=1
	s_and_b64 vcc, exec, s[6:7]
	s_cbranch_vccnz .LBB412_21
; %bb.32:                               ;   in Loop: Header=BB412_23 Depth=1
	s_lshl_b32 s22, s18, 2
	s_lshl_b32 s18, s18, 1
	v_lshl_add_u64 v[8:9], v[2:3], 0, s[18:19]
	s_mov_b32 s18, s20
.LBB412_33:                             ;   Parent Loop BB412_23 Depth=1
                                        ; =>  This Inner Loop Header: Depth=2
	global_load_ushort v10, v[8:9], off
	v_mov_b32_e32 v11, s22
	ds_read_b32 v11, v11
	s_add_i32 s22, s22, 4
	s_add_i32 s18, s18, -1
	v_lshl_add_u64 v[8:9], v[8:9], 0, 2
	s_cmp_lg_u32 s18, 0
	s_waitcnt vmcnt(0) lgkmcnt(0)
	v_fma_mix_f32 v1, v11, v10, v1 op_sel_hi:[0,1,0]
	s_cbranch_scc1 .LBB412_33
	s_branch .LBB412_21
.LBB412_34:
	s_endpgm
	.section	.rodata,"a",@progbits
	.p2align	6, 0x0
	.amdhsa_kernel _ZL22rocblas_gemvtsm_kernelILb1ELi256EDF16_PKfDF16_EviiT2_lPKT1_lilS5_lilS2_lPT3_lil
		.amdhsa_group_segment_fixed_size 256
		.amdhsa_private_segment_fixed_size 0
		.amdhsa_kernarg_size 136
		.amdhsa_user_sgpr_count 2
		.amdhsa_user_sgpr_dispatch_ptr 0
		.amdhsa_user_sgpr_queue_ptr 0
		.amdhsa_user_sgpr_kernarg_segment_ptr 1
		.amdhsa_user_sgpr_dispatch_id 0
		.amdhsa_user_sgpr_kernarg_preload_length 0
		.amdhsa_user_sgpr_kernarg_preload_offset 0
		.amdhsa_user_sgpr_private_segment_size 0
		.amdhsa_uses_dynamic_stack 0
		.amdhsa_enable_private_segment 0
		.amdhsa_system_sgpr_workgroup_id_x 1
		.amdhsa_system_sgpr_workgroup_id_y 0
		.amdhsa_system_sgpr_workgroup_id_z 0
		.amdhsa_system_sgpr_workgroup_info 0
		.amdhsa_system_vgpr_workitem_id 0
		.amdhsa_next_free_vgpr 22
		.amdhsa_next_free_sgpr 29
		.amdhsa_accum_offset 24
		.amdhsa_reserve_vcc 1
		.amdhsa_float_round_mode_32 0
		.amdhsa_float_round_mode_16_64 0
		.amdhsa_float_denorm_mode_32 3
		.amdhsa_float_denorm_mode_16_64 3
		.amdhsa_dx10_clamp 1
		.amdhsa_ieee_mode 1
		.amdhsa_fp16_overflow 0
		.amdhsa_tg_split 0
		.amdhsa_exception_fp_ieee_invalid_op 0
		.amdhsa_exception_fp_denorm_src 0
		.amdhsa_exception_fp_ieee_div_zero 0
		.amdhsa_exception_fp_ieee_overflow 0
		.amdhsa_exception_fp_ieee_underflow 0
		.amdhsa_exception_fp_ieee_inexact 0
		.amdhsa_exception_int_div_zero 0
	.end_amdhsa_kernel
	.section	.text._ZL22rocblas_gemvtsm_kernelILb1ELi256EDF16_PKfDF16_EviiT2_lPKT1_lilS5_lilS2_lPT3_lil,"axG",@progbits,_ZL22rocblas_gemvtsm_kernelILb1ELi256EDF16_PKfDF16_EviiT2_lPKT1_lilS5_lilS2_lPT3_lil,comdat
.Lfunc_end412:
	.size	_ZL22rocblas_gemvtsm_kernelILb1ELi256EDF16_PKfDF16_EviiT2_lPKT1_lilS5_lilS2_lPT3_lil, .Lfunc_end412-_ZL22rocblas_gemvtsm_kernelILb1ELi256EDF16_PKfDF16_EviiT2_lPKT1_lilS5_lilS2_lPT3_lil
                                        ; -- End function
	.section	.AMDGPU.csdata,"",@progbits
; Kernel info:
; codeLenInByte = 1268
; NumSgprs: 35
; NumVgprs: 22
; NumAgprs: 0
; TotalNumVgprs: 22
; ScratchSize: 0
; MemoryBound: 0
; FloatMode: 240
; IeeeMode: 1
; LDSByteSize: 256 bytes/workgroup (compile time only)
; SGPRBlocks: 4
; VGPRBlocks: 2
; NumSGPRsForWavesPerEU: 35
; NumVGPRsForWavesPerEU: 22
; AccumOffset: 24
; Occupancy: 8
; WaveLimiterHint : 1
; COMPUTE_PGM_RSRC2:SCRATCH_EN: 0
; COMPUTE_PGM_RSRC2:USER_SGPR: 2
; COMPUTE_PGM_RSRC2:TRAP_HANDLER: 0
; COMPUTE_PGM_RSRC2:TGID_X_EN: 1
; COMPUTE_PGM_RSRC2:TGID_Y_EN: 0
; COMPUTE_PGM_RSRC2:TGID_Z_EN: 0
; COMPUTE_PGM_RSRC2:TIDIG_COMP_CNT: 0
; COMPUTE_PGM_RSRC3_GFX90A:ACCUM_OFFSET: 5
; COMPUTE_PGM_RSRC3_GFX90A:TG_SPLIT: 0
	.section	.text._ZL22rocblas_gemvtsm_kernelILb1ELi256EDF16_fDF16_EviiT2_lPKT1_lilS3_lilS0_lPT3_lil,"axG",@progbits,_ZL22rocblas_gemvtsm_kernelILb1ELi256EDF16_fDF16_EviiT2_lPKT1_lilS3_lilS0_lPT3_lil,comdat
	.globl	_ZL22rocblas_gemvtsm_kernelILb1ELi256EDF16_fDF16_EviiT2_lPKT1_lilS3_lilS0_lPT3_lil ; -- Begin function _ZL22rocblas_gemvtsm_kernelILb1ELi256EDF16_fDF16_EviiT2_lPKT1_lilS3_lilS0_lPT3_lil
	.p2align	8
	.type	_ZL22rocblas_gemvtsm_kernelILb1ELi256EDF16_fDF16_EviiT2_lPKT1_lilS3_lilS0_lPT3_lil,@function
_ZL22rocblas_gemvtsm_kernelILb1ELi256EDF16_fDF16_EviiT2_lPKT1_lilS3_lilS0_lPT3_lil: ; @_ZL22rocblas_gemvtsm_kernelILb1ELi256EDF16_fDF16_EviiT2_lPKT1_lilS3_lilS0_lPT3_lil
; %bb.0:
	s_load_dwordx4 s[8:11], s[0:1], 0x0
	s_load_dword s24, s[0:1], 0x58
	s_waitcnt lgkmcnt(0)
	v_cmp_eq_f32_e64 s[4:5], s10, 0
	v_cmp_eq_f32_e64 s[6:7], s24, 1.0
	s_and_b64 s[4:5], s[4:5], s[6:7]
	s_and_b64 vcc, exec, s[4:5]
	s_cbranch_vccnz .LBB413_34
; %bb.1:
	s_load_dwordx2 s[4:5], s[0:1], 0x80
	s_load_dwordx4 s[12:15], s[0:1], 0x68
	s_load_dword s16, s[0:1], 0x78
	s_waitcnt lgkmcnt(0)
	s_mul_i32 s3, s2, s5
	s_mul_hi_u32 s5, s2, s4
	s_mul_i32 s18, s2, s4
	s_add_i32 s19, s5, s3
	v_cmp_neq_f32_e64 s[4:5], s10, 0
	s_and_b64 vcc, exec, s[4:5]
	s_cbranch_vccnz .LBB413_9
; %bb.2:
	s_cmp_gt_i32 s9, 0
	s_cselect_b64 s[6:7], -1, 0
	v_cmp_neq_f32_e64 s[4:5], s24, 0
	v_cndmask_b32_e64 v1, 0, 1, s[6:7]
	s_and_b64 vcc, exec, s[4:5]
	v_cmp_ne_u32_e64 s[4:5], 1, v1
	s_cbranch_vccnz .LBB413_10
; %bb.3:
	s_and_b64 vcc, exec, s[4:5]
	s_cbranch_vccnz .LBB413_8
; %bb.4:
	v_mad_i64_i32 v[2:3], s[20:21], s16, v0, 0
	s_ashr_i32 s17, s16, 31
	s_lshl_b64 s[6:7], s[18:19], 1
	s_lshl_b64 s[20:21], s[14:15], 1
	s_add_u32 s3, s12, s20
	s_addc_u32 s11, s13, s21
	s_add_u32 s6, s3, s6
	s_addc_u32 s7, s11, s7
	v_lshl_add_u64 v[2:3], v[2:3], 1, s[6:7]
	s_lshl_b64 s[6:7], s[16:17], 9
	s_mov_b32 s3, 0
	v_mov_b32_e32 v1, 0
	s_branch .LBB413_6
.LBB413_5:                              ;   in Loop: Header=BB413_6 Depth=1
	s_or_b64 exec, exec, s[20:21]
	s_addk_i32 s3, 0x100
	s_cmp_ge_i32 s3, s9
	v_lshl_add_u64 v[2:3], v[2:3], 0, s[6:7]
	s_cbranch_scc1 .LBB413_8
.LBB413_6:                              ; =>This Inner Loop Header: Depth=1
	v_add_u32_e32 v4, s3, v0
	v_cmp_gt_i32_e32 vcc, s9, v4
	s_and_saveexec_b64 s[20:21], vcc
	s_cbranch_execz .LBB413_5
; %bb.7:                                ;   in Loop: Header=BB413_6 Depth=1
	global_store_short v[2:3], v1, off
	s_branch .LBB413_5
.LBB413_8:
	s_cbranch_execz .LBB413_11
	s_branch .LBB413_16
.LBB413_9:
	s_branch .LBB413_17
.LBB413_10:
.LBB413_11:
	s_and_b64 vcc, exec, s[4:5]
	s_cbranch_vccnz .LBB413_16
; %bb.12:
	v_mad_i64_i32 v[2:3], s[6:7], s16, v0, 0
	s_ashr_i32 s17, s16, 31
	s_lshl_b64 s[4:5], s[18:19], 1
	s_lshl_b64 s[6:7], s[14:15], 1
	s_add_u32 s3, s12, s6
	s_addc_u32 s6, s13, s7
	s_add_u32 s4, s3, s4
	s_addc_u32 s5, s6, s5
	v_lshl_add_u64 v[2:3], v[2:3], 1, s[4:5]
	s_lshl_b64 s[4:5], s[16:17], 9
	s_mov_b32 s3, 0
	s_branch .LBB413_14
.LBB413_13:                             ;   in Loop: Header=BB413_14 Depth=1
	s_or_b64 exec, exec, s[6:7]
	s_addk_i32 s3, 0x100
	s_cmp_ge_i32 s3, s9
	v_lshl_add_u64 v[2:3], v[2:3], 0, s[4:5]
	s_cbranch_scc1 .LBB413_16
.LBB413_14:                             ; =>This Inner Loop Header: Depth=1
	v_add_u32_e32 v1, s3, v0
	v_cmp_gt_i32_e32 vcc, s9, v1
	s_and_saveexec_b64 s[6:7], vcc
	s_cbranch_execz .LBB413_13
; %bb.15:                               ;   in Loop: Header=BB413_14 Depth=1
	global_load_ushort v1, v[2:3], off
	s_waitcnt vmcnt(0)
	v_fma_mixlo_f16 v1, v1, s24, 0 op_sel_hi:[1,0,0]
	global_store_short v[2:3], v1, off
	s_branch .LBB413_13
.LBB413_16:
	s_cbranch_execnz .LBB413_34
.LBB413_17:
	s_load_dwordx4 s[4:7], s[0:1], 0x30
	s_load_dwordx2 s[22:23], s[0:1], 0x40
	v_cmp_gt_i32_e32 vcc, s8, v0
	s_and_saveexec_b64 s[20:21], vcc
	s_cbranch_execz .LBB413_19
; %bb.18:
	s_load_dwordx2 s[26:27], s[0:1], 0x50
	s_load_dword s3, s[0:1], 0x48
	s_waitcnt lgkmcnt(0)
	s_mul_i32 s11, s2, s27
	s_mul_hi_u32 s17, s2, s26
	s_mul_i32 s26, s2, s26
	s_add_i32 s27, s17, s11
	s_lshl_b64 s[26:27], s[26:27], 1
	s_add_u32 s11, s6, s26
	s_addc_u32 s17, s7, s27
	s_lshl_b64 s[6:7], s[22:23], 1
	s_add_u32 s6, s11, s6
	s_addc_u32 s7, s17, s7
	v_mad_i64_i32 v[2:3], s[22:23], s3, v0, 0
	v_lshl_add_u64 v[2:3], v[2:3], 1, s[6:7]
	global_load_ushort v1, v[2:3], off
	v_lshlrev_b32_e32 v2, 2, v0
	s_waitcnt vmcnt(0)
	v_cvt_f32_f16_e32 v1, v1
	v_mul_f32_e32 v1, s10, v1
	ds_write_b32 v2, v1
.LBB413_19:
	s_or_b64 exec, exec, s[20:21]
	s_cmp_lt_i32 s9, 1
	s_waitcnt lgkmcnt(0)
	s_barrier
	s_cbranch_scc1 .LBB413_34
; %bb.20:
	s_lshl_b64 s[6:7], s[18:19], 1
	s_add_u32 s3, s12, s6
	s_load_dwordx4 s[28:31], s[0:1], 0x18
	s_load_dword s6, s[0:1], 0x28
	s_addc_u32 s7, s13, s7
	s_lshl_b64 s[0:1], s[14:15], 1
	s_add_u32 s10, s3, s0
	s_addc_u32 s11, s7, s1
	s_waitcnt lgkmcnt(0)
	s_ashr_i32 s7, s6, 31
	s_ashr_i32 s17, s16, 31
	s_cmp_gt_i32 s8, 0
	s_cselect_b64 s[18:19], -1, 0
	s_and_b32 s20, s8, 7
	s_cmp_gt_u32 s8, 7
	s_cselect_b64 s[22:23], -1, 0
	s_and_b32 s8, s8, 0x7ffffff8
	s_cmp_lg_u32 s20, 0
	s_mul_i32 s0, s5, s2
	s_mul_hi_u32 s1, s4, s2
	s_cselect_b64 s[26:27], -1, 0
	s_add_i32 s1, s1, s0
	s_mul_i32 s0, s4, s2
	v_mad_i64_i32 v[2:3], s[2:3], s6, v0, 0
	s_lshl_b64 s[0:1], s[0:1], 1
	s_lshl_b64 s[2:3], s[30:31], 1
	s_add_u32 s2, s28, s2
	s_addc_u32 s3, s29, s3
	s_add_u32 s0, s2, s0
	s_addc_u32 s1, s3, s1
	v_lshl_add_u64 v[2:3], v[2:3], 1, s[0:1]
	v_cmp_neq_f32_e64 s[0:1], s24, 0
	s_mov_b32 s13, 0
	v_lshl_add_u64 v[4:5], v[2:3], 0, 14
	v_cndmask_b32_e64 v1, 0, 1, s[0:1]
	v_cmp_ne_u32_e64 s[0:1], 1, v1
	v_cndmask_b32_e64 v1, 0, 1, s[18:19]
	v_cmp_ne_u32_e64 s[2:3], 1, v1
	v_cndmask_b32_e64 v1, 0, 1, s[22:23]
	v_cmp_ne_u32_e64 s[4:5], 1, v1
	v_cndmask_b32_e64 v1, 0, 1, s[26:27]
	s_lshl_b64 s[14:15], s[6:7], 9
	v_cmp_ne_u32_e64 s[6:7], 1, v1
	s_mov_b32 s21, 0
	s_branch .LBB413_23
.LBB413_21:                             ;   in Loop: Header=BB413_23 Depth=1
	v_cvt_f16_f32_e32 v1, v1
	global_store_short v[6:7], v1, off
.LBB413_22:                             ;   in Loop: Header=BB413_23 Depth=1
	s_or_b64 exec, exec, s[18:19]
	s_addk_i32 s21, 0x100
	v_lshl_add_u64 v[4:5], v[4:5], 0, s[14:15]
	s_cmp_ge_i32 s21, s9
	v_lshl_add_u64 v[2:3], v[2:3], 0, s[14:15]
	s_cbranch_scc1 .LBB413_34
.LBB413_23:                             ; =>This Loop Header: Depth=1
                                        ;     Child Loop BB413_29 Depth 2
                                        ;     Child Loop BB413_33 Depth 2
	v_add_u32_e32 v1, s21, v0
	v_cmp_gt_i32_e32 vcc, s9, v1
	s_and_saveexec_b64 s[18:19], vcc
	s_cbranch_execz .LBB413_22
; %bb.24:                               ;   in Loop: Header=BB413_23 Depth=1
	v_mad_u64_u32 v[6:7], s[22:23], v1, s16, 0
	v_mov_b32_e32 v8, v7
	v_mad_u64_u32 v[8:9], s[22:23], v1, s17, v[8:9]
	v_mov_b32_e32 v7, v8
	s_and_b64 vcc, exec, s[0:1]
	v_lshl_add_u64 v[6:7], v[6:7], 1, s[10:11]
	s_cbranch_vccnz .LBB413_26
; %bb.25:                               ;   in Loop: Header=BB413_23 Depth=1
	global_load_ushort v1, v[6:7], off
	s_waitcnt vmcnt(0)
	v_cvt_f32_f16_e32 v1, v1
	v_mul_f32_e32 v1, s24, v1
	s_and_b64 vcc, exec, s[2:3]
	s_cbranch_vccz .LBB413_27
	s_branch .LBB413_21
.LBB413_26:                             ;   in Loop: Header=BB413_23 Depth=1
	v_mov_b32_e32 v1, 0
	s_and_b64 vcc, exec, s[2:3]
	s_cbranch_vccnz .LBB413_21
.LBB413_27:                             ;   in Loop: Header=BB413_23 Depth=1
	s_mov_b32 s12, 0
	s_and_b64 vcc, exec, s[4:5]
	s_cbranch_vccnz .LBB413_31
; %bb.28:                               ;   in Loop: Header=BB413_23 Depth=1
	s_mov_b32 s22, 0
	v_mov_b64_e32 v[8:9], v[4:5]
.LBB413_29:                             ;   Parent Loop BB413_23 Depth=1
                                        ; =>  This Inner Loop Header: Depth=2
	global_load_dwordx4 v[10:13], v[8:9], off offset:-14
	v_mov_b32_e32 v18, s12
	ds_read_b128 v[14:17], v18
	ds_read_b128 v[18:21], v18 offset:16
	s_add_i32 s22, s22, 8
	s_add_i32 s12, s12, 32
	v_lshl_add_u64 v[8:9], v[8:9], 0, 16
	s_cmp_eq_u32 s8, s22
	s_waitcnt vmcnt(0) lgkmcnt(1)
	v_fma_mix_f32 v1, v14, v10, v1 op_sel_hi:[0,1,0]
	v_fma_mix_f32 v1, v15, v10, v1 op_sel:[0,1,0] op_sel_hi:[0,1,0]
	v_fma_mix_f32 v1, v16, v11, v1 op_sel_hi:[0,1,0]
	v_fma_mix_f32 v1, v17, v11, v1 op_sel:[0,1,0] op_sel_hi:[0,1,0]
	s_waitcnt lgkmcnt(0)
	v_fma_mix_f32 v1, v18, v12, v1 op_sel_hi:[0,1,0]
	v_fma_mix_f32 v1, v19, v12, v1 op_sel:[0,1,0] op_sel_hi:[0,1,0]
	v_fma_mix_f32 v1, v20, v13, v1 op_sel_hi:[0,1,0]
	v_fma_mix_f32 v1, v21, v13, v1 op_sel:[0,1,0] op_sel_hi:[0,1,0]
	s_cbranch_scc0 .LBB413_29
; %bb.30:                               ;   in Loop: Header=BB413_23 Depth=1
	s_mov_b32 s12, s8
.LBB413_31:                             ;   in Loop: Header=BB413_23 Depth=1
	s_and_b64 vcc, exec, s[6:7]
	s_cbranch_vccnz .LBB413_21
; %bb.32:                               ;   in Loop: Header=BB413_23 Depth=1
	s_lshl_b32 s22, s12, 2
	s_lshl_b32 s12, s12, 1
	v_lshl_add_u64 v[8:9], v[2:3], 0, s[12:13]
	s_mov_b32 s12, s20
.LBB413_33:                             ;   Parent Loop BB413_23 Depth=1
                                        ; =>  This Inner Loop Header: Depth=2
	global_load_ushort v10, v[8:9], off
	v_mov_b32_e32 v11, s22
	ds_read_b32 v11, v11
	s_add_i32 s22, s22, 4
	s_add_i32 s12, s12, -1
	v_lshl_add_u64 v[8:9], v[8:9], 0, 2
	s_cmp_lg_u32 s12, 0
	s_waitcnt vmcnt(0) lgkmcnt(0)
	v_fma_mix_f32 v1, v11, v10, v1 op_sel_hi:[0,1,0]
	s_cbranch_scc1 .LBB413_33
	s_branch .LBB413_21
.LBB413_34:
	s_endpgm
	.section	.rodata,"a",@progbits
	.p2align	6, 0x0
	.amdhsa_kernel _ZL22rocblas_gemvtsm_kernelILb1ELi256EDF16_fDF16_EviiT2_lPKT1_lilS3_lilS0_lPT3_lil
		.amdhsa_group_segment_fixed_size 256
		.amdhsa_private_segment_fixed_size 0
		.amdhsa_kernarg_size 136
		.amdhsa_user_sgpr_count 2
		.amdhsa_user_sgpr_dispatch_ptr 0
		.amdhsa_user_sgpr_queue_ptr 0
		.amdhsa_user_sgpr_kernarg_segment_ptr 1
		.amdhsa_user_sgpr_dispatch_id 0
		.amdhsa_user_sgpr_kernarg_preload_length 0
		.amdhsa_user_sgpr_kernarg_preload_offset 0
		.amdhsa_user_sgpr_private_segment_size 0
		.amdhsa_uses_dynamic_stack 0
		.amdhsa_enable_private_segment 0
		.amdhsa_system_sgpr_workgroup_id_x 1
		.amdhsa_system_sgpr_workgroup_id_y 0
		.amdhsa_system_sgpr_workgroup_id_z 0
		.amdhsa_system_sgpr_workgroup_info 0
		.amdhsa_system_vgpr_workitem_id 0
		.amdhsa_next_free_vgpr 22
		.amdhsa_next_free_sgpr 32
		.amdhsa_accum_offset 24
		.amdhsa_reserve_vcc 1
		.amdhsa_float_round_mode_32 0
		.amdhsa_float_round_mode_16_64 0
		.amdhsa_float_denorm_mode_32 3
		.amdhsa_float_denorm_mode_16_64 3
		.amdhsa_dx10_clamp 1
		.amdhsa_ieee_mode 1
		.amdhsa_fp16_overflow 0
		.amdhsa_tg_split 0
		.amdhsa_exception_fp_ieee_invalid_op 0
		.amdhsa_exception_fp_denorm_src 0
		.amdhsa_exception_fp_ieee_div_zero 0
		.amdhsa_exception_fp_ieee_overflow 0
		.amdhsa_exception_fp_ieee_underflow 0
		.amdhsa_exception_fp_ieee_inexact 0
		.amdhsa_exception_int_div_zero 0
	.end_amdhsa_kernel
	.section	.text._ZL22rocblas_gemvtsm_kernelILb1ELi256EDF16_fDF16_EviiT2_lPKT1_lilS3_lilS0_lPT3_lil,"axG",@progbits,_ZL22rocblas_gemvtsm_kernelILb1ELi256EDF16_fDF16_EviiT2_lPKT1_lilS3_lilS0_lPT3_lil,comdat
.Lfunc_end413:
	.size	_ZL22rocblas_gemvtsm_kernelILb1ELi256EDF16_fDF16_EviiT2_lPKT1_lilS3_lilS0_lPT3_lil, .Lfunc_end413-_ZL22rocblas_gemvtsm_kernelILb1ELi256EDF16_fDF16_EviiT2_lPKT1_lilS3_lilS0_lPT3_lil
                                        ; -- End function
	.section	.AMDGPU.csdata,"",@progbits
; Kernel info:
; codeLenInByte = 1200
; NumSgprs: 38
; NumVgprs: 22
; NumAgprs: 0
; TotalNumVgprs: 22
; ScratchSize: 0
; MemoryBound: 0
; FloatMode: 240
; IeeeMode: 1
; LDSByteSize: 256 bytes/workgroup (compile time only)
; SGPRBlocks: 4
; VGPRBlocks: 2
; NumSGPRsForWavesPerEU: 38
; NumVGPRsForWavesPerEU: 22
; AccumOffset: 24
; Occupancy: 8
; WaveLimiterHint : 1
; COMPUTE_PGM_RSRC2:SCRATCH_EN: 0
; COMPUTE_PGM_RSRC2:USER_SGPR: 2
; COMPUTE_PGM_RSRC2:TRAP_HANDLER: 0
; COMPUTE_PGM_RSRC2:TGID_X_EN: 1
; COMPUTE_PGM_RSRC2:TGID_Y_EN: 0
; COMPUTE_PGM_RSRC2:TGID_Z_EN: 0
; COMPUTE_PGM_RSRC2:TIDIG_COMP_CNT: 0
; COMPUTE_PGM_RSRC3_GFX90A:ACCUM_OFFSET: 5
; COMPUTE_PGM_RSRC3_GFX90A:TG_SPLIT: 0
	.section	.text._ZL23rocblas_gemvt_sn_kernelILb1ELi256ELi4EiDF16_PKffEviiT4_lPKT3_lilS5_lilPT5_i,"axG",@progbits,_ZL23rocblas_gemvt_sn_kernelILb1ELi256ELi4EiDF16_PKffEviiT4_lPKT3_lilS5_lilPT5_i,comdat
	.globl	_ZL23rocblas_gemvt_sn_kernelILb1ELi256ELi4EiDF16_PKffEviiT4_lPKT3_lilS5_lilPT5_i ; -- Begin function _ZL23rocblas_gemvt_sn_kernelILb1ELi256ELi4EiDF16_PKffEviiT4_lPKT3_lilS5_lilPT5_i
	.p2align	8
	.type	_ZL23rocblas_gemvt_sn_kernelILb1ELi256ELi4EiDF16_PKffEviiT4_lPKT3_lilS5_lilPT5_i,@function
_ZL23rocblas_gemvt_sn_kernelILb1ELi256ELi4EiDF16_PKffEviiT4_lPKT3_lilS5_lilPT5_i: ; @_ZL23rocblas_gemvt_sn_kernelILb1ELi256ELi4EiDF16_PKffEviiT4_lPKT3_lilS5_lilPT5_i
; %bb.0:
	s_load_dwordx8 s[20:27], s[0:1], 0x8
	s_load_dwordx2 s[28:29], s[0:1], 0x0
	s_mov_b32 s6, s3
	s_mov_b32 s31, 0
	s_waitcnt lgkmcnt(0)
	s_mul_i32 s3, s3, s23
	s_mul_hi_u32 s4, s6, s22
	s_add_i32 s5, s4, s3
	s_mul_i32 s4, s6, s22
	s_lshl_b64 s[4:5], s[4:5], 2
	s_add_u32 s4, s20, s4
	s_addc_u32 s5, s21, s5
	s_load_dword s33, s[4:5], 0x0
	s_load_dwordx4 s[8:11], s[0:1], 0x50
	s_load_dword s30, s[0:1], 0x68
	s_ashr_i32 s7, s29, 31
	s_mul_hi_u32 s3, s29, s6
	s_mul_i32 s4, s7, s6
	s_add_i32 s13, s3, s4
	s_mul_i32 s12, s29, s6
	s_waitcnt lgkmcnt(0)
	s_mul_i32 s3, s13, s30
	s_mul_hi_u32 s4, s12, s30
	s_add_i32 s5, s4, s3
	s_mul_i32 s4, s12, s30
	s_lshl_b64 s[4:5], s[4:5], 2
	s_add_u32 s55, s10, s4
	s_addc_u32 s56, s11, s5
	v_cmp_neq_f32_e64 s[4:5], s33, 0
	s_and_b64 vcc, exec, s[4:5]
	v_cmp_eq_u32_e64 s[4:5], 0, v0
	s_cbranch_vccnz .LBB414_10
; %bb.1:
	s_cmp_gt_i32 s29, 0
	s_cselect_b64 s[14:15], -1, 0
	s_and_b64 s[14:15], s[4:5], s[14:15]
	s_and_saveexec_b64 s[4:5], s[14:15]
	s_cbranch_execz .LBB414_9
; %bb.2:
	s_cmp_gt_u32 s29, 1
	s_cselect_b64 s[14:15], -1, 0
	s_cmp_eq_u32 s30, 1
	s_cselect_b64 s[18:19], -1, 0
	s_mov_b32 s3, 0
	s_and_b64 s[14:15], s[14:15], s[18:19]
	s_mov_b64 s[16:17], -1
	s_andn2_b64 vcc, exec, s[14:15]
	s_mov_b32 s14, s3
	s_cbranch_vccnz .LBB414_6
; %bb.3:
	s_lshl_b64 s[14:15], s[2:3], 2
	s_add_u32 s16, s55, s14
	s_addc_u32 s17, s56, s15
	s_and_b32 s14, s29, 0x7ffffffe
	v_mov_b32_e32 v2, 0
	v_mov_b32_e32 v3, v2
	s_mov_b32 s15, s14
.LBB414_4:                              ; =>This Inner Loop Header: Depth=1
	global_store_dwordx2 v2, v[2:3], s[16:17]
	s_add_u32 s16, s16, 8
	s_addc_u32 s17, s17, 0
	s_add_i32 s15, s15, -2
	s_cmp_lg_u32 s15, 0
	s_cbranch_scc1 .LBB414_4
; %bb.5:
	s_cmp_lg_u32 s14, s29
	s_cselect_b64 s[16:17], -1, 0
.LBB414_6:
	s_and_b64 vcc, exec, s[16:17]
	s_cbranch_vccz .LBB414_9
; %bb.7:
	s_mov_b32 s15, 0
	s_sub_i32 s16, s29, s14
	s_lshl_b64 s[12:13], s[12:13], 2
	s_lshl_b64 s[14:15], s[14:15], 2
	s_add_u32 s12, s12, s14
	s_addc_u32 s13, s13, s15
	s_mul_i32 s13, s13, s30
	s_mul_hi_u32 s14, s12, s30
	s_add_i32 s14, s14, s13
	s_mul_i32 s15, s12, s30
	s_lshl_b64 s[12:13], s[2:3], 2
	s_add_u32 s3, s15, s12
	s_addc_u32 s12, s14, s13
	s_add_u32 s10, s10, s3
	s_addc_u32 s11, s11, s12
	s_lshl_b64 s[12:13], s[30:31], 2
	v_mov_b32_e32 v1, 0
.LBB414_8:                              ; =>This Inner Loop Header: Depth=1
	s_add_i32 s16, s16, -1
	global_store_dword v1, v1, s[10:11]
	s_add_u32 s10, s10, s12
	s_addc_u32 s11, s11, s13
	s_cmp_eq_u32 s16, 0
	s_cbranch_scc0 .LBB414_8
.LBB414_9:
	s_or_b64 exec, exec, s[4:5]
	s_cbranch_execz .LBB414_11
	s_branch .LBB414_84
.LBB414_10:
.LBB414_11:
	s_load_dword s22, s[0:1], 0x28
	s_load_dwordx4 s[12:15], s[0:1], 0x30
	s_load_dwordx2 s[4:5], s[0:1], 0x40
	s_load_dword s31, s[0:1], 0x48
	s_mul_i32 s0, s6, s9
	s_mul_hi_u32 s1, s6, s8
	s_add_i32 s1, s1, s0
	s_mul_i32 s0, s6, s8
	s_lshl_b64 s[0:1], s[0:1], 1
	s_waitcnt lgkmcnt(0)
	s_add_u32 s3, s14, s0
	s_addc_u32 s8, s15, s1
	s_lshl_b64 s[0:1], s[4:5], 1
	s_add_u32 s34, s3, s0
	s_addc_u32 s35, s8, s1
	s_mul_i32 s0, s6, s13
	s_mul_hi_u32 s1, s6, s12
	s_add_i32 s1, s1, s0
	s_mul_i32 s0, s6, s12
	s_lshl_b64 s[36:37], s[0:1], 1
	s_add_u32 s0, s24, s36
	s_addc_u32 s1, s25, s37
	s_lshl_b64 s[26:27], s[26:27], 1
	s_add_u32 s0, s0, s26
	s_addc_u32 s1, s1, s27
	s_lshl_b32 s3, s2, 10
	v_lshl_or_b32 v10, v0, 2, s3
	v_ashrrev_i32_e32 v11, 31, v10
	v_lshl_add_u64 v[6:7], v[10:11], 1, s[0:1]
	s_lshr_b32 s0, s7, 30
	s_add_i32 s0, s29, s0
	s_and_b32 s3, s0, -4
	s_ashr_i32 s0, s28, 31
	s_lshr_b32 s0, s0, 30
	s_add_i32 s0, s28, s0
	s_and_b32 s0, s0, -4
	s_sub_i32 s54, s28, s0
	s_cmp_lt_i32 s3, 1
	v_add_u32_e32 v27, 4, v10
	v_add_u32_e32 v28, s54, v10
	v_and_b32_e32 v1, 63, v0
	v_cmp_gt_u32_e64 s[0:1], 64, v0
	v_mbcnt_lo_u32_b32 v26, -1, 0
	v_cmp_gt_u32_e64 s[4:5], 4, v0
	v_lshrrev_b32_e32 v9, 4, v0
	v_mul_lo_u32 v8, v10, s31
	s_cbranch_scc1 .LBB414_59
; %bb.12:
	v_mbcnt_hi_u32_b32 v2, -1, v26
	v_and_b32_e32 v3, 63, v2
	v_cmp_gt_u32_e32 vcc, 32, v3
	v_mul_lo_u32 v12, v10, s31
	s_cmp_gt_i32 s54, 0
	v_cndmask_b32_e64 v4, 0, 1, vcc
	v_lshlrev_b32_e32 v4, 5, v4
	v_cmp_gt_u32_e32 vcc, 48, v3
	v_add_lshl_u32 v29, v4, v2, 2
	s_cselect_b64 s[40:41], -1, 0
	v_cndmask_b32_e64 v4, 0, 1, vcc
	v_lshlrev_b32_e32 v4, 4, v4
	v_cmp_gt_u32_e32 vcc, 56, v3
	v_add_lshl_u32 v30, v4, v2, 2
	s_lshl_b32 s57, s22, 2
	v_cndmask_b32_e64 v4, 0, 1, vcc
	v_lshlrev_b32_e32 v4, 3, v4
	v_cmp_gt_u32_e32 vcc, 60, v3
	v_add_lshl_u32 v31, v4, v2, 2
	s_lshl_b32 s38, s22, 1
	v_cndmask_b32_e64 v4, 0, 1, vcc
	v_lshlrev_b32_e32 v4, 2, v4
	v_cmp_gt_u32_e32 vcc, 62, v3
	v_add_lshl_u32 v32, v4, v2, 2
	s_add_u32 s14, s36, s26
	v_cndmask_b32_e64 v4, 0, 1, vcc
	v_lshlrev_b32_e32 v4, 1, v4
	v_cmp_ne_u32_e32 vcc, 63, v3
	v_add_lshl_u32 v33, v4, v2, 2
	s_addc_u32 s15, s37, s27
	v_addc_co_u32_e32 v2, vcc, 0, v2, vcc
	v_lshlrev_b32_e32 v34, 2, v2
	v_add_u32_e32 v2, s31, v12
	v_ashrrev_i32_e32 v3, 31, v2
	v_lshl_add_u64 v[16:17], v[2:3], 1, s[34:35]
	v_add_u32_e32 v2, s31, v2
	v_ashrrev_i32_e32 v3, 31, v2
	s_mov_b32 s39, 0
	v_lshl_add_u64 v[18:19], v[2:3], 1, s[34:35]
	v_add_u32_e32 v2, s31, v2
	s_add_u32 s14, s24, s14
	v_ashrrev_i32_e32 v13, 31, v12
	v_ashrrev_i32_e32 v3, 31, v2
	s_mov_b32 s23, s39
	s_addc_u32 s15, s25, s15
	v_cmp_ge_i32_e64 s[6:7], s28, v27
	v_cmp_ge_i32_e64 s[8:9], s28, v28
	v_cmp_eq_u32_e64 s[10:11], 0, v1
	v_lshlrev_b32_e32 v35, 2, v1
	v_and_b32_e32 v36, 12, v9
	v_cmp_eq_u32_e64 s[12:13], 0, v0
	v_lshl_add_u64 v[14:15], v[12:13], 1, s[34:35]
	v_lshl_add_u64 v[20:21], v[2:3], 1, s[34:35]
	s_mul_i32 s58, s22, 3
	s_mov_b32 s59, s39
	v_lshl_add_u64 v[22:23], v[10:11], 1, s[14:15]
	v_mov_b32_e32 v13, 0
	s_mov_b32 s42, s39
	s_mov_b64 s[44:45], s[38:39]
	s_mov_b64 s[46:47], s[22:23]
	s_mov_b32 s23, 0
                                        ; implicit-def: $vgpr2_vgpr3_vgpr4_vgpr5
	s_branch .LBB414_14
.LBB414_13:                             ;   in Loop: Header=BB414_14 Depth=1
	s_or_b64 exec, exec, s[14:15]
	s_add_i32 s23, s23, 4
	s_add_u32 s46, s46, s57
	s_addc_u32 s47, s47, 0
	s_add_u32 s44, s44, s57
	s_addc_u32 s45, s45, 0
	;; [unrolled: 2-line block ×3, first 2 shown]
	s_add_i32 s42, s42, s57
	s_cmp_ge_i32 s23, s3
	s_cbranch_scc1 .LBB414_60
.LBB414_14:                             ; =>This Loop Header: Depth=1
                                        ;     Child Loop BB414_45 Depth 2
                                        ;     Child Loop BB414_48 Depth 2
                                        ; implicit-def: $vgpr37
                                        ; implicit-def: $vgpr38
                                        ; implicit-def: $vgpr39
                                        ; implicit-def: $vgpr40
	s_and_saveexec_b64 s[14:15], s[6:7]
	s_xor_b64 s[14:15], exec, s[14:15]
	s_cbranch_execnz .LBB414_41
; %bb.15:                               ;   in Loop: Header=BB414_14 Depth=1
	s_andn2_saveexec_b64 s[48:49], s[14:15]
	s_cbranch_execnz .LBB414_42
.LBB414_16:                             ;   in Loop: Header=BB414_14 Depth=1
	s_or_b64 exec, exec, s[48:49]
	s_and_saveexec_b64 s[14:15], s[0:1]
	s_cbranch_execz .LBB414_18
.LBB414_17:                             ;   in Loop: Header=BB414_14 Depth=1
	ds_write_b32 v35, v13
.LBB414_18:                             ;   in Loop: Header=BB414_14 Depth=1
	s_or_b64 exec, exec, s[14:15]
	ds_bpermute_b32 v24, v29, v40
	s_waitcnt lgkmcnt(0)
	s_barrier
	v_add_f32_e32 v24, v40, v24
	ds_bpermute_b32 v25, v30, v24
	s_waitcnt lgkmcnt(0)
	v_add_f32_e32 v24, v24, v25
	ds_bpermute_b32 v25, v31, v24
	s_waitcnt lgkmcnt(0)
	;; [unrolled: 3-line block ×4, first 2 shown]
	v_add_f32_e32 v24, v24, v25
	ds_bpermute_b32 v25, v34, v24
	s_and_saveexec_b64 s[14:15], s[10:11]
	s_cbranch_execz .LBB414_20
; %bb.19:                               ;   in Loop: Header=BB414_14 Depth=1
	s_waitcnt lgkmcnt(0)
	v_add_f32_e32 v24, v24, v25
	ds_write_b32 v36, v24
.LBB414_20:                             ;   in Loop: Header=BB414_14 Depth=1
	s_or_b64 exec, exec, s[14:15]
	v_mov_b32_e32 v24, 0
	s_waitcnt lgkmcnt(0)
	s_barrier
	s_and_saveexec_b64 s[14:15], s[4:5]
	s_cbranch_execnz .LBB414_50
; %bb.21:                               ;   in Loop: Header=BB414_14 Depth=1
	s_or_b64 exec, exec, s[14:15]
	s_and_saveexec_b64 s[14:15], s[0:1]
	s_cbranch_execnz .LBB414_51
.LBB414_22:                             ;   in Loop: Header=BB414_14 Depth=1
	s_or_b64 exec, exec, s[14:15]
	s_and_saveexec_b64 s[14:15], s[0:1]
	s_cbranch_execz .LBB414_24
.LBB414_23:                             ;   in Loop: Header=BB414_14 Depth=1
	ds_write_b32 v35, v13
.LBB414_24:                             ;   in Loop: Header=BB414_14 Depth=1
	s_or_b64 exec, exec, s[14:15]
	ds_bpermute_b32 v25, v29, v39
	s_waitcnt lgkmcnt(0)
	s_barrier
	v_add_f32_e32 v25, v39, v25
	ds_bpermute_b32 v39, v30, v25
	s_waitcnt lgkmcnt(0)
	v_add_f32_e32 v25, v25, v39
	ds_bpermute_b32 v39, v31, v25
	s_waitcnt lgkmcnt(0)
	v_add_f32_e32 v25, v25, v39
	ds_bpermute_b32 v39, v32, v25
	s_waitcnt lgkmcnt(0)
	v_add_f32_e32 v25, v25, v39
	ds_bpermute_b32 v39, v33, v25
	s_waitcnt lgkmcnt(0)
	v_add_f32_e32 v25, v25, v39
	ds_bpermute_b32 v39, v34, v25
	s_and_saveexec_b64 s[14:15], s[10:11]
	s_cbranch_execz .LBB414_26
; %bb.25:                               ;   in Loop: Header=BB414_14 Depth=1
	s_waitcnt lgkmcnt(0)
	v_add_f32_e32 v25, v25, v39
	ds_write_b32 v36, v25
.LBB414_26:                             ;   in Loop: Header=BB414_14 Depth=1
	s_or_b64 exec, exec, s[14:15]
	v_mov_b32_e32 v25, 0
	s_waitcnt lgkmcnt(0)
	s_barrier
	s_and_saveexec_b64 s[14:15], s[4:5]
	s_cbranch_execnz .LBB414_52
; %bb.27:                               ;   in Loop: Header=BB414_14 Depth=1
	s_or_b64 exec, exec, s[14:15]
	s_and_saveexec_b64 s[14:15], s[0:1]
	s_cbranch_execnz .LBB414_53
.LBB414_28:                             ;   in Loop: Header=BB414_14 Depth=1
	s_or_b64 exec, exec, s[14:15]
	s_and_saveexec_b64 s[14:15], s[0:1]
	s_cbranch_execz .LBB414_30
.LBB414_29:                             ;   in Loop: Header=BB414_14 Depth=1
	ds_write_b32 v35, v13
.LBB414_30:                             ;   in Loop: Header=BB414_14 Depth=1
	s_or_b64 exec, exec, s[14:15]
	ds_bpermute_b32 v39, v29, v38
	s_waitcnt lgkmcnt(0)
	s_barrier
	v_add_f32_e32 v38, v38, v39
	ds_bpermute_b32 v39, v30, v38
	s_waitcnt lgkmcnt(0)
	v_add_f32_e32 v38, v38, v39
	ds_bpermute_b32 v39, v31, v38
	s_waitcnt lgkmcnt(0)
	;; [unrolled: 3-line block ×4, first 2 shown]
	v_add_f32_e32 v38, v38, v39
	ds_bpermute_b32 v39, v34, v38
	s_and_saveexec_b64 s[14:15], s[10:11]
	s_cbranch_execz .LBB414_32
; %bb.31:                               ;   in Loop: Header=BB414_14 Depth=1
	s_waitcnt lgkmcnt(0)
	v_add_f32_e32 v38, v38, v39
	ds_write_b32 v36, v38
.LBB414_32:                             ;   in Loop: Header=BB414_14 Depth=1
	s_or_b64 exec, exec, s[14:15]
	v_mov_b32_e32 v38, 0
	s_waitcnt lgkmcnt(0)
	s_barrier
	s_and_saveexec_b64 s[14:15], s[4:5]
	s_cbranch_execnz .LBB414_54
; %bb.33:                               ;   in Loop: Header=BB414_14 Depth=1
	s_or_b64 exec, exec, s[14:15]
	s_and_saveexec_b64 s[14:15], s[0:1]
	s_cbranch_execnz .LBB414_55
.LBB414_34:                             ;   in Loop: Header=BB414_14 Depth=1
	s_or_b64 exec, exec, s[14:15]
	s_and_saveexec_b64 s[14:15], s[0:1]
	s_cbranch_execz .LBB414_36
.LBB414_35:                             ;   in Loop: Header=BB414_14 Depth=1
	ds_write_b32 v35, v13
.LBB414_36:                             ;   in Loop: Header=BB414_14 Depth=1
	s_or_b64 exec, exec, s[14:15]
	ds_bpermute_b32 v39, v29, v37
	s_waitcnt lgkmcnt(0)
	s_barrier
	v_add_f32_e32 v37, v37, v39
	ds_bpermute_b32 v39, v30, v37
	s_waitcnt lgkmcnt(0)
	v_add_f32_e32 v37, v37, v39
	ds_bpermute_b32 v39, v31, v37
	s_waitcnt lgkmcnt(0)
	;; [unrolled: 3-line block ×4, first 2 shown]
	v_add_f32_e32 v37, v37, v39
	ds_bpermute_b32 v39, v34, v37
	s_and_saveexec_b64 s[14:15], s[10:11]
	s_cbranch_execz .LBB414_38
; %bb.37:                               ;   in Loop: Header=BB414_14 Depth=1
	s_waitcnt lgkmcnt(0)
	v_add_f32_e32 v37, v37, v39
	ds_write_b32 v36, v37
.LBB414_38:                             ;   in Loop: Header=BB414_14 Depth=1
	s_or_b64 exec, exec, s[14:15]
	v_mov_b32_e32 v37, 0
	s_waitcnt lgkmcnt(0)
	s_barrier
	s_and_saveexec_b64 s[14:15], s[4:5]
	s_cbranch_execnz .LBB414_56
; %bb.39:                               ;   in Loop: Header=BB414_14 Depth=1
	s_or_b64 exec, exec, s[14:15]
	s_and_saveexec_b64 s[14:15], s[0:1]
	s_cbranch_execnz .LBB414_57
.LBB414_40:                             ;   in Loop: Header=BB414_14 Depth=1
	s_or_b64 exec, exec, s[14:15]
	s_and_saveexec_b64 s[14:15], s[12:13]
	s_cbranch_execz .LBB414_13
	s_branch .LBB414_58
.LBB414_41:                             ;   in Loop: Header=BB414_14 Depth=1
	s_mul_i32 s16, s23, s22
	s_ashr_i32 s17, s16, 31
	v_lshl_add_u64 v[2:3], s[16:17], 1, v[6:7]
	s_add_i32 s16, s16, s22
	s_ashr_i32 s17, s16, 31
	v_lshl_add_u64 v[4:5], s[16:17], 1, v[6:7]
	s_add_i32 s16, s16, s22
	;; [unrolled: 3-line block ×3, first 2 shown]
	s_ashr_i32 s17, s16, 31
	s_waitcnt lgkmcnt(0)
	global_load_ushort v37, v[14:15], off
	global_load_ushort v44, v[16:17], off
	;; [unrolled: 1-line block ×4, first 2 shown]
	global_load_dwordx2 v[38:39], v[2:3], off
	global_load_dwordx2 v[40:41], v[4:5], off
	v_lshl_add_u64 v[2:3], s[16:17], 1, v[6:7]
	global_load_dwordx2 v[24:25], v[24:25], off
	s_waitcnt vmcnt(4)
	v_cvt_f32_f16_e32 v4, v45
	global_load_dwordx2 v[42:43], v[2:3], off
	s_waitcnt vmcnt(3)
	v_fma_mix_f32 v47, v37, v38, 0 op_sel_hi:[1,1,0]
	v_cvt_f32_f16_e32 v2, v37
	v_cvt_f32_f16_e32 v3, v44
	;; [unrolled: 1-line block ×3, first 2 shown]
	s_waitcnt vmcnt(2)
	v_fma_mix_f32 v48, v37, v40, 0 op_sel_hi:[1,1,0]
	v_fma_mix_f32 v38, v44, v38, v47 op_sel:[0,1,0] op_sel_hi:[1,1,0]
	s_waitcnt vmcnt(1)
	v_fma_mix_f32 v47, v37, v24, 0 op_sel_hi:[1,1,0]
	v_fma_mix_f32 v40, v44, v40, v48 op_sel:[0,1,0] op_sel_hi:[1,1,0]
	v_fma_mix_f32 v24, v44, v24, v47 op_sel:[0,1,0] op_sel_hi:[1,1,0]
	v_fma_mix_f32 v38, v45, v39, v38 op_sel_hi:[1,1,0]
	v_fma_mix_f32 v47, v45, v41, v40 op_sel_hi:[1,1,0]
	;; [unrolled: 1-line block ×3, first 2 shown]
	v_fma_mix_f32 v40, v46, v39, v38 op_sel:[0,1,0] op_sel_hi:[1,1,0]
	v_fma_mix_f32 v39, v46, v41, v47 op_sel:[0,1,0] op_sel_hi:[1,1,0]
	;; [unrolled: 1-line block ×3, first 2 shown]
	s_waitcnt vmcnt(0)
	v_fma_mix_f32 v37, v37, v42, 0 op_sel_hi:[1,1,0]
	s_nop 0
	v_fma_mix_f32 v37, v44, v42, v37 op_sel:[0,1,0] op_sel_hi:[1,1,0]
	s_nop 0
	v_fma_mix_f32 v37, v45, v43, v37 op_sel_hi:[1,1,0]
	s_nop 0
	v_fma_mix_f32 v37, v46, v43, v37 op_sel:[0,1,0] op_sel_hi:[1,1,0]
	s_andn2_saveexec_b64 s[48:49], s[14:15]
	s_cbranch_execz .LBB414_16
.LBB414_42:                             ;   in Loop: Header=BB414_14 Depth=1
	s_waitcnt lgkmcnt(0)
	v_mov_b32_e32 v37, 0
	v_mov_b32_e32 v38, 0
	;; [unrolled: 1-line block ×4, first 2 shown]
	s_and_saveexec_b64 s[50:51], s[8:9]
	s_cbranch_execz .LBB414_49
; %bb.43:                               ;   in Loop: Header=BB414_14 Depth=1
	v_cndmask_b32_e64 v24, 0, 1, s[40:41]
	v_cmp_ne_u32_e64 s[14:15], 1, v24
	s_andn2_b64 vcc, exec, s[40:41]
	s_cbranch_vccnz .LBB414_46
; %bb.44:                               ;   in Loop: Header=BB414_14 Depth=1
	s_mov_b64 s[52:53], 0
	v_mov_b32_e32 v24, v12
.LBB414_45:                             ;   Parent Loop BB414_14 Depth=1
                                        ; =>  This Inner Loop Header: Depth=2
	v_ashrrev_i32_e32 v25, 31, v24
	v_lshl_add_u64 v[38:39], v[24:25], 1, s[34:35]
	global_load_ushort v25, v[38:39], off
	s_cmp_eq_u32 s52, 3
	s_cselect_b64 vcc, -1, 0
	s_cmp_eq_u32 s52, 2
	s_cselect_b64 s[16:17], -1, 0
	s_cmp_eq_u32 s52, 1
	s_cselect_b64 s[18:19], -1, 0
	;; [unrolled: 2-line block ×3, first 2 shown]
	s_add_u32 s52, s52, 1
	s_addc_u32 s53, s53, 0
	v_add_u32_e32 v24, s31, v24
	s_cmp_eq_u32 s54, s52
	s_waitcnt vmcnt(0)
	v_cvt_f32_f16_e32 v25, v25
	v_cndmask_b32_e32 v5, v5, v25, vcc
	v_cndmask_b32_e64 v4, v4, v25, s[16:17]
	v_cndmask_b32_e64 v3, v3, v25, s[18:19]
	;; [unrolled: 1-line block ×3, first 2 shown]
	s_cbranch_scc0 .LBB414_45
.LBB414_46:                             ;   in Loop: Header=BB414_14 Depth=1
	s_and_b64 vcc, exec, s[14:15]
	v_mov_b32_e32 v37, 0
	v_mov_b32_e32 v38, 0
	;; [unrolled: 1-line block ×4, first 2 shown]
	s_cbranch_vccnz .LBB414_49
; %bb.47:                               ;   in Loop: Header=BB414_14 Depth=1
	s_ashr_i32 s43, s42, 31
	v_lshl_add_u64 v[24:25], s[42:43], 1, v[22:23]
	s_mov_b64 s[14:15], 0
	v_mov_b32_e32 v40, 0
	v_mov_b32_e32 v39, 0
	;; [unrolled: 1-line block ×4, first 2 shown]
.LBB414_48:                             ;   Parent Loop BB414_14 Depth=1
                                        ; =>  This Inner Loop Header: Depth=2
	s_cmp_eq_u32 s14, 1
	s_cselect_b64 vcc, -1, 0
	s_cmp_eq_u32 s14, 2
	v_cndmask_b32_e32 v42, v2, v3, vcc
	s_cselect_b64 vcc, -1, 0
	s_cmp_eq_u32 s14, 3
	v_cndmask_b32_e32 v48, v42, v4, vcc
	s_cselect_b64 vcc, -1, 0
	s_add_i32 s16, s46, s14
	s_add_i32 s18, s44, s14
	;; [unrolled: 1-line block ×3, first 2 shown]
	s_ashr_i32 s17, s16, 31
	s_ashr_i32 s19, s18, 31
	;; [unrolled: 1-line block ×3, first 2 shown]
	v_lshl_add_u64 v[42:43], s[16:17], 1, v[6:7]
	v_lshl_add_u64 v[44:45], s[18:19], 1, v[6:7]
	global_load_ushort v41, v[24:25], off
	v_lshl_add_u64 v[46:47], s[20:21], 1, v[6:7]
	global_load_ushort v42, v[42:43], off
	s_nop 0
	global_load_ushort v43, v[44:45], off
	s_nop 0
	global_load_ushort v44, v[46:47], off
	s_add_u32 s14, s14, 1
	v_cndmask_b32_e32 v45, v48, v5, vcc
	s_addc_u32 s15, s15, 0
	v_lshl_add_u64 v[24:25], v[24:25], 0, 2
	s_cmp_lg_u32 s54, s14
	s_waitcnt vmcnt(3)
	v_fma_mix_f32 v40, v45, v41, v40 op_sel_hi:[0,1,0]
	s_waitcnt vmcnt(2)
	v_fma_mix_f32 v39, v45, v42, v39 op_sel_hi:[0,1,0]
	;; [unrolled: 2-line block ×4, first 2 shown]
	s_cbranch_scc1 .LBB414_48
.LBB414_49:                             ;   in Loop: Header=BB414_14 Depth=1
	s_or_b64 exec, exec, s[50:51]
	s_or_b64 exec, exec, s[48:49]
	s_and_saveexec_b64 s[14:15], s[0:1]
	s_cbranch_execnz .LBB414_17
	s_branch .LBB414_18
.LBB414_50:                             ;   in Loop: Header=BB414_14 Depth=1
	ds_read_b32 v24, v35
	s_or_b64 exec, exec, s[14:15]
	s_and_saveexec_b64 s[14:15], s[0:1]
	s_cbranch_execz .LBB414_22
.LBB414_51:                             ;   in Loop: Header=BB414_14 Depth=1
	s_waitcnt lgkmcnt(0)
	ds_bpermute_b32 v25, v33, v24
	s_waitcnt lgkmcnt(0)
	v_add_f32_e32 v24, v24, v25
	ds_bpermute_b32 v25, v34, v24
	s_waitcnt lgkmcnt(0)
	v_add_f32_e32 v24, v24, v25
	s_or_b64 exec, exec, s[14:15]
	s_and_saveexec_b64 s[14:15], s[0:1]
	s_cbranch_execnz .LBB414_23
	s_branch .LBB414_24
.LBB414_52:                             ;   in Loop: Header=BB414_14 Depth=1
	ds_read_b32 v25, v35
	s_or_b64 exec, exec, s[14:15]
	s_and_saveexec_b64 s[14:15], s[0:1]
	s_cbranch_execz .LBB414_28
.LBB414_53:                             ;   in Loop: Header=BB414_14 Depth=1
	s_waitcnt lgkmcnt(0)
	ds_bpermute_b32 v39, v33, v25
	s_waitcnt lgkmcnt(0)
	v_add_f32_e32 v25, v25, v39
	ds_bpermute_b32 v39, v34, v25
	s_waitcnt lgkmcnt(0)
	v_add_f32_e32 v25, v25, v39
	s_or_b64 exec, exec, s[14:15]
	s_and_saveexec_b64 s[14:15], s[0:1]
	s_cbranch_execnz .LBB414_29
	s_branch .LBB414_30
.LBB414_54:                             ;   in Loop: Header=BB414_14 Depth=1
	ds_read_b32 v38, v35
	s_or_b64 exec, exec, s[14:15]
	s_and_saveexec_b64 s[14:15], s[0:1]
	s_cbranch_execz .LBB414_34
.LBB414_55:                             ;   in Loop: Header=BB414_14 Depth=1
	s_waitcnt lgkmcnt(0)
	ds_bpermute_b32 v39, v33, v38
	s_waitcnt lgkmcnt(0)
	v_add_f32_e32 v38, v38, v39
	ds_bpermute_b32 v39, v34, v38
	s_waitcnt lgkmcnt(0)
	v_add_f32_e32 v38, v38, v39
	s_or_b64 exec, exec, s[14:15]
	s_and_saveexec_b64 s[14:15], s[0:1]
	s_cbranch_execnz .LBB414_35
	s_branch .LBB414_36
.LBB414_56:                             ;   in Loop: Header=BB414_14 Depth=1
	ds_read_b32 v37, v35
	s_or_b64 exec, exec, s[14:15]
	s_and_saveexec_b64 s[14:15], s[0:1]
	s_cbranch_execz .LBB414_40
.LBB414_57:                             ;   in Loop: Header=BB414_14 Depth=1
	s_waitcnt lgkmcnt(0)
	ds_bpermute_b32 v39, v33, v37
	s_waitcnt lgkmcnt(0)
	v_add_f32_e32 v37, v37, v39
	ds_bpermute_b32 v39, v34, v37
	s_waitcnt lgkmcnt(0)
	v_add_f32_e32 v37, v37, v39
	s_or_b64 exec, exec, s[14:15]
	s_and_saveexec_b64 s[14:15], s[12:13]
	s_cbranch_execz .LBB414_13
.LBB414_58:                             ;   in Loop: Header=BB414_14 Depth=1
	s_mul_i32 s16, s23, s30
	s_add_i32 s38, s16, s2
	s_lshl_b64 s[16:17], s[38:39], 2
	s_add_u32 s16, s55, s16
	v_mul_f32_e32 v24, s33, v24
	s_addc_u32 s17, s56, s17
	s_add_i32 s38, s38, s30
	global_store_dword v13, v24, s[16:17]
	s_lshl_b64 s[16:17], s[38:39], 2
	s_add_u32 s16, s55, s16
	v_mul_f32_e32 v24, s33, v25
	s_addc_u32 s17, s56, s17
	s_add_i32 s38, s38, s30
	global_store_dword v13, v24, s[16:17]
	;; [unrolled: 6-line block ×3, first 2 shown]
	s_lshl_b64 s[16:17], s[38:39], 2
	s_add_u32 s16, s55, s16
	s_waitcnt lgkmcnt(0)
	v_mul_f32_e32 v24, s33, v37
	s_addc_u32 s17, s56, s17
	global_store_dword v13, v24, s[16:17]
	s_branch .LBB414_13
.LBB414_59:
	s_mov_b32 s23, 0
                                        ; implicit-def: $vgpr2_vgpr3_vgpr4_vgpr5
.LBB414_60:
	s_cmp_ge_i32 s23, s29
	s_cbranch_scc1 .LBB414_84
; %bb.61:
	v_mbcnt_hi_u32_b32 v12, -1, v26
	v_and_b32_e32 v13, 63, v12
	v_cmp_gt_u32_e32 vcc, 32, v13
	s_mov_b32 s3, 0
	s_cmp_gt_i32 s54, 0
	v_cndmask_b32_e64 v14, 0, 1, vcc
	v_lshlrev_b32_e32 v14, 5, v14
	v_cmp_gt_u32_e32 vcc, 48, v13
	v_add_lshl_u32 v23, v14, v12, 2
	s_cselect_b64 s[38:39], -1, 0
	v_cndmask_b32_e64 v14, 0, 1, vcc
	v_lshlrev_b32_e32 v14, 4, v14
	v_cmp_gt_u32_e32 vcc, 56, v13
	v_add_lshl_u32 v24, v14, v12, 2
	s_lshl_b64 s[14:15], s[2:3], 2
	v_cndmask_b32_e64 v14, 0, 1, vcc
	v_lshlrev_b32_e32 v14, 3, v14
	v_cmp_gt_u32_e32 vcc, 60, v13
	v_add_lshl_u32 v25, v14, v12, 2
	s_add_u32 s2, s55, s14
	v_cndmask_b32_e64 v14, 0, 1, vcc
	v_cmp_ge_i32_e64 s[0:1], s28, v27
	v_cmp_ge_i32_e64 s[4:5], s28, v28
	v_lshlrev_b32_e32 v14, 2, v14
	v_cmp_gt_u32_e32 vcc, 62, v13
	s_addc_u32 s28, s56, s15
	v_add_u32_e32 v16, s31, v8
	v_add_lshl_u32 v26, v14, v12, 2
	v_cndmask_b32_e64 v14, 0, 1, vcc
	v_add_u32_e32 v18, s31, v16
	s_add_u32 s14, s36, s26
	v_lshlrev_b32_e32 v14, 1, v14
	v_ashrrev_i32_e32 v17, 31, v16
	v_ashrrev_i32_e32 v19, 31, v18
	s_addc_u32 s15, s37, s27
	v_add_lshl_u32 v27, v14, v12, 2
	v_cmp_ne_u32_e32 vcc, 63, v13
	v_lshl_add_u64 v[14:15], v[16:17], 1, s[34:35]
	v_lshl_add_u64 v[16:17], v[18:19], 1, s[34:35]
	v_add_u32_e32 v18, s31, v18
	s_add_u32 s14, s24, s14
	v_lshlrev_b32_e32 v22, 2, v1
	v_addc_co_u32_e32 v12, vcc, 0, v12, vcc
	v_cmp_eq_u32_e64 s[8:9], 0, v1
	v_and_b32_e32 v1, 12, v9
	v_ashrrev_i32_e32 v9, 31, v8
	v_ashrrev_i32_e32 v19, 31, v18
	s_addc_u32 s15, s25, s15
	v_cmp_gt_u32_e64 s[6:7], 64, v0
	v_lshlrev_b32_e32 v28, 2, v12
	v_cmp_gt_u32_e64 s[10:11], 4, v0
	v_cmp_eq_u32_e64 s[12:13], 0, v0
	v_lshl_add_u64 v[12:13], v[8:9], 1, s[34:35]
	v_lshl_add_u64 v[18:19], v[18:19], 1, s[34:35]
	;; [unrolled: 1-line block ×3, first 2 shown]
	s_mul_i32 s24, s23, s22
	v_mov_b32_e32 v9, 0
	s_branch .LBB414_63
.LBB414_62:                             ;   in Loop: Header=BB414_63 Depth=1
	s_or_b64 exec, exec, s[14:15]
	s_add_i32 s23, s23, 1
	s_add_i32 s24, s24, s22
	s_cmp_ge_i32 s23, s29
	s_cbranch_scc1 .LBB414_84
.LBB414_63:                             ; =>This Loop Header: Depth=1
                                        ;     Child Loop BB414_76 Depth 2
                                        ;     Child Loop BB414_79 Depth 2
	s_waitcnt lgkmcnt(0)
	v_mov_b32_e32 v0, s3
	s_and_saveexec_b64 s[14:15], s[0:1]
	s_xor_b64 s[14:15], exec, s[14:15]
	s_cbranch_execnz .LBB414_72
; %bb.64:                               ;   in Loop: Header=BB414_63 Depth=1
	s_andn2_saveexec_b64 s[26:27], s[14:15]
	s_cbranch_execnz .LBB414_73
.LBB414_65:                             ;   in Loop: Header=BB414_63 Depth=1
	s_or_b64 exec, exec, s[26:27]
	s_and_saveexec_b64 s[14:15], s[6:7]
	s_cbranch_execz .LBB414_67
.LBB414_66:                             ;   in Loop: Header=BB414_63 Depth=1
	ds_write_b32 v22, v9
.LBB414_67:                             ;   in Loop: Header=BB414_63 Depth=1
	s_or_b64 exec, exec, s[14:15]
	ds_bpermute_b32 v20, v23, v0
	s_waitcnt lgkmcnt(0)
	s_barrier
	v_add_f32_e32 v0, v0, v20
	ds_bpermute_b32 v20, v24, v0
	s_waitcnt lgkmcnt(0)
	v_add_f32_e32 v0, v0, v20
	ds_bpermute_b32 v20, v25, v0
	s_waitcnt lgkmcnt(0)
	;; [unrolled: 3-line block ×4, first 2 shown]
	v_add_f32_e32 v0, v0, v20
	ds_bpermute_b32 v20, v28, v0
	s_and_saveexec_b64 s[14:15], s[8:9]
	s_cbranch_execz .LBB414_69
; %bb.68:                               ;   in Loop: Header=BB414_63 Depth=1
	s_waitcnt lgkmcnt(0)
	v_add_f32_e32 v0, v0, v20
	ds_write_b32 v1, v0
.LBB414_69:                             ;   in Loop: Header=BB414_63 Depth=1
	s_or_b64 exec, exec, s[14:15]
	v_mov_b32_e32 v0, 0
	s_waitcnt lgkmcnt(0)
	s_barrier
	s_and_saveexec_b64 s[14:15], s[10:11]
	s_cbranch_execnz .LBB414_81
; %bb.70:                               ;   in Loop: Header=BB414_63 Depth=1
	s_or_b64 exec, exec, s[14:15]
	s_and_saveexec_b64 s[14:15], s[6:7]
	s_cbranch_execnz .LBB414_82
.LBB414_71:                             ;   in Loop: Header=BB414_63 Depth=1
	s_or_b64 exec, exec, s[14:15]
	s_and_saveexec_b64 s[14:15], s[12:13]
	s_cbranch_execz .LBB414_62
	s_branch .LBB414_83
.LBB414_72:                             ;   in Loop: Header=BB414_63 Depth=1
	s_mul_i32 s16, s23, s22
	s_ashr_i32 s17, s16, 31
	global_load_ushort v0, v[18:19], off
	global_load_ushort v4, v[12:13], off
	;; [unrolled: 1-line block ×3, first 2 shown]
	v_lshl_add_u64 v[2:3], s[16:17], 1, v[6:7]
	global_load_dwordx2 v[20:21], v[2:3], off
	global_load_ushort v29, v[16:17], off
	s_waitcnt vmcnt(3)
	v_cvt_f32_f16_e32 v2, v4
	s_waitcnt vmcnt(2)
	v_cvt_f32_f16_e32 v3, v5
	;; [unrolled: 2-line block ×3, first 2 shown]
	v_cvt_f32_f16_sdwa v31, v20 dst_sel:DWORD dst_unused:UNUSED_PAD src0_sel:WORD_1
	v_cvt_f32_f16_e32 v5, v0
	s_waitcnt vmcnt(0)
	v_cvt_f32_f16_e32 v4, v29
	v_cvt_f32_f16_e32 v20, v21
	v_cvt_f32_f16_sdwa v21, v21 dst_sel:DWORD dst_unused:UNUSED_PAD src0_sel:WORD_1
	v_pk_mul_f32 v[30:31], v[2:3], v[30:31]
	v_pk_mul_f32 v[20:21], v[4:5], v[20:21]
	v_add_f32_e32 v0, 0, v30
	v_add_f32_e32 v0, v0, v31
	;; [unrolled: 1-line block ×4, first 2 shown]
	s_andn2_saveexec_b64 s[26:27], s[14:15]
	s_cbranch_execz .LBB414_65
.LBB414_73:                             ;   in Loop: Header=BB414_63 Depth=1
	s_and_saveexec_b64 s[36:37], s[4:5]
	s_cbranch_execz .LBB414_80
; %bb.74:                               ;   in Loop: Header=BB414_63 Depth=1
	v_cndmask_b32_e64 v20, 0, 1, s[38:39]
	v_cmp_ne_u32_e64 s[14:15], 1, v20
	s_andn2_b64 vcc, exec, s[38:39]
	s_cbranch_vccnz .LBB414_77
; %bb.75:                               ;   in Loop: Header=BB414_63 Depth=1
	s_mov_b64 s[40:41], 0
	v_mov_b32_e32 v20, v8
.LBB414_76:                             ;   Parent Loop BB414_63 Depth=1
                                        ; =>  This Inner Loop Header: Depth=2
	v_ashrrev_i32_e32 v21, 31, v20
	v_lshl_add_u64 v[30:31], v[20:21], 1, s[34:35]
	global_load_ushort v21, v[30:31], off
	s_cmp_eq_u32 s40, 3
	s_cselect_b64 vcc, -1, 0
	s_cmp_eq_u32 s40, 2
	s_cselect_b64 s[16:17], -1, 0
	s_cmp_eq_u32 s40, 1
	s_cselect_b64 s[18:19], -1, 0
	s_cmp_eq_u32 s40, 0
	s_cselect_b64 s[20:21], -1, 0
	s_add_u32 s40, s40, 1
	s_addc_u32 s41, s41, 0
	v_add_u32_e32 v20, s31, v20
	s_cmp_eq_u32 s54, s40
	s_waitcnt vmcnt(0)
	v_cvt_f32_f16_e32 v21, v21
	v_cndmask_b32_e32 v5, v5, v21, vcc
	v_cndmask_b32_e64 v4, v4, v21, s[16:17]
	v_cndmask_b32_e64 v3, v3, v21, s[18:19]
	;; [unrolled: 1-line block ×3, first 2 shown]
	s_cbranch_scc0 .LBB414_76
.LBB414_77:                             ;   in Loop: Header=BB414_63 Depth=1
	s_and_b64 vcc, exec, s[14:15]
	s_cbranch_vccnz .LBB414_80
; %bb.78:                               ;   in Loop: Header=BB414_63 Depth=1
	s_ashr_i32 s25, s24, 31
	v_lshl_add_u64 v[20:21], s[24:25], 1, v[10:11]
	s_mov_b64 s[14:15], 0
.LBB414_79:                             ;   Parent Loop BB414_63 Depth=1
                                        ; =>  This Inner Loop Header: Depth=2
	global_load_ushort v29, v[20:21], off
	s_cmp_eq_u32 s14, 1
	s_cselect_b64 vcc, -1, 0
	s_cmp_eq_u32 s14, 2
	v_cndmask_b32_e32 v30, v2, v3, vcc
	s_cselect_b64 vcc, -1, 0
	s_cmp_eq_u32 s14, 3
	v_cndmask_b32_e32 v30, v30, v4, vcc
	s_cselect_b64 vcc, -1, 0
	s_add_u32 s14, s14, 1
	v_cndmask_b32_e32 v30, v30, v5, vcc
	s_addc_u32 s15, s15, 0
	v_lshl_add_u64 v[20:21], v[20:21], 0, 2
	s_cmp_lg_u32 s54, s14
	s_waitcnt vmcnt(0)
	v_fma_mix_f32 v0, v30, v29, v0 op_sel_hi:[0,1,0]
	s_cbranch_scc1 .LBB414_79
.LBB414_80:                             ;   in Loop: Header=BB414_63 Depth=1
	s_or_b64 exec, exec, s[36:37]
	s_or_b64 exec, exec, s[26:27]
	s_and_saveexec_b64 s[14:15], s[6:7]
	s_cbranch_execnz .LBB414_66
	s_branch .LBB414_67
.LBB414_81:                             ;   in Loop: Header=BB414_63 Depth=1
	ds_read_b32 v0, v22
	s_or_b64 exec, exec, s[14:15]
	s_and_saveexec_b64 s[14:15], s[6:7]
	s_cbranch_execz .LBB414_71
.LBB414_82:                             ;   in Loop: Header=BB414_63 Depth=1
	s_waitcnt lgkmcnt(0)
	ds_bpermute_b32 v20, v27, v0
	s_waitcnt lgkmcnt(0)
	v_add_f32_e32 v0, v0, v20
	ds_bpermute_b32 v20, v28, v0
	s_waitcnt lgkmcnt(0)
	v_add_f32_e32 v0, v0, v20
	s_or_b64 exec, exec, s[14:15]
	s_and_saveexec_b64 s[14:15], s[12:13]
	s_cbranch_execz .LBB414_62
.LBB414_83:                             ;   in Loop: Header=BB414_63 Depth=1
	s_mul_hi_u32 s17, s23, s30
	s_mul_i32 s16, s23, s30
	s_lshl_b64 s[16:17], s[16:17], 2
	s_add_u32 s16, s2, s16
	s_waitcnt lgkmcnt(0)
	v_mul_f32_e32 v0, s33, v0
	s_addc_u32 s17, s28, s17
	global_store_dword v9, v0, s[16:17]
	s_branch .LBB414_62
.LBB414_84:
	s_endpgm
	.section	.rodata,"a",@progbits
	.p2align	6, 0x0
	.amdhsa_kernel _ZL23rocblas_gemvt_sn_kernelILb1ELi256ELi4EiDF16_PKffEviiT4_lPKT3_lilS5_lilPT5_i
		.amdhsa_group_segment_fixed_size 256
		.amdhsa_private_segment_fixed_size 0
		.amdhsa_kernarg_size 360
		.amdhsa_user_sgpr_count 2
		.amdhsa_user_sgpr_dispatch_ptr 0
		.amdhsa_user_sgpr_queue_ptr 0
		.amdhsa_user_sgpr_kernarg_segment_ptr 1
		.amdhsa_user_sgpr_dispatch_id 0
		.amdhsa_user_sgpr_kernarg_preload_length 0
		.amdhsa_user_sgpr_kernarg_preload_offset 0
		.amdhsa_user_sgpr_private_segment_size 0
		.amdhsa_uses_dynamic_stack 0
		.amdhsa_enable_private_segment 0
		.amdhsa_system_sgpr_workgroup_id_x 1
		.amdhsa_system_sgpr_workgroup_id_y 0
		.amdhsa_system_sgpr_workgroup_id_z 1
		.amdhsa_system_sgpr_workgroup_info 0
		.amdhsa_system_vgpr_workitem_id 0
		.amdhsa_next_free_vgpr 49
		.amdhsa_next_free_sgpr 60
		.amdhsa_accum_offset 52
		.amdhsa_reserve_vcc 1
		.amdhsa_float_round_mode_32 0
		.amdhsa_float_round_mode_16_64 0
		.amdhsa_float_denorm_mode_32 3
		.amdhsa_float_denorm_mode_16_64 3
		.amdhsa_dx10_clamp 1
		.amdhsa_ieee_mode 1
		.amdhsa_fp16_overflow 0
		.amdhsa_tg_split 0
		.amdhsa_exception_fp_ieee_invalid_op 0
		.amdhsa_exception_fp_denorm_src 0
		.amdhsa_exception_fp_ieee_div_zero 0
		.amdhsa_exception_fp_ieee_overflow 0
		.amdhsa_exception_fp_ieee_underflow 0
		.amdhsa_exception_fp_ieee_inexact 0
		.amdhsa_exception_int_div_zero 0
	.end_amdhsa_kernel
	.section	.text._ZL23rocblas_gemvt_sn_kernelILb1ELi256ELi4EiDF16_PKffEviiT4_lPKT3_lilS5_lilPT5_i,"axG",@progbits,_ZL23rocblas_gemvt_sn_kernelILb1ELi256ELi4EiDF16_PKffEviiT4_lPKT3_lilS5_lilPT5_i,comdat
.Lfunc_end414:
	.size	_ZL23rocblas_gemvt_sn_kernelILb1ELi256ELi4EiDF16_PKffEviiT4_lPKT3_lilS5_lilPT5_i, .Lfunc_end414-_ZL23rocblas_gemvt_sn_kernelILb1ELi256ELi4EiDF16_PKffEviiT4_lPKT3_lilS5_lilPT5_i
                                        ; -- End function
	.section	.AMDGPU.csdata,"",@progbits
; Kernel info:
; codeLenInByte = 4016
; NumSgprs: 66
; NumVgprs: 49
; NumAgprs: 0
; TotalNumVgprs: 49
; ScratchSize: 0
; MemoryBound: 0
; FloatMode: 240
; IeeeMode: 1
; LDSByteSize: 256 bytes/workgroup (compile time only)
; SGPRBlocks: 8
; VGPRBlocks: 6
; NumSGPRsForWavesPerEU: 66
; NumVGPRsForWavesPerEU: 49
; AccumOffset: 52
; Occupancy: 8
; WaveLimiterHint : 1
; COMPUTE_PGM_RSRC2:SCRATCH_EN: 0
; COMPUTE_PGM_RSRC2:USER_SGPR: 2
; COMPUTE_PGM_RSRC2:TRAP_HANDLER: 0
; COMPUTE_PGM_RSRC2:TGID_X_EN: 1
; COMPUTE_PGM_RSRC2:TGID_Y_EN: 0
; COMPUTE_PGM_RSRC2:TGID_Z_EN: 1
; COMPUTE_PGM_RSRC2:TIDIG_COMP_CNT: 0
; COMPUTE_PGM_RSRC3_GFX90A:ACCUM_OFFSET: 12
; COMPUTE_PGM_RSRC3_GFX90A:TG_SPLIT: 0
	.section	.text._ZL23rocblas_gemvt_sn_kernelILb1ELi256ELi4ElDF16_PKffEviiT4_lPKT3_lilS5_lilPT5_i,"axG",@progbits,_ZL23rocblas_gemvt_sn_kernelILb1ELi256ELi4ElDF16_PKffEviiT4_lPKT3_lilS5_lilPT5_i,comdat
	.globl	_ZL23rocblas_gemvt_sn_kernelILb1ELi256ELi4ElDF16_PKffEviiT4_lPKT3_lilS5_lilPT5_i ; -- Begin function _ZL23rocblas_gemvt_sn_kernelILb1ELi256ELi4ElDF16_PKffEviiT4_lPKT3_lilS5_lilPT5_i
	.p2align	8
	.type	_ZL23rocblas_gemvt_sn_kernelILb1ELi256ELi4ElDF16_PKffEviiT4_lPKT3_lilS5_lilPT5_i,@function
_ZL23rocblas_gemvt_sn_kernelILb1ELi256ELi4ElDF16_PKffEviiT4_lPKT3_lilS5_lilPT5_i: ; @_ZL23rocblas_gemvt_sn_kernelILb1ELi256ELi4ElDF16_PKffEviiT4_lPKT3_lilS5_lilPT5_i
; %bb.0:
	s_load_dwordx8 s[20:27], s[0:1], 0x8
	s_load_dwordx2 s[28:29], s[0:1], 0x0
	s_mov_b32 s6, s3
	s_mov_b32 s31, 0
	s_waitcnt lgkmcnt(0)
	s_mul_i32 s3, s3, s23
	s_mul_hi_u32 s4, s6, s22
	s_add_i32 s5, s4, s3
	s_mul_i32 s4, s6, s22
	s_lshl_b64 s[4:5], s[4:5], 2
	s_add_u32 s4, s20, s4
	s_addc_u32 s5, s21, s5
	s_load_dword s33, s[4:5], 0x0
	s_load_dwordx4 s[8:11], s[0:1], 0x50
	s_load_dword s30, s[0:1], 0x68
	s_ashr_i32 s7, s29, 31
	s_mul_hi_u32 s3, s29, s6
	s_mul_i32 s4, s7, s6
	s_add_i32 s13, s3, s4
	s_mul_i32 s12, s29, s6
	s_waitcnt lgkmcnt(0)
	s_mul_i32 s3, s13, s30
	s_mul_hi_u32 s4, s12, s30
	s_add_i32 s5, s4, s3
	s_mul_i32 s4, s12, s30
	s_lshl_b64 s[4:5], s[4:5], 2
	s_add_u32 s64, s10, s4
	s_addc_u32 s65, s11, s5
	v_cmp_neq_f32_e64 s[4:5], s33, 0
	s_and_b64 vcc, exec, s[4:5]
	v_cmp_eq_u32_e64 s[4:5], 0, v0
	s_cbranch_vccnz .LBB415_10
; %bb.1:
	s_cmp_gt_i32 s29, 0
	s_cselect_b64 s[14:15], -1, 0
	s_and_b64 s[14:15], s[4:5], s[14:15]
	s_and_saveexec_b64 s[4:5], s[14:15]
	s_cbranch_execz .LBB415_9
; %bb.2:
	s_cmp_gt_u32 s29, 1
	s_cselect_b64 s[14:15], -1, 0
	s_cmp_eq_u32 s30, 1
	s_cselect_b64 s[18:19], -1, 0
	s_mov_b32 s3, 0
	s_and_b64 s[14:15], s[14:15], s[18:19]
	s_mov_b64 s[16:17], -1
	s_andn2_b64 vcc, exec, s[14:15]
	s_mov_b32 s14, s3
	s_cbranch_vccnz .LBB415_6
; %bb.3:
	s_lshl_b64 s[14:15], s[2:3], 2
	s_add_u32 s16, s64, s14
	s_addc_u32 s17, s65, s15
	s_and_b32 s14, s29, 0x7ffffffe
	v_mov_b32_e32 v2, 0
	v_mov_b32_e32 v3, v2
	s_mov_b32 s15, s14
.LBB415_4:                              ; =>This Inner Loop Header: Depth=1
	global_store_dwordx2 v2, v[2:3], s[16:17]
	s_add_u32 s16, s16, 8
	s_addc_u32 s17, s17, 0
	s_add_i32 s15, s15, -2
	s_cmp_lg_u32 s15, 0
	s_cbranch_scc1 .LBB415_4
; %bb.5:
	s_cmp_lg_u32 s14, s29
	s_cselect_b64 s[16:17], -1, 0
.LBB415_6:
	s_and_b64 vcc, exec, s[16:17]
	s_cbranch_vccz .LBB415_9
; %bb.7:
	s_mov_b32 s15, 0
	s_sub_i32 s16, s29, s14
	s_lshl_b64 s[12:13], s[12:13], 2
	s_lshl_b64 s[14:15], s[14:15], 2
	s_add_u32 s12, s12, s14
	s_addc_u32 s13, s13, s15
	s_mul_i32 s13, s13, s30
	s_mul_hi_u32 s14, s12, s30
	s_add_i32 s14, s14, s13
	s_mul_i32 s15, s12, s30
	s_lshl_b64 s[12:13], s[2:3], 2
	s_add_u32 s3, s15, s12
	s_addc_u32 s12, s14, s13
	s_add_u32 s10, s10, s3
	s_addc_u32 s11, s11, s12
	s_lshl_b64 s[12:13], s[30:31], 2
	v_mov_b32_e32 v1, 0
.LBB415_8:                              ; =>This Inner Loop Header: Depth=1
	s_add_i32 s16, s16, -1
	global_store_dword v1, v1, s[10:11]
	s_add_u32 s10, s10, s12
	s_addc_u32 s11, s11, s13
	s_cmp_eq_u32 s16, 0
	s_cbranch_scc0 .LBB415_8
.LBB415_9:
	s_or_b64 exec, exec, s[4:5]
	s_cbranch_execz .LBB415_11
	s_branch .LBB415_84
.LBB415_10:
.LBB415_11:
	s_load_dword s34, s[0:1], 0x28
	s_load_dword s36, s[0:1], 0x48
	s_load_dwordx2 s[4:5], s[0:1], 0x40
	s_load_dwordx4 s[20:23], s[0:1], 0x30
	s_mul_i32 s0, s6, s9
	s_mul_hi_u32 s1, s6, s8
	s_add_i32 s1, s1, s0
	s_mul_i32 s0, s6, s8
	s_waitcnt lgkmcnt(0)
	s_ashr_i32 s35, s34, 31
	s_ashr_i32 s37, s36, 31
	s_lshl_b64 s[38:39], s[0:1], 1
	s_add_u32 s0, s22, s38
	s_addc_u32 s1, s23, s39
	s_lshl_b64 s[42:43], s[4:5], 1
	s_add_u32 s44, s0, s42
	s_addc_u32 s45, s1, s43
	s_mul_i32 s0, s6, s21
	s_mul_hi_u32 s1, s6, s20
	s_add_i32 s1, s1, s0
	s_mul_i32 s0, s6, s20
	s_lshl_b64 s[40:41], s[0:1], 1
	s_add_u32 s0, s24, s40
	s_addc_u32 s1, s25, s41
	s_lshl_b64 s[26:27], s[26:27], 1
	s_add_u32 s0, s0, s26
	s_addc_u32 s1, s1, s27
	s_lshl_b32 s3, s2, 10
	v_lshl_or_b32 v8, v0, 2, s3
	v_ashrrev_i32_e32 v9, 31, v8
	v_lshl_add_u64 v[6:7], v[8:9], 1, s[0:1]
	s_lshr_b32 s0, s7, 30
	s_add_i32 s0, s29, s0
	s_and_b32 s66, s0, -4
	s_ashr_i32 s0, s28, 31
	s_lshr_b32 s0, s0, 30
	s_add_i32 s0, s28, s0
	s_and_b32 s0, s0, -4
	s_sub_i32 s31, s28, s0
	s_cmp_lt_i32 s66, 1
	v_add_u32_e32 v29, 4, v8
	v_add_u32_e32 v30, s31, v8
	v_and_b32_e32 v26, 63, v0
	v_cmp_gt_u32_e64 s[0:1], 64, v0
	v_mbcnt_lo_u32_b32 v28, -1, 0
	v_cmp_gt_u32_e64 s[4:5], 4, v0
	v_lshrrev_b32_e32 v27, 4, v0
	v_or_b32_e32 v25, 1, v8
	v_or_b32_e32 v24, 2, v8
	;; [unrolled: 1-line block ×3, first 2 shown]
	s_cbranch_scc1 .LBB415_59
; %bb.12:
	v_mbcnt_hi_u32_b32 v2, -1, v28
	v_and_b32_e32 v3, 63, v2
	v_cmp_gt_u32_e32 vcc, 32, v3
	s_mov_b32 s3, 0
	s_cmp_gt_i32 s31, 0
	v_cndmask_b32_e64 v4, 0, 1, vcc
	v_lshlrev_b32_e32 v4, 5, v4
	v_cmp_gt_u32_e32 vcc, 48, v3
	v_add_lshl_u32 v31, v4, v2, 2
	s_cselect_b64 s[46:47], -1, 0
	v_cndmask_b32_e64 v4, 0, 1, vcc
	v_lshlrev_b32_e32 v4, 4, v4
	v_cmp_gt_u32_e32 vcc, 56, v3
	v_add_lshl_u32 v32, v4, v2, 2
	s_lshl_b64 s[14:15], s[2:3], 2
	v_cndmask_b32_e64 v4, 0, 1, vcc
	v_lshlrev_b32_e32 v4, 3, v4
	v_cmp_gt_u32_e32 vcc, 60, v3
	v_add_lshl_u32 v33, v4, v2, 2
	s_add_u32 s67, s64, s14
	v_cndmask_b32_e64 v4, 0, 1, vcc
	v_lshlrev_b32_e32 v4, 2, v4
	v_cmp_gt_u32_e32 vcc, 62, v3
	v_add_lshl_u32 v34, v4, v2, 2
	s_addc_u32 s68, s65, s15
	v_cndmask_b32_e64 v4, 0, 1, vcc
	v_lshlrev_b32_e32 v4, 1, v4
	v_add_lshl_u32 v35, v4, v2, 2
	v_cmp_ne_u32_e32 vcc, 63, v3
	v_mad_i64_i32 v[4:5], s[14:15], s36, v25, 0
	s_nop 0
	v_addc_co_u32_e32 v2, vcc, 0, v2, vcc
	v_lshl_add_u64 v[12:13], v[4:5], 1, s[44:45]
	v_mad_i64_i32 v[4:5], s[14:15], s36, v24, 0
	v_lshlrev_b32_e32 v36, 2, v2
	v_mad_i64_i32 v[2:3], s[14:15], s36, v8, 0
	v_lshl_add_u64 v[14:15], v[4:5], 1, s[44:45]
	v_mad_i64_i32 v[4:5], s[14:15], s36, v1, 0
	s_add_u32 s14, s22, s42
	s_addc_u32 s15, s23, s43
	s_add_u32 s14, s14, s38
	v_lshlrev_b64 v[2:3], 1, v[2:3]
	s_addc_u32 s15, s15, s39
	v_cmp_ge_i32_e64 s[6:7], s28, v29
	v_cmp_ge_i32_e64 s[8:9], s28, v30
	v_cmp_eq_u32_e64 s[10:11], 0, v26
	v_lshlrev_b32_e32 v37, 2, v26
	v_and_b32_e32 v38, 12, v27
	v_cmp_eq_u32_e64 s[12:13], 0, v0
	v_lshl_add_u64 v[10:11], s[44:45], 0, v[2:3]
	v_lshl_add_u64 v[16:17], v[4:5], 1, s[44:45]
	;; [unrolled: 1-line block ×3, first 2 shown]
	s_lshl_b64 s[48:49], s[36:37], 1
	s_lshl_b64 s[50:51], s[34:35], 3
	s_lshl_b64 s[52:53], s[34:35], 1
	s_lshl_b64 s[54:55], s[34:35], 2
	s_mul_hi_i32 s57, s34, 6
	s_mul_i32 s56, s34, 6
	v_mov_b32_e32 v39, 0
	v_mov_b64_e32 v[20:21], v[6:7]
                                        ; implicit-def: $vgpr2_vgpr3_vgpr4_vgpr5
	s_branch .LBB415_14
.LBB415_13:                             ;   in Loop: Header=BB415_14 Depth=1
	s_or_b64 exec, exec, s[14:15]
	s_add_i32 s3, s3, 4
	s_cmp_ge_i32 s3, s66
	v_lshl_add_u64 v[20:21], v[20:21], 0, s[50:51]
	s_cbranch_scc1 .LBB415_60
.LBB415_14:                             ; =>This Loop Header: Depth=1
                                        ;     Child Loop BB415_45 Depth 2
                                        ;     Child Loop BB415_48 Depth 2
                                        ; implicit-def: $vgpr40
                                        ; implicit-def: $vgpr41
                                        ; implicit-def: $vgpr42
                                        ; implicit-def: $vgpr43
	s_and_saveexec_b64 s[14:15], s[6:7]
	s_xor_b64 s[14:15], exec, s[14:15]
	s_cbranch_execnz .LBB415_41
; %bb.15:                               ;   in Loop: Header=BB415_14 Depth=1
	s_andn2_saveexec_b64 s[58:59], s[14:15]
	s_cbranch_execnz .LBB415_42
.LBB415_16:                             ;   in Loop: Header=BB415_14 Depth=1
	s_or_b64 exec, exec, s[58:59]
	s_and_saveexec_b64 s[14:15], s[0:1]
	s_cbranch_execz .LBB415_18
.LBB415_17:                             ;   in Loop: Header=BB415_14 Depth=1
	ds_write_b32 v37, v39
.LBB415_18:                             ;   in Loop: Header=BB415_14 Depth=1
	s_or_b64 exec, exec, s[14:15]
	ds_bpermute_b32 v22, v31, v43
	s_waitcnt lgkmcnt(0)
	s_barrier
	v_add_f32_e32 v22, v43, v22
	ds_bpermute_b32 v23, v32, v22
	s_waitcnt lgkmcnt(0)
	v_add_f32_e32 v22, v22, v23
	ds_bpermute_b32 v23, v33, v22
	s_waitcnt lgkmcnt(0)
	;; [unrolled: 3-line block ×4, first 2 shown]
	v_add_f32_e32 v22, v22, v23
	ds_bpermute_b32 v23, v36, v22
	s_and_saveexec_b64 s[14:15], s[10:11]
	s_cbranch_execz .LBB415_20
; %bb.19:                               ;   in Loop: Header=BB415_14 Depth=1
	s_waitcnt lgkmcnt(0)
	v_add_f32_e32 v22, v22, v23
	ds_write_b32 v38, v22
.LBB415_20:                             ;   in Loop: Header=BB415_14 Depth=1
	s_or_b64 exec, exec, s[14:15]
	v_mov_b32_e32 v22, 0
	s_waitcnt lgkmcnt(0)
	s_barrier
	s_and_saveexec_b64 s[14:15], s[4:5]
	s_cbranch_execnz .LBB415_50
; %bb.21:                               ;   in Loop: Header=BB415_14 Depth=1
	s_or_b64 exec, exec, s[14:15]
	s_and_saveexec_b64 s[14:15], s[0:1]
	s_cbranch_execnz .LBB415_51
.LBB415_22:                             ;   in Loop: Header=BB415_14 Depth=1
	s_or_b64 exec, exec, s[14:15]
	s_and_saveexec_b64 s[14:15], s[0:1]
	s_cbranch_execz .LBB415_24
.LBB415_23:                             ;   in Loop: Header=BB415_14 Depth=1
	ds_write_b32 v37, v39
.LBB415_24:                             ;   in Loop: Header=BB415_14 Depth=1
	s_or_b64 exec, exec, s[14:15]
	ds_bpermute_b32 v23, v31, v42
	s_waitcnt lgkmcnt(0)
	s_barrier
	v_add_f32_e32 v23, v42, v23
	ds_bpermute_b32 v42, v32, v23
	s_waitcnt lgkmcnt(0)
	v_add_f32_e32 v23, v23, v42
	ds_bpermute_b32 v42, v33, v23
	s_waitcnt lgkmcnt(0)
	;; [unrolled: 3-line block ×4, first 2 shown]
	v_add_f32_e32 v23, v23, v42
	ds_bpermute_b32 v42, v36, v23
	s_and_saveexec_b64 s[14:15], s[10:11]
	s_cbranch_execz .LBB415_26
; %bb.25:                               ;   in Loop: Header=BB415_14 Depth=1
	s_waitcnt lgkmcnt(0)
	v_add_f32_e32 v23, v23, v42
	ds_write_b32 v38, v23
.LBB415_26:                             ;   in Loop: Header=BB415_14 Depth=1
	s_or_b64 exec, exec, s[14:15]
	v_mov_b32_e32 v23, 0
	s_waitcnt lgkmcnt(0)
	s_barrier
	s_and_saveexec_b64 s[14:15], s[4:5]
	s_cbranch_execnz .LBB415_52
; %bb.27:                               ;   in Loop: Header=BB415_14 Depth=1
	s_or_b64 exec, exec, s[14:15]
	s_and_saveexec_b64 s[14:15], s[0:1]
	s_cbranch_execnz .LBB415_53
.LBB415_28:                             ;   in Loop: Header=BB415_14 Depth=1
	s_or_b64 exec, exec, s[14:15]
	s_and_saveexec_b64 s[14:15], s[0:1]
	s_cbranch_execz .LBB415_30
.LBB415_29:                             ;   in Loop: Header=BB415_14 Depth=1
	ds_write_b32 v37, v39
.LBB415_30:                             ;   in Loop: Header=BB415_14 Depth=1
	s_or_b64 exec, exec, s[14:15]
	ds_bpermute_b32 v42, v31, v41
	s_waitcnt lgkmcnt(0)
	s_barrier
	v_add_f32_e32 v41, v41, v42
	ds_bpermute_b32 v42, v32, v41
	s_waitcnt lgkmcnt(0)
	v_add_f32_e32 v41, v41, v42
	ds_bpermute_b32 v42, v33, v41
	s_waitcnt lgkmcnt(0)
	;; [unrolled: 3-line block ×4, first 2 shown]
	v_add_f32_e32 v41, v41, v42
	ds_bpermute_b32 v42, v36, v41
	s_and_saveexec_b64 s[14:15], s[10:11]
	s_cbranch_execz .LBB415_32
; %bb.31:                               ;   in Loop: Header=BB415_14 Depth=1
	s_waitcnt lgkmcnt(0)
	v_add_f32_e32 v41, v41, v42
	ds_write_b32 v38, v41
.LBB415_32:                             ;   in Loop: Header=BB415_14 Depth=1
	s_or_b64 exec, exec, s[14:15]
	v_mov_b32_e32 v41, 0
	s_waitcnt lgkmcnt(0)
	s_barrier
	s_and_saveexec_b64 s[14:15], s[4:5]
	s_cbranch_execnz .LBB415_54
; %bb.33:                               ;   in Loop: Header=BB415_14 Depth=1
	s_or_b64 exec, exec, s[14:15]
	s_and_saveexec_b64 s[14:15], s[0:1]
	s_cbranch_execnz .LBB415_55
.LBB415_34:                             ;   in Loop: Header=BB415_14 Depth=1
	s_or_b64 exec, exec, s[14:15]
	s_and_saveexec_b64 s[14:15], s[0:1]
	s_cbranch_execz .LBB415_36
.LBB415_35:                             ;   in Loop: Header=BB415_14 Depth=1
	ds_write_b32 v37, v39
.LBB415_36:                             ;   in Loop: Header=BB415_14 Depth=1
	s_or_b64 exec, exec, s[14:15]
	ds_bpermute_b32 v42, v31, v40
	s_waitcnt lgkmcnt(0)
	s_barrier
	v_add_f32_e32 v40, v40, v42
	ds_bpermute_b32 v42, v32, v40
	s_waitcnt lgkmcnt(0)
	v_add_f32_e32 v40, v40, v42
	ds_bpermute_b32 v42, v33, v40
	s_waitcnt lgkmcnt(0)
	;; [unrolled: 3-line block ×4, first 2 shown]
	v_add_f32_e32 v40, v40, v42
	ds_bpermute_b32 v42, v36, v40
	s_and_saveexec_b64 s[14:15], s[10:11]
	s_cbranch_execz .LBB415_38
; %bb.37:                               ;   in Loop: Header=BB415_14 Depth=1
	s_waitcnt lgkmcnt(0)
	v_add_f32_e32 v40, v40, v42
	ds_write_b32 v38, v40
.LBB415_38:                             ;   in Loop: Header=BB415_14 Depth=1
	s_or_b64 exec, exec, s[14:15]
	v_mov_b32_e32 v40, 0
	s_waitcnt lgkmcnt(0)
	s_barrier
	s_and_saveexec_b64 s[14:15], s[4:5]
	s_cbranch_execnz .LBB415_56
; %bb.39:                               ;   in Loop: Header=BB415_14 Depth=1
	s_or_b64 exec, exec, s[14:15]
	s_and_saveexec_b64 s[14:15], s[0:1]
	s_cbranch_execnz .LBB415_57
.LBB415_40:                             ;   in Loop: Header=BB415_14 Depth=1
	s_or_b64 exec, exec, s[14:15]
	s_and_saveexec_b64 s[14:15], s[12:13]
	s_cbranch_execz .LBB415_13
	s_branch .LBB415_58
.LBB415_41:                             ;   in Loop: Header=BB415_14 Depth=1
	s_mul_i32 s16, s3, s35
	s_mul_hi_u32 s17, s3, s34
	s_add_i32 s17, s17, s16
	s_mul_i32 s16, s3, s34
	v_lshl_add_u64 v[2:3], s[16:17], 1, v[6:7]
	s_or_b32 s16, s3, 1
	s_mul_i32 s17, s16, s35
	s_mul_hi_u32 s18, s16, s34
	s_add_i32 s17, s18, s17
	s_mul_i32 s16, s16, s34
	v_lshl_add_u64 v[4:5], s[16:17], 1, v[6:7]
	s_or_b32 s16, s3, 2
	;; [unrolled: 6-line block ×3, first 2 shown]
	s_mul_i32 s17, s16, s35
	s_mul_hi_u32 s18, s16, s34
	s_add_i32 s17, s18, s17
	s_mul_i32 s16, s16, s34
	global_load_ushort v48, v[10:11], off
	global_load_ushort v49, v[12:13], off
	;; [unrolled: 1-line block ×4, first 2 shown]
	s_waitcnt lgkmcnt(0)
	v_lshl_add_u64 v[40:41], s[16:17], 1, v[6:7]
	global_load_dwordx2 v[42:43], v[2:3], off
	global_load_dwordx2 v[44:45], v[4:5], off
	s_nop 0
	global_load_dwordx2 v[22:23], v[22:23], off
	s_nop 0
	global_load_dwordx2 v[46:47], v[40:41], off
	s_waitcnt vmcnt(7)
	v_cvt_f32_f16_e32 v2, v48
	s_waitcnt vmcnt(6)
	v_cvt_f32_f16_e32 v3, v49
	;; [unrolled: 2-line block ×4, first 2 shown]
	s_waitcnt vmcnt(3)
	v_fma_mix_f32 v40, v48, v42, 0 op_sel_hi:[1,1,0]
	s_waitcnt vmcnt(2)
	v_fma_mix_f32 v41, v48, v44, 0 op_sel_hi:[1,1,0]
	;; [unrolled: 2-line block ×4, first 2 shown]
	v_fma_mix_f32 v40, v49, v42, v40 op_sel:[0,1,0] op_sel_hi:[1,1,0]
	v_fma_mix_f32 v41, v49, v44, v41 op_sel:[0,1,0] op_sel_hi:[1,1,0]
	;; [unrolled: 1-line block ×4, first 2 shown]
	v_fma_mix_f32 v40, v50, v43, v40 op_sel_hi:[1,1,0]
	v_fma_mix_f32 v41, v50, v45, v41 op_sel_hi:[1,1,0]
	;; [unrolled: 1-line block ×4, first 2 shown]
	v_fma_mix_f32 v43, v51, v43, v40 op_sel:[0,1,0] op_sel_hi:[1,1,0]
	v_fma_mix_f32 v42, v51, v45, v41 op_sel:[0,1,0] op_sel_hi:[1,1,0]
	;; [unrolled: 1-line block ×4, first 2 shown]
	s_andn2_saveexec_b64 s[58:59], s[14:15]
	s_cbranch_execz .LBB415_16
.LBB415_42:                             ;   in Loop: Header=BB415_14 Depth=1
	s_waitcnt lgkmcnt(0)
	v_mov_b32_e32 v40, 0
	v_mov_b32_e32 v41, 0
	;; [unrolled: 1-line block ×4, first 2 shown]
	s_and_saveexec_b64 s[60:61], s[8:9]
	s_cbranch_execz .LBB415_49
; %bb.43:                               ;   in Loop: Header=BB415_14 Depth=1
	v_cndmask_b32_e64 v22, 0, 1, s[46:47]
	v_cmp_ne_u32_e64 s[14:15], 1, v22
	s_andn2_b64 vcc, exec, s[46:47]
	s_cbranch_vccnz .LBB415_46
; %bb.44:                               ;   in Loop: Header=BB415_14 Depth=1
	s_mov_b64 s[62:63], 0
	v_mov_b64_e32 v[22:23], v[18:19]
.LBB415_45:                             ;   Parent Loop BB415_14 Depth=1
                                        ; =>  This Inner Loop Header: Depth=2
	global_load_ushort v40, v[22:23], off
	s_cmp_eq_u32 s62, 3
	s_cselect_b64 vcc, -1, 0
	s_cmp_eq_u32 s62, 2
	s_cselect_b64 s[16:17], -1, 0
	s_cmp_eq_u32 s62, 1
	s_cselect_b64 s[18:19], -1, 0
	;; [unrolled: 2-line block ×3, first 2 shown]
	s_add_u32 s62, s62, 1
	s_addc_u32 s63, s63, 0
	v_lshl_add_u64 v[22:23], v[22:23], 0, s[48:49]
	s_cmp_eq_u32 s31, s62
	s_waitcnt vmcnt(0)
	v_cvt_f32_f16_e32 v40, v40
	v_cndmask_b32_e32 v5, v5, v40, vcc
	v_cndmask_b32_e64 v4, v4, v40, s[16:17]
	v_cndmask_b32_e64 v3, v3, v40, s[18:19]
	;; [unrolled: 1-line block ×3, first 2 shown]
	s_cbranch_scc0 .LBB415_45
.LBB415_46:                             ;   in Loop: Header=BB415_14 Depth=1
	s_and_b64 vcc, exec, s[14:15]
	v_mov_b32_e32 v40, 0
	v_mov_b32_e32 v41, 0
	;; [unrolled: 1-line block ×4, first 2 shown]
	s_cbranch_vccnz .LBB415_49
; %bb.47:                               ;   in Loop: Header=BB415_14 Depth=1
	s_mov_b64 s[14:15], 0
	v_mov_b32_e32 v43, 0
	v_mov_b64_e32 v[22:23], v[20:21]
	v_mov_b32_e32 v42, 0
	v_mov_b32_e32 v41, 0
	;; [unrolled: 1-line block ×3, first 2 shown]
.LBB415_48:                             ;   Parent Loop BB415_14 Depth=1
                                        ; =>  This Inner Loop Header: Depth=2
	v_lshl_add_u64 v[44:45], v[22:23], 0, s[52:53]
	v_lshl_add_u64 v[46:47], v[22:23], 0, s[54:55]
	global_load_ushort v50, v[22:23], off
	v_lshl_add_u64 v[48:49], v[22:23], 0, s[56:57]
	global_load_ushort v44, v[44:45], off
	s_nop 0
	global_load_ushort v45, v[46:47], off
	s_nop 0
	global_load_ushort v46, v[48:49], off
	s_cmp_eq_u32 s14, 1
	s_cselect_b64 vcc, -1, 0
	s_cmp_eq_u32 s14, 2
	v_cndmask_b32_e32 v47, v2, v3, vcc
	s_cselect_b64 vcc, -1, 0
	s_cmp_eq_u32 s14, 3
	v_cndmask_b32_e32 v47, v47, v4, vcc
	s_cselect_b64 vcc, -1, 0
	s_add_u32 s14, s14, 1
	v_cndmask_b32_e32 v47, v47, v5, vcc
	s_addc_u32 s15, s15, 0
	v_lshl_add_u64 v[22:23], v[22:23], 0, 2
	s_cmp_lg_u32 s31, s14
	s_waitcnt vmcnt(2)
	v_fma_mix_f32 v42, v47, v44, v42 op_sel_hi:[0,1,0]
	v_fma_mix_f32 v43, v47, v50, v43 op_sel_hi:[0,1,0]
	s_waitcnt vmcnt(1)
	v_fma_mix_f32 v41, v47, v45, v41 op_sel_hi:[0,1,0]
	s_waitcnt vmcnt(0)
	v_fma_mix_f32 v40, v47, v46, v40 op_sel_hi:[0,1,0]
	s_cbranch_scc1 .LBB415_48
.LBB415_49:                             ;   in Loop: Header=BB415_14 Depth=1
	s_or_b64 exec, exec, s[60:61]
	s_or_b64 exec, exec, s[58:59]
	s_and_saveexec_b64 s[14:15], s[0:1]
	s_cbranch_execnz .LBB415_17
	s_branch .LBB415_18
.LBB415_50:                             ;   in Loop: Header=BB415_14 Depth=1
	ds_read_b32 v22, v37
	s_or_b64 exec, exec, s[14:15]
	s_and_saveexec_b64 s[14:15], s[0:1]
	s_cbranch_execz .LBB415_22
.LBB415_51:                             ;   in Loop: Header=BB415_14 Depth=1
	s_waitcnt lgkmcnt(0)
	ds_bpermute_b32 v23, v35, v22
	s_waitcnt lgkmcnt(0)
	v_add_f32_e32 v22, v22, v23
	ds_bpermute_b32 v23, v36, v22
	s_waitcnt lgkmcnt(0)
	v_add_f32_e32 v22, v22, v23
	s_or_b64 exec, exec, s[14:15]
	s_and_saveexec_b64 s[14:15], s[0:1]
	s_cbranch_execnz .LBB415_23
	s_branch .LBB415_24
.LBB415_52:                             ;   in Loop: Header=BB415_14 Depth=1
	ds_read_b32 v23, v37
	s_or_b64 exec, exec, s[14:15]
	s_and_saveexec_b64 s[14:15], s[0:1]
	s_cbranch_execz .LBB415_28
.LBB415_53:                             ;   in Loop: Header=BB415_14 Depth=1
	s_waitcnt lgkmcnt(0)
	ds_bpermute_b32 v42, v35, v23
	s_waitcnt lgkmcnt(0)
	v_add_f32_e32 v23, v23, v42
	ds_bpermute_b32 v42, v36, v23
	s_waitcnt lgkmcnt(0)
	v_add_f32_e32 v23, v23, v42
	s_or_b64 exec, exec, s[14:15]
	s_and_saveexec_b64 s[14:15], s[0:1]
	s_cbranch_execnz .LBB415_29
	s_branch .LBB415_30
.LBB415_54:                             ;   in Loop: Header=BB415_14 Depth=1
	ds_read_b32 v41, v37
	s_or_b64 exec, exec, s[14:15]
	s_and_saveexec_b64 s[14:15], s[0:1]
	s_cbranch_execz .LBB415_34
.LBB415_55:                             ;   in Loop: Header=BB415_14 Depth=1
	s_waitcnt lgkmcnt(0)
	ds_bpermute_b32 v42, v35, v41
	s_waitcnt lgkmcnt(0)
	v_add_f32_e32 v41, v41, v42
	ds_bpermute_b32 v42, v36, v41
	s_waitcnt lgkmcnt(0)
	v_add_f32_e32 v41, v41, v42
	s_or_b64 exec, exec, s[14:15]
	s_and_saveexec_b64 s[14:15], s[0:1]
	s_cbranch_execnz .LBB415_35
	s_branch .LBB415_36
.LBB415_56:                             ;   in Loop: Header=BB415_14 Depth=1
	ds_read_b32 v40, v37
	s_or_b64 exec, exec, s[14:15]
	s_and_saveexec_b64 s[14:15], s[0:1]
	s_cbranch_execz .LBB415_40
.LBB415_57:                             ;   in Loop: Header=BB415_14 Depth=1
	s_waitcnt lgkmcnt(0)
	ds_bpermute_b32 v42, v35, v40
	s_waitcnt lgkmcnt(0)
	v_add_f32_e32 v40, v40, v42
	ds_bpermute_b32 v42, v36, v40
	s_waitcnt lgkmcnt(0)
	v_add_f32_e32 v40, v40, v42
	s_or_b64 exec, exec, s[14:15]
	s_and_saveexec_b64 s[14:15], s[12:13]
	s_cbranch_execz .LBB415_13
.LBB415_58:                             ;   in Loop: Header=BB415_14 Depth=1
	s_mul_hi_u32 s17, s3, s30
	s_mul_i32 s16, s3, s30
	s_lshl_b64 s[16:17], s[16:17], 2
	s_add_u32 s16, s67, s16
	v_mul_f32_e32 v22, s33, v22
	s_addc_u32 s17, s68, s17
	global_store_dword v39, v22, s[16:17]
	s_or_b32 s16, s3, 1
	s_mul_hi_u32 s17, s16, s30
	s_mul_i32 s16, s16, s30
	s_lshl_b64 s[16:17], s[16:17], 2
	s_add_u32 s16, s67, s16
	v_mul_f32_e32 v22, s33, v23
	s_addc_u32 s17, s68, s17
	global_store_dword v39, v22, s[16:17]
	s_or_b32 s16, s3, 2
	;; [unrolled: 8-line block ×3, first 2 shown]
	s_mul_hi_u32 s17, s16, s30
	s_mul_i32 s16, s16, s30
	s_lshl_b64 s[16:17], s[16:17], 2
	s_add_u32 s16, s67, s16
	s_waitcnt lgkmcnt(0)
	v_mul_f32_e32 v22, s33, v40
	s_addc_u32 s17, s68, s17
	global_store_dword v39, v22, s[16:17]
	s_branch .LBB415_13
.LBB415_59:
	s_mov_b32 s3, 0
                                        ; implicit-def: $vgpr2_vgpr3_vgpr4_vgpr5
.LBB415_60:
	s_cmp_ge_i32 s3, s29
	s_cbranch_scc1 .LBB415_84
; %bb.61:
	v_mbcnt_hi_u32_b32 v10, -1, v28
	v_and_b32_e32 v11, 63, v10
	v_cmp_gt_u32_e32 vcc, 32, v11
	v_cmp_ge_i32_e64 s[0:1], s28, v29
	v_cmp_ge_i32_e64 s[4:5], s28, v30
	v_cndmask_b32_e64 v12, 0, 1, vcc
	v_lshlrev_b32_e32 v12, 5, v12
	v_cmp_gt_u32_e32 vcc, 48, v11
	v_add_lshl_u32 v23, v12, v10, 2
	s_mov_b32 s47, 0
	v_cndmask_b32_e64 v12, 0, 1, vcc
	v_lshlrev_b32_e32 v12, 4, v12
	v_cmp_gt_u32_e32 vcc, 56, v11
	v_add_lshl_u32 v28, v12, v10, 2
	s_cmp_gt_i32 s31, 0
	v_cndmask_b32_e64 v12, 0, 1, vcc
	v_lshlrev_b32_e32 v12, 3, v12
	v_cmp_gt_u32_e32 vcc, 60, v11
	v_add_lshl_u32 v29, v12, v10, 2
	s_mov_b32 s46, s2
	v_cndmask_b32_e64 v12, 0, 1, vcc
	v_lshlrev_b32_e32 v12, 2, v12
	v_cmp_gt_u32_e32 vcc, 62, v11
	v_add_lshl_u32 v30, v12, v10, 2
	s_cselect_b64 s[48:49], -1, 0
	v_cndmask_b32_e64 v12, 0, 1, vcc
	v_lshlrev_b32_e32 v12, 1, v12
	v_cmp_ne_u32_e32 vcc, 63, v11
	s_lshl_b64 s[14:15], s[46:47], 2
	v_add_lshl_u32 v31, v12, v10, 2
	v_addc_co_u32_e32 v10, vcc, 0, v10, vcc
	s_add_u32 s2, s64, s14
	v_cmp_gt_u32_e64 s[6:7], 64, v0
	v_lshlrev_b32_e32 v32, 2, v10
	v_cmp_gt_u32_e64 s[10:11], 4, v0
	v_cmp_eq_u32_e64 s[12:13], 0, v0
	s_addc_u32 s28, s65, s15
	v_mad_i64_i32 v[10:11], s[14:15], s36, v8, 0
	v_mad_i64_i32 v[12:13], s[14:15], s36, v25, 0
	;; [unrolled: 1-line block ×4, first 2 shown]
	s_add_u32 s14, s22, s42
	s_addc_u32 s15, s23, s43
	s_add_u32 s14, s14, s38
	v_lshlrev_b64 v[18:19], 1, v[10:11]
	s_addc_u32 s15, s15, s39
	v_lshl_add_u64 v[10:11], s[44:45], 0, v[18:19]
	v_lshl_add_u64 v[18:19], s[14:15], 0, v[18:19]
	s_mul_i32 s14, s35, s3
	s_mul_hi_u32 s15, s34, s3
	s_add_i32 s15, s15, s14
	s_mul_i32 s14, s34, s3
	s_lshl_b64 s[22:23], s[36:37], 1
	s_lshl_b64 s[14:15], s[14:15], 1
	s_add_u32 s14, s40, s14
	s_addc_u32 s15, s41, s15
	s_add_u32 s14, s14, s26
	s_addc_u32 s15, s15, s27
	;; [unrolled: 2-line block ×3, first 2 shown]
	v_lshlrev_b32_e32 v22, 2, v26
	v_cmp_eq_u32_e64 s[8:9], 0, v26
	v_and_b32_e32 v26, 12, v27
	v_lshl_add_u64 v[12:13], v[12:13], 1, s[44:45]
	v_lshl_add_u64 v[14:15], v[14:15], 1, s[44:45]
	v_lshl_add_u64 v[16:17], v[0:1], 1, s[44:45]
	v_lshl_add_u64 v[8:9], v[8:9], 1, s[14:15]
	s_lshl_b64 s[24:25], s[34:35], 1
	v_mov_b32_e32 v1, 0
	s_branch .LBB415_63
.LBB415_62:                             ;   in Loop: Header=BB415_63 Depth=1
	s_or_b64 exec, exec, s[14:15]
	s_add_i32 s3, s3, 1
	s_cmp_ge_i32 s3, s29
	v_lshl_add_u64 v[8:9], v[8:9], 0, s[24:25]
	s_cbranch_scc1 .LBB415_84
.LBB415_63:                             ; =>This Loop Header: Depth=1
                                        ;     Child Loop BB415_76 Depth 2
                                        ;     Child Loop BB415_79 Depth 2
	s_waitcnt lgkmcnt(0)
	v_mov_b32_e32 v0, s47
	s_and_saveexec_b64 s[14:15], s[0:1]
	s_xor_b64 s[14:15], exec, s[14:15]
	s_cbranch_execnz .LBB415_72
; %bb.64:                               ;   in Loop: Header=BB415_63 Depth=1
	s_andn2_saveexec_b64 s[26:27], s[14:15]
	s_cbranch_execnz .LBB415_73
.LBB415_65:                             ;   in Loop: Header=BB415_63 Depth=1
	s_or_b64 exec, exec, s[26:27]
	s_and_saveexec_b64 s[14:15], s[6:7]
	s_cbranch_execz .LBB415_67
.LBB415_66:                             ;   in Loop: Header=BB415_63 Depth=1
	ds_write_b32 v22, v1
.LBB415_67:                             ;   in Loop: Header=BB415_63 Depth=1
	s_or_b64 exec, exec, s[14:15]
	ds_bpermute_b32 v20, v23, v0
	s_waitcnt lgkmcnt(0)
	s_barrier
	v_add_f32_e32 v0, v0, v20
	ds_bpermute_b32 v20, v28, v0
	s_waitcnt lgkmcnt(0)
	v_add_f32_e32 v0, v0, v20
	ds_bpermute_b32 v20, v29, v0
	s_waitcnt lgkmcnt(0)
	;; [unrolled: 3-line block ×4, first 2 shown]
	v_add_f32_e32 v0, v0, v20
	ds_bpermute_b32 v20, v32, v0
	s_and_saveexec_b64 s[14:15], s[8:9]
	s_cbranch_execz .LBB415_69
; %bb.68:                               ;   in Loop: Header=BB415_63 Depth=1
	s_waitcnt lgkmcnt(0)
	v_add_f32_e32 v0, v0, v20
	ds_write_b32 v26, v0
.LBB415_69:                             ;   in Loop: Header=BB415_63 Depth=1
	s_or_b64 exec, exec, s[14:15]
	v_mov_b32_e32 v0, 0
	s_waitcnt lgkmcnt(0)
	s_barrier
	s_and_saveexec_b64 s[14:15], s[10:11]
	s_cbranch_execnz .LBB415_81
; %bb.70:                               ;   in Loop: Header=BB415_63 Depth=1
	s_or_b64 exec, exec, s[14:15]
	s_and_saveexec_b64 s[14:15], s[6:7]
	s_cbranch_execnz .LBB415_82
.LBB415_71:                             ;   in Loop: Header=BB415_63 Depth=1
	s_or_b64 exec, exec, s[14:15]
	s_and_saveexec_b64 s[14:15], s[12:13]
	s_cbranch_execz .LBB415_62
	s_branch .LBB415_83
.LBB415_72:                             ;   in Loop: Header=BB415_63 Depth=1
	s_mul_i32 s16, s3, s35
	s_mul_hi_u32 s17, s3, s34
	s_add_i32 s17, s17, s16
	s_mul_i32 s16, s3, s34
	v_lshl_add_u64 v[2:3], s[16:17], 1, v[6:7]
	global_load_ushort v0, v[10:11], off
	global_load_ushort v24, v[12:13], off
	;; [unrolled: 1-line block ×4, first 2 shown]
	global_load_dwordx2 v[20:21], v[2:3], off
	s_waitcnt vmcnt(4)
	v_cvt_f32_f16_e32 v2, v0
	s_waitcnt vmcnt(3)
	v_cvt_f32_f16_e32 v3, v24
	s_waitcnt vmcnt(2)
	v_cvt_f32_f16_e32 v4, v25
	s_waitcnt vmcnt(1)
	v_cvt_f32_f16_e32 v5, v27
	s_waitcnt vmcnt(0)
	v_fma_mix_f32 v0, v0, v20, 0 op_sel_hi:[1,1,0]
	s_nop 0
	v_fma_mix_f32 v0, v24, v20, v0 op_sel:[0,1,0] op_sel_hi:[1,1,0]
	s_nop 0
	v_fma_mix_f32 v0, v25, v21, v0 op_sel_hi:[1,1,0]
	s_nop 0
	v_fma_mix_f32 v0, v27, v21, v0 op_sel:[0,1,0] op_sel_hi:[1,1,0]
	s_andn2_saveexec_b64 s[26:27], s[14:15]
	s_cbranch_execz .LBB415_65
.LBB415_73:                             ;   in Loop: Header=BB415_63 Depth=1
	s_and_saveexec_b64 s[36:37], s[4:5]
	s_cbranch_execz .LBB415_80
; %bb.74:                               ;   in Loop: Header=BB415_63 Depth=1
	v_cndmask_b32_e64 v20, 0, 1, s[48:49]
	v_cmp_ne_u32_e64 s[14:15], 1, v20
	s_andn2_b64 vcc, exec, s[48:49]
	s_cbranch_vccnz .LBB415_77
; %bb.75:                               ;   in Loop: Header=BB415_63 Depth=1
	s_mov_b64 s[38:39], 0
	v_mov_b64_e32 v[20:21], v[18:19]
.LBB415_76:                             ;   Parent Loop BB415_63 Depth=1
                                        ; =>  This Inner Loop Header: Depth=2
	global_load_ushort v24, v[20:21], off
	s_cmp_eq_u32 s38, 3
	s_cselect_b64 vcc, -1, 0
	s_cmp_eq_u32 s38, 2
	s_cselect_b64 s[16:17], -1, 0
	s_cmp_eq_u32 s38, 1
	s_cselect_b64 s[18:19], -1, 0
	;; [unrolled: 2-line block ×3, first 2 shown]
	s_add_u32 s38, s38, 1
	s_addc_u32 s39, s39, 0
	v_lshl_add_u64 v[20:21], v[20:21], 0, s[22:23]
	s_cmp_eq_u32 s31, s38
	s_waitcnt vmcnt(0)
	v_cvt_f32_f16_e32 v24, v24
	v_cndmask_b32_e32 v5, v5, v24, vcc
	v_cndmask_b32_e64 v4, v4, v24, s[16:17]
	v_cndmask_b32_e64 v3, v3, v24, s[18:19]
	;; [unrolled: 1-line block ×3, first 2 shown]
	s_cbranch_scc0 .LBB415_76
.LBB415_77:                             ;   in Loop: Header=BB415_63 Depth=1
	s_and_b64 vcc, exec, s[14:15]
	s_cbranch_vccnz .LBB415_80
; %bb.78:                               ;   in Loop: Header=BB415_63 Depth=1
	s_mov_b64 s[14:15], 0
	v_mov_b64_e32 v[20:21], v[8:9]
.LBB415_79:                             ;   Parent Loop BB415_63 Depth=1
                                        ; =>  This Inner Loop Header: Depth=2
	global_load_ushort v24, v[20:21], off
	s_cmp_eq_u32 s14, 1
	s_cselect_b64 vcc, -1, 0
	s_cmp_eq_u32 s14, 2
	v_cndmask_b32_e32 v25, v2, v3, vcc
	s_cselect_b64 vcc, -1, 0
	s_cmp_eq_u32 s14, 3
	v_cndmask_b32_e32 v25, v25, v4, vcc
	s_cselect_b64 vcc, -1, 0
	s_add_u32 s14, s14, 1
	v_cndmask_b32_e32 v25, v25, v5, vcc
	s_addc_u32 s15, s15, 0
	v_lshl_add_u64 v[20:21], v[20:21], 0, 2
	s_cmp_lg_u32 s31, s14
	s_waitcnt vmcnt(0)
	v_fma_mix_f32 v0, v25, v24, v0 op_sel_hi:[0,1,0]
	s_cbranch_scc1 .LBB415_79
.LBB415_80:                             ;   in Loop: Header=BB415_63 Depth=1
	s_or_b64 exec, exec, s[36:37]
	s_or_b64 exec, exec, s[26:27]
	s_and_saveexec_b64 s[14:15], s[6:7]
	s_cbranch_execnz .LBB415_66
	s_branch .LBB415_67
.LBB415_81:                             ;   in Loop: Header=BB415_63 Depth=1
	ds_read_b32 v0, v22
	s_or_b64 exec, exec, s[14:15]
	s_and_saveexec_b64 s[14:15], s[6:7]
	s_cbranch_execz .LBB415_71
.LBB415_82:                             ;   in Loop: Header=BB415_63 Depth=1
	s_waitcnt lgkmcnt(0)
	ds_bpermute_b32 v20, v31, v0
	s_waitcnt lgkmcnt(0)
	v_add_f32_e32 v0, v0, v20
	ds_bpermute_b32 v20, v32, v0
	s_waitcnt lgkmcnt(0)
	v_add_f32_e32 v0, v0, v20
	s_or_b64 exec, exec, s[14:15]
	s_and_saveexec_b64 s[14:15], s[12:13]
	s_cbranch_execz .LBB415_62
.LBB415_83:                             ;   in Loop: Header=BB415_63 Depth=1
	s_mul_hi_u32 s17, s3, s30
	s_mul_i32 s16, s3, s30
	s_lshl_b64 s[16:17], s[16:17], 2
	s_add_u32 s16, s2, s16
	s_waitcnt lgkmcnt(0)
	v_mul_f32_e32 v0, s33, v0
	s_addc_u32 s17, s28, s17
	global_store_dword v1, v0, s[16:17]
	s_branch .LBB415_62
.LBB415_84:
	s_endpgm
	.section	.rodata,"a",@progbits
	.p2align	6, 0x0
	.amdhsa_kernel _ZL23rocblas_gemvt_sn_kernelILb1ELi256ELi4ElDF16_PKffEviiT4_lPKT3_lilS5_lilPT5_i
		.amdhsa_group_segment_fixed_size 256
		.amdhsa_private_segment_fixed_size 0
		.amdhsa_kernarg_size 360
		.amdhsa_user_sgpr_count 2
		.amdhsa_user_sgpr_dispatch_ptr 0
		.amdhsa_user_sgpr_queue_ptr 0
		.amdhsa_user_sgpr_kernarg_segment_ptr 1
		.amdhsa_user_sgpr_dispatch_id 0
		.amdhsa_user_sgpr_kernarg_preload_length 0
		.amdhsa_user_sgpr_kernarg_preload_offset 0
		.amdhsa_user_sgpr_private_segment_size 0
		.amdhsa_uses_dynamic_stack 0
		.amdhsa_enable_private_segment 0
		.amdhsa_system_sgpr_workgroup_id_x 1
		.amdhsa_system_sgpr_workgroup_id_y 0
		.amdhsa_system_sgpr_workgroup_id_z 1
		.amdhsa_system_sgpr_workgroup_info 0
		.amdhsa_system_vgpr_workitem_id 0
		.amdhsa_next_free_vgpr 53
		.amdhsa_next_free_sgpr 69
		.amdhsa_accum_offset 56
		.amdhsa_reserve_vcc 1
		.amdhsa_float_round_mode_32 0
		.amdhsa_float_round_mode_16_64 0
		.amdhsa_float_denorm_mode_32 3
		.amdhsa_float_denorm_mode_16_64 3
		.amdhsa_dx10_clamp 1
		.amdhsa_ieee_mode 1
		.amdhsa_fp16_overflow 0
		.amdhsa_tg_split 0
		.amdhsa_exception_fp_ieee_invalid_op 0
		.amdhsa_exception_fp_denorm_src 0
		.amdhsa_exception_fp_ieee_div_zero 0
		.amdhsa_exception_fp_ieee_overflow 0
		.amdhsa_exception_fp_ieee_underflow 0
		.amdhsa_exception_fp_ieee_inexact 0
		.amdhsa_exception_int_div_zero 0
	.end_amdhsa_kernel
	.section	.text._ZL23rocblas_gemvt_sn_kernelILb1ELi256ELi4ElDF16_PKffEviiT4_lPKT3_lilS5_lilPT5_i,"axG",@progbits,_ZL23rocblas_gemvt_sn_kernelILb1ELi256ELi4ElDF16_PKffEviiT4_lPKT3_lilS5_lilPT5_i,comdat
.Lfunc_end415:
	.size	_ZL23rocblas_gemvt_sn_kernelILb1ELi256ELi4ElDF16_PKffEviiT4_lPKT3_lilS5_lilPT5_i, .Lfunc_end415-_ZL23rocblas_gemvt_sn_kernelILb1ELi256ELi4ElDF16_PKffEviiT4_lPKT3_lilS5_lilPT5_i
                                        ; -- End function
	.section	.AMDGPU.csdata,"",@progbits
; Kernel info:
; codeLenInByte = 4112
; NumSgprs: 75
; NumVgprs: 53
; NumAgprs: 0
; TotalNumVgprs: 53
; ScratchSize: 0
; MemoryBound: 0
; FloatMode: 240
; IeeeMode: 1
; LDSByteSize: 256 bytes/workgroup (compile time only)
; SGPRBlocks: 9
; VGPRBlocks: 6
; NumSGPRsForWavesPerEU: 75
; NumVGPRsForWavesPerEU: 53
; AccumOffset: 56
; Occupancy: 8
; WaveLimiterHint : 1
; COMPUTE_PGM_RSRC2:SCRATCH_EN: 0
; COMPUTE_PGM_RSRC2:USER_SGPR: 2
; COMPUTE_PGM_RSRC2:TRAP_HANDLER: 0
; COMPUTE_PGM_RSRC2:TGID_X_EN: 1
; COMPUTE_PGM_RSRC2:TGID_Y_EN: 0
; COMPUTE_PGM_RSRC2:TGID_Z_EN: 1
; COMPUTE_PGM_RSRC2:TIDIG_COMP_CNT: 0
; COMPUTE_PGM_RSRC3_GFX90A:ACCUM_OFFSET: 13
; COMPUTE_PGM_RSRC3_GFX90A:TG_SPLIT: 0
	.section	.text._ZL23rocblas_gemvt_sn_kernelILb1ELi256ELi4EiDF16_ffEviiT4_lPKT3_lilS3_lilPT5_i,"axG",@progbits,_ZL23rocblas_gemvt_sn_kernelILb1ELi256ELi4EiDF16_ffEviiT4_lPKT3_lilS3_lilPT5_i,comdat
	.globl	_ZL23rocblas_gemvt_sn_kernelILb1ELi256ELi4EiDF16_ffEviiT4_lPKT3_lilS3_lilPT5_i ; -- Begin function _ZL23rocblas_gemvt_sn_kernelILb1ELi256ELi4EiDF16_ffEviiT4_lPKT3_lilS3_lilPT5_i
	.p2align	8
	.type	_ZL23rocblas_gemvt_sn_kernelILb1ELi256ELi4EiDF16_ffEviiT4_lPKT3_lilS3_lilPT5_i,@function
_ZL23rocblas_gemvt_sn_kernelILb1ELi256ELi4EiDF16_ffEviiT4_lPKT3_lilS3_lilPT5_i: ; @_ZL23rocblas_gemvt_sn_kernelILb1ELi256ELi4EiDF16_ffEviiT4_lPKT3_lilS3_lilPT5_i
; %bb.0:
	s_load_dwordx4 s[24:27], s[0:1], 0x0
	s_load_dwordx4 s[8:11], s[0:1], 0x50
	s_load_dword s22, s[0:1], 0x68
	s_mov_b32 s6, s3
	s_mov_b32 s23, 0
	s_waitcnt lgkmcnt(0)
	s_ashr_i32 s7, s25, 31
	s_mul_hi_u32 s3, s25, s3
	s_mul_i32 s4, s7, s6
	s_add_i32 s13, s3, s4
	s_mul_i32 s12, s25, s6
	s_mul_i32 s3, s13, s22
	s_mul_hi_u32 s4, s12, s22
	s_add_i32 s5, s4, s3
	s_mul_i32 s4, s12, s22
	s_lshl_b64 s[4:5], s[4:5], 2
	s_add_u32 s56, s10, s4
	s_addc_u32 s57, s11, s5
	v_cmp_neq_f32_e64 s[4:5], s26, 0
	s_and_b64 vcc, exec, s[4:5]
	v_cmp_eq_u32_e64 s[4:5], 0, v0
	s_cbranch_vccnz .LBB416_10
; %bb.1:
	s_cmp_gt_i32 s25, 0
	s_cselect_b64 s[14:15], -1, 0
	s_and_b64 s[14:15], s[4:5], s[14:15]
	s_and_saveexec_b64 s[4:5], s[14:15]
	s_cbranch_execz .LBB416_9
; %bb.2:
	s_cmp_gt_u32 s25, 1
	s_cselect_b64 s[14:15], -1, 0
	s_cmp_eq_u32 s22, 1
	s_cselect_b64 s[18:19], -1, 0
	s_mov_b32 s3, 0
	s_and_b64 s[14:15], s[14:15], s[18:19]
	s_mov_b64 s[16:17], -1
	s_andn2_b64 vcc, exec, s[14:15]
	s_mov_b32 s14, s3
	s_cbranch_vccnz .LBB416_6
; %bb.3:
	s_lshl_b64 s[14:15], s[2:3], 2
	s_add_u32 s16, s56, s14
	s_addc_u32 s17, s57, s15
	s_and_b32 s14, s25, 0x7ffffffe
	v_mov_b32_e32 v2, 0
	v_mov_b32_e32 v3, v2
	s_mov_b32 s15, s14
.LBB416_4:                              ; =>This Inner Loop Header: Depth=1
	global_store_dwordx2 v2, v[2:3], s[16:17]
	s_add_u32 s16, s16, 8
	s_addc_u32 s17, s17, 0
	s_add_i32 s15, s15, -2
	s_cmp_lg_u32 s15, 0
	s_cbranch_scc1 .LBB416_4
; %bb.5:
	s_cmp_lg_u32 s14, s25
	s_cselect_b64 s[16:17], -1, 0
.LBB416_6:
	s_and_b64 vcc, exec, s[16:17]
	s_cbranch_vccz .LBB416_9
; %bb.7:
	s_mov_b32 s15, 0
	s_sub_i32 s16, s25, s14
	s_lshl_b64 s[12:13], s[12:13], 2
	s_lshl_b64 s[14:15], s[14:15], 2
	s_add_u32 s12, s12, s14
	s_addc_u32 s13, s13, s15
	s_mul_i32 s13, s13, s22
	s_mul_hi_u32 s14, s12, s22
	s_add_i32 s14, s14, s13
	s_mul_i32 s15, s12, s22
	s_lshl_b64 s[12:13], s[2:3], 2
	s_add_u32 s3, s15, s12
	s_addc_u32 s12, s14, s13
	s_add_u32 s10, s10, s3
	s_addc_u32 s11, s11, s12
	s_lshl_b64 s[12:13], s[22:23], 2
	v_mov_b32_e32 v1, 0
.LBB416_8:                              ; =>This Inner Loop Header: Depth=1
	s_add_i32 s16, s16, -1
	global_store_dword v1, v1, s[10:11]
	s_add_u32 s10, s10, s12
	s_addc_u32 s11, s11, s13
	s_cmp_eq_u32 s16, 0
	s_cbranch_scc0 .LBB416_8
.LBB416_9:
	s_or_b64 exec, exec, s[4:5]
	s_cbranch_execz .LBB416_11
	s_branch .LBB416_84
.LBB416_10:
.LBB416_11:
	s_load_dwordx4 s[28:31], s[0:1], 0x18
	s_load_dword s34, s[0:1], 0x28
	s_load_dwordx4 s[12:15], s[0:1], 0x30
	s_load_dwordx2 s[4:5], s[0:1], 0x40
	s_load_dword s23, s[0:1], 0x48
	s_mul_i32 s0, s6, s9
	s_mul_hi_u32 s1, s6, s8
	s_add_i32 s1, s1, s0
	s_mul_i32 s0, s6, s8
	s_lshl_b64 s[0:1], s[0:1], 1
	s_waitcnt lgkmcnt(0)
	s_add_u32 s3, s14, s0
	s_addc_u32 s8, s15, s1
	s_lshl_b64 s[0:1], s[4:5], 1
	s_add_u32 s36, s3, s0
	s_addc_u32 s37, s8, s1
	s_mul_i32 s0, s6, s13
	s_mul_hi_u32 s1, s6, s12
	s_add_i32 s1, s1, s0
	s_mul_i32 s0, s6, s12
	s_lshl_b64 s[38:39], s[0:1], 1
	s_add_u32 s0, s28, s38
	s_addc_u32 s1, s29, s39
	s_lshl_b64 s[30:31], s[30:31], 1
	s_add_u32 s0, s0, s30
	s_addc_u32 s1, s1, s31
	s_lshl_b32 s3, s2, 10
	v_lshl_or_b32 v10, v0, 2, s3
	v_ashrrev_i32_e32 v11, 31, v10
	v_lshl_add_u64 v[6:7], v[10:11], 1, s[0:1]
	s_lshr_b32 s0, s7, 30
	s_add_i32 s0, s25, s0
	s_and_b32 s3, s0, -4
	s_ashr_i32 s0, s24, 31
	s_lshr_b32 s0, s0, 30
	s_add_i32 s0, s24, s0
	s_and_b32 s0, s0, -4
	s_sub_i32 s27, s24, s0
	s_cmp_lt_i32 s3, 1
	v_add_u32_e32 v27, 4, v10
	v_add_u32_e32 v28, s27, v10
	v_and_b32_e32 v1, 63, v0
	v_cmp_gt_u32_e64 s[0:1], 64, v0
	v_mbcnt_lo_u32_b32 v26, -1, 0
	v_cmp_gt_u32_e64 s[4:5], 4, v0
	v_lshrrev_b32_e32 v9, 4, v0
	v_mul_lo_u32 v8, v10, s23
	s_cbranch_scc1 .LBB416_59
; %bb.12:
	v_mbcnt_hi_u32_b32 v2, -1, v26
	v_and_b32_e32 v3, 63, v2
	v_cmp_gt_u32_e32 vcc, 32, v3
	v_mul_lo_u32 v12, v10, s23
	s_cmp_gt_i32 s27, 0
	v_cndmask_b32_e64 v4, 0, 1, vcc
	v_lshlrev_b32_e32 v4, 5, v4
	v_cmp_gt_u32_e32 vcc, 48, v3
	v_add_lshl_u32 v29, v4, v2, 2
	s_cselect_b64 s[42:43], -1, 0
	v_cndmask_b32_e64 v4, 0, 1, vcc
	v_lshlrev_b32_e32 v4, 4, v4
	v_cmp_gt_u32_e32 vcc, 56, v3
	v_add_lshl_u32 v30, v4, v2, 2
	s_lshl_b32 s58, s34, 2
	v_cndmask_b32_e64 v4, 0, 1, vcc
	v_lshlrev_b32_e32 v4, 3, v4
	v_cmp_gt_u32_e32 vcc, 60, v3
	v_add_lshl_u32 v31, v4, v2, 2
	s_lshl_b32 s40, s34, 1
	v_cndmask_b32_e64 v4, 0, 1, vcc
	v_lshlrev_b32_e32 v4, 2, v4
	v_cmp_gt_u32_e32 vcc, 62, v3
	v_add_lshl_u32 v32, v4, v2, 2
	s_add_u32 s14, s38, s30
	v_cndmask_b32_e64 v4, 0, 1, vcc
	v_lshlrev_b32_e32 v4, 1, v4
	v_cmp_ne_u32_e32 vcc, 63, v3
	v_add_lshl_u32 v33, v4, v2, 2
	s_addc_u32 s15, s39, s31
	v_addc_co_u32_e32 v2, vcc, 0, v2, vcc
	v_lshlrev_b32_e32 v34, 2, v2
	v_add_u32_e32 v2, s23, v12
	v_ashrrev_i32_e32 v3, 31, v2
	v_lshl_add_u64 v[16:17], v[2:3], 1, s[36:37]
	v_add_u32_e32 v2, s23, v2
	v_ashrrev_i32_e32 v3, 31, v2
	s_mov_b32 s41, 0
	v_lshl_add_u64 v[18:19], v[2:3], 1, s[36:37]
	v_add_u32_e32 v2, s23, v2
	s_add_u32 s14, s28, s14
	v_ashrrev_i32_e32 v13, 31, v12
	v_ashrrev_i32_e32 v3, 31, v2
	s_mov_b32 s35, s41
	s_addc_u32 s15, s29, s15
	v_cmp_ge_i32_e64 s[6:7], s24, v27
	v_cmp_ge_i32_e64 s[8:9], s24, v28
	v_cmp_eq_u32_e64 s[10:11], 0, v1
	v_lshlrev_b32_e32 v35, 2, v1
	v_and_b32_e32 v36, 12, v9
	v_cmp_eq_u32_e64 s[12:13], 0, v0
	v_lshl_add_u64 v[14:15], v[12:13], 1, s[36:37]
	v_lshl_add_u64 v[20:21], v[2:3], 1, s[36:37]
	s_mul_i32 s59, s34, 3
	s_mov_b32 s60, s41
	v_lshl_add_u64 v[22:23], v[10:11], 1, s[14:15]
	v_mov_b32_e32 v13, 0
	s_mov_b32 s44, s41
	s_mov_b64 s[46:47], s[40:41]
	s_mov_b64 s[48:49], s[34:35]
	s_mov_b32 s33, 0
                                        ; implicit-def: $vgpr2_vgpr3_vgpr4_vgpr5
	s_branch .LBB416_14
.LBB416_13:                             ;   in Loop: Header=BB416_14 Depth=1
	s_or_b64 exec, exec, s[14:15]
	s_add_i32 s33, s33, 4
	s_add_u32 s48, s48, s58
	s_addc_u32 s49, s49, 0
	s_add_u32 s46, s46, s58
	s_addc_u32 s47, s47, 0
	s_add_u32 s59, s59, s58
	s_addc_u32 s60, s60, 0
	s_add_i32 s44, s44, s58
	s_cmp_ge_i32 s33, s3
	s_cbranch_scc1 .LBB416_60
.LBB416_14:                             ; =>This Loop Header: Depth=1
                                        ;     Child Loop BB416_45 Depth 2
                                        ;     Child Loop BB416_48 Depth 2
                                        ; implicit-def: $vgpr37
                                        ; implicit-def: $vgpr38
                                        ; implicit-def: $vgpr39
                                        ; implicit-def: $vgpr40
	s_and_saveexec_b64 s[14:15], s[6:7]
	s_xor_b64 s[14:15], exec, s[14:15]
	s_cbranch_execnz .LBB416_41
; %bb.15:                               ;   in Loop: Header=BB416_14 Depth=1
	s_andn2_saveexec_b64 s[50:51], s[14:15]
	s_cbranch_execnz .LBB416_42
.LBB416_16:                             ;   in Loop: Header=BB416_14 Depth=1
	s_or_b64 exec, exec, s[50:51]
	s_and_saveexec_b64 s[14:15], s[0:1]
	s_cbranch_execz .LBB416_18
.LBB416_17:                             ;   in Loop: Header=BB416_14 Depth=1
	ds_write_b32 v35, v13
.LBB416_18:                             ;   in Loop: Header=BB416_14 Depth=1
	s_or_b64 exec, exec, s[14:15]
	ds_bpermute_b32 v24, v29, v40
	s_waitcnt lgkmcnt(0)
	s_barrier
	v_add_f32_e32 v24, v40, v24
	ds_bpermute_b32 v25, v30, v24
	s_waitcnt lgkmcnt(0)
	v_add_f32_e32 v24, v24, v25
	ds_bpermute_b32 v25, v31, v24
	s_waitcnt lgkmcnt(0)
	;; [unrolled: 3-line block ×4, first 2 shown]
	v_add_f32_e32 v24, v24, v25
	ds_bpermute_b32 v25, v34, v24
	s_and_saveexec_b64 s[14:15], s[10:11]
	s_cbranch_execz .LBB416_20
; %bb.19:                               ;   in Loop: Header=BB416_14 Depth=1
	s_waitcnt lgkmcnt(0)
	v_add_f32_e32 v24, v24, v25
	ds_write_b32 v36, v24
.LBB416_20:                             ;   in Loop: Header=BB416_14 Depth=1
	s_or_b64 exec, exec, s[14:15]
	v_mov_b32_e32 v24, 0
	s_waitcnt lgkmcnt(0)
	s_barrier
	s_and_saveexec_b64 s[14:15], s[4:5]
	s_cbranch_execnz .LBB416_50
; %bb.21:                               ;   in Loop: Header=BB416_14 Depth=1
	s_or_b64 exec, exec, s[14:15]
	s_and_saveexec_b64 s[14:15], s[0:1]
	s_cbranch_execnz .LBB416_51
.LBB416_22:                             ;   in Loop: Header=BB416_14 Depth=1
	s_or_b64 exec, exec, s[14:15]
	s_and_saveexec_b64 s[14:15], s[0:1]
	s_cbranch_execz .LBB416_24
.LBB416_23:                             ;   in Loop: Header=BB416_14 Depth=1
	ds_write_b32 v35, v13
.LBB416_24:                             ;   in Loop: Header=BB416_14 Depth=1
	s_or_b64 exec, exec, s[14:15]
	ds_bpermute_b32 v25, v29, v39
	s_waitcnt lgkmcnt(0)
	s_barrier
	v_add_f32_e32 v25, v39, v25
	ds_bpermute_b32 v39, v30, v25
	s_waitcnt lgkmcnt(0)
	v_add_f32_e32 v25, v25, v39
	ds_bpermute_b32 v39, v31, v25
	s_waitcnt lgkmcnt(0)
	;; [unrolled: 3-line block ×4, first 2 shown]
	v_add_f32_e32 v25, v25, v39
	ds_bpermute_b32 v39, v34, v25
	s_and_saveexec_b64 s[14:15], s[10:11]
	s_cbranch_execz .LBB416_26
; %bb.25:                               ;   in Loop: Header=BB416_14 Depth=1
	s_waitcnt lgkmcnt(0)
	v_add_f32_e32 v25, v25, v39
	ds_write_b32 v36, v25
.LBB416_26:                             ;   in Loop: Header=BB416_14 Depth=1
	s_or_b64 exec, exec, s[14:15]
	v_mov_b32_e32 v25, 0
	s_waitcnt lgkmcnt(0)
	s_barrier
	s_and_saveexec_b64 s[14:15], s[4:5]
	s_cbranch_execnz .LBB416_52
; %bb.27:                               ;   in Loop: Header=BB416_14 Depth=1
	s_or_b64 exec, exec, s[14:15]
	s_and_saveexec_b64 s[14:15], s[0:1]
	s_cbranch_execnz .LBB416_53
.LBB416_28:                             ;   in Loop: Header=BB416_14 Depth=1
	s_or_b64 exec, exec, s[14:15]
	s_and_saveexec_b64 s[14:15], s[0:1]
	s_cbranch_execz .LBB416_30
.LBB416_29:                             ;   in Loop: Header=BB416_14 Depth=1
	ds_write_b32 v35, v13
.LBB416_30:                             ;   in Loop: Header=BB416_14 Depth=1
	s_or_b64 exec, exec, s[14:15]
	ds_bpermute_b32 v39, v29, v38
	s_waitcnt lgkmcnt(0)
	s_barrier
	v_add_f32_e32 v38, v38, v39
	ds_bpermute_b32 v39, v30, v38
	s_waitcnt lgkmcnt(0)
	v_add_f32_e32 v38, v38, v39
	ds_bpermute_b32 v39, v31, v38
	s_waitcnt lgkmcnt(0)
	;; [unrolled: 3-line block ×4, first 2 shown]
	v_add_f32_e32 v38, v38, v39
	ds_bpermute_b32 v39, v34, v38
	s_and_saveexec_b64 s[14:15], s[10:11]
	s_cbranch_execz .LBB416_32
; %bb.31:                               ;   in Loop: Header=BB416_14 Depth=1
	s_waitcnt lgkmcnt(0)
	v_add_f32_e32 v38, v38, v39
	ds_write_b32 v36, v38
.LBB416_32:                             ;   in Loop: Header=BB416_14 Depth=1
	s_or_b64 exec, exec, s[14:15]
	v_mov_b32_e32 v38, 0
	s_waitcnt lgkmcnt(0)
	s_barrier
	s_and_saveexec_b64 s[14:15], s[4:5]
	s_cbranch_execnz .LBB416_54
; %bb.33:                               ;   in Loop: Header=BB416_14 Depth=1
	s_or_b64 exec, exec, s[14:15]
	s_and_saveexec_b64 s[14:15], s[0:1]
	s_cbranch_execnz .LBB416_55
.LBB416_34:                             ;   in Loop: Header=BB416_14 Depth=1
	s_or_b64 exec, exec, s[14:15]
	s_and_saveexec_b64 s[14:15], s[0:1]
	s_cbranch_execz .LBB416_36
.LBB416_35:                             ;   in Loop: Header=BB416_14 Depth=1
	ds_write_b32 v35, v13
.LBB416_36:                             ;   in Loop: Header=BB416_14 Depth=1
	s_or_b64 exec, exec, s[14:15]
	ds_bpermute_b32 v39, v29, v37
	s_waitcnt lgkmcnt(0)
	s_barrier
	v_add_f32_e32 v37, v37, v39
	ds_bpermute_b32 v39, v30, v37
	s_waitcnt lgkmcnt(0)
	v_add_f32_e32 v37, v37, v39
	ds_bpermute_b32 v39, v31, v37
	s_waitcnt lgkmcnt(0)
	;; [unrolled: 3-line block ×4, first 2 shown]
	v_add_f32_e32 v37, v37, v39
	ds_bpermute_b32 v39, v34, v37
	s_and_saveexec_b64 s[14:15], s[10:11]
	s_cbranch_execz .LBB416_38
; %bb.37:                               ;   in Loop: Header=BB416_14 Depth=1
	s_waitcnt lgkmcnt(0)
	v_add_f32_e32 v37, v37, v39
	ds_write_b32 v36, v37
.LBB416_38:                             ;   in Loop: Header=BB416_14 Depth=1
	s_or_b64 exec, exec, s[14:15]
	v_mov_b32_e32 v37, 0
	s_waitcnt lgkmcnt(0)
	s_barrier
	s_and_saveexec_b64 s[14:15], s[4:5]
	s_cbranch_execnz .LBB416_56
; %bb.39:                               ;   in Loop: Header=BB416_14 Depth=1
	s_or_b64 exec, exec, s[14:15]
	s_and_saveexec_b64 s[14:15], s[0:1]
	s_cbranch_execnz .LBB416_57
.LBB416_40:                             ;   in Loop: Header=BB416_14 Depth=1
	s_or_b64 exec, exec, s[14:15]
	s_and_saveexec_b64 s[14:15], s[12:13]
	s_cbranch_execz .LBB416_13
	s_branch .LBB416_58
.LBB416_41:                             ;   in Loop: Header=BB416_14 Depth=1
	s_mul_i32 s16, s33, s34
	s_ashr_i32 s17, s16, 31
	v_lshl_add_u64 v[2:3], s[16:17], 1, v[6:7]
	s_add_i32 s16, s16, s34
	s_ashr_i32 s17, s16, 31
	v_lshl_add_u64 v[4:5], s[16:17], 1, v[6:7]
	s_add_i32 s16, s16, s34
	;; [unrolled: 3-line block ×3, first 2 shown]
	s_ashr_i32 s17, s16, 31
	s_waitcnt lgkmcnt(0)
	global_load_ushort v37, v[14:15], off
	global_load_ushort v44, v[16:17], off
	;; [unrolled: 1-line block ×4, first 2 shown]
	global_load_dwordx2 v[38:39], v[2:3], off
	global_load_dwordx2 v[40:41], v[4:5], off
	v_lshl_add_u64 v[2:3], s[16:17], 1, v[6:7]
	global_load_dwordx2 v[24:25], v[24:25], off
	s_waitcnt vmcnt(4)
	v_cvt_f32_f16_e32 v4, v45
	global_load_dwordx2 v[42:43], v[2:3], off
	s_waitcnt vmcnt(3)
	v_fma_mix_f32 v47, v37, v38, 0 op_sel_hi:[1,1,0]
	v_cvt_f32_f16_e32 v2, v37
	v_cvt_f32_f16_e32 v3, v44
	;; [unrolled: 1-line block ×3, first 2 shown]
	s_waitcnt vmcnt(2)
	v_fma_mix_f32 v48, v37, v40, 0 op_sel_hi:[1,1,0]
	v_fma_mix_f32 v38, v44, v38, v47 op_sel:[0,1,0] op_sel_hi:[1,1,0]
	s_waitcnt vmcnt(1)
	v_fma_mix_f32 v47, v37, v24, 0 op_sel_hi:[1,1,0]
	v_fma_mix_f32 v40, v44, v40, v48 op_sel:[0,1,0] op_sel_hi:[1,1,0]
	v_fma_mix_f32 v24, v44, v24, v47 op_sel:[0,1,0] op_sel_hi:[1,1,0]
	v_fma_mix_f32 v38, v45, v39, v38 op_sel_hi:[1,1,0]
	v_fma_mix_f32 v47, v45, v41, v40 op_sel_hi:[1,1,0]
	;; [unrolled: 1-line block ×3, first 2 shown]
	v_fma_mix_f32 v40, v46, v39, v38 op_sel:[0,1,0] op_sel_hi:[1,1,0]
	v_fma_mix_f32 v39, v46, v41, v47 op_sel:[0,1,0] op_sel_hi:[1,1,0]
	;; [unrolled: 1-line block ×3, first 2 shown]
	s_waitcnt vmcnt(0)
	v_fma_mix_f32 v37, v37, v42, 0 op_sel_hi:[1,1,0]
	s_nop 0
	v_fma_mix_f32 v37, v44, v42, v37 op_sel:[0,1,0] op_sel_hi:[1,1,0]
	s_nop 0
	v_fma_mix_f32 v37, v45, v43, v37 op_sel_hi:[1,1,0]
	s_nop 0
	v_fma_mix_f32 v37, v46, v43, v37 op_sel:[0,1,0] op_sel_hi:[1,1,0]
	s_andn2_saveexec_b64 s[50:51], s[14:15]
	s_cbranch_execz .LBB416_16
.LBB416_42:                             ;   in Loop: Header=BB416_14 Depth=1
	s_waitcnt lgkmcnt(0)
	v_mov_b32_e32 v37, 0
	v_mov_b32_e32 v38, 0
	;; [unrolled: 1-line block ×4, first 2 shown]
	s_and_saveexec_b64 s[52:53], s[8:9]
	s_cbranch_execz .LBB416_49
; %bb.43:                               ;   in Loop: Header=BB416_14 Depth=1
	v_cndmask_b32_e64 v24, 0, 1, s[42:43]
	v_cmp_ne_u32_e64 s[14:15], 1, v24
	s_andn2_b64 vcc, exec, s[42:43]
	s_cbranch_vccnz .LBB416_46
; %bb.44:                               ;   in Loop: Header=BB416_14 Depth=1
	s_mov_b64 s[54:55], 0
	v_mov_b32_e32 v24, v12
.LBB416_45:                             ;   Parent Loop BB416_14 Depth=1
                                        ; =>  This Inner Loop Header: Depth=2
	v_ashrrev_i32_e32 v25, 31, v24
	v_lshl_add_u64 v[38:39], v[24:25], 1, s[36:37]
	global_load_ushort v25, v[38:39], off
	s_cmp_eq_u32 s54, 3
	s_cselect_b64 vcc, -1, 0
	s_cmp_eq_u32 s54, 2
	s_cselect_b64 s[16:17], -1, 0
	s_cmp_eq_u32 s54, 1
	s_cselect_b64 s[18:19], -1, 0
	s_cmp_eq_u32 s54, 0
	s_cselect_b64 s[20:21], -1, 0
	s_add_u32 s54, s54, 1
	s_addc_u32 s55, s55, 0
	v_add_u32_e32 v24, s23, v24
	s_cmp_eq_u32 s27, s54
	s_waitcnt vmcnt(0)
	v_cvt_f32_f16_e32 v25, v25
	v_cndmask_b32_e32 v5, v5, v25, vcc
	v_cndmask_b32_e64 v4, v4, v25, s[16:17]
	v_cndmask_b32_e64 v3, v3, v25, s[18:19]
	;; [unrolled: 1-line block ×3, first 2 shown]
	s_cbranch_scc0 .LBB416_45
.LBB416_46:                             ;   in Loop: Header=BB416_14 Depth=1
	s_and_b64 vcc, exec, s[14:15]
	v_mov_b32_e32 v37, 0
	v_mov_b32_e32 v38, 0
	;; [unrolled: 1-line block ×4, first 2 shown]
	s_cbranch_vccnz .LBB416_49
; %bb.47:                               ;   in Loop: Header=BB416_14 Depth=1
	s_ashr_i32 s45, s44, 31
	v_lshl_add_u64 v[24:25], s[44:45], 1, v[22:23]
	s_mov_b64 s[14:15], 0
	v_mov_b32_e32 v40, 0
	v_mov_b32_e32 v39, 0
	;; [unrolled: 1-line block ×4, first 2 shown]
.LBB416_48:                             ;   Parent Loop BB416_14 Depth=1
                                        ; =>  This Inner Loop Header: Depth=2
	s_cmp_eq_u32 s14, 1
	s_cselect_b64 vcc, -1, 0
	s_cmp_eq_u32 s14, 2
	v_cndmask_b32_e32 v42, v2, v3, vcc
	s_cselect_b64 vcc, -1, 0
	s_cmp_eq_u32 s14, 3
	v_cndmask_b32_e32 v48, v42, v4, vcc
	s_cselect_b64 vcc, -1, 0
	s_add_i32 s16, s48, s14
	s_add_i32 s18, s46, s14
	;; [unrolled: 1-line block ×3, first 2 shown]
	s_ashr_i32 s17, s16, 31
	s_ashr_i32 s19, s18, 31
	;; [unrolled: 1-line block ×3, first 2 shown]
	v_lshl_add_u64 v[42:43], s[16:17], 1, v[6:7]
	v_lshl_add_u64 v[44:45], s[18:19], 1, v[6:7]
	global_load_ushort v41, v[24:25], off
	v_lshl_add_u64 v[46:47], s[20:21], 1, v[6:7]
	global_load_ushort v42, v[42:43], off
	s_nop 0
	global_load_ushort v43, v[44:45], off
	s_nop 0
	global_load_ushort v44, v[46:47], off
	s_add_u32 s14, s14, 1
	v_cndmask_b32_e32 v45, v48, v5, vcc
	s_addc_u32 s15, s15, 0
	v_lshl_add_u64 v[24:25], v[24:25], 0, 2
	s_cmp_lg_u32 s27, s14
	s_waitcnt vmcnt(3)
	v_fma_mix_f32 v40, v45, v41, v40 op_sel_hi:[0,1,0]
	s_waitcnt vmcnt(2)
	v_fma_mix_f32 v39, v45, v42, v39 op_sel_hi:[0,1,0]
	s_waitcnt vmcnt(1)
	v_fma_mix_f32 v38, v45, v43, v38 op_sel_hi:[0,1,0]
	s_waitcnt vmcnt(0)
	v_fma_mix_f32 v37, v45, v44, v37 op_sel_hi:[0,1,0]
	s_cbranch_scc1 .LBB416_48
.LBB416_49:                             ;   in Loop: Header=BB416_14 Depth=1
	s_or_b64 exec, exec, s[52:53]
	s_or_b64 exec, exec, s[50:51]
	s_and_saveexec_b64 s[14:15], s[0:1]
	s_cbranch_execnz .LBB416_17
	s_branch .LBB416_18
.LBB416_50:                             ;   in Loop: Header=BB416_14 Depth=1
	ds_read_b32 v24, v35
	s_or_b64 exec, exec, s[14:15]
	s_and_saveexec_b64 s[14:15], s[0:1]
	s_cbranch_execz .LBB416_22
.LBB416_51:                             ;   in Loop: Header=BB416_14 Depth=1
	s_waitcnt lgkmcnt(0)
	ds_bpermute_b32 v25, v33, v24
	s_waitcnt lgkmcnt(0)
	v_add_f32_e32 v24, v24, v25
	ds_bpermute_b32 v25, v34, v24
	s_waitcnt lgkmcnt(0)
	v_add_f32_e32 v24, v24, v25
	s_or_b64 exec, exec, s[14:15]
	s_and_saveexec_b64 s[14:15], s[0:1]
	s_cbranch_execnz .LBB416_23
	s_branch .LBB416_24
.LBB416_52:                             ;   in Loop: Header=BB416_14 Depth=1
	ds_read_b32 v25, v35
	s_or_b64 exec, exec, s[14:15]
	s_and_saveexec_b64 s[14:15], s[0:1]
	s_cbranch_execz .LBB416_28
.LBB416_53:                             ;   in Loop: Header=BB416_14 Depth=1
	s_waitcnt lgkmcnt(0)
	ds_bpermute_b32 v39, v33, v25
	s_waitcnt lgkmcnt(0)
	v_add_f32_e32 v25, v25, v39
	ds_bpermute_b32 v39, v34, v25
	s_waitcnt lgkmcnt(0)
	v_add_f32_e32 v25, v25, v39
	s_or_b64 exec, exec, s[14:15]
	s_and_saveexec_b64 s[14:15], s[0:1]
	s_cbranch_execnz .LBB416_29
	s_branch .LBB416_30
.LBB416_54:                             ;   in Loop: Header=BB416_14 Depth=1
	ds_read_b32 v38, v35
	s_or_b64 exec, exec, s[14:15]
	s_and_saveexec_b64 s[14:15], s[0:1]
	s_cbranch_execz .LBB416_34
.LBB416_55:                             ;   in Loop: Header=BB416_14 Depth=1
	s_waitcnt lgkmcnt(0)
	ds_bpermute_b32 v39, v33, v38
	s_waitcnt lgkmcnt(0)
	v_add_f32_e32 v38, v38, v39
	ds_bpermute_b32 v39, v34, v38
	s_waitcnt lgkmcnt(0)
	v_add_f32_e32 v38, v38, v39
	s_or_b64 exec, exec, s[14:15]
	s_and_saveexec_b64 s[14:15], s[0:1]
	s_cbranch_execnz .LBB416_35
	s_branch .LBB416_36
.LBB416_56:                             ;   in Loop: Header=BB416_14 Depth=1
	ds_read_b32 v37, v35
	s_or_b64 exec, exec, s[14:15]
	s_and_saveexec_b64 s[14:15], s[0:1]
	s_cbranch_execz .LBB416_40
.LBB416_57:                             ;   in Loop: Header=BB416_14 Depth=1
	s_waitcnt lgkmcnt(0)
	ds_bpermute_b32 v39, v33, v37
	s_waitcnt lgkmcnt(0)
	v_add_f32_e32 v37, v37, v39
	ds_bpermute_b32 v39, v34, v37
	s_waitcnt lgkmcnt(0)
	v_add_f32_e32 v37, v37, v39
	s_or_b64 exec, exec, s[14:15]
	s_and_saveexec_b64 s[14:15], s[12:13]
	s_cbranch_execz .LBB416_13
.LBB416_58:                             ;   in Loop: Header=BB416_14 Depth=1
	s_mul_i32 s16, s33, s22
	s_add_i32 s40, s16, s2
	s_lshl_b64 s[16:17], s[40:41], 2
	s_add_u32 s16, s56, s16
	v_mul_f32_e32 v24, s26, v24
	s_addc_u32 s17, s57, s17
	s_add_i32 s40, s40, s22
	global_store_dword v13, v24, s[16:17]
	s_lshl_b64 s[16:17], s[40:41], 2
	s_add_u32 s16, s56, s16
	v_mul_f32_e32 v24, s26, v25
	s_addc_u32 s17, s57, s17
	s_add_i32 s40, s40, s22
	global_store_dword v13, v24, s[16:17]
	;; [unrolled: 6-line block ×3, first 2 shown]
	s_lshl_b64 s[16:17], s[40:41], 2
	s_add_u32 s16, s56, s16
	s_waitcnt lgkmcnt(0)
	v_mul_f32_e32 v24, s26, v37
	s_addc_u32 s17, s57, s17
	global_store_dword v13, v24, s[16:17]
	s_branch .LBB416_13
.LBB416_59:
	s_mov_b32 s33, 0
                                        ; implicit-def: $vgpr2_vgpr3_vgpr4_vgpr5
.LBB416_60:
	s_cmp_ge_i32 s33, s25
	s_cbranch_scc1 .LBB416_84
; %bb.61:
	v_mbcnt_hi_u32_b32 v12, -1, v26
	v_and_b32_e32 v13, 63, v12
	v_cmp_gt_u32_e32 vcc, 32, v13
	s_mov_b32 s3, 0
	s_cmp_gt_i32 s27, 0
	v_cndmask_b32_e64 v14, 0, 1, vcc
	v_lshlrev_b32_e32 v14, 5, v14
	v_cmp_gt_u32_e32 vcc, 48, v13
	v_add_lshl_u32 v23, v14, v12, 2
	s_cselect_b64 s[40:41], -1, 0
	v_cndmask_b32_e64 v14, 0, 1, vcc
	v_lshlrev_b32_e32 v14, 4, v14
	v_cmp_gt_u32_e32 vcc, 56, v13
	v_add_lshl_u32 v24, v14, v12, 2
	s_lshl_b64 s[14:15], s[2:3], 2
	v_cndmask_b32_e64 v14, 0, 1, vcc
	v_lshlrev_b32_e32 v14, 3, v14
	v_cmp_gt_u32_e32 vcc, 60, v13
	v_add_lshl_u32 v25, v14, v12, 2
	s_add_u32 s2, s56, s14
	v_cndmask_b32_e64 v14, 0, 1, vcc
	v_cmp_ge_i32_e64 s[0:1], s24, v27
	v_cmp_ge_i32_e64 s[4:5], s24, v28
	v_lshlrev_b32_e32 v14, 2, v14
	v_cmp_gt_u32_e32 vcc, 62, v13
	s_addc_u32 s24, s57, s15
	v_add_u32_e32 v16, s23, v8
	v_add_lshl_u32 v26, v14, v12, 2
	v_cndmask_b32_e64 v14, 0, 1, vcc
	v_add_u32_e32 v18, s23, v16
	s_add_u32 s14, s38, s30
	v_lshlrev_b32_e32 v14, 1, v14
	v_ashrrev_i32_e32 v17, 31, v16
	v_ashrrev_i32_e32 v19, 31, v18
	s_addc_u32 s15, s39, s31
	v_add_lshl_u32 v27, v14, v12, 2
	v_cmp_ne_u32_e32 vcc, 63, v13
	v_lshl_add_u64 v[14:15], v[16:17], 1, s[36:37]
	v_lshl_add_u64 v[16:17], v[18:19], 1, s[36:37]
	v_add_u32_e32 v18, s23, v18
	s_add_u32 s14, s28, s14
	v_lshlrev_b32_e32 v22, 2, v1
	v_addc_co_u32_e32 v12, vcc, 0, v12, vcc
	v_cmp_eq_u32_e64 s[8:9], 0, v1
	v_and_b32_e32 v1, 12, v9
	v_ashrrev_i32_e32 v9, 31, v8
	v_ashrrev_i32_e32 v19, 31, v18
	s_addc_u32 s15, s29, s15
	v_cmp_gt_u32_e64 s[6:7], 64, v0
	v_lshlrev_b32_e32 v28, 2, v12
	v_cmp_gt_u32_e64 s[10:11], 4, v0
	v_cmp_eq_u32_e64 s[12:13], 0, v0
	v_lshl_add_u64 v[12:13], v[8:9], 1, s[36:37]
	v_lshl_add_u64 v[18:19], v[18:19], 1, s[36:37]
	;; [unrolled: 1-line block ×3, first 2 shown]
	s_mul_i32 s28, s33, s34
	v_mov_b32_e32 v9, 0
	s_branch .LBB416_63
.LBB416_62:                             ;   in Loop: Header=BB416_63 Depth=1
	s_or_b64 exec, exec, s[14:15]
	s_add_i32 s33, s33, 1
	s_add_i32 s28, s28, s34
	s_cmp_ge_i32 s33, s25
	s_cbranch_scc1 .LBB416_84
.LBB416_63:                             ; =>This Loop Header: Depth=1
                                        ;     Child Loop BB416_76 Depth 2
                                        ;     Child Loop BB416_79 Depth 2
	s_waitcnt lgkmcnt(0)
	v_mov_b32_e32 v0, s3
	s_and_saveexec_b64 s[14:15], s[0:1]
	s_xor_b64 s[14:15], exec, s[14:15]
	s_cbranch_execnz .LBB416_72
; %bb.64:                               ;   in Loop: Header=BB416_63 Depth=1
	s_andn2_saveexec_b64 s[30:31], s[14:15]
	s_cbranch_execnz .LBB416_73
.LBB416_65:                             ;   in Loop: Header=BB416_63 Depth=1
	s_or_b64 exec, exec, s[30:31]
	s_and_saveexec_b64 s[14:15], s[6:7]
	s_cbranch_execz .LBB416_67
.LBB416_66:                             ;   in Loop: Header=BB416_63 Depth=1
	ds_write_b32 v22, v9
.LBB416_67:                             ;   in Loop: Header=BB416_63 Depth=1
	s_or_b64 exec, exec, s[14:15]
	ds_bpermute_b32 v20, v23, v0
	s_waitcnt lgkmcnt(0)
	s_barrier
	v_add_f32_e32 v0, v0, v20
	ds_bpermute_b32 v20, v24, v0
	s_waitcnt lgkmcnt(0)
	v_add_f32_e32 v0, v0, v20
	ds_bpermute_b32 v20, v25, v0
	s_waitcnt lgkmcnt(0)
	;; [unrolled: 3-line block ×4, first 2 shown]
	v_add_f32_e32 v0, v0, v20
	ds_bpermute_b32 v20, v28, v0
	s_and_saveexec_b64 s[14:15], s[8:9]
	s_cbranch_execz .LBB416_69
; %bb.68:                               ;   in Loop: Header=BB416_63 Depth=1
	s_waitcnt lgkmcnt(0)
	v_add_f32_e32 v0, v0, v20
	ds_write_b32 v1, v0
.LBB416_69:                             ;   in Loop: Header=BB416_63 Depth=1
	s_or_b64 exec, exec, s[14:15]
	v_mov_b32_e32 v0, 0
	s_waitcnt lgkmcnt(0)
	s_barrier
	s_and_saveexec_b64 s[14:15], s[10:11]
	s_cbranch_execnz .LBB416_81
; %bb.70:                               ;   in Loop: Header=BB416_63 Depth=1
	s_or_b64 exec, exec, s[14:15]
	s_and_saveexec_b64 s[14:15], s[6:7]
	s_cbranch_execnz .LBB416_82
.LBB416_71:                             ;   in Loop: Header=BB416_63 Depth=1
	s_or_b64 exec, exec, s[14:15]
	s_and_saveexec_b64 s[14:15], s[12:13]
	s_cbranch_execz .LBB416_62
	s_branch .LBB416_83
.LBB416_72:                             ;   in Loop: Header=BB416_63 Depth=1
	s_mul_i32 s16, s33, s34
	s_ashr_i32 s17, s16, 31
	global_load_ushort v0, v[18:19], off
	global_load_ushort v4, v[12:13], off
	;; [unrolled: 1-line block ×3, first 2 shown]
	v_lshl_add_u64 v[2:3], s[16:17], 1, v[6:7]
	global_load_dwordx2 v[20:21], v[2:3], off
	global_load_ushort v29, v[16:17], off
	s_waitcnt vmcnt(3)
	v_cvt_f32_f16_e32 v2, v4
	s_waitcnt vmcnt(2)
	v_cvt_f32_f16_e32 v3, v5
	;; [unrolled: 2-line block ×3, first 2 shown]
	v_cvt_f32_f16_sdwa v31, v20 dst_sel:DWORD dst_unused:UNUSED_PAD src0_sel:WORD_1
	v_cvt_f32_f16_e32 v5, v0
	s_waitcnt vmcnt(0)
	v_cvt_f32_f16_e32 v4, v29
	v_cvt_f32_f16_e32 v20, v21
	v_cvt_f32_f16_sdwa v21, v21 dst_sel:DWORD dst_unused:UNUSED_PAD src0_sel:WORD_1
	v_pk_mul_f32 v[30:31], v[2:3], v[30:31]
	v_pk_mul_f32 v[20:21], v[4:5], v[20:21]
	v_add_f32_e32 v0, 0, v30
	v_add_f32_e32 v0, v0, v31
	;; [unrolled: 1-line block ×4, first 2 shown]
	s_andn2_saveexec_b64 s[30:31], s[14:15]
	s_cbranch_execz .LBB416_65
.LBB416_73:                             ;   in Loop: Header=BB416_63 Depth=1
	s_and_saveexec_b64 s[38:39], s[4:5]
	s_cbranch_execz .LBB416_80
; %bb.74:                               ;   in Loop: Header=BB416_63 Depth=1
	v_cndmask_b32_e64 v20, 0, 1, s[40:41]
	v_cmp_ne_u32_e64 s[14:15], 1, v20
	s_andn2_b64 vcc, exec, s[40:41]
	s_cbranch_vccnz .LBB416_77
; %bb.75:                               ;   in Loop: Header=BB416_63 Depth=1
	s_mov_b64 s[42:43], 0
	v_mov_b32_e32 v20, v8
.LBB416_76:                             ;   Parent Loop BB416_63 Depth=1
                                        ; =>  This Inner Loop Header: Depth=2
	v_ashrrev_i32_e32 v21, 31, v20
	v_lshl_add_u64 v[30:31], v[20:21], 1, s[36:37]
	global_load_ushort v21, v[30:31], off
	s_cmp_eq_u32 s42, 3
	s_cselect_b64 vcc, -1, 0
	s_cmp_eq_u32 s42, 2
	s_cselect_b64 s[16:17], -1, 0
	s_cmp_eq_u32 s42, 1
	s_cselect_b64 s[18:19], -1, 0
	;; [unrolled: 2-line block ×3, first 2 shown]
	s_add_u32 s42, s42, 1
	s_addc_u32 s43, s43, 0
	v_add_u32_e32 v20, s23, v20
	s_cmp_eq_u32 s27, s42
	s_waitcnt vmcnt(0)
	v_cvt_f32_f16_e32 v21, v21
	v_cndmask_b32_e32 v5, v5, v21, vcc
	v_cndmask_b32_e64 v4, v4, v21, s[16:17]
	v_cndmask_b32_e64 v3, v3, v21, s[18:19]
	;; [unrolled: 1-line block ×3, first 2 shown]
	s_cbranch_scc0 .LBB416_76
.LBB416_77:                             ;   in Loop: Header=BB416_63 Depth=1
	s_and_b64 vcc, exec, s[14:15]
	s_cbranch_vccnz .LBB416_80
; %bb.78:                               ;   in Loop: Header=BB416_63 Depth=1
	s_ashr_i32 s29, s28, 31
	v_lshl_add_u64 v[20:21], s[28:29], 1, v[10:11]
	s_mov_b64 s[14:15], 0
.LBB416_79:                             ;   Parent Loop BB416_63 Depth=1
                                        ; =>  This Inner Loop Header: Depth=2
	global_load_ushort v29, v[20:21], off
	s_cmp_eq_u32 s14, 1
	s_cselect_b64 vcc, -1, 0
	s_cmp_eq_u32 s14, 2
	v_cndmask_b32_e32 v30, v2, v3, vcc
	s_cselect_b64 vcc, -1, 0
	s_cmp_eq_u32 s14, 3
	v_cndmask_b32_e32 v30, v30, v4, vcc
	s_cselect_b64 vcc, -1, 0
	s_add_u32 s14, s14, 1
	v_cndmask_b32_e32 v30, v30, v5, vcc
	s_addc_u32 s15, s15, 0
	v_lshl_add_u64 v[20:21], v[20:21], 0, 2
	s_cmp_lg_u32 s27, s14
	s_waitcnt vmcnt(0)
	v_fma_mix_f32 v0, v30, v29, v0 op_sel_hi:[0,1,0]
	s_cbranch_scc1 .LBB416_79
.LBB416_80:                             ;   in Loop: Header=BB416_63 Depth=1
	s_or_b64 exec, exec, s[38:39]
	s_or_b64 exec, exec, s[30:31]
	s_and_saveexec_b64 s[14:15], s[6:7]
	s_cbranch_execnz .LBB416_66
	s_branch .LBB416_67
.LBB416_81:                             ;   in Loop: Header=BB416_63 Depth=1
	ds_read_b32 v0, v22
	s_or_b64 exec, exec, s[14:15]
	s_and_saveexec_b64 s[14:15], s[6:7]
	s_cbranch_execz .LBB416_71
.LBB416_82:                             ;   in Loop: Header=BB416_63 Depth=1
	s_waitcnt lgkmcnt(0)
	ds_bpermute_b32 v20, v27, v0
	s_waitcnt lgkmcnt(0)
	v_add_f32_e32 v0, v0, v20
	ds_bpermute_b32 v20, v28, v0
	s_waitcnt lgkmcnt(0)
	v_add_f32_e32 v0, v0, v20
	s_or_b64 exec, exec, s[14:15]
	s_and_saveexec_b64 s[14:15], s[12:13]
	s_cbranch_execz .LBB416_62
.LBB416_83:                             ;   in Loop: Header=BB416_63 Depth=1
	s_mul_hi_u32 s17, s33, s22
	s_mul_i32 s16, s33, s22
	s_lshl_b64 s[16:17], s[16:17], 2
	s_add_u32 s16, s2, s16
	s_waitcnt lgkmcnt(0)
	v_mul_f32_e32 v0, s26, v0
	s_addc_u32 s17, s24, s17
	global_store_dword v9, v0, s[16:17]
	s_branch .LBB416_62
.LBB416_84:
	s_endpgm
	.section	.rodata,"a",@progbits
	.p2align	6, 0x0
	.amdhsa_kernel _ZL23rocblas_gemvt_sn_kernelILb1ELi256ELi4EiDF16_ffEviiT4_lPKT3_lilS3_lilPT5_i
		.amdhsa_group_segment_fixed_size 256
		.amdhsa_private_segment_fixed_size 0
		.amdhsa_kernarg_size 360
		.amdhsa_user_sgpr_count 2
		.amdhsa_user_sgpr_dispatch_ptr 0
		.amdhsa_user_sgpr_queue_ptr 0
		.amdhsa_user_sgpr_kernarg_segment_ptr 1
		.amdhsa_user_sgpr_dispatch_id 0
		.amdhsa_user_sgpr_kernarg_preload_length 0
		.amdhsa_user_sgpr_kernarg_preload_offset 0
		.amdhsa_user_sgpr_private_segment_size 0
		.amdhsa_uses_dynamic_stack 0
		.amdhsa_enable_private_segment 0
		.amdhsa_system_sgpr_workgroup_id_x 1
		.amdhsa_system_sgpr_workgroup_id_y 0
		.amdhsa_system_sgpr_workgroup_id_z 1
		.amdhsa_system_sgpr_workgroup_info 0
		.amdhsa_system_vgpr_workitem_id 0
		.amdhsa_next_free_vgpr 49
		.amdhsa_next_free_sgpr 61
		.amdhsa_accum_offset 52
		.amdhsa_reserve_vcc 1
		.amdhsa_float_round_mode_32 0
		.amdhsa_float_round_mode_16_64 0
		.amdhsa_float_denorm_mode_32 3
		.amdhsa_float_denorm_mode_16_64 3
		.amdhsa_dx10_clamp 1
		.amdhsa_ieee_mode 1
		.amdhsa_fp16_overflow 0
		.amdhsa_tg_split 0
		.amdhsa_exception_fp_ieee_invalid_op 0
		.amdhsa_exception_fp_denorm_src 0
		.amdhsa_exception_fp_ieee_div_zero 0
		.amdhsa_exception_fp_ieee_overflow 0
		.amdhsa_exception_fp_ieee_underflow 0
		.amdhsa_exception_fp_ieee_inexact 0
		.amdhsa_exception_int_div_zero 0
	.end_amdhsa_kernel
	.section	.text._ZL23rocblas_gemvt_sn_kernelILb1ELi256ELi4EiDF16_ffEviiT4_lPKT3_lilS3_lilPT5_i,"axG",@progbits,_ZL23rocblas_gemvt_sn_kernelILb1ELi256ELi4EiDF16_ffEviiT4_lPKT3_lilS3_lilPT5_i,comdat
.Lfunc_end416:
	.size	_ZL23rocblas_gemvt_sn_kernelILb1ELi256ELi4EiDF16_ffEviiT4_lPKT3_lilS3_lilPT5_i, .Lfunc_end416-_ZL23rocblas_gemvt_sn_kernelILb1ELi256ELi4EiDF16_ffEviiT4_lPKT3_lilS3_lilPT5_i
                                        ; -- End function
	.section	.AMDGPU.csdata,"",@progbits
; Kernel info:
; codeLenInByte = 3976
; NumSgprs: 67
; NumVgprs: 49
; NumAgprs: 0
; TotalNumVgprs: 49
; ScratchSize: 0
; MemoryBound: 0
; FloatMode: 240
; IeeeMode: 1
; LDSByteSize: 256 bytes/workgroup (compile time only)
; SGPRBlocks: 8
; VGPRBlocks: 6
; NumSGPRsForWavesPerEU: 67
; NumVGPRsForWavesPerEU: 49
; AccumOffset: 52
; Occupancy: 8
; WaveLimiterHint : 1
; COMPUTE_PGM_RSRC2:SCRATCH_EN: 0
; COMPUTE_PGM_RSRC2:USER_SGPR: 2
; COMPUTE_PGM_RSRC2:TRAP_HANDLER: 0
; COMPUTE_PGM_RSRC2:TGID_X_EN: 1
; COMPUTE_PGM_RSRC2:TGID_Y_EN: 0
; COMPUTE_PGM_RSRC2:TGID_Z_EN: 1
; COMPUTE_PGM_RSRC2:TIDIG_COMP_CNT: 0
; COMPUTE_PGM_RSRC3_GFX90A:ACCUM_OFFSET: 12
; COMPUTE_PGM_RSRC3_GFX90A:TG_SPLIT: 0
	.section	.text._ZL23rocblas_gemvt_sn_kernelILb1ELi256ELi4ElDF16_ffEviiT4_lPKT3_lilS3_lilPT5_i,"axG",@progbits,_ZL23rocblas_gemvt_sn_kernelILb1ELi256ELi4ElDF16_ffEviiT4_lPKT3_lilS3_lilPT5_i,comdat
	.globl	_ZL23rocblas_gemvt_sn_kernelILb1ELi256ELi4ElDF16_ffEviiT4_lPKT3_lilS3_lilPT5_i ; -- Begin function _ZL23rocblas_gemvt_sn_kernelILb1ELi256ELi4ElDF16_ffEviiT4_lPKT3_lilS3_lilPT5_i
	.p2align	8
	.type	_ZL23rocblas_gemvt_sn_kernelILb1ELi256ELi4ElDF16_ffEviiT4_lPKT3_lilS3_lilPT5_i,@function
_ZL23rocblas_gemvt_sn_kernelILb1ELi256ELi4ElDF16_ffEviiT4_lPKT3_lilS3_lilPT5_i: ; @_ZL23rocblas_gemvt_sn_kernelILb1ELi256ELi4ElDF16_ffEviiT4_lPKT3_lilS3_lilPT5_i
; %bb.0:
	s_load_dwordx4 s[24:27], s[0:1], 0x0
	s_load_dwordx4 s[8:11], s[0:1], 0x50
	s_load_dword s34, s[0:1], 0x68
	s_mov_b32 s6, s3
	s_mov_b32 s35, 0
	s_waitcnt lgkmcnt(0)
	s_ashr_i32 s7, s25, 31
	s_mul_hi_u32 s3, s25, s3
	s_mul_i32 s4, s7, s6
	s_add_i32 s13, s3, s4
	s_mul_i32 s12, s25, s6
	s_mul_i32 s3, s13, s34
	s_mul_hi_u32 s4, s12, s34
	s_add_i32 s5, s4, s3
	s_mul_i32 s4, s12, s34
	s_lshl_b64 s[4:5], s[4:5], 2
	s_add_u32 s33, s10, s4
	s_addc_u32 s66, s11, s5
	v_cmp_neq_f32_e64 s[4:5], s26, 0
	s_and_b64 vcc, exec, s[4:5]
	v_cmp_eq_u32_e64 s[4:5], 0, v0
	s_cbranch_vccnz .LBB417_10
; %bb.1:
	s_cmp_gt_i32 s25, 0
	s_cselect_b64 s[14:15], -1, 0
	s_and_b64 s[14:15], s[4:5], s[14:15]
	s_and_saveexec_b64 s[4:5], s[14:15]
	s_cbranch_execz .LBB417_9
; %bb.2:
	s_cmp_gt_u32 s25, 1
	s_cselect_b64 s[14:15], -1, 0
	s_cmp_eq_u32 s34, 1
	s_cselect_b64 s[18:19], -1, 0
	s_mov_b32 s3, 0
	s_and_b64 s[14:15], s[14:15], s[18:19]
	s_mov_b64 s[16:17], -1
	s_andn2_b64 vcc, exec, s[14:15]
	s_mov_b32 s14, s3
	s_cbranch_vccnz .LBB417_6
; %bb.3:
	s_lshl_b64 s[14:15], s[2:3], 2
	s_add_u32 s16, s33, s14
	s_addc_u32 s17, s66, s15
	s_and_b32 s14, s25, 0x7ffffffe
	v_mov_b32_e32 v2, 0
	v_mov_b32_e32 v3, v2
	s_mov_b32 s15, s14
.LBB417_4:                              ; =>This Inner Loop Header: Depth=1
	global_store_dwordx2 v2, v[2:3], s[16:17]
	s_add_u32 s16, s16, 8
	s_addc_u32 s17, s17, 0
	s_add_i32 s15, s15, -2
	s_cmp_lg_u32 s15, 0
	s_cbranch_scc1 .LBB417_4
; %bb.5:
	s_cmp_lg_u32 s14, s25
	s_cselect_b64 s[16:17], -1, 0
.LBB417_6:
	s_and_b64 vcc, exec, s[16:17]
	s_cbranch_vccz .LBB417_9
; %bb.7:
	s_mov_b32 s15, 0
	s_sub_i32 s16, s25, s14
	s_lshl_b64 s[12:13], s[12:13], 2
	s_lshl_b64 s[14:15], s[14:15], 2
	s_add_u32 s12, s12, s14
	s_addc_u32 s13, s13, s15
	s_mul_i32 s13, s13, s34
	s_mul_hi_u32 s14, s12, s34
	s_add_i32 s14, s14, s13
	s_mul_i32 s15, s12, s34
	s_lshl_b64 s[12:13], s[2:3], 2
	s_add_u32 s3, s15, s12
	s_addc_u32 s12, s14, s13
	s_add_u32 s10, s10, s3
	s_addc_u32 s11, s11, s12
	s_lshl_b64 s[12:13], s[34:35], 2
	v_mov_b32_e32 v1, 0
.LBB417_8:                              ; =>This Inner Loop Header: Depth=1
	s_add_i32 s16, s16, -1
	global_store_dword v1, v1, s[10:11]
	s_add_u32 s10, s10, s12
	s_addc_u32 s11, s11, s13
	s_cmp_eq_u32 s16, 0
	s_cbranch_scc0 .LBB417_8
.LBB417_9:
	s_or_b64 exec, exec, s[4:5]
	s_cbranch_execz .LBB417_11
	s_branch .LBB417_84
.LBB417_10:
.LBB417_11:
	s_load_dword s36, s[0:1], 0x28
	s_load_dword s38, s[0:1], 0x48
	s_load_dwordx4 s[28:31], s[0:1], 0x18
	s_load_dwordx4 s[20:23], s[0:1], 0x30
	s_load_dwordx2 s[4:5], s[0:1], 0x40
	s_mul_i32 s0, s6, s9
	s_mul_hi_u32 s1, s6, s8
	s_add_i32 s1, s1, s0
	s_mul_i32 s0, s6, s8
	s_waitcnt lgkmcnt(0)
	s_ashr_i32 s37, s36, 31
	s_ashr_i32 s39, s38, 31
	s_lshl_b64 s[40:41], s[0:1], 1
	s_add_u32 s0, s22, s40
	s_addc_u32 s1, s23, s41
	s_lshl_b64 s[44:45], s[4:5], 1
	s_add_u32 s46, s0, s44
	s_addc_u32 s47, s1, s45
	s_mul_i32 s0, s6, s21
	s_mul_hi_u32 s1, s6, s20
	s_add_i32 s1, s1, s0
	s_mul_i32 s0, s6, s20
	s_lshl_b64 s[42:43], s[0:1], 1
	s_add_u32 s0, s28, s42
	s_addc_u32 s1, s29, s43
	s_lshl_b64 s[30:31], s[30:31], 1
	s_add_u32 s0, s0, s30
	s_addc_u32 s1, s1, s31
	s_lshl_b32 s3, s2, 10
	v_lshl_or_b32 v8, v0, 2, s3
	v_ashrrev_i32_e32 v9, 31, v8
	v_lshl_add_u64 v[6:7], v[8:9], 1, s[0:1]
	s_lshr_b32 s0, s7, 30
	s_add_i32 s0, s25, s0
	s_and_b32 s35, s0, -4
	s_ashr_i32 s0, s24, 31
	s_lshr_b32 s0, s0, 30
	s_add_i32 s0, s24, s0
	s_and_b32 s0, s0, -4
	s_sub_i32 s27, s24, s0
	s_cmp_lt_i32 s35, 1
	v_add_u32_e32 v29, 4, v8
	v_add_u32_e32 v30, s27, v8
	v_and_b32_e32 v26, 63, v0
	v_cmp_gt_u32_e64 s[0:1], 64, v0
	v_mbcnt_lo_u32_b32 v28, -1, 0
	v_cmp_gt_u32_e64 s[4:5], 4, v0
	v_lshrrev_b32_e32 v27, 4, v0
	v_or_b32_e32 v25, 1, v8
	v_or_b32_e32 v24, 2, v8
	;; [unrolled: 1-line block ×3, first 2 shown]
	s_cbranch_scc1 .LBB417_59
; %bb.12:
	v_mbcnt_hi_u32_b32 v2, -1, v28
	v_and_b32_e32 v3, 63, v2
	v_cmp_gt_u32_e32 vcc, 32, v3
	s_mov_b32 s3, 0
	s_cmp_gt_i32 s27, 0
	v_cndmask_b32_e64 v4, 0, 1, vcc
	v_lshlrev_b32_e32 v4, 5, v4
	v_cmp_gt_u32_e32 vcc, 48, v3
	v_add_lshl_u32 v31, v4, v2, 2
	s_cselect_b64 s[48:49], -1, 0
	v_cndmask_b32_e64 v4, 0, 1, vcc
	v_lshlrev_b32_e32 v4, 4, v4
	v_cmp_gt_u32_e32 vcc, 56, v3
	v_add_lshl_u32 v32, v4, v2, 2
	s_lshl_b64 s[14:15], s[2:3], 2
	v_cndmask_b32_e64 v4, 0, 1, vcc
	v_lshlrev_b32_e32 v4, 3, v4
	v_cmp_gt_u32_e32 vcc, 60, v3
	v_add_lshl_u32 v33, v4, v2, 2
	s_add_u32 s67, s33, s14
	v_cndmask_b32_e64 v4, 0, 1, vcc
	v_lshlrev_b32_e32 v4, 2, v4
	v_cmp_gt_u32_e32 vcc, 62, v3
	v_add_lshl_u32 v34, v4, v2, 2
	s_addc_u32 s68, s66, s15
	v_cndmask_b32_e64 v4, 0, 1, vcc
	v_lshlrev_b32_e32 v4, 1, v4
	v_add_lshl_u32 v35, v4, v2, 2
	v_cmp_ne_u32_e32 vcc, 63, v3
	v_mad_i64_i32 v[4:5], s[14:15], s38, v25, 0
	s_nop 0
	v_addc_co_u32_e32 v2, vcc, 0, v2, vcc
	v_lshl_add_u64 v[12:13], v[4:5], 1, s[46:47]
	v_mad_i64_i32 v[4:5], s[14:15], s38, v24, 0
	v_lshlrev_b32_e32 v36, 2, v2
	v_mad_i64_i32 v[2:3], s[14:15], s38, v8, 0
	v_lshl_add_u64 v[14:15], v[4:5], 1, s[46:47]
	v_mad_i64_i32 v[4:5], s[14:15], s38, v1, 0
	s_add_u32 s14, s22, s44
	s_addc_u32 s15, s23, s45
	s_add_u32 s14, s14, s40
	v_lshlrev_b64 v[2:3], 1, v[2:3]
	s_addc_u32 s15, s15, s41
	v_cmp_ge_i32_e64 s[6:7], s24, v29
	v_cmp_ge_i32_e64 s[8:9], s24, v30
	v_cmp_eq_u32_e64 s[10:11], 0, v26
	v_lshlrev_b32_e32 v37, 2, v26
	v_and_b32_e32 v38, 12, v27
	v_cmp_eq_u32_e64 s[12:13], 0, v0
	v_lshl_add_u64 v[10:11], s[46:47], 0, v[2:3]
	v_lshl_add_u64 v[16:17], v[4:5], 1, s[46:47]
	;; [unrolled: 1-line block ×3, first 2 shown]
	s_lshl_b64 s[50:51], s[38:39], 1
	s_lshl_b64 s[52:53], s[36:37], 3
	s_lshl_b64 s[54:55], s[36:37], 1
	s_lshl_b64 s[56:57], s[36:37], 2
	s_mul_hi_i32 s59, s36, 6
	s_mul_i32 s58, s36, 6
	v_mov_b32_e32 v39, 0
	v_mov_b64_e32 v[20:21], v[6:7]
                                        ; implicit-def: $vgpr2_vgpr3_vgpr4_vgpr5
	s_branch .LBB417_14
.LBB417_13:                             ;   in Loop: Header=BB417_14 Depth=1
	s_or_b64 exec, exec, s[14:15]
	s_add_i32 s3, s3, 4
	s_cmp_ge_i32 s3, s35
	v_lshl_add_u64 v[20:21], v[20:21], 0, s[52:53]
	s_cbranch_scc1 .LBB417_60
.LBB417_14:                             ; =>This Loop Header: Depth=1
                                        ;     Child Loop BB417_45 Depth 2
                                        ;     Child Loop BB417_48 Depth 2
                                        ; implicit-def: $vgpr40
                                        ; implicit-def: $vgpr41
                                        ; implicit-def: $vgpr42
                                        ; implicit-def: $vgpr43
	s_and_saveexec_b64 s[14:15], s[6:7]
	s_xor_b64 s[14:15], exec, s[14:15]
	s_cbranch_execnz .LBB417_41
; %bb.15:                               ;   in Loop: Header=BB417_14 Depth=1
	s_andn2_saveexec_b64 s[60:61], s[14:15]
	s_cbranch_execnz .LBB417_42
.LBB417_16:                             ;   in Loop: Header=BB417_14 Depth=1
	s_or_b64 exec, exec, s[60:61]
	s_and_saveexec_b64 s[14:15], s[0:1]
	s_cbranch_execz .LBB417_18
.LBB417_17:                             ;   in Loop: Header=BB417_14 Depth=1
	ds_write_b32 v37, v39
.LBB417_18:                             ;   in Loop: Header=BB417_14 Depth=1
	s_or_b64 exec, exec, s[14:15]
	ds_bpermute_b32 v22, v31, v43
	s_waitcnt lgkmcnt(0)
	s_barrier
	v_add_f32_e32 v22, v43, v22
	ds_bpermute_b32 v23, v32, v22
	s_waitcnt lgkmcnt(0)
	v_add_f32_e32 v22, v22, v23
	ds_bpermute_b32 v23, v33, v22
	s_waitcnt lgkmcnt(0)
	;; [unrolled: 3-line block ×4, first 2 shown]
	v_add_f32_e32 v22, v22, v23
	ds_bpermute_b32 v23, v36, v22
	s_and_saveexec_b64 s[14:15], s[10:11]
	s_cbranch_execz .LBB417_20
; %bb.19:                               ;   in Loop: Header=BB417_14 Depth=1
	s_waitcnt lgkmcnt(0)
	v_add_f32_e32 v22, v22, v23
	ds_write_b32 v38, v22
.LBB417_20:                             ;   in Loop: Header=BB417_14 Depth=1
	s_or_b64 exec, exec, s[14:15]
	v_mov_b32_e32 v22, 0
	s_waitcnt lgkmcnt(0)
	s_barrier
	s_and_saveexec_b64 s[14:15], s[4:5]
	s_cbranch_execnz .LBB417_50
; %bb.21:                               ;   in Loop: Header=BB417_14 Depth=1
	s_or_b64 exec, exec, s[14:15]
	s_and_saveexec_b64 s[14:15], s[0:1]
	s_cbranch_execnz .LBB417_51
.LBB417_22:                             ;   in Loop: Header=BB417_14 Depth=1
	s_or_b64 exec, exec, s[14:15]
	s_and_saveexec_b64 s[14:15], s[0:1]
	s_cbranch_execz .LBB417_24
.LBB417_23:                             ;   in Loop: Header=BB417_14 Depth=1
	ds_write_b32 v37, v39
.LBB417_24:                             ;   in Loop: Header=BB417_14 Depth=1
	s_or_b64 exec, exec, s[14:15]
	ds_bpermute_b32 v23, v31, v42
	s_waitcnt lgkmcnt(0)
	s_barrier
	v_add_f32_e32 v23, v42, v23
	ds_bpermute_b32 v42, v32, v23
	s_waitcnt lgkmcnt(0)
	v_add_f32_e32 v23, v23, v42
	ds_bpermute_b32 v42, v33, v23
	s_waitcnt lgkmcnt(0)
	;; [unrolled: 3-line block ×4, first 2 shown]
	v_add_f32_e32 v23, v23, v42
	ds_bpermute_b32 v42, v36, v23
	s_and_saveexec_b64 s[14:15], s[10:11]
	s_cbranch_execz .LBB417_26
; %bb.25:                               ;   in Loop: Header=BB417_14 Depth=1
	s_waitcnt lgkmcnt(0)
	v_add_f32_e32 v23, v23, v42
	ds_write_b32 v38, v23
.LBB417_26:                             ;   in Loop: Header=BB417_14 Depth=1
	s_or_b64 exec, exec, s[14:15]
	v_mov_b32_e32 v23, 0
	s_waitcnt lgkmcnt(0)
	s_barrier
	s_and_saveexec_b64 s[14:15], s[4:5]
	s_cbranch_execnz .LBB417_52
; %bb.27:                               ;   in Loop: Header=BB417_14 Depth=1
	s_or_b64 exec, exec, s[14:15]
	s_and_saveexec_b64 s[14:15], s[0:1]
	s_cbranch_execnz .LBB417_53
.LBB417_28:                             ;   in Loop: Header=BB417_14 Depth=1
	s_or_b64 exec, exec, s[14:15]
	s_and_saveexec_b64 s[14:15], s[0:1]
	s_cbranch_execz .LBB417_30
.LBB417_29:                             ;   in Loop: Header=BB417_14 Depth=1
	ds_write_b32 v37, v39
.LBB417_30:                             ;   in Loop: Header=BB417_14 Depth=1
	s_or_b64 exec, exec, s[14:15]
	ds_bpermute_b32 v42, v31, v41
	s_waitcnt lgkmcnt(0)
	s_barrier
	v_add_f32_e32 v41, v41, v42
	ds_bpermute_b32 v42, v32, v41
	s_waitcnt lgkmcnt(0)
	v_add_f32_e32 v41, v41, v42
	ds_bpermute_b32 v42, v33, v41
	s_waitcnt lgkmcnt(0)
	;; [unrolled: 3-line block ×4, first 2 shown]
	v_add_f32_e32 v41, v41, v42
	ds_bpermute_b32 v42, v36, v41
	s_and_saveexec_b64 s[14:15], s[10:11]
	s_cbranch_execz .LBB417_32
; %bb.31:                               ;   in Loop: Header=BB417_14 Depth=1
	s_waitcnt lgkmcnt(0)
	v_add_f32_e32 v41, v41, v42
	ds_write_b32 v38, v41
.LBB417_32:                             ;   in Loop: Header=BB417_14 Depth=1
	s_or_b64 exec, exec, s[14:15]
	v_mov_b32_e32 v41, 0
	s_waitcnt lgkmcnt(0)
	s_barrier
	s_and_saveexec_b64 s[14:15], s[4:5]
	s_cbranch_execnz .LBB417_54
; %bb.33:                               ;   in Loop: Header=BB417_14 Depth=1
	s_or_b64 exec, exec, s[14:15]
	s_and_saveexec_b64 s[14:15], s[0:1]
	s_cbranch_execnz .LBB417_55
.LBB417_34:                             ;   in Loop: Header=BB417_14 Depth=1
	s_or_b64 exec, exec, s[14:15]
	s_and_saveexec_b64 s[14:15], s[0:1]
	s_cbranch_execz .LBB417_36
.LBB417_35:                             ;   in Loop: Header=BB417_14 Depth=1
	ds_write_b32 v37, v39
.LBB417_36:                             ;   in Loop: Header=BB417_14 Depth=1
	s_or_b64 exec, exec, s[14:15]
	ds_bpermute_b32 v42, v31, v40
	s_waitcnt lgkmcnt(0)
	s_barrier
	v_add_f32_e32 v40, v40, v42
	ds_bpermute_b32 v42, v32, v40
	s_waitcnt lgkmcnt(0)
	v_add_f32_e32 v40, v40, v42
	ds_bpermute_b32 v42, v33, v40
	s_waitcnt lgkmcnt(0)
	;; [unrolled: 3-line block ×4, first 2 shown]
	v_add_f32_e32 v40, v40, v42
	ds_bpermute_b32 v42, v36, v40
	s_and_saveexec_b64 s[14:15], s[10:11]
	s_cbranch_execz .LBB417_38
; %bb.37:                               ;   in Loop: Header=BB417_14 Depth=1
	s_waitcnt lgkmcnt(0)
	v_add_f32_e32 v40, v40, v42
	ds_write_b32 v38, v40
.LBB417_38:                             ;   in Loop: Header=BB417_14 Depth=1
	s_or_b64 exec, exec, s[14:15]
	v_mov_b32_e32 v40, 0
	s_waitcnt lgkmcnt(0)
	s_barrier
	s_and_saveexec_b64 s[14:15], s[4:5]
	s_cbranch_execnz .LBB417_56
; %bb.39:                               ;   in Loop: Header=BB417_14 Depth=1
	s_or_b64 exec, exec, s[14:15]
	s_and_saveexec_b64 s[14:15], s[0:1]
	s_cbranch_execnz .LBB417_57
.LBB417_40:                             ;   in Loop: Header=BB417_14 Depth=1
	s_or_b64 exec, exec, s[14:15]
	s_and_saveexec_b64 s[14:15], s[12:13]
	s_cbranch_execz .LBB417_13
	s_branch .LBB417_58
.LBB417_41:                             ;   in Loop: Header=BB417_14 Depth=1
	s_mul_i32 s16, s3, s37
	s_mul_hi_u32 s17, s3, s36
	s_add_i32 s17, s17, s16
	s_mul_i32 s16, s3, s36
	v_lshl_add_u64 v[2:3], s[16:17], 1, v[6:7]
	s_or_b32 s16, s3, 1
	s_mul_i32 s17, s16, s37
	s_mul_hi_u32 s18, s16, s36
	s_add_i32 s17, s18, s17
	s_mul_i32 s16, s16, s36
	v_lshl_add_u64 v[4:5], s[16:17], 1, v[6:7]
	s_or_b32 s16, s3, 2
	;; [unrolled: 6-line block ×3, first 2 shown]
	s_mul_i32 s17, s16, s37
	s_mul_hi_u32 s18, s16, s36
	s_add_i32 s17, s18, s17
	s_mul_i32 s16, s16, s36
	global_load_ushort v48, v[10:11], off
	global_load_ushort v49, v[12:13], off
	;; [unrolled: 1-line block ×4, first 2 shown]
	s_waitcnt lgkmcnt(0)
	v_lshl_add_u64 v[40:41], s[16:17], 1, v[6:7]
	global_load_dwordx2 v[42:43], v[2:3], off
	global_load_dwordx2 v[44:45], v[4:5], off
	s_nop 0
	global_load_dwordx2 v[22:23], v[22:23], off
	s_nop 0
	global_load_dwordx2 v[46:47], v[40:41], off
	s_waitcnt vmcnt(7)
	v_cvt_f32_f16_e32 v2, v48
	s_waitcnt vmcnt(6)
	v_cvt_f32_f16_e32 v3, v49
	;; [unrolled: 2-line block ×4, first 2 shown]
	s_waitcnt vmcnt(3)
	v_fma_mix_f32 v40, v48, v42, 0 op_sel_hi:[1,1,0]
	s_waitcnt vmcnt(2)
	v_fma_mix_f32 v41, v48, v44, 0 op_sel_hi:[1,1,0]
	;; [unrolled: 2-line block ×4, first 2 shown]
	v_fma_mix_f32 v40, v49, v42, v40 op_sel:[0,1,0] op_sel_hi:[1,1,0]
	v_fma_mix_f32 v41, v49, v44, v41 op_sel:[0,1,0] op_sel_hi:[1,1,0]
	;; [unrolled: 1-line block ×4, first 2 shown]
	v_fma_mix_f32 v40, v50, v43, v40 op_sel_hi:[1,1,0]
	v_fma_mix_f32 v41, v50, v45, v41 op_sel_hi:[1,1,0]
	;; [unrolled: 1-line block ×4, first 2 shown]
	v_fma_mix_f32 v43, v51, v43, v40 op_sel:[0,1,0] op_sel_hi:[1,1,0]
	v_fma_mix_f32 v42, v51, v45, v41 op_sel:[0,1,0] op_sel_hi:[1,1,0]
	;; [unrolled: 1-line block ×4, first 2 shown]
	s_andn2_saveexec_b64 s[60:61], s[14:15]
	s_cbranch_execz .LBB417_16
.LBB417_42:                             ;   in Loop: Header=BB417_14 Depth=1
	s_waitcnt lgkmcnt(0)
	v_mov_b32_e32 v40, 0
	v_mov_b32_e32 v41, 0
	;; [unrolled: 1-line block ×4, first 2 shown]
	s_and_saveexec_b64 s[62:63], s[8:9]
	s_cbranch_execz .LBB417_49
; %bb.43:                               ;   in Loop: Header=BB417_14 Depth=1
	v_cndmask_b32_e64 v22, 0, 1, s[48:49]
	v_cmp_ne_u32_e64 s[14:15], 1, v22
	s_andn2_b64 vcc, exec, s[48:49]
	s_cbranch_vccnz .LBB417_46
; %bb.44:                               ;   in Loop: Header=BB417_14 Depth=1
	s_mov_b64 s[64:65], 0
	v_mov_b64_e32 v[22:23], v[18:19]
.LBB417_45:                             ;   Parent Loop BB417_14 Depth=1
                                        ; =>  This Inner Loop Header: Depth=2
	global_load_ushort v40, v[22:23], off
	s_cmp_eq_u32 s64, 3
	s_cselect_b64 vcc, -1, 0
	s_cmp_eq_u32 s64, 2
	s_cselect_b64 s[16:17], -1, 0
	s_cmp_eq_u32 s64, 1
	s_cselect_b64 s[18:19], -1, 0
	;; [unrolled: 2-line block ×3, first 2 shown]
	s_add_u32 s64, s64, 1
	s_addc_u32 s65, s65, 0
	v_lshl_add_u64 v[22:23], v[22:23], 0, s[50:51]
	s_cmp_eq_u32 s27, s64
	s_waitcnt vmcnt(0)
	v_cvt_f32_f16_e32 v40, v40
	v_cndmask_b32_e32 v5, v5, v40, vcc
	v_cndmask_b32_e64 v4, v4, v40, s[16:17]
	v_cndmask_b32_e64 v3, v3, v40, s[18:19]
	;; [unrolled: 1-line block ×3, first 2 shown]
	s_cbranch_scc0 .LBB417_45
.LBB417_46:                             ;   in Loop: Header=BB417_14 Depth=1
	s_and_b64 vcc, exec, s[14:15]
	v_mov_b32_e32 v40, 0
	v_mov_b32_e32 v41, 0
	;; [unrolled: 1-line block ×4, first 2 shown]
	s_cbranch_vccnz .LBB417_49
; %bb.47:                               ;   in Loop: Header=BB417_14 Depth=1
	s_mov_b64 s[14:15], 0
	v_mov_b32_e32 v43, 0
	v_mov_b64_e32 v[22:23], v[20:21]
	v_mov_b32_e32 v42, 0
	v_mov_b32_e32 v41, 0
	;; [unrolled: 1-line block ×3, first 2 shown]
.LBB417_48:                             ;   Parent Loop BB417_14 Depth=1
                                        ; =>  This Inner Loop Header: Depth=2
	v_lshl_add_u64 v[44:45], v[22:23], 0, s[54:55]
	v_lshl_add_u64 v[46:47], v[22:23], 0, s[56:57]
	global_load_ushort v50, v[22:23], off
	v_lshl_add_u64 v[48:49], v[22:23], 0, s[58:59]
	global_load_ushort v44, v[44:45], off
	s_nop 0
	global_load_ushort v45, v[46:47], off
	s_nop 0
	global_load_ushort v46, v[48:49], off
	s_cmp_eq_u32 s14, 1
	s_cselect_b64 vcc, -1, 0
	s_cmp_eq_u32 s14, 2
	v_cndmask_b32_e32 v47, v2, v3, vcc
	s_cselect_b64 vcc, -1, 0
	s_cmp_eq_u32 s14, 3
	v_cndmask_b32_e32 v47, v47, v4, vcc
	s_cselect_b64 vcc, -1, 0
	s_add_u32 s14, s14, 1
	v_cndmask_b32_e32 v47, v47, v5, vcc
	s_addc_u32 s15, s15, 0
	v_lshl_add_u64 v[22:23], v[22:23], 0, 2
	s_cmp_lg_u32 s27, s14
	s_waitcnt vmcnt(2)
	v_fma_mix_f32 v42, v47, v44, v42 op_sel_hi:[0,1,0]
	v_fma_mix_f32 v43, v47, v50, v43 op_sel_hi:[0,1,0]
	s_waitcnt vmcnt(1)
	v_fma_mix_f32 v41, v47, v45, v41 op_sel_hi:[0,1,0]
	s_waitcnt vmcnt(0)
	v_fma_mix_f32 v40, v47, v46, v40 op_sel_hi:[0,1,0]
	s_cbranch_scc1 .LBB417_48
.LBB417_49:                             ;   in Loop: Header=BB417_14 Depth=1
	s_or_b64 exec, exec, s[62:63]
	s_or_b64 exec, exec, s[60:61]
	s_and_saveexec_b64 s[14:15], s[0:1]
	s_cbranch_execnz .LBB417_17
	s_branch .LBB417_18
.LBB417_50:                             ;   in Loop: Header=BB417_14 Depth=1
	ds_read_b32 v22, v37
	s_or_b64 exec, exec, s[14:15]
	s_and_saveexec_b64 s[14:15], s[0:1]
	s_cbranch_execz .LBB417_22
.LBB417_51:                             ;   in Loop: Header=BB417_14 Depth=1
	s_waitcnt lgkmcnt(0)
	ds_bpermute_b32 v23, v35, v22
	s_waitcnt lgkmcnt(0)
	v_add_f32_e32 v22, v22, v23
	ds_bpermute_b32 v23, v36, v22
	s_waitcnt lgkmcnt(0)
	v_add_f32_e32 v22, v22, v23
	s_or_b64 exec, exec, s[14:15]
	s_and_saveexec_b64 s[14:15], s[0:1]
	s_cbranch_execnz .LBB417_23
	s_branch .LBB417_24
.LBB417_52:                             ;   in Loop: Header=BB417_14 Depth=1
	ds_read_b32 v23, v37
	s_or_b64 exec, exec, s[14:15]
	s_and_saveexec_b64 s[14:15], s[0:1]
	s_cbranch_execz .LBB417_28
.LBB417_53:                             ;   in Loop: Header=BB417_14 Depth=1
	s_waitcnt lgkmcnt(0)
	ds_bpermute_b32 v42, v35, v23
	s_waitcnt lgkmcnt(0)
	v_add_f32_e32 v23, v23, v42
	ds_bpermute_b32 v42, v36, v23
	s_waitcnt lgkmcnt(0)
	v_add_f32_e32 v23, v23, v42
	s_or_b64 exec, exec, s[14:15]
	s_and_saveexec_b64 s[14:15], s[0:1]
	s_cbranch_execnz .LBB417_29
	s_branch .LBB417_30
.LBB417_54:                             ;   in Loop: Header=BB417_14 Depth=1
	ds_read_b32 v41, v37
	s_or_b64 exec, exec, s[14:15]
	s_and_saveexec_b64 s[14:15], s[0:1]
	s_cbranch_execz .LBB417_34
.LBB417_55:                             ;   in Loop: Header=BB417_14 Depth=1
	s_waitcnt lgkmcnt(0)
	ds_bpermute_b32 v42, v35, v41
	s_waitcnt lgkmcnt(0)
	v_add_f32_e32 v41, v41, v42
	ds_bpermute_b32 v42, v36, v41
	s_waitcnt lgkmcnt(0)
	v_add_f32_e32 v41, v41, v42
	s_or_b64 exec, exec, s[14:15]
	s_and_saveexec_b64 s[14:15], s[0:1]
	s_cbranch_execnz .LBB417_35
	s_branch .LBB417_36
.LBB417_56:                             ;   in Loop: Header=BB417_14 Depth=1
	ds_read_b32 v40, v37
	s_or_b64 exec, exec, s[14:15]
	s_and_saveexec_b64 s[14:15], s[0:1]
	s_cbranch_execz .LBB417_40
.LBB417_57:                             ;   in Loop: Header=BB417_14 Depth=1
	s_waitcnt lgkmcnt(0)
	ds_bpermute_b32 v42, v35, v40
	s_waitcnt lgkmcnt(0)
	v_add_f32_e32 v40, v40, v42
	ds_bpermute_b32 v42, v36, v40
	s_waitcnt lgkmcnt(0)
	v_add_f32_e32 v40, v40, v42
	s_or_b64 exec, exec, s[14:15]
	s_and_saveexec_b64 s[14:15], s[12:13]
	s_cbranch_execz .LBB417_13
.LBB417_58:                             ;   in Loop: Header=BB417_14 Depth=1
	s_mul_hi_u32 s17, s3, s34
	s_mul_i32 s16, s3, s34
	s_lshl_b64 s[16:17], s[16:17], 2
	s_add_u32 s16, s67, s16
	v_mul_f32_e32 v22, s26, v22
	s_addc_u32 s17, s68, s17
	global_store_dword v39, v22, s[16:17]
	s_or_b32 s16, s3, 1
	s_mul_hi_u32 s17, s16, s34
	s_mul_i32 s16, s16, s34
	s_lshl_b64 s[16:17], s[16:17], 2
	s_add_u32 s16, s67, s16
	v_mul_f32_e32 v22, s26, v23
	s_addc_u32 s17, s68, s17
	global_store_dword v39, v22, s[16:17]
	s_or_b32 s16, s3, 2
	;; [unrolled: 8-line block ×3, first 2 shown]
	s_mul_hi_u32 s17, s16, s34
	s_mul_i32 s16, s16, s34
	s_lshl_b64 s[16:17], s[16:17], 2
	s_add_u32 s16, s67, s16
	s_waitcnt lgkmcnt(0)
	v_mul_f32_e32 v22, s26, v40
	s_addc_u32 s17, s68, s17
	global_store_dword v39, v22, s[16:17]
	s_branch .LBB417_13
.LBB417_59:
	s_mov_b32 s3, 0
                                        ; implicit-def: $vgpr2_vgpr3_vgpr4_vgpr5
.LBB417_60:
	s_cmp_ge_i32 s3, s25
	s_cbranch_scc1 .LBB417_84
; %bb.61:
	v_mbcnt_hi_u32_b32 v10, -1, v28
	v_and_b32_e32 v11, 63, v10
	v_cmp_gt_u32_e32 vcc, 32, v11
	v_cmp_ge_i32_e64 s[0:1], s24, v29
	v_cmp_ge_i32_e64 s[4:5], s24, v30
	v_cndmask_b32_e64 v12, 0, 1, vcc
	v_lshlrev_b32_e32 v12, 5, v12
	v_cmp_gt_u32_e32 vcc, 48, v11
	v_add_lshl_u32 v23, v12, v10, 2
	s_mov_b32 s49, 0
	v_cndmask_b32_e64 v12, 0, 1, vcc
	v_lshlrev_b32_e32 v12, 4, v12
	v_cmp_gt_u32_e32 vcc, 56, v11
	v_add_lshl_u32 v28, v12, v10, 2
	s_cmp_gt_i32 s27, 0
	v_cndmask_b32_e64 v12, 0, 1, vcc
	v_lshlrev_b32_e32 v12, 3, v12
	v_cmp_gt_u32_e32 vcc, 60, v11
	v_add_lshl_u32 v29, v12, v10, 2
	s_mov_b32 s48, s2
	v_cndmask_b32_e64 v12, 0, 1, vcc
	v_lshlrev_b32_e32 v12, 2, v12
	v_cmp_gt_u32_e32 vcc, 62, v11
	v_add_lshl_u32 v30, v12, v10, 2
	s_cselect_b64 s[50:51], -1, 0
	v_cndmask_b32_e64 v12, 0, 1, vcc
	v_lshlrev_b32_e32 v12, 1, v12
	v_cmp_ne_u32_e32 vcc, 63, v11
	s_lshl_b64 s[14:15], s[48:49], 2
	v_add_lshl_u32 v31, v12, v10, 2
	v_addc_co_u32_e32 v10, vcc, 0, v10, vcc
	s_add_u32 s2, s33, s14
	v_cmp_gt_u32_e64 s[6:7], 64, v0
	v_lshlrev_b32_e32 v32, 2, v10
	v_cmp_gt_u32_e64 s[10:11], 4, v0
	v_cmp_eq_u32_e64 s[12:13], 0, v0
	s_addc_u32 s24, s66, s15
	v_mad_i64_i32 v[10:11], s[14:15], s38, v8, 0
	v_mad_i64_i32 v[12:13], s[14:15], s38, v25, 0
	;; [unrolled: 1-line block ×4, first 2 shown]
	s_add_u32 s14, s22, s44
	s_addc_u32 s15, s23, s45
	s_add_u32 s14, s14, s40
	v_lshlrev_b64 v[18:19], 1, v[10:11]
	s_addc_u32 s15, s15, s41
	v_lshl_add_u64 v[10:11], s[46:47], 0, v[18:19]
	v_lshl_add_u64 v[18:19], s[14:15], 0, v[18:19]
	s_mul_i32 s14, s37, s3
	s_mul_hi_u32 s15, s36, s3
	s_add_i32 s15, s15, s14
	s_mul_i32 s14, s36, s3
	s_lshl_b64 s[22:23], s[38:39], 1
	s_lshl_b64 s[14:15], s[14:15], 1
	s_add_u32 s14, s42, s14
	s_addc_u32 s15, s43, s15
	s_add_u32 s14, s14, s30
	s_addc_u32 s15, s15, s31
	;; [unrolled: 2-line block ×3, first 2 shown]
	v_lshlrev_b32_e32 v22, 2, v26
	v_cmp_eq_u32_e64 s[8:9], 0, v26
	v_and_b32_e32 v26, 12, v27
	v_lshl_add_u64 v[12:13], v[12:13], 1, s[46:47]
	v_lshl_add_u64 v[14:15], v[14:15], 1, s[46:47]
	;; [unrolled: 1-line block ×4, first 2 shown]
	s_lshl_b64 s[28:29], s[36:37], 1
	v_mov_b32_e32 v1, 0
	s_branch .LBB417_63
.LBB417_62:                             ;   in Loop: Header=BB417_63 Depth=1
	s_or_b64 exec, exec, s[14:15]
	s_add_i32 s3, s3, 1
	s_cmp_ge_i32 s3, s25
	v_lshl_add_u64 v[8:9], v[8:9], 0, s[28:29]
	s_cbranch_scc1 .LBB417_84
.LBB417_63:                             ; =>This Loop Header: Depth=1
                                        ;     Child Loop BB417_76 Depth 2
                                        ;     Child Loop BB417_79 Depth 2
	s_waitcnt lgkmcnt(0)
	v_mov_b32_e32 v0, s49
	s_and_saveexec_b64 s[14:15], s[0:1]
	s_xor_b64 s[14:15], exec, s[14:15]
	s_cbranch_execnz .LBB417_72
; %bb.64:                               ;   in Loop: Header=BB417_63 Depth=1
	s_andn2_saveexec_b64 s[30:31], s[14:15]
	s_cbranch_execnz .LBB417_73
.LBB417_65:                             ;   in Loop: Header=BB417_63 Depth=1
	s_or_b64 exec, exec, s[30:31]
	s_and_saveexec_b64 s[14:15], s[6:7]
	s_cbranch_execz .LBB417_67
.LBB417_66:                             ;   in Loop: Header=BB417_63 Depth=1
	ds_write_b32 v22, v1
.LBB417_67:                             ;   in Loop: Header=BB417_63 Depth=1
	s_or_b64 exec, exec, s[14:15]
	ds_bpermute_b32 v20, v23, v0
	s_waitcnt lgkmcnt(0)
	s_barrier
	v_add_f32_e32 v0, v0, v20
	ds_bpermute_b32 v20, v28, v0
	s_waitcnt lgkmcnt(0)
	v_add_f32_e32 v0, v0, v20
	ds_bpermute_b32 v20, v29, v0
	s_waitcnt lgkmcnt(0)
	v_add_f32_e32 v0, v0, v20
	ds_bpermute_b32 v20, v30, v0
	s_waitcnt lgkmcnt(0)
	v_add_f32_e32 v0, v0, v20
	ds_bpermute_b32 v20, v31, v0
	s_waitcnt lgkmcnt(0)
	v_add_f32_e32 v0, v0, v20
	ds_bpermute_b32 v20, v32, v0
	s_and_saveexec_b64 s[14:15], s[8:9]
	s_cbranch_execz .LBB417_69
; %bb.68:                               ;   in Loop: Header=BB417_63 Depth=1
	s_waitcnt lgkmcnt(0)
	v_add_f32_e32 v0, v0, v20
	ds_write_b32 v26, v0
.LBB417_69:                             ;   in Loop: Header=BB417_63 Depth=1
	s_or_b64 exec, exec, s[14:15]
	v_mov_b32_e32 v0, 0
	s_waitcnt lgkmcnt(0)
	s_barrier
	s_and_saveexec_b64 s[14:15], s[10:11]
	s_cbranch_execnz .LBB417_81
; %bb.70:                               ;   in Loop: Header=BB417_63 Depth=1
	s_or_b64 exec, exec, s[14:15]
	s_and_saveexec_b64 s[14:15], s[6:7]
	s_cbranch_execnz .LBB417_82
.LBB417_71:                             ;   in Loop: Header=BB417_63 Depth=1
	s_or_b64 exec, exec, s[14:15]
	s_and_saveexec_b64 s[14:15], s[12:13]
	s_cbranch_execz .LBB417_62
	s_branch .LBB417_83
.LBB417_72:                             ;   in Loop: Header=BB417_63 Depth=1
	s_mul_i32 s16, s3, s37
	s_mul_hi_u32 s17, s3, s36
	s_add_i32 s17, s17, s16
	s_mul_i32 s16, s3, s36
	v_lshl_add_u64 v[2:3], s[16:17], 1, v[6:7]
	global_load_ushort v0, v[10:11], off
	global_load_ushort v24, v[12:13], off
	;; [unrolled: 1-line block ×4, first 2 shown]
	global_load_dwordx2 v[20:21], v[2:3], off
	s_waitcnt vmcnt(4)
	v_cvt_f32_f16_e32 v2, v0
	s_waitcnt vmcnt(3)
	v_cvt_f32_f16_e32 v3, v24
	;; [unrolled: 2-line block ×4, first 2 shown]
	s_waitcnt vmcnt(0)
	v_fma_mix_f32 v0, v0, v20, 0 op_sel_hi:[1,1,0]
	s_nop 0
	v_fma_mix_f32 v0, v24, v20, v0 op_sel:[0,1,0] op_sel_hi:[1,1,0]
	s_nop 0
	v_fma_mix_f32 v0, v25, v21, v0 op_sel_hi:[1,1,0]
	s_nop 0
	v_fma_mix_f32 v0, v27, v21, v0 op_sel:[0,1,0] op_sel_hi:[1,1,0]
	s_andn2_saveexec_b64 s[30:31], s[14:15]
	s_cbranch_execz .LBB417_65
.LBB417_73:                             ;   in Loop: Header=BB417_63 Depth=1
	s_and_saveexec_b64 s[38:39], s[4:5]
	s_cbranch_execz .LBB417_80
; %bb.74:                               ;   in Loop: Header=BB417_63 Depth=1
	v_cndmask_b32_e64 v20, 0, 1, s[50:51]
	v_cmp_ne_u32_e64 s[14:15], 1, v20
	s_andn2_b64 vcc, exec, s[50:51]
	s_cbranch_vccnz .LBB417_77
; %bb.75:                               ;   in Loop: Header=BB417_63 Depth=1
	s_mov_b64 s[40:41], 0
	v_mov_b64_e32 v[20:21], v[18:19]
.LBB417_76:                             ;   Parent Loop BB417_63 Depth=1
                                        ; =>  This Inner Loop Header: Depth=2
	global_load_ushort v24, v[20:21], off
	s_cmp_eq_u32 s40, 3
	s_cselect_b64 vcc, -1, 0
	s_cmp_eq_u32 s40, 2
	s_cselect_b64 s[16:17], -1, 0
	s_cmp_eq_u32 s40, 1
	s_cselect_b64 s[18:19], -1, 0
	;; [unrolled: 2-line block ×3, first 2 shown]
	s_add_u32 s40, s40, 1
	s_addc_u32 s41, s41, 0
	v_lshl_add_u64 v[20:21], v[20:21], 0, s[22:23]
	s_cmp_eq_u32 s27, s40
	s_waitcnt vmcnt(0)
	v_cvt_f32_f16_e32 v24, v24
	v_cndmask_b32_e32 v5, v5, v24, vcc
	v_cndmask_b32_e64 v4, v4, v24, s[16:17]
	v_cndmask_b32_e64 v3, v3, v24, s[18:19]
	;; [unrolled: 1-line block ×3, first 2 shown]
	s_cbranch_scc0 .LBB417_76
.LBB417_77:                             ;   in Loop: Header=BB417_63 Depth=1
	s_and_b64 vcc, exec, s[14:15]
	s_cbranch_vccnz .LBB417_80
; %bb.78:                               ;   in Loop: Header=BB417_63 Depth=1
	s_mov_b64 s[14:15], 0
	v_mov_b64_e32 v[20:21], v[8:9]
.LBB417_79:                             ;   Parent Loop BB417_63 Depth=1
                                        ; =>  This Inner Loop Header: Depth=2
	global_load_ushort v24, v[20:21], off
	s_cmp_eq_u32 s14, 1
	s_cselect_b64 vcc, -1, 0
	s_cmp_eq_u32 s14, 2
	v_cndmask_b32_e32 v25, v2, v3, vcc
	s_cselect_b64 vcc, -1, 0
	s_cmp_eq_u32 s14, 3
	v_cndmask_b32_e32 v25, v25, v4, vcc
	s_cselect_b64 vcc, -1, 0
	s_add_u32 s14, s14, 1
	v_cndmask_b32_e32 v25, v25, v5, vcc
	s_addc_u32 s15, s15, 0
	v_lshl_add_u64 v[20:21], v[20:21], 0, 2
	s_cmp_lg_u32 s27, s14
	s_waitcnt vmcnt(0)
	v_fma_mix_f32 v0, v25, v24, v0 op_sel_hi:[0,1,0]
	s_cbranch_scc1 .LBB417_79
.LBB417_80:                             ;   in Loop: Header=BB417_63 Depth=1
	s_or_b64 exec, exec, s[38:39]
	s_or_b64 exec, exec, s[30:31]
	s_and_saveexec_b64 s[14:15], s[6:7]
	s_cbranch_execnz .LBB417_66
	s_branch .LBB417_67
.LBB417_81:                             ;   in Loop: Header=BB417_63 Depth=1
	ds_read_b32 v0, v22
	s_or_b64 exec, exec, s[14:15]
	s_and_saveexec_b64 s[14:15], s[6:7]
	s_cbranch_execz .LBB417_71
.LBB417_82:                             ;   in Loop: Header=BB417_63 Depth=1
	s_waitcnt lgkmcnt(0)
	ds_bpermute_b32 v20, v31, v0
	s_waitcnt lgkmcnt(0)
	v_add_f32_e32 v0, v0, v20
	ds_bpermute_b32 v20, v32, v0
	s_waitcnt lgkmcnt(0)
	v_add_f32_e32 v0, v0, v20
	s_or_b64 exec, exec, s[14:15]
	s_and_saveexec_b64 s[14:15], s[12:13]
	s_cbranch_execz .LBB417_62
.LBB417_83:                             ;   in Loop: Header=BB417_63 Depth=1
	s_mul_hi_u32 s17, s3, s34
	s_mul_i32 s16, s3, s34
	s_lshl_b64 s[16:17], s[16:17], 2
	s_add_u32 s16, s2, s16
	s_waitcnt lgkmcnt(0)
	v_mul_f32_e32 v0, s26, v0
	s_addc_u32 s17, s24, s17
	global_store_dword v1, v0, s[16:17]
	s_branch .LBB417_62
.LBB417_84:
	s_endpgm
	.section	.rodata,"a",@progbits
	.p2align	6, 0x0
	.amdhsa_kernel _ZL23rocblas_gemvt_sn_kernelILb1ELi256ELi4ElDF16_ffEviiT4_lPKT3_lilS3_lilPT5_i
		.amdhsa_group_segment_fixed_size 256
		.amdhsa_private_segment_fixed_size 0
		.amdhsa_kernarg_size 360
		.amdhsa_user_sgpr_count 2
		.amdhsa_user_sgpr_dispatch_ptr 0
		.amdhsa_user_sgpr_queue_ptr 0
		.amdhsa_user_sgpr_kernarg_segment_ptr 1
		.amdhsa_user_sgpr_dispatch_id 0
		.amdhsa_user_sgpr_kernarg_preload_length 0
		.amdhsa_user_sgpr_kernarg_preload_offset 0
		.amdhsa_user_sgpr_private_segment_size 0
		.amdhsa_uses_dynamic_stack 0
		.amdhsa_enable_private_segment 0
		.amdhsa_system_sgpr_workgroup_id_x 1
		.amdhsa_system_sgpr_workgroup_id_y 0
		.amdhsa_system_sgpr_workgroup_id_z 1
		.amdhsa_system_sgpr_workgroup_info 0
		.amdhsa_system_vgpr_workitem_id 0
		.amdhsa_next_free_vgpr 53
		.amdhsa_next_free_sgpr 69
		.amdhsa_accum_offset 56
		.amdhsa_reserve_vcc 1
		.amdhsa_float_round_mode_32 0
		.amdhsa_float_round_mode_16_64 0
		.amdhsa_float_denorm_mode_32 3
		.amdhsa_float_denorm_mode_16_64 3
		.amdhsa_dx10_clamp 1
		.amdhsa_ieee_mode 1
		.amdhsa_fp16_overflow 0
		.amdhsa_tg_split 0
		.amdhsa_exception_fp_ieee_invalid_op 0
		.amdhsa_exception_fp_denorm_src 0
		.amdhsa_exception_fp_ieee_div_zero 0
		.amdhsa_exception_fp_ieee_overflow 0
		.amdhsa_exception_fp_ieee_underflow 0
		.amdhsa_exception_fp_ieee_inexact 0
		.amdhsa_exception_int_div_zero 0
	.end_amdhsa_kernel
	.section	.text._ZL23rocblas_gemvt_sn_kernelILb1ELi256ELi4ElDF16_ffEviiT4_lPKT3_lilS3_lilPT5_i,"axG",@progbits,_ZL23rocblas_gemvt_sn_kernelILb1ELi256ELi4ElDF16_ffEviiT4_lPKT3_lilS3_lilPT5_i,comdat
.Lfunc_end417:
	.size	_ZL23rocblas_gemvt_sn_kernelILb1ELi256ELi4ElDF16_ffEviiT4_lPKT3_lilS3_lilPT5_i, .Lfunc_end417-_ZL23rocblas_gemvt_sn_kernelILb1ELi256ELi4ElDF16_ffEviiT4_lPKT3_lilS3_lilPT5_i
                                        ; -- End function
	.section	.AMDGPU.csdata,"",@progbits
; Kernel info:
; codeLenInByte = 4072
; NumSgprs: 75
; NumVgprs: 53
; NumAgprs: 0
; TotalNumVgprs: 53
; ScratchSize: 0
; MemoryBound: 0
; FloatMode: 240
; IeeeMode: 1
; LDSByteSize: 256 bytes/workgroup (compile time only)
; SGPRBlocks: 9
; VGPRBlocks: 6
; NumSGPRsForWavesPerEU: 75
; NumVGPRsForWavesPerEU: 53
; AccumOffset: 56
; Occupancy: 8
; WaveLimiterHint : 1
; COMPUTE_PGM_RSRC2:SCRATCH_EN: 0
; COMPUTE_PGM_RSRC2:USER_SGPR: 2
; COMPUTE_PGM_RSRC2:TRAP_HANDLER: 0
; COMPUTE_PGM_RSRC2:TGID_X_EN: 1
; COMPUTE_PGM_RSRC2:TGID_Y_EN: 0
; COMPUTE_PGM_RSRC2:TGID_Z_EN: 1
; COMPUTE_PGM_RSRC2:TIDIG_COMP_CNT: 0
; COMPUTE_PGM_RSRC3_GFX90A:ACCUM_OFFSET: 13
; COMPUTE_PGM_RSRC3_GFX90A:TG_SPLIT: 0
	.section	.text._ZL20rocblas_gemvt_kernelILb1ELi256EDF16_PKfDF16_EviiT2_lPKT1_lilS5_lilS2_lPT3_lili,"axG",@progbits,_ZL20rocblas_gemvt_kernelILb1ELi256EDF16_PKfDF16_EviiT2_lPKT1_lilS5_lilS2_lPT3_lili,comdat
	.globl	_ZL20rocblas_gemvt_kernelILb1ELi256EDF16_PKfDF16_EviiT2_lPKT1_lilS5_lilS2_lPT3_lili ; -- Begin function _ZL20rocblas_gemvt_kernelILb1ELi256EDF16_PKfDF16_EviiT2_lPKT1_lilS5_lilS2_lPT3_lili
	.p2align	8
	.type	_ZL20rocblas_gemvt_kernelILb1ELi256EDF16_PKfDF16_EviiT2_lPKT1_lilS5_lilS2_lPT3_lili,@function
_ZL20rocblas_gemvt_kernelILb1ELi256EDF16_PKfDF16_EviiT2_lPKT1_lilS5_lilS2_lPT3_lili: ; @_ZL20rocblas_gemvt_kernelILb1ELi256EDF16_PKfDF16_EviiT2_lPKT1_lilS5_lilS2_lPT3_lili
; %bb.0:
	s_load_dwordx8 s[4:11], s[0:1], 0x8
	s_load_dwordx8 s[12:19], s[0:1], 0x50
	s_waitcnt lgkmcnt(0)
	s_mul_i32 s7, s3, s7
	s_mul_hi_u32 s20, s3, s6
	s_add_i32 s7, s20, s7
	s_mul_i32 s6, s3, s6
	s_lshl_b64 s[6:7], s[6:7], 2
	s_add_u32 s4, s4, s6
	s_addc_u32 s5, s5, s7
	s_load_dword s22, s[4:5], 0x0
	s_mul_i32 s4, s3, s17
	s_mul_hi_u32 s5, s3, s16
	s_add_i32 s5, s5, s4
	s_mul_i32 s4, s3, s16
	s_lshl_b64 s[4:5], s[4:5], 2
	s_add_u32 s4, s14, s4
	s_addc_u32 s5, s15, s5
	s_load_dword s23, s[4:5], 0x0
	s_waitcnt lgkmcnt(0)
	v_cmp_eq_f32_e64 s[4:5], s22, 0
	v_cmp_eq_f32_e64 s[6:7], s23, 1.0
	s_and_b64 s[4:5], s[4:5], s[6:7]
	s_and_b64 vcc, exec, s[4:5]
	s_cbranch_vccnz .LBB418_37
; %bb.1:
	s_load_dwordx2 s[4:5], s[0:1], 0x80
	s_load_dwordx2 s[6:7], s[0:1], 0x70
	s_load_dword s24, s[0:1], 0x78
	s_waitcnt lgkmcnt(0)
	s_mul_i32 s5, s3, s5
	s_mul_hi_u32 s14, s3, s4
	s_mul_i32 s4, s3, s4
	s_add_i32 s5, s14, s5
	s_lshl_b64 s[4:5], s[4:5], 1
	s_add_u32 s14, s18, s4
	s_addc_u32 s15, s19, s5
	s_lshl_b64 s[4:5], s[6:7], 1
	s_add_u32 s20, s14, s4
	s_addc_u32 s21, s15, s5
	v_cmp_neq_f32_e64 s[4:5], s22, 0
	s_and_b64 vcc, exec, s[4:5]
	v_cmp_eq_u32_e64 s[4:5], 0, v0
	s_cbranch_vccnz .LBB418_5
; %bb.2:
	s_mov_b64 s[16:17], 0
	s_mov_b64 s[14:15], 0
                                        ; implicit-def: $vgpr1
                                        ; implicit-def: $sgpr6_sgpr7
	s_and_saveexec_b64 s[18:19], s[4:5]
	s_cbranch_execz .LBB418_6
; %bb.3:
	v_cmp_eq_f32_e64 s[4:5], s23, 0
	s_mul_hi_i32 s7, s24, s2
	s_mul_i32 s6, s24, s2
	s_and_b64 vcc, exec, s[4:5]
	s_cbranch_vccnz .LBB418_7
; %bb.4:
	s_lshl_b64 s[4:5], s[6:7], 1
	s_add_u32 s4, s20, s4
	s_addc_u32 s5, s21, s5
	v_mov_b32_e32 v1, 0
	global_load_ushort v1, v1, s[4:5]
	s_waitcnt vmcnt(0)
	v_fma_mixlo_f16 v1, s23, v1, 0 op_sel_hi:[0,1,0]
	s_branch .LBB418_8
.LBB418_5:
	s_mov_b64 s[14:15], 0
                                        ; implicit-def: $vgpr1
                                        ; implicit-def: $sgpr6_sgpr7
	s_cbranch_execnz .LBB418_9
	s_branch .LBB418_35
.LBB418_6:
	s_or_b64 exec, exec, s[18:19]
	s_and_b64 vcc, exec, s[16:17]
	s_cbranch_vccnz .LBB418_9
	s_branch .LBB418_35
.LBB418_7:
	v_mov_b32_e32 v1, 0
.LBB418_8:
	s_mov_b64 s[14:15], exec
	s_or_b64 exec, exec, s[18:19]
	s_and_b64 vcc, exec, s[16:17]
	s_cbranch_vccz .LBB418_35
.LBB418_9:
	s_load_dword s18, s[0:1], 0x0
	s_load_dword s19, s[0:1], 0x28
	s_load_dwordx4 s[4:7], s[0:1], 0x30
	s_load_dwordx2 s[16:17], s[0:1], 0x40
	s_mul_i32 s13, s3, s13
	s_load_dword s0, s[0:1], 0x48
	s_mul_hi_u32 s25, s3, s12
	s_waitcnt lgkmcnt(0)
	s_mul_i32 s1, s3, s5
	s_mul_hi_u32 s5, s3, s4
	s_add_i32 s5, s5, s1
	s_mul_i32 s4, s3, s4
	s_add_i32 s13, s25, s13
	s_lshl_b64 s[4:5], s[4:5], 1
	s_add_u32 s1, s8, s4
	s_mul_i32 s12, s3, s12
	s_addc_u32 s3, s9, s5
	s_lshl_b64 s[4:5], s[10:11], 1
	s_add_u32 s1, s1, s4
	s_addc_u32 s9, s3, s5
	s_mul_hi_i32 s5, s19, s2
	s_mul_i32 s4, s19, s2
	s_lshl_b64 s[4:5], s[4:5], 1
	s_add_u32 s8, s4, s1
	s_addc_u32 s9, s5, s9
	s_ashr_i32 s1, s18, 31
	v_cmp_gt_i32_e32 vcc, s18, v0
	s_lshr_b32 s1, s1, 24
	s_add_i32 s1, s18, s1
	v_cndmask_b32_e32 v1, 0, v0, vcc
	v_lshlrev_b32_e32 v2, 1, v1
	v_mov_b32_e32 v3, 0
	s_and_b32 s4, s1, 0xffffff00
	s_mov_b32 s3, 0
	s_cmpk_lt_i32 s18, 0x100
	v_lshl_add_u64 v[4:5], s[8:9], 0, v[2:3]
	s_cbranch_scc1 .LBB418_12
; %bb.10:
	v_mad_i64_i32 v[2:3], s[10:11], s0, v0, 0
	s_ashr_i32 s1, s0, 31
	s_lshl_b64 s[8:9], s[12:13], 1
	s_lshl_b64 s[10:11], s[16:17], 1
	s_add_u32 s5, s6, s10
	s_addc_u32 s10, s7, s11
	s_add_u32 s8, s5, s8
	s_addc_u32 s9, s10, s9
	v_lshl_add_u64 v[6:7], v[2:3], 1, s[8:9]
	s_lshl_b64 s[8:9], s[0:1], 9
	v_mov_b32_e32 v3, 0
	s_mov_b64 s[10:11], 0x200
	v_mov_b64_e32 v[8:9], v[4:5]
.LBB418_11:                             ; =>This Inner Loop Header: Depth=1
	global_load_ushort v1, v[8:9], off
	global_load_ushort v2, v[6:7], off
	s_addk_i32 s3, 0x100
	v_lshl_add_u64 v[6:7], v[6:7], 0, s[8:9]
	v_lshl_add_u64 v[8:9], v[8:9], 0, s[10:11]
	s_cmp_ge_i32 s3, s4
	s_waitcnt vmcnt(0)
	v_mul_f16_e32 v1, v1, v2
	v_cvt_f32_f16_e32 v1, v1
	v_add_f32_e32 v3, v3, v1
	s_cbranch_scc0 .LBB418_11
.LBB418_12:
	v_add_u32_e32 v1, s4, v0
	v_cmp_gt_i32_e32 vcc, s18, v1
	s_and_saveexec_b64 s[8:9], vcc
	s_cbranch_execz .LBB418_14
; %bb.13:
	s_lshl_b64 s[10:11], s[12:13], 1
	s_add_u32 s1, s6, s10
	s_addc_u32 s3, s7, s11
	s_lshl_b64 s[6:7], s[16:17], 1
	s_add_u32 s6, s1, s6
	s_addc_u32 s7, s3, s7
	s_ashr_i32 s5, s4, 31
	v_lshl_add_u64 v[4:5], s[4:5], 1, v[4:5]
	global_load_ushort v2, v[4:5], off
	v_mad_i64_i32 v[4:5], s[0:1], s0, v1, 0
	v_lshl_add_u64 v[4:5], v[4:5], 1, s[6:7]
	global_load_ushort v1, v[4:5], off
	s_waitcnt vmcnt(0)
	v_mul_f16_e32 v1, v2, v1
	v_cvt_f32_f16_e32 v1, v1
	v_add_f32_e32 v3, v3, v1
.LBB418_14:
	s_or_b64 exec, exec, s[8:9]
	s_movk_i32 s0, 0x80
	v_lshlrev_b32_e32 v1, 2, v0
	v_cmp_gt_u32_e32 vcc, s0, v0
	ds_write_b32 v1, v3
	s_waitcnt lgkmcnt(0)
	s_barrier
	s_and_saveexec_b64 s[0:1], vcc
	s_cbranch_execz .LBB418_16
; %bb.15:
	ds_read2st64_b32 v[2:3], v1 offset1:2
	s_waitcnt lgkmcnt(0)
	v_add_f32_e32 v2, v3, v2
	ds_write_b32 v1, v2
.LBB418_16:
	s_or_b64 exec, exec, s[0:1]
	v_cmp_gt_u32_e32 vcc, 64, v0
	s_waitcnt lgkmcnt(0)
	s_barrier
	s_and_saveexec_b64 s[0:1], vcc
	s_cbranch_execz .LBB418_18
; %bb.17:
	ds_read2st64_b32 v[2:3], v1 offset1:1
	s_waitcnt lgkmcnt(0)
	v_add_f32_e32 v2, v3, v2
	ds_write_b32 v1, v2
.LBB418_18:
	s_or_b64 exec, exec, s[0:1]
	v_cmp_gt_u32_e32 vcc, 32, v0
	s_waitcnt lgkmcnt(0)
	s_barrier
	s_and_saveexec_b64 s[0:1], vcc
	s_cbranch_execz .LBB418_20
; %bb.19:
	ds_read2_b32 v[2:3], v1 offset1:32
	s_waitcnt lgkmcnt(0)
	v_add_f32_e32 v2, v3, v2
	ds_write_b32 v1, v2
.LBB418_20:
	s_or_b64 exec, exec, s[0:1]
	v_cmp_gt_u32_e32 vcc, 16, v0
	s_waitcnt lgkmcnt(0)
	s_barrier
	s_and_saveexec_b64 s[0:1], vcc
	s_cbranch_execz .LBB418_22
; %bb.21:
	ds_read2_b32 v[2:3], v1 offset1:16
	s_waitcnt lgkmcnt(0)
	v_add_f32_e32 v2, v3, v2
	ds_write_b32 v1, v2
.LBB418_22:
	;; [unrolled: 12-line block ×5, first 2 shown]
	s_or_b64 exec, exec, s[0:1]
	v_cmp_eq_u32_e32 vcc, 0, v0
	s_waitcnt lgkmcnt(0)
	s_barrier
	s_and_saveexec_b64 s[0:1], vcc
	s_cbranch_execz .LBB418_30
; %bb.29:
	v_mov_b32_e32 v2, 0
	ds_read_b64 v[0:1], v2
	s_waitcnt lgkmcnt(0)
	v_add_f32_e32 v0, v1, v0
	ds_write_b32 v2, v0
.LBB418_30:
	s_or_b64 exec, exec, s[0:1]
	s_waitcnt lgkmcnt(0)
	s_barrier
	s_waitcnt lgkmcnt(0)
                                        ; implicit-def: $vgpr1
                                        ; implicit-def: $sgpr6_sgpr7
	s_and_saveexec_b64 s[0:1], vcc
	s_cbranch_execz .LBB418_34
; %bb.31:
	v_mov_b32_e32 v1, 0
	ds_read_b32 v0, v1
	v_cmp_eq_f32_e64 s[4:5], s23, 0
	s_mul_hi_i32 s7, s24, s2
	s_mul_i32 s6, s24, s2
	s_and_b64 vcc, exec, s[4:5]
	s_waitcnt lgkmcnt(0)
	v_mul_f32_e32 v0, s22, v0
	s_cbranch_vccnz .LBB418_33
; %bb.32:
	s_lshl_b64 s[2:3], s[6:7], 1
	s_add_u32 s2, s20, s2
	s_addc_u32 s3, s21, s3
	global_load_ushort v1, v1, s[2:3]
	s_waitcnt vmcnt(0)
	v_fma_mix_f32 v0, s23, v1, v0 op_sel_hi:[0,1,0]
.LBB418_33:
	v_cvt_f16_f32_e32 v1, v0
	s_or_b64 s[14:15], s[14:15], exec
.LBB418_34:
	s_or_b64 exec, exec, s[0:1]
.LBB418_35:
	s_and_saveexec_b64 s[0:1], s[14:15]
	s_cbranch_execz .LBB418_37
; %bb.36:
	s_lshl_b64 s[0:1], s[6:7], 1
	s_add_u32 s0, s20, s0
	s_addc_u32 s1, s21, s1
	v_mov_b32_e32 v0, 0
	global_store_short v0, v1, s[0:1]
.LBB418_37:
	s_endpgm
	.section	.rodata,"a",@progbits
	.p2align	6, 0x0
	.amdhsa_kernel _ZL20rocblas_gemvt_kernelILb1ELi256EDF16_PKfDF16_EviiT2_lPKT1_lilS5_lilS2_lPT3_lili
		.amdhsa_group_segment_fixed_size 1024
		.amdhsa_private_segment_fixed_size 0
		.amdhsa_kernarg_size 140
		.amdhsa_user_sgpr_count 2
		.amdhsa_user_sgpr_dispatch_ptr 0
		.amdhsa_user_sgpr_queue_ptr 0
		.amdhsa_user_sgpr_kernarg_segment_ptr 1
		.amdhsa_user_sgpr_dispatch_id 0
		.amdhsa_user_sgpr_kernarg_preload_length 0
		.amdhsa_user_sgpr_kernarg_preload_offset 0
		.amdhsa_user_sgpr_private_segment_size 0
		.amdhsa_uses_dynamic_stack 0
		.amdhsa_enable_private_segment 0
		.amdhsa_system_sgpr_workgroup_id_x 1
		.amdhsa_system_sgpr_workgroup_id_y 0
		.amdhsa_system_sgpr_workgroup_id_z 1
		.amdhsa_system_sgpr_workgroup_info 0
		.amdhsa_system_vgpr_workitem_id 0
		.amdhsa_next_free_vgpr 10
		.amdhsa_next_free_sgpr 26
		.amdhsa_accum_offset 12
		.amdhsa_reserve_vcc 1
		.amdhsa_float_round_mode_32 0
		.amdhsa_float_round_mode_16_64 0
		.amdhsa_float_denorm_mode_32 3
		.amdhsa_float_denorm_mode_16_64 3
		.amdhsa_dx10_clamp 1
		.amdhsa_ieee_mode 1
		.amdhsa_fp16_overflow 0
		.amdhsa_tg_split 0
		.amdhsa_exception_fp_ieee_invalid_op 0
		.amdhsa_exception_fp_denorm_src 0
		.amdhsa_exception_fp_ieee_div_zero 0
		.amdhsa_exception_fp_ieee_overflow 0
		.amdhsa_exception_fp_ieee_underflow 0
		.amdhsa_exception_fp_ieee_inexact 0
		.amdhsa_exception_int_div_zero 0
	.end_amdhsa_kernel
	.section	.text._ZL20rocblas_gemvt_kernelILb1ELi256EDF16_PKfDF16_EviiT2_lPKT1_lilS5_lilS2_lPT3_lili,"axG",@progbits,_ZL20rocblas_gemvt_kernelILb1ELi256EDF16_PKfDF16_EviiT2_lPKT1_lilS5_lilS2_lPT3_lili,comdat
.Lfunc_end418:
	.size	_ZL20rocblas_gemvt_kernelILb1ELi256EDF16_PKfDF16_EviiT2_lPKT1_lilS5_lilS2_lPT3_lili, .Lfunc_end418-_ZL20rocblas_gemvt_kernelILb1ELi256EDF16_PKfDF16_EviiT2_lPKT1_lilS5_lilS2_lPT3_lili
                                        ; -- End function
	.section	.AMDGPU.csdata,"",@progbits
; Kernel info:
; codeLenInByte = 1296
; NumSgprs: 32
; NumVgprs: 10
; NumAgprs: 0
; TotalNumVgprs: 10
; ScratchSize: 0
; MemoryBound: 0
; FloatMode: 240
; IeeeMode: 1
; LDSByteSize: 1024 bytes/workgroup (compile time only)
; SGPRBlocks: 3
; VGPRBlocks: 1
; NumSGPRsForWavesPerEU: 32
; NumVGPRsForWavesPerEU: 10
; AccumOffset: 12
; Occupancy: 8
; WaveLimiterHint : 1
; COMPUTE_PGM_RSRC2:SCRATCH_EN: 0
; COMPUTE_PGM_RSRC2:USER_SGPR: 2
; COMPUTE_PGM_RSRC2:TRAP_HANDLER: 0
; COMPUTE_PGM_RSRC2:TGID_X_EN: 1
; COMPUTE_PGM_RSRC2:TGID_Y_EN: 0
; COMPUTE_PGM_RSRC2:TGID_Z_EN: 1
; COMPUTE_PGM_RSRC2:TIDIG_COMP_CNT: 0
; COMPUTE_PGM_RSRC3_GFX90A:ACCUM_OFFSET: 2
; COMPUTE_PGM_RSRC3_GFX90A:TG_SPLIT: 0
	.section	.text._ZL20rocblas_gemvt_kernelILb1ELi256EDF16_fDF16_EviiT2_lPKT1_lilS3_lilS0_lPT3_lili,"axG",@progbits,_ZL20rocblas_gemvt_kernelILb1ELi256EDF16_fDF16_EviiT2_lPKT1_lilS3_lilS0_lPT3_lili,comdat
	.globl	_ZL20rocblas_gemvt_kernelILb1ELi256EDF16_fDF16_EviiT2_lPKT1_lilS3_lilS0_lPT3_lili ; -- Begin function _ZL20rocblas_gemvt_kernelILb1ELi256EDF16_fDF16_EviiT2_lPKT1_lilS3_lilS0_lPT3_lili
	.p2align	8
	.type	_ZL20rocblas_gemvt_kernelILb1ELi256EDF16_fDF16_EviiT2_lPKT1_lilS3_lilS0_lPT3_lili,@function
_ZL20rocblas_gemvt_kernelILb1ELi256EDF16_fDF16_EviiT2_lPKT1_lilS3_lilS0_lPT3_lili: ; @_ZL20rocblas_gemvt_kernelILb1ELi256EDF16_fDF16_EviiT2_lPKT1_lilS3_lilS0_lPT3_lili
; %bb.0:
	s_load_dword s21, s[0:1], 0x8
	s_load_dword s20, s[0:1], 0x58
	s_waitcnt lgkmcnt(0)
	v_cmp_eq_f32_e64 s[4:5], s21, 0
	v_cmp_eq_f32_e64 s[6:7], s20, 1.0
	s_and_b64 s[4:5], s[4:5], s[6:7]
	s_and_b64 vcc, exec, s[4:5]
	s_cbranch_vccnz .LBB419_37
; %bb.1:
	s_load_dwordx2 s[8:9], s[0:1], 0x80
	s_load_dwordx4 s[4:7], s[0:1], 0x68
	s_load_dword s22, s[0:1], 0x78
	s_waitcnt lgkmcnt(0)
	s_mul_i32 s9, s3, s9
	s_mul_hi_u32 s10, s3, s8
	s_mul_i32 s8, s3, s8
	s_add_i32 s9, s10, s9
	s_lshl_b64 s[8:9], s[8:9], 1
	s_add_u32 s8, s4, s8
	s_addc_u32 s9, s5, s9
	s_lshl_b64 s[4:5], s[6:7], 1
	s_add_u32 s18, s8, s4
	s_addc_u32 s19, s9, s5
	v_cmp_neq_f32_e64 s[4:5], s21, 0
	s_and_b64 vcc, exec, s[4:5]
	v_cmp_eq_u32_e64 s[4:5], 0, v0
	s_cbranch_vccnz .LBB419_5
; %bb.2:
	s_mov_b64 s[10:11], 0
	s_mov_b64 s[8:9], 0
                                        ; implicit-def: $vgpr1
                                        ; implicit-def: $sgpr6_sgpr7
	s_and_saveexec_b64 s[12:13], s[4:5]
	s_cbranch_execz .LBB419_6
; %bb.3:
	v_cmp_eq_f32_e64 s[4:5], s20, 0
	s_mul_hi_i32 s7, s22, s2
	s_mul_i32 s6, s22, s2
	s_and_b64 vcc, exec, s[4:5]
	s_cbranch_vccnz .LBB419_7
; %bb.4:
	s_lshl_b64 s[4:5], s[6:7], 1
	s_add_u32 s4, s18, s4
	s_addc_u32 s5, s19, s5
	v_mov_b32_e32 v1, 0
	global_load_ushort v1, v1, s[4:5]
	s_waitcnt vmcnt(0)
	v_fma_mixlo_f16 v1, v1, s20, 0 op_sel_hi:[1,0,0]
	s_branch .LBB419_8
.LBB419_5:
	s_mov_b64 s[8:9], 0
                                        ; implicit-def: $vgpr1
                                        ; implicit-def: $sgpr6_sgpr7
	s_cbranch_execnz .LBB419_9
	s_branch .LBB419_35
.LBB419_6:
	s_or_b64 exec, exec, s[12:13]
	s_and_b64 vcc, exec, s[10:11]
	s_cbranch_vccnz .LBB419_9
	s_branch .LBB419_35
.LBB419_7:
	v_mov_b32_e32 v1, 0
.LBB419_8:
	s_mov_b64 s[8:9], exec
	s_or_b64 exec, exec, s[12:13]
	s_and_b64 vcc, exec, s[10:11]
	s_cbranch_vccz .LBB419_35
.LBB419_9:
	s_load_dwordx2 s[14:15], s[0:1], 0x50
	s_load_dword s23, s[0:1], 0x0
	s_load_dwordx4 s[24:27], s[0:1], 0x18
	s_load_dword s13, s[0:1], 0x28
	s_load_dwordx4 s[4:7], s[0:1], 0x30
	s_load_dwordx2 s[10:11], s[0:1], 0x40
	s_load_dword s12, s[0:1], 0x48
	s_waitcnt lgkmcnt(0)
	s_mul_i32 s0, s3, s15
	s_mul_hi_u32 s1, s3, s14
	s_add_i32 s1, s1, s0
	s_mul_i32 s0, s3, s14
	s_mul_i32 s5, s3, s5
	s_mul_hi_u32 s14, s3, s4
	s_add_i32 s5, s14, s5
	s_mul_i32 s4, s3, s4
	s_lshl_b64 s[4:5], s[4:5], 1
	s_add_u32 s3, s24, s4
	s_addc_u32 s14, s25, s5
	s_lshl_b64 s[4:5], s[26:27], 1
	s_add_u32 s15, s3, s4
	s_addc_u32 s16, s14, s5
	s_mul_hi_i32 s5, s13, s2
	s_mul_i32 s4, s13, s2
	s_lshl_b64 s[4:5], s[4:5], 1
	s_add_u32 s14, s4, s15
	s_addc_u32 s15, s5, s16
	s_ashr_i32 s4, s23, 31
	v_cmp_gt_i32_e32 vcc, s23, v0
	s_lshr_b32 s4, s4, 24
	s_add_i32 s4, s23, s4
	v_cndmask_b32_e32 v1, 0, v0, vcc
	v_lshlrev_b32_e32 v2, 1, v1
	v_mov_b32_e32 v3, 0
	s_and_b32 s4, s4, 0xffffff00
	s_mov_b32 s3, 0
	s_cmpk_lt_i32 s23, 0x100
	v_lshl_add_u64 v[4:5], s[14:15], 0, v[2:3]
	s_cbranch_scc1 .LBB419_12
; %bb.10:
	v_mad_i64_i32 v[2:3], s[16:17], s12, v0, 0
	s_ashr_i32 s13, s12, 31
	s_lshl_b64 s[14:15], s[0:1], 1
	s_lshl_b64 s[16:17], s[10:11], 1
	s_add_u32 s5, s6, s16
	s_addc_u32 s16, s7, s17
	s_add_u32 s14, s5, s14
	s_addc_u32 s15, s16, s15
	v_lshl_add_u64 v[6:7], v[2:3], 1, s[14:15]
	s_lshl_b64 s[14:15], s[12:13], 9
	v_mov_b32_e32 v3, 0
	s_mov_b64 s[16:17], 0x200
	v_mov_b64_e32 v[8:9], v[4:5]
.LBB419_11:                             ; =>This Inner Loop Header: Depth=1
	global_load_ushort v1, v[8:9], off
	global_load_ushort v2, v[6:7], off
	s_addk_i32 s3, 0x100
	v_lshl_add_u64 v[6:7], v[6:7], 0, s[14:15]
	v_lshl_add_u64 v[8:9], v[8:9], 0, s[16:17]
	s_cmp_ge_i32 s3, s4
	s_waitcnt vmcnt(0)
	v_mul_f16_e32 v1, v1, v2
	v_cvt_f32_f16_e32 v1, v1
	v_add_f32_e32 v3, v3, v1
	s_cbranch_scc0 .LBB419_11
.LBB419_12:
	v_add_u32_e32 v1, s4, v0
	v_cmp_gt_i32_e32 vcc, s23, v1
	s_and_saveexec_b64 s[14:15], vcc
	s_cbranch_execz .LBB419_14
; %bb.13:
	s_lshl_b64 s[0:1], s[0:1], 1
	s_add_u32 s3, s6, s0
	s_addc_u32 s5, s7, s1
	s_lshl_b64 s[0:1], s[10:11], 1
	s_add_u32 s0, s3, s0
	s_addc_u32 s1, s5, s1
	s_ashr_i32 s5, s4, 31
	v_lshl_add_u64 v[4:5], s[4:5], 1, v[4:5]
	global_load_ushort v2, v[4:5], off
	v_mad_i64_i32 v[4:5], s[4:5], s12, v1, 0
	v_lshl_add_u64 v[4:5], v[4:5], 1, s[0:1]
	global_load_ushort v1, v[4:5], off
	s_waitcnt vmcnt(0)
	v_mul_f16_e32 v1, v2, v1
	v_cvt_f32_f16_e32 v1, v1
	v_add_f32_e32 v3, v3, v1
.LBB419_14:
	s_or_b64 exec, exec, s[14:15]
	s_movk_i32 s0, 0x80
	v_lshlrev_b32_e32 v1, 2, v0
	v_cmp_gt_u32_e32 vcc, s0, v0
	ds_write_b32 v1, v3
	s_waitcnt lgkmcnt(0)
	s_barrier
	s_and_saveexec_b64 s[0:1], vcc
	s_cbranch_execz .LBB419_16
; %bb.15:
	ds_read2st64_b32 v[2:3], v1 offset1:2
	s_waitcnt lgkmcnt(0)
	v_add_f32_e32 v2, v3, v2
	ds_write_b32 v1, v2
.LBB419_16:
	s_or_b64 exec, exec, s[0:1]
	v_cmp_gt_u32_e32 vcc, 64, v0
	s_waitcnt lgkmcnt(0)
	s_barrier
	s_and_saveexec_b64 s[0:1], vcc
	s_cbranch_execz .LBB419_18
; %bb.17:
	ds_read2st64_b32 v[2:3], v1 offset1:1
	s_waitcnt lgkmcnt(0)
	v_add_f32_e32 v2, v3, v2
	ds_write_b32 v1, v2
.LBB419_18:
	s_or_b64 exec, exec, s[0:1]
	v_cmp_gt_u32_e32 vcc, 32, v0
	s_waitcnt lgkmcnt(0)
	s_barrier
	s_and_saveexec_b64 s[0:1], vcc
	s_cbranch_execz .LBB419_20
; %bb.19:
	ds_read2_b32 v[2:3], v1 offset1:32
	s_waitcnt lgkmcnt(0)
	v_add_f32_e32 v2, v3, v2
	ds_write_b32 v1, v2
.LBB419_20:
	s_or_b64 exec, exec, s[0:1]
	v_cmp_gt_u32_e32 vcc, 16, v0
	s_waitcnt lgkmcnt(0)
	s_barrier
	s_and_saveexec_b64 s[0:1], vcc
	s_cbranch_execz .LBB419_22
; %bb.21:
	ds_read2_b32 v[2:3], v1 offset1:16
	s_waitcnt lgkmcnt(0)
	v_add_f32_e32 v2, v3, v2
	ds_write_b32 v1, v2
.LBB419_22:
	;; [unrolled: 12-line block ×5, first 2 shown]
	s_or_b64 exec, exec, s[0:1]
	v_cmp_eq_u32_e32 vcc, 0, v0
	s_waitcnt lgkmcnt(0)
	s_barrier
	s_and_saveexec_b64 s[0:1], vcc
	s_cbranch_execz .LBB419_30
; %bb.29:
	v_mov_b32_e32 v2, 0
	ds_read_b64 v[0:1], v2
	s_waitcnt lgkmcnt(0)
	v_add_f32_e32 v0, v1, v0
	ds_write_b32 v2, v0
.LBB419_30:
	s_or_b64 exec, exec, s[0:1]
	s_waitcnt lgkmcnt(0)
	s_barrier
	s_waitcnt lgkmcnt(0)
                                        ; implicit-def: $vgpr1
                                        ; implicit-def: $sgpr6_sgpr7
	s_and_saveexec_b64 s[0:1], vcc
	s_cbranch_execz .LBB419_34
; %bb.31:
	v_mov_b32_e32 v1, 0
	ds_read_b32 v0, v1
	v_cmp_eq_f32_e64 s[4:5], s20, 0
	s_mul_hi_i32 s7, s22, s2
	s_mul_i32 s6, s22, s2
	s_and_b64 vcc, exec, s[4:5]
	s_waitcnt lgkmcnt(0)
	v_mul_f32_e32 v0, s21, v0
	s_cbranch_vccnz .LBB419_33
; %bb.32:
	s_lshl_b64 s[2:3], s[6:7], 1
	s_add_u32 s2, s18, s2
	s_addc_u32 s3, s19, s3
	global_load_ushort v1, v1, s[2:3]
	s_waitcnt vmcnt(0)
	v_fma_mix_f32 v0, v1, s20, v0 op_sel_hi:[1,0,0]
.LBB419_33:
	s_nop 0
	v_cvt_f16_f32_e32 v1, v0
	s_or_b64 s[8:9], s[8:9], exec
.LBB419_34:
	s_or_b64 exec, exec, s[0:1]
.LBB419_35:
	s_and_saveexec_b64 s[0:1], s[8:9]
	s_cbranch_execz .LBB419_37
; %bb.36:
	s_lshl_b64 s[0:1], s[6:7], 1
	s_add_u32 s0, s18, s0
	s_addc_u32 s1, s19, s1
	v_mov_b32_e32 v0, 0
	global_store_short v0, v1, s[0:1]
.LBB419_37:
	s_endpgm
	.section	.rodata,"a",@progbits
	.p2align	6, 0x0
	.amdhsa_kernel _ZL20rocblas_gemvt_kernelILb1ELi256EDF16_fDF16_EviiT2_lPKT1_lilS3_lilS0_lPT3_lili
		.amdhsa_group_segment_fixed_size 1024
		.amdhsa_private_segment_fixed_size 0
		.amdhsa_kernarg_size 140
		.amdhsa_user_sgpr_count 2
		.amdhsa_user_sgpr_dispatch_ptr 0
		.amdhsa_user_sgpr_queue_ptr 0
		.amdhsa_user_sgpr_kernarg_segment_ptr 1
		.amdhsa_user_sgpr_dispatch_id 0
		.amdhsa_user_sgpr_kernarg_preload_length 0
		.amdhsa_user_sgpr_kernarg_preload_offset 0
		.amdhsa_user_sgpr_private_segment_size 0
		.amdhsa_uses_dynamic_stack 0
		.amdhsa_enable_private_segment 0
		.amdhsa_system_sgpr_workgroup_id_x 1
		.amdhsa_system_sgpr_workgroup_id_y 0
		.amdhsa_system_sgpr_workgroup_id_z 1
		.amdhsa_system_sgpr_workgroup_info 0
		.amdhsa_system_vgpr_workitem_id 0
		.amdhsa_next_free_vgpr 10
		.amdhsa_next_free_sgpr 28
		.amdhsa_accum_offset 12
		.amdhsa_reserve_vcc 1
		.amdhsa_float_round_mode_32 0
		.amdhsa_float_round_mode_16_64 0
		.amdhsa_float_denorm_mode_32 3
		.amdhsa_float_denorm_mode_16_64 3
		.amdhsa_dx10_clamp 1
		.amdhsa_ieee_mode 1
		.amdhsa_fp16_overflow 0
		.amdhsa_tg_split 0
		.amdhsa_exception_fp_ieee_invalid_op 0
		.amdhsa_exception_fp_denorm_src 0
		.amdhsa_exception_fp_ieee_div_zero 0
		.amdhsa_exception_fp_ieee_overflow 0
		.amdhsa_exception_fp_ieee_underflow 0
		.amdhsa_exception_fp_ieee_inexact 0
		.amdhsa_exception_int_div_zero 0
	.end_amdhsa_kernel
	.section	.text._ZL20rocblas_gemvt_kernelILb1ELi256EDF16_fDF16_EviiT2_lPKT1_lilS3_lilS0_lPT3_lili,"axG",@progbits,_ZL20rocblas_gemvt_kernelILb1ELi256EDF16_fDF16_EviiT2_lPKT1_lilS3_lilS0_lPT3_lili,comdat
.Lfunc_end419:
	.size	_ZL20rocblas_gemvt_kernelILb1ELi256EDF16_fDF16_EviiT2_lPKT1_lilS3_lilS0_lPT3_lili, .Lfunc_end419-_ZL20rocblas_gemvt_kernelILb1ELi256EDF16_fDF16_EviiT2_lPKT1_lilS3_lilS0_lPT3_lili
                                        ; -- End function
	.section	.AMDGPU.csdata,"",@progbits
; Kernel info:
; codeLenInByte = 1240
; NumSgprs: 34
; NumVgprs: 10
; NumAgprs: 0
; TotalNumVgprs: 10
; ScratchSize: 0
; MemoryBound: 0
; FloatMode: 240
; IeeeMode: 1
; LDSByteSize: 1024 bytes/workgroup (compile time only)
; SGPRBlocks: 4
; VGPRBlocks: 1
; NumSGPRsForWavesPerEU: 34
; NumVGPRsForWavesPerEU: 10
; AccumOffset: 12
; Occupancy: 8
; WaveLimiterHint : 1
; COMPUTE_PGM_RSRC2:SCRATCH_EN: 0
; COMPUTE_PGM_RSRC2:USER_SGPR: 2
; COMPUTE_PGM_RSRC2:TRAP_HANDLER: 0
; COMPUTE_PGM_RSRC2:TGID_X_EN: 1
; COMPUTE_PGM_RSRC2:TGID_Y_EN: 0
; COMPUTE_PGM_RSRC2:TGID_Z_EN: 1
; COMPUTE_PGM_RSRC2:TIDIG_COMP_CNT: 0
; COMPUTE_PGM_RSRC3_GFX90A:ACCUM_OFFSET: 2
; COMPUTE_PGM_RSRC3_GFX90A:TG_SPLIT: 0
	.section	.text._ZL32rocblas_gemvt_warp_reduce_kernelILb1ELi1024EiDF16_PKfDF16_EviiT3_lPKT2_lT1_lS5_lS6_lS2_lPT4_lS6_li,"axG",@progbits,_ZL32rocblas_gemvt_warp_reduce_kernelILb1ELi1024EiDF16_PKfDF16_EviiT3_lPKT2_lT1_lS5_lS6_lS2_lPT4_lS6_li,comdat
	.globl	_ZL32rocblas_gemvt_warp_reduce_kernelILb1ELi1024EiDF16_PKfDF16_EviiT3_lPKT2_lT1_lS5_lS6_lS2_lPT4_lS6_li ; -- Begin function _ZL32rocblas_gemvt_warp_reduce_kernelILb1ELi1024EiDF16_PKfDF16_EviiT3_lPKT2_lT1_lS5_lS6_lS2_lPT4_lS6_li
	.p2align	8
	.type	_ZL32rocblas_gemvt_warp_reduce_kernelILb1ELi1024EiDF16_PKfDF16_EviiT3_lPKT2_lT1_lS5_lS6_lS2_lPT4_lS6_li,@function
_ZL32rocblas_gemvt_warp_reduce_kernelILb1ELi1024EiDF16_PKfDF16_EviiT3_lPKT2_lT1_lS5_lS6_lS2_lPT4_lS6_li: ; @_ZL32rocblas_gemvt_warp_reduce_kernelILb1ELi1024EiDF16_PKfDF16_EviiT3_lPKT2_lT1_lS5_lS6_lS2_lPT4_lS6_li
; %bb.0:
	s_load_dwordx8 s[4:11], s[0:1], 0x8
	s_load_dwordx8 s[12:19], s[0:1], 0x50
	s_waitcnt lgkmcnt(0)
	s_mul_i32 s7, s3, s7
	s_mul_hi_u32 s20, s3, s6
	s_add_i32 s7, s20, s7
	s_mul_i32 s6, s3, s6
	s_lshl_b64 s[6:7], s[6:7], 2
	s_add_u32 s4, s4, s6
	s_addc_u32 s5, s5, s7
	s_load_dword s23, s[4:5], 0x0
	s_mul_i32 s4, s3, s17
	s_mul_hi_u32 s5, s3, s16
	s_add_i32 s5, s5, s4
	s_mul_i32 s4, s3, s16
	s_lshl_b64 s[4:5], s[4:5], 2
	s_add_u32 s4, s14, s4
	s_addc_u32 s5, s15, s5
	s_load_dword s22, s[4:5], 0x0
	s_waitcnt lgkmcnt(0)
	v_cmp_eq_f32_e64 s[4:5], s23, 0
	v_cmp_eq_f32_e64 s[6:7], s22, 1.0
	s_and_b64 s[4:5], s[4:5], s[6:7]
	s_and_b64 vcc, exec, s[4:5]
	s_cbranch_vccnz .LBB420_29
; %bb.1:
	s_load_dwordx2 s[4:5], s[0:1], 0x80
	s_load_dwordx2 s[6:7], s[0:1], 0x70
	s_load_dword s24, s[0:1], 0x78
	s_waitcnt lgkmcnt(0)
	s_mul_i32 s5, s3, s5
	s_mul_hi_u32 s14, s3, s4
	s_mul_i32 s4, s3, s4
	s_add_i32 s5, s14, s5
	s_lshl_b64 s[4:5], s[4:5], 1
	s_add_u32 s14, s18, s4
	s_addc_u32 s15, s19, s5
	s_lshl_b64 s[4:5], s[6:7], 1
	s_add_u32 s20, s14, s4
	s_addc_u32 s21, s15, s5
	v_cmp_neq_f32_e64 s[4:5], s23, 0
	s_and_b64 vcc, exec, s[4:5]
	v_cmp_eq_u32_e64 s[4:5], 0, v0
	s_cbranch_vccnz .LBB420_5
; %bb.2:
	s_mov_b64 s[16:17], 0
	s_mov_b64 s[6:7], 0
                                        ; implicit-def: $vgpr1
                                        ; implicit-def: $sgpr14_sgpr15
	s_and_saveexec_b64 s[18:19], s[4:5]
	s_cbranch_execz .LBB420_6
; %bb.3:
	v_cmp_eq_f32_e64 s[4:5], s22, 0
	s_mul_i32 s14, s2, s24
	s_ashr_i32 s15, s14, 31
	s_and_b64 vcc, exec, s[4:5]
	s_cbranch_vccnz .LBB420_7
; %bb.4:
	s_lshl_b64 s[4:5], s[14:15], 1
	s_add_u32 s4, s20, s4
	s_addc_u32 s5, s21, s5
	v_mov_b32_e32 v1, 0
	global_load_ushort v1, v1, s[4:5]
	s_waitcnt vmcnt(0)
	v_fma_mixlo_f16 v1, s22, v1, 0 op_sel_hi:[0,1,0]
	s_mov_b64 s[6:7], exec
	s_or_b64 exec, exec, s[18:19]
	s_and_b64 vcc, exec, s[16:17]
	s_cbranch_vccz .LBB420_27
	s_branch .LBB420_8
.LBB420_5:
	s_mov_b64 s[6:7], 0
                                        ; implicit-def: $vgpr1
                                        ; implicit-def: $sgpr14_sgpr15
	s_cbranch_execnz .LBB420_8
	s_branch .LBB420_27
.LBB420_6:
	s_or_b64 exec, exec, s[18:19]
	s_and_b64 vcc, exec, s[16:17]
	s_cbranch_vccnz .LBB420_8
	s_branch .LBB420_27
.LBB420_7:
	v_mov_b32_e32 v1, 0
	s_mov_b64 s[6:7], exec
	s_or_b64 exec, exec, s[18:19]
	s_and_b64 vcc, exec, s[16:17]
	s_cbranch_vccz .LBB420_27
.LBB420_8:
	s_load_dword s14, s[0:1], 0x0
	s_load_dword s25, s[0:1], 0x28
	s_load_dwordx4 s[16:19], s[0:1], 0x30
	s_load_dwordx2 s[4:5], s[0:1], 0x40
	s_mul_i32 s13, s3, s13
	s_mul_hi_u32 s15, s3, s12
	s_add_i32 s13, s15, s13
	s_mul_i32 s12, s3, s12
	s_lshl_b64 s[12:13], s[12:13], 1
	s_waitcnt lgkmcnt(0)
	s_add_u32 s12, s18, s12
	s_addc_u32 s13, s19, s13
	s_lshl_b64 s[4:5], s[4:5], 1
	s_add_u32 s4, s12, s4
	s_load_dword s15, s[0:1], 0x48
	s_mul_i32 s0, s3, s17
	s_mul_hi_u32 s1, s3, s16
	s_addc_u32 s5, s13, s5
	s_add_i32 s1, s1, s0
	s_mul_i32 s0, s3, s16
	s_lshl_b64 s[0:1], s[0:1], 1
	s_add_u32 s3, s8, s0
	s_addc_u32 s8, s9, s1
	s_lshl_b64 s[0:1], s[10:11], 1
	s_add_u32 s3, s3, s0
	s_mul_i32 s0, s2, s25
	s_addc_u32 s8, s8, s1
	s_ashr_i32 s1, s0, 31
	v_cmp_gt_i32_e32 vcc, s14, v0
	s_lshl_b64 s[0:1], s[0:1], 1
	s_add_u32 s0, s0, s3
	v_cndmask_b32_e32 v1, 0, v0, vcc
	v_lshlrev_b32_e32 v2, 1, v1
	v_mov_b32_e32 v3, 0
	s_addc_u32 s1, s1, s8
	v_lshl_add_u64 v[4:5], s[0:1], 0, v[2:3]
	s_ashr_i32 s0, s14, 31
	s_lshr_b32 s0, s0, 22
	s_add_i32 s0, s14, s0
	s_and_b32 s0, s0, 0xfffffc00
	v_cmp_gt_i32_e32 vcc, s0, v0
	s_and_saveexec_b64 s[8:9], vcc
	s_cbranch_execz .LBB420_12
; %bb.9:
	s_waitcnt lgkmcnt(0)
	v_mul_lo_u32 v6, v0, s15
	s_lshl_b32 s1, s15, 10
	s_mov_b64 s[10:11], 0
	v_mov_b32_e32 v3, 0
	s_mov_b64 s[12:13], 0x800
	v_mov_b64_e32 v[8:9], v[4:5]
	v_mov_b32_e32 v1, v0
.LBB420_10:                             ; =>This Inner Loop Header: Depth=1
	v_ashrrev_i32_e32 v7, 31, v6
	v_lshl_add_u64 v[10:11], v[6:7], 1, s[4:5]
	global_load_ushort v2, v[8:9], off
	global_load_ushort v7, v[10:11], off
	v_add_u32_e32 v1, 0x400, v1
	v_cmp_le_i32_e32 vcc, s0, v1
	v_lshl_add_u64 v[8:9], v[8:9], 0, s[12:13]
	v_add_u32_e32 v6, s1, v6
	s_or_b64 s[10:11], vcc, s[10:11]
	s_waitcnt vmcnt(0)
	v_mul_f16_e32 v2, v2, v7
	v_cvt_f32_f16_e32 v2, v2
	v_add_f32_e32 v3, v3, v2
	s_andn2_b64 exec, exec, s[10:11]
	s_cbranch_execnz .LBB420_10
; %bb.11:
	s_or_b64 exec, exec, s[10:11]
.LBB420_12:
	s_or_b64 exec, exec, s[8:9]
	v_or_b32_e32 v1, s0, v0
	v_cmp_gt_i32_e32 vcc, s14, v1
	s_and_saveexec_b64 s[8:9], vcc
	s_cbranch_execz .LBB420_14
; %bb.13:
	s_ashr_i32 s1, s0, 31
	v_lshl_add_u64 v[4:5], s[0:1], 1, v[4:5]
	global_load_ushort v2, v[4:5], off
	s_waitcnt lgkmcnt(0)
	v_mul_lo_u32 v4, v1, s15
	v_ashrrev_i32_e32 v5, 31, v4
	v_lshl_add_u64 v[4:5], v[4:5], 1, s[4:5]
	global_load_ushort v1, v[4:5], off
	s_waitcnt vmcnt(0)
	v_mul_f16_e32 v1, v2, v1
	v_cvt_f32_f16_e32 v1, v1
	v_add_f32_e32 v3, v3, v1
.LBB420_14:
	s_or_b64 exec, exec, s[8:9]
	v_and_b32_e32 v2, 63, v0
	v_cmp_gt_u32_e32 vcc, 64, v0
	v_lshlrev_b32_e32 v1, 2, v2
	s_and_saveexec_b64 s[0:1], vcc
	s_cbranch_execz .LBB420_16
; %bb.15:
	v_mov_b32_e32 v4, 0
	ds_write_b32 v1, v4
.LBB420_16:
	s_or_b64 exec, exec, s[0:1]
	v_mbcnt_lo_u32_b32 v4, -1, 0
	v_mbcnt_hi_u32_b32 v6, -1, v4
	v_and_b32_e32 v7, 63, v6
	v_cmp_gt_u32_e64 s[0:1], 32, v7
	s_waitcnt lgkmcnt(0)
	s_barrier
	v_cndmask_b32_e64 v4, 0, 1, s[0:1]
	v_lshlrev_b32_e32 v4, 5, v4
	v_add_lshl_u32 v4, v4, v6, 2
	ds_bpermute_b32 v4, v4, v3
	v_cmp_gt_u32_e64 s[0:1], 48, v7
	s_waitcnt lgkmcnt(0)
	v_add_f32_e32 v3, v3, v4
	v_cndmask_b32_e64 v5, 0, 1, s[0:1]
	v_lshlrev_b32_e32 v5, 4, v5
	v_add_lshl_u32 v4, v5, v6, 2
	ds_bpermute_b32 v4, v4, v3
	v_cmp_gt_u32_e64 s[0:1], 56, v7
	s_waitcnt lgkmcnt(0)
	v_add_f32_e32 v4, v3, v4
	;; [unrolled: 7-line block ×4, first 2 shown]
	v_cndmask_b32_e64 v9, 0, 1, s[0:1]
	v_lshlrev_b32_e32 v9, 1, v9
	v_add_lshl_u32 v5, v9, v6, 2
	ds_bpermute_b32 v9, v5, v8
	v_cmp_ne_u32_e64 s[0:1], 63, v7
	s_waitcnt lgkmcnt(0)
	v_add_f32_e32 v7, v8, v9
	v_addc_co_u32_e64 v6, s[0:1], 0, v6, s[0:1]
	v_lshlrev_b32_e32 v6, 2, v6
	ds_bpermute_b32 v8, v6, v7
	v_cmp_eq_u32_e64 s[0:1], 0, v2
	s_and_saveexec_b64 s[4:5], s[0:1]
	s_cbranch_execz .LBB420_18
; %bb.17:
	v_lshrrev_b32_e32 v2, 4, v0
	v_and_b32_e32 v2, 60, v2
	s_waitcnt lgkmcnt(0)
	v_add_f32_e32 v7, v7, v8
	ds_write_b32 v2, v7
.LBB420_18:
	s_or_b64 exec, exec, s[4:5]
	v_cmp_gt_u32_e64 s[0:1], 16, v0
	v_mov_b32_e32 v2, 0
	s_waitcnt lgkmcnt(0)
	s_barrier
	s_and_saveexec_b64 s[4:5], s[0:1]
	s_cbranch_execz .LBB420_20
; %bb.19:
	ds_read_b32 v2, v1
	s_or_b64 exec, exec, s[4:5]
	s_and_saveexec_b64 s[0:1], vcc
	s_cbranch_execz .LBB420_22
	s_branch .LBB420_21
.LBB420_20:
	s_or_b64 exec, exec, s[4:5]
	s_and_saveexec_b64 s[0:1], vcc
	s_cbranch_execz .LBB420_22
.LBB420_21:
	s_waitcnt lgkmcnt(0)
	ds_bpermute_b32 v1, v3, v2
	s_waitcnt lgkmcnt(0)
	v_add_f32_e32 v1, v2, v1
	ds_bpermute_b32 v2, v4, v1
	s_waitcnt lgkmcnt(0)
	v_add_f32_e32 v1, v1, v2
	;; [unrolled: 3-line block ×4, first 2 shown]
.LBB420_22:
	s_or_b64 exec, exec, s[0:1]
	v_cmp_eq_u32_e32 vcc, 0, v0
                                        ; implicit-def: $vgpr1
                                        ; implicit-def: $sgpr14_sgpr15
	s_and_saveexec_b64 s[0:1], vcc
	s_cbranch_execz .LBB420_26
; %bb.23:
	v_cmp_eq_f32_e64 s[4:5], s22, 0
	s_mul_i32 s14, s2, s24
	s_waitcnt lgkmcnt(0)
	v_mul_f32_e32 v0, s23, v2
	s_ashr_i32 s15, s14, 31
	s_and_b64 vcc, exec, s[4:5]
	s_cbranch_vccnz .LBB420_25
; %bb.24:
	s_lshl_b64 s[2:3], s[14:15], 1
	s_add_u32 s2, s20, s2
	s_addc_u32 s3, s21, s3
	v_mov_b32_e32 v1, 0
	global_load_ushort v1, v1, s[2:3]
	s_waitcnt vmcnt(0)
	v_fma_mix_f32 v0, s22, v1, v0 op_sel_hi:[0,1,0]
.LBB420_25:
	v_cvt_f16_f32_e32 v1, v0
	s_or_b64 s[6:7], s[6:7], exec
.LBB420_26:
	s_or_b64 exec, exec, s[0:1]
.LBB420_27:
	s_and_saveexec_b64 s[0:1], s[6:7]
	s_cbranch_execz .LBB420_29
; %bb.28:
	s_lshl_b64 s[0:1], s[14:15], 1
	s_add_u32 s0, s20, s0
	s_addc_u32 s1, s21, s1
	v_mov_b32_e32 v0, 0
	global_store_short v0, v1, s[0:1]
.LBB420_29:
	s_endpgm
	.section	.rodata,"a",@progbits
	.p2align	6, 0x0
	.amdhsa_kernel _ZL32rocblas_gemvt_warp_reduce_kernelILb1ELi1024EiDF16_PKfDF16_EviiT3_lPKT2_lT1_lS5_lS6_lS2_lPT4_lS6_li
		.amdhsa_group_segment_fixed_size 256
		.amdhsa_private_segment_fixed_size 0
		.amdhsa_kernarg_size 140
		.amdhsa_user_sgpr_count 2
		.amdhsa_user_sgpr_dispatch_ptr 0
		.amdhsa_user_sgpr_queue_ptr 0
		.amdhsa_user_sgpr_kernarg_segment_ptr 1
		.amdhsa_user_sgpr_dispatch_id 0
		.amdhsa_user_sgpr_kernarg_preload_length 0
		.amdhsa_user_sgpr_kernarg_preload_offset 0
		.amdhsa_user_sgpr_private_segment_size 0
		.amdhsa_uses_dynamic_stack 0
		.amdhsa_enable_private_segment 0
		.amdhsa_system_sgpr_workgroup_id_x 1
		.amdhsa_system_sgpr_workgroup_id_y 0
		.amdhsa_system_sgpr_workgroup_id_z 1
		.amdhsa_system_sgpr_workgroup_info 0
		.amdhsa_system_vgpr_workitem_id 0
		.amdhsa_next_free_vgpr 12
		.amdhsa_next_free_sgpr 26
		.amdhsa_accum_offset 12
		.amdhsa_reserve_vcc 1
		.amdhsa_float_round_mode_32 0
		.amdhsa_float_round_mode_16_64 0
		.amdhsa_float_denorm_mode_32 3
		.amdhsa_float_denorm_mode_16_64 3
		.amdhsa_dx10_clamp 1
		.amdhsa_ieee_mode 1
		.amdhsa_fp16_overflow 0
		.amdhsa_tg_split 0
		.amdhsa_exception_fp_ieee_invalid_op 0
		.amdhsa_exception_fp_denorm_src 0
		.amdhsa_exception_fp_ieee_div_zero 0
		.amdhsa_exception_fp_ieee_overflow 0
		.amdhsa_exception_fp_ieee_underflow 0
		.amdhsa_exception_fp_ieee_inexact 0
		.amdhsa_exception_int_div_zero 0
	.end_amdhsa_kernel
	.section	.text._ZL32rocblas_gemvt_warp_reduce_kernelILb1ELi1024EiDF16_PKfDF16_EviiT3_lPKT2_lT1_lS5_lS6_lS2_lPT4_lS6_li,"axG",@progbits,_ZL32rocblas_gemvt_warp_reduce_kernelILb1ELi1024EiDF16_PKfDF16_EviiT3_lPKT2_lT1_lS5_lS6_lS2_lPT4_lS6_li,comdat
.Lfunc_end420:
	.size	_ZL32rocblas_gemvt_warp_reduce_kernelILb1ELi1024EiDF16_PKfDF16_EviiT3_lPKT2_lT1_lS5_lS6_lS2_lPT4_lS6_li, .Lfunc_end420-_ZL32rocblas_gemvt_warp_reduce_kernelILb1ELi1024EiDF16_PKfDF16_EviiT3_lPKT2_lT1_lS5_lS6_lS2_lPT4_lS6_li
                                        ; -- End function
	.section	.AMDGPU.csdata,"",@progbits
; Kernel info:
; codeLenInByte = 1396
; NumSgprs: 32
; NumVgprs: 12
; NumAgprs: 0
; TotalNumVgprs: 12
; ScratchSize: 0
; MemoryBound: 0
; FloatMode: 240
; IeeeMode: 1
; LDSByteSize: 256 bytes/workgroup (compile time only)
; SGPRBlocks: 3
; VGPRBlocks: 1
; NumSGPRsForWavesPerEU: 32
; NumVGPRsForWavesPerEU: 12
; AccumOffset: 12
; Occupancy: 8
; WaveLimiterHint : 1
; COMPUTE_PGM_RSRC2:SCRATCH_EN: 0
; COMPUTE_PGM_RSRC2:USER_SGPR: 2
; COMPUTE_PGM_RSRC2:TRAP_HANDLER: 0
; COMPUTE_PGM_RSRC2:TGID_X_EN: 1
; COMPUTE_PGM_RSRC2:TGID_Y_EN: 0
; COMPUTE_PGM_RSRC2:TGID_Z_EN: 1
; COMPUTE_PGM_RSRC2:TIDIG_COMP_CNT: 0
; COMPUTE_PGM_RSRC3_GFX90A:ACCUM_OFFSET: 2
; COMPUTE_PGM_RSRC3_GFX90A:TG_SPLIT: 0
	.section	.text._ZL32rocblas_gemvt_warp_reduce_kernelILb1ELi1024ElDF16_PKfDF16_EviiT3_lPKT2_lT1_lS5_lS6_lS2_lPT4_lS6_li,"axG",@progbits,_ZL32rocblas_gemvt_warp_reduce_kernelILb1ELi1024ElDF16_PKfDF16_EviiT3_lPKT2_lT1_lS5_lS6_lS2_lPT4_lS6_li,comdat
	.globl	_ZL32rocblas_gemvt_warp_reduce_kernelILb1ELi1024ElDF16_PKfDF16_EviiT3_lPKT2_lT1_lS5_lS6_lS2_lPT4_lS6_li ; -- Begin function _ZL32rocblas_gemvt_warp_reduce_kernelILb1ELi1024ElDF16_PKfDF16_EviiT3_lPKT2_lT1_lS5_lS6_lS2_lPT4_lS6_li
	.p2align	8
	.type	_ZL32rocblas_gemvt_warp_reduce_kernelILb1ELi1024ElDF16_PKfDF16_EviiT3_lPKT2_lT1_lS5_lS6_lS2_lPT4_lS6_li,@function
_ZL32rocblas_gemvt_warp_reduce_kernelILb1ELi1024ElDF16_PKfDF16_EviiT3_lPKT2_lT1_lS5_lS6_lS2_lPT4_lS6_li: ; @_ZL32rocblas_gemvt_warp_reduce_kernelILb1ELi1024ElDF16_PKfDF16_EviiT3_lPKT2_lT1_lS5_lS6_lS2_lPT4_lS6_li
; %bb.0:
	s_load_dwordx16 s[36:51], s[0:1], 0x8
	s_load_dwordx16 s[8:23], s[0:1], 0x48
	s_waitcnt lgkmcnt(0)
	s_mul_i32 s4, s3, s39
	s_mul_hi_u32 s5, s3, s38
	s_add_i32 s5, s5, s4
	s_mul_i32 s4, s3, s38
	s_lshl_b64 s[4:5], s[4:5], 2
	s_add_u32 s4, s36, s4
	s_addc_u32 s5, s37, s5
	s_load_dword s25, s[4:5], 0x0
	s_mul_i32 s4, s3, s15
	s_mul_hi_u32 s5, s3, s14
	s_add_i32 s5, s5, s4
	s_mul_i32 s4, s3, s14
	s_lshl_b64 s[4:5], s[4:5], 2
	s_add_u32 s4, s12, s4
	s_addc_u32 s5, s13, s5
	s_load_dword s24, s[4:5], 0x0
	s_waitcnt lgkmcnt(0)
	v_cmp_eq_f32_e64 s[4:5], s25, 0
	v_cmp_eq_f32_e64 s[6:7], s24, 1.0
	s_and_b64 s[4:5], s[4:5], s[6:7]
	s_and_b64 vcc, exec, s[4:5]
	s_cbranch_vccnz .LBB421_29
; %bb.1:
	s_mul_i32 s4, s3, s23
	s_mul_hi_u32 s5, s3, s22
	s_add_i32 s5, s5, s4
	s_mul_i32 s4, s3, s22
	s_lshl_b64 s[4:5], s[4:5], 1
	s_add_u32 s6, s16, s4
	s_addc_u32 s7, s17, s5
	s_lshl_b64 s[4:5], s[18:19], 1
	s_add_u32 s18, s6, s4
	s_addc_u32 s19, s7, s5
	v_cmp_neq_f32_e64 s[4:5], s25, 0
	s_and_b64 vcc, exec, s[4:5]
	v_cmp_eq_u32_e64 s[4:5], 0, v0
	s_cbranch_vccnz .LBB421_5
; %bb.2:
	s_mov_b64 s[14:15], 0
	s_mov_b64 s[6:7], 0
                                        ; implicit-def: $vgpr1
                                        ; implicit-def: $sgpr12_sgpr13
	s_and_saveexec_b64 s[16:17], s[4:5]
	s_cbranch_execz .LBB421_6
; %bb.3:
	s_ashr_i32 s6, s2, 31
	s_mul_i32 s7, s2, s21
	s_mul_hi_u32 s12, s2, s20
	v_cmp_eq_f32_e64 s[4:5], s24, 0
	s_add_i32 s7, s12, s7
	s_mul_i32 s6, s6, s20
	s_add_i32 s13, s7, s6
	s_mul_i32 s12, s2, s20
	s_and_b64 vcc, exec, s[4:5]
	s_cbranch_vccnz .LBB421_7
; %bb.4:
	s_lshl_b64 s[4:5], s[12:13], 1
	s_add_u32 s4, s18, s4
	s_addc_u32 s5, s19, s5
	v_mov_b32_e32 v1, 0
	global_load_ushort v1, v1, s[4:5]
	s_waitcnt vmcnt(0)
	v_fma_mixlo_f16 v1, s24, v1, 0 op_sel_hi:[0,1,0]
	s_mov_b64 s[6:7], exec
	s_or_b64 exec, exec, s[16:17]
	s_and_b64 vcc, exec, s[14:15]
	s_cbranch_vccz .LBB421_27
	s_branch .LBB421_8
.LBB421_5:
	s_mov_b64 s[6:7], 0
                                        ; implicit-def: $vgpr1
                                        ; implicit-def: $sgpr12_sgpr13
	s_cbranch_execnz .LBB421_8
	s_branch .LBB421_27
.LBB421_6:
	s_or_b64 exec, exec, s[16:17]
	s_and_b64 vcc, exec, s[14:15]
	s_cbranch_vccnz .LBB421_8
	s_branch .LBB421_27
.LBB421_7:
	v_mov_b32_e32 v1, 0
	s_mov_b64 s[6:7], exec
	s_or_b64 exec, exec, s[16:17]
	s_and_b64 vcc, exec, s[14:15]
	s_cbranch_vccz .LBB421_27
.LBB421_8:
	s_mul_i32 s4, s3, s11
	s_mul_hi_u32 s5, s3, s10
	s_add_i32 s5, s5, s4
	s_mul_i32 s4, s3, s10
	s_load_dword s1, s[0:1], 0x0
	s_mul_i32 s0, s3, s47
	s_mul_hi_u32 s10, s3, s46
	s_add_i32 s11, s10, s0
	s_mul_i32 s10, s3, s46
	s_lshl_b64 s[10:11], s[10:11], 1
	s_add_u32 s0, s40, s10
	s_addc_u32 s3, s41, s11
	s_lshl_b64 s[10:11], s[42:43], 1
	s_add_u32 s0, s0, s10
	s_addc_u32 s12, s3, s11
	s_ashr_i32 s3, s2, 31
	s_mul_i32 s10, s2, s45
	s_mul_hi_u32 s11, s2, s44
	s_add_i32 s10, s11, s10
	s_mul_i32 s11, s3, s44
	s_add_i32 s11, s10, s11
	s_mul_i32 s10, s2, s44
	s_lshl_b64 s[10:11], s[10:11], 1
	s_add_u32 s10, s10, s0
	s_addc_u32 s11, s11, s12
	s_waitcnt lgkmcnt(0)
	s_ashr_i32 s0, s1, 31
	v_cmp_gt_i32_e32 vcc, s1, v0
	s_lshr_b32 s0, s0, 22
	s_add_i32 s0, s1, s0
	v_cndmask_b32_e32 v1, 0, v0, vcc
	v_lshlrev_b32_e32 v2, 1, v1
	v_mov_b32_e32 v3, 0
	s_and_b32 s0, s0, 0xfffffc00
	v_lshl_add_u64 v[4:5], s[10:11], 0, v[2:3]
	v_cmp_gt_i32_e32 vcc, s0, v0
	s_and_saveexec_b64 s[10:11], vcc
	s_cbranch_execz .LBB421_12
; %bb.9:
	v_mad_u64_u32 v[2:3], s[14:15], s8, v0, 0
	v_mov_b32_e32 v6, v3
	v_mad_u64_u32 v[6:7], s[14:15], s9, v0, v[6:7]
	s_lshl_b64 s[12:13], s[4:5], 1
	s_lshl_b64 s[14:15], s[50:51], 1
	s_add_u32 s14, s48, s14
	s_addc_u32 s15, s49, s15
	s_add_u32 s12, s14, s12
	v_mov_b32_e32 v3, v6
	s_addc_u32 s13, s15, s13
	v_lshl_add_u64 v[6:7], v[2:3], 1, s[12:13]
	s_lshl_b64 s[14:15], s[8:9], 11
	s_mov_b64 s[12:13], 0
	v_mov_b32_e32 v3, 0
	s_mov_b64 s[16:17], 0x800
	v_mov_b64_e32 v[8:9], v[4:5]
	v_mov_b32_e32 v1, v0
.LBB421_10:                             ; =>This Inner Loop Header: Depth=1
	global_load_ushort v2, v[8:9], off
	global_load_ushort v10, v[6:7], off
	v_add_u32_e32 v1, 0x400, v1
	v_cmp_le_i32_e32 vcc, s0, v1
	v_lshl_add_u64 v[8:9], v[8:9], 0, s[16:17]
	v_lshl_add_u64 v[6:7], v[6:7], 0, s[14:15]
	s_or_b64 s[12:13], vcc, s[12:13]
	s_waitcnt vmcnt(0)
	v_mul_f16_e32 v2, v2, v10
	v_cvt_f32_f16_e32 v2, v2
	v_add_f32_e32 v3, v3, v2
	s_andn2_b64 exec, exec, s[12:13]
	s_cbranch_execnz .LBB421_10
; %bb.11:
	s_or_b64 exec, exec, s[12:13]
.LBB421_12:
	s_or_b64 exec, exec, s[10:11]
	v_or_b32_e32 v1, s0, v0
	v_cmp_gt_i32_e32 vcc, s1, v1
	s_and_saveexec_b64 s[10:11], vcc
	s_cbranch_execz .LBB421_14
; %bb.13:
	s_lshl_b64 s[4:5], s[4:5], 1
	s_add_u32 s1, s48, s4
	s_addc_u32 s12, s49, s5
	s_lshl_b64 s[4:5], s[50:51], 1
	s_add_u32 s4, s1, s4
	s_addc_u32 s5, s12, s5
	s_ashr_i32 s1, s0, 31
	v_lshl_add_u64 v[4:5], s[0:1], 1, v[4:5]
	global_load_ushort v2, v[4:5], off
	v_ashrrev_i32_e32 v4, 31, v1
	v_mul_lo_u32 v6, v1, s9
	v_mul_lo_u32 v7, v4, s8
	v_mad_u64_u32 v[4:5], s[0:1], v1, s8, 0
	v_add3_u32 v5, v5, v6, v7
	v_lshl_add_u64 v[4:5], v[4:5], 1, s[4:5]
	global_load_ushort v1, v[4:5], off
	s_waitcnt vmcnt(0)
	v_mul_f16_e32 v1, v2, v1
	v_cvt_f32_f16_e32 v1, v1
	v_add_f32_e32 v3, v3, v1
.LBB421_14:
	s_or_b64 exec, exec, s[10:11]
	v_and_b32_e32 v2, 63, v0
	v_cmp_gt_u32_e32 vcc, 64, v0
	v_lshlrev_b32_e32 v1, 2, v2
	s_and_saveexec_b64 s[0:1], vcc
	s_cbranch_execz .LBB421_16
; %bb.15:
	v_mov_b32_e32 v4, 0
	ds_write_b32 v1, v4
.LBB421_16:
	s_or_b64 exec, exec, s[0:1]
	v_mbcnt_lo_u32_b32 v4, -1, 0
	v_mbcnt_hi_u32_b32 v6, -1, v4
	v_and_b32_e32 v7, 63, v6
	v_cmp_gt_u32_e64 s[0:1], 32, v7
	s_waitcnt lgkmcnt(0)
	s_barrier
	v_cndmask_b32_e64 v4, 0, 1, s[0:1]
	v_lshlrev_b32_e32 v4, 5, v4
	v_add_lshl_u32 v4, v4, v6, 2
	ds_bpermute_b32 v4, v4, v3
	v_cmp_gt_u32_e64 s[0:1], 48, v7
	s_waitcnt lgkmcnt(0)
	v_add_f32_e32 v3, v3, v4
	v_cndmask_b32_e64 v5, 0, 1, s[0:1]
	v_lshlrev_b32_e32 v5, 4, v5
	v_add_lshl_u32 v4, v5, v6, 2
	ds_bpermute_b32 v4, v4, v3
	v_cmp_gt_u32_e64 s[0:1], 56, v7
	s_waitcnt lgkmcnt(0)
	v_add_f32_e32 v4, v3, v4
	;; [unrolled: 7-line block ×4, first 2 shown]
	v_cndmask_b32_e64 v9, 0, 1, s[0:1]
	v_lshlrev_b32_e32 v9, 1, v9
	v_add_lshl_u32 v5, v9, v6, 2
	ds_bpermute_b32 v9, v5, v8
	v_cmp_ne_u32_e64 s[0:1], 63, v7
	s_waitcnt lgkmcnt(0)
	v_add_f32_e32 v7, v8, v9
	v_addc_co_u32_e64 v6, s[0:1], 0, v6, s[0:1]
	v_lshlrev_b32_e32 v6, 2, v6
	ds_bpermute_b32 v8, v6, v7
	v_cmp_eq_u32_e64 s[0:1], 0, v2
	s_and_saveexec_b64 s[4:5], s[0:1]
	s_cbranch_execz .LBB421_18
; %bb.17:
	v_lshrrev_b32_e32 v2, 4, v0
	v_and_b32_e32 v2, 60, v2
	s_waitcnt lgkmcnt(0)
	v_add_f32_e32 v7, v7, v8
	ds_write_b32 v2, v7
.LBB421_18:
	s_or_b64 exec, exec, s[4:5]
	v_cmp_gt_u32_e64 s[0:1], 16, v0
	v_mov_b32_e32 v2, 0
	s_waitcnt lgkmcnt(0)
	s_barrier
	s_and_saveexec_b64 s[4:5], s[0:1]
	s_cbranch_execz .LBB421_20
; %bb.19:
	ds_read_b32 v2, v1
	s_or_b64 exec, exec, s[4:5]
	s_and_saveexec_b64 s[0:1], vcc
	s_cbranch_execz .LBB421_22
	s_branch .LBB421_21
.LBB421_20:
	s_or_b64 exec, exec, s[4:5]
	s_and_saveexec_b64 s[0:1], vcc
	s_cbranch_execz .LBB421_22
.LBB421_21:
	s_waitcnt lgkmcnt(0)
	ds_bpermute_b32 v1, v3, v2
	s_waitcnt lgkmcnt(0)
	v_add_f32_e32 v1, v2, v1
	ds_bpermute_b32 v2, v4, v1
	s_waitcnt lgkmcnt(0)
	v_add_f32_e32 v1, v1, v2
	ds_bpermute_b32 v2, v5, v1
	s_waitcnt lgkmcnt(0)
	v_add_f32_e32 v1, v1, v2
	ds_bpermute_b32 v2, v6, v1
	s_waitcnt lgkmcnt(0)
	v_add_f32_e32 v2, v1, v2
.LBB421_22:
	s_or_b64 exec, exec, s[0:1]
	v_cmp_eq_u32_e32 vcc, 0, v0
                                        ; implicit-def: $vgpr1
                                        ; implicit-def: $sgpr12_sgpr13
	s_and_saveexec_b64 s[0:1], vcc
	s_cbranch_execz .LBB421_26
; %bb.23:
	s_mul_i32 s8, s2, s21
	s_mul_hi_u32 s9, s2, s20
	v_cmp_eq_f32_e64 s[4:5], s24, 0
	s_add_i32 s8, s9, s8
	s_mul_i32 s3, s3, s20
	s_waitcnt lgkmcnt(0)
	v_mul_f32_e32 v0, s25, v2
	s_add_i32 s13, s8, s3
	s_mul_i32 s12, s2, s20
	s_and_b64 vcc, exec, s[4:5]
	s_cbranch_vccnz .LBB421_25
; %bb.24:
	s_lshl_b64 s[2:3], s[12:13], 1
	s_add_u32 s2, s18, s2
	s_addc_u32 s3, s19, s3
	v_mov_b32_e32 v1, 0
	global_load_ushort v1, v1, s[2:3]
	s_waitcnt vmcnt(0)
	v_fma_mix_f32 v0, s24, v1, v0 op_sel_hi:[0,1,0]
.LBB421_25:
	v_cvt_f16_f32_e32 v1, v0
	s_or_b64 s[6:7], s[6:7], exec
.LBB421_26:
	s_or_b64 exec, exec, s[0:1]
.LBB421_27:
	s_and_saveexec_b64 s[0:1], s[6:7]
	s_cbranch_execz .LBB421_29
; %bb.28:
	s_lshl_b64 s[0:1], s[12:13], 1
	s_add_u32 s0, s18, s0
	s_addc_u32 s1, s19, s1
	v_mov_b32_e32 v0, 0
	global_store_short v0, v1, s[0:1]
.LBB421_29:
	s_endpgm
	.section	.rodata,"a",@progbits
	.p2align	6, 0x0
	.amdhsa_kernel _ZL32rocblas_gemvt_warp_reduce_kernelILb1ELi1024ElDF16_PKfDF16_EviiT3_lPKT2_lT1_lS5_lS6_lS2_lPT4_lS6_li
		.amdhsa_group_segment_fixed_size 256
		.amdhsa_private_segment_fixed_size 0
		.amdhsa_kernarg_size 140
		.amdhsa_user_sgpr_count 2
		.amdhsa_user_sgpr_dispatch_ptr 0
		.amdhsa_user_sgpr_queue_ptr 0
		.amdhsa_user_sgpr_kernarg_segment_ptr 1
		.amdhsa_user_sgpr_dispatch_id 0
		.amdhsa_user_sgpr_kernarg_preload_length 0
		.amdhsa_user_sgpr_kernarg_preload_offset 0
		.amdhsa_user_sgpr_private_segment_size 0
		.amdhsa_uses_dynamic_stack 0
		.amdhsa_enable_private_segment 0
		.amdhsa_system_sgpr_workgroup_id_x 1
		.amdhsa_system_sgpr_workgroup_id_y 0
		.amdhsa_system_sgpr_workgroup_id_z 1
		.amdhsa_system_sgpr_workgroup_info 0
		.amdhsa_system_vgpr_workitem_id 0
		.amdhsa_next_free_vgpr 11
		.amdhsa_next_free_sgpr 52
		.amdhsa_accum_offset 12
		.amdhsa_reserve_vcc 1
		.amdhsa_float_round_mode_32 0
		.amdhsa_float_round_mode_16_64 0
		.amdhsa_float_denorm_mode_32 3
		.amdhsa_float_denorm_mode_16_64 3
		.amdhsa_dx10_clamp 1
		.amdhsa_ieee_mode 1
		.amdhsa_fp16_overflow 0
		.amdhsa_tg_split 0
		.amdhsa_exception_fp_ieee_invalid_op 0
		.amdhsa_exception_fp_denorm_src 0
		.amdhsa_exception_fp_ieee_div_zero 0
		.amdhsa_exception_fp_ieee_overflow 0
		.amdhsa_exception_fp_ieee_underflow 0
		.amdhsa_exception_fp_ieee_inexact 0
		.amdhsa_exception_int_div_zero 0
	.end_amdhsa_kernel
	.section	.text._ZL32rocblas_gemvt_warp_reduce_kernelILb1ELi1024ElDF16_PKfDF16_EviiT3_lPKT2_lT1_lS5_lS6_lS2_lPT4_lS6_li,"axG",@progbits,_ZL32rocblas_gemvt_warp_reduce_kernelILb1ELi1024ElDF16_PKfDF16_EviiT3_lPKT2_lT1_lS5_lS6_lS2_lPT4_lS6_li,comdat
.Lfunc_end421:
	.size	_ZL32rocblas_gemvt_warp_reduce_kernelILb1ELi1024ElDF16_PKfDF16_EviiT3_lPKT2_lT1_lS5_lS6_lS2_lPT4_lS6_li, .Lfunc_end421-_ZL32rocblas_gemvt_warp_reduce_kernelILb1ELi1024ElDF16_PKfDF16_EviiT3_lPKT2_lT1_lS5_lS6_lS2_lPT4_lS6_li
                                        ; -- End function
	.section	.AMDGPU.csdata,"",@progbits
; Kernel info:
; codeLenInByte = 1448
; NumSgprs: 58
; NumVgprs: 11
; NumAgprs: 0
; TotalNumVgprs: 11
; ScratchSize: 0
; MemoryBound: 0
; FloatMode: 240
; IeeeMode: 1
; LDSByteSize: 256 bytes/workgroup (compile time only)
; SGPRBlocks: 7
; VGPRBlocks: 1
; NumSGPRsForWavesPerEU: 58
; NumVGPRsForWavesPerEU: 11
; AccumOffset: 12
; Occupancy: 8
; WaveLimiterHint : 0
; COMPUTE_PGM_RSRC2:SCRATCH_EN: 0
; COMPUTE_PGM_RSRC2:USER_SGPR: 2
; COMPUTE_PGM_RSRC2:TRAP_HANDLER: 0
; COMPUTE_PGM_RSRC2:TGID_X_EN: 1
; COMPUTE_PGM_RSRC2:TGID_Y_EN: 0
; COMPUTE_PGM_RSRC2:TGID_Z_EN: 1
; COMPUTE_PGM_RSRC2:TIDIG_COMP_CNT: 0
; COMPUTE_PGM_RSRC3_GFX90A:ACCUM_OFFSET: 2
; COMPUTE_PGM_RSRC3_GFX90A:TG_SPLIT: 0
	.section	.text._ZL32rocblas_gemvt_warp_reduce_kernelILb1ELi1024EiDF16_fDF16_EviiT3_lPKT2_lT1_lS3_lS4_lS0_lPT4_lS4_li,"axG",@progbits,_ZL32rocblas_gemvt_warp_reduce_kernelILb1ELi1024EiDF16_fDF16_EviiT3_lPKT2_lT1_lS3_lS4_lS0_lPT4_lS4_li,comdat
	.globl	_ZL32rocblas_gemvt_warp_reduce_kernelILb1ELi1024EiDF16_fDF16_EviiT3_lPKT2_lT1_lS3_lS4_lS0_lPT4_lS4_li ; -- Begin function _ZL32rocblas_gemvt_warp_reduce_kernelILb1ELi1024EiDF16_fDF16_EviiT3_lPKT2_lT1_lS3_lS4_lS0_lPT4_lS4_li
	.p2align	8
	.type	_ZL32rocblas_gemvt_warp_reduce_kernelILb1ELi1024EiDF16_fDF16_EviiT3_lPKT2_lT1_lS3_lS4_lS0_lPT4_lS4_li,@function
_ZL32rocblas_gemvt_warp_reduce_kernelILb1ELi1024EiDF16_fDF16_EviiT3_lPKT2_lT1_lS3_lS4_lS0_lPT4_lS4_li: ; @_ZL32rocblas_gemvt_warp_reduce_kernelILb1ELi1024EiDF16_fDF16_EviiT3_lPKT2_lT1_lS3_lS4_lS0_lPT4_lS4_li
; %bb.0:
	s_load_dword s17, s[0:1], 0x8
	s_load_dword s16, s[0:1], 0x58
	s_waitcnt lgkmcnt(0)
	v_cmp_eq_f32_e64 s[4:5], s17, 0
	v_cmp_eq_f32_e64 s[6:7], s16, 1.0
	s_and_b64 s[4:5], s[4:5], s[6:7]
	s_and_b64 vcc, exec, s[4:5]
	s_cbranch_vccnz .LBB422_29
; %bb.1:
	s_load_dwordx2 s[8:9], s[0:1], 0x80
	s_load_dwordx4 s[4:7], s[0:1], 0x68
	s_load_dword s18, s[0:1], 0x78
	s_waitcnt lgkmcnt(0)
	s_mul_i32 s9, s3, s9
	s_mul_hi_u32 s10, s3, s8
	s_mul_i32 s8, s3, s8
	s_add_i32 s9, s10, s9
	s_lshl_b64 s[8:9], s[8:9], 1
	s_add_u32 s8, s4, s8
	s_addc_u32 s9, s5, s9
	s_lshl_b64 s[4:5], s[6:7], 1
	s_add_u32 s14, s8, s4
	s_addc_u32 s15, s9, s5
	v_cmp_neq_f32_e64 s[4:5], s17, 0
	s_and_b64 vcc, exec, s[4:5]
	v_cmp_eq_u32_e64 s[4:5], 0, v0
	s_cbranch_vccnz .LBB422_5
; %bb.2:
	s_mov_b64 s[10:11], 0
	s_mov_b64 s[6:7], 0
                                        ; implicit-def: $vgpr1
                                        ; implicit-def: $sgpr8_sgpr9
	s_and_saveexec_b64 s[12:13], s[4:5]
	s_cbranch_execz .LBB422_6
; %bb.3:
	v_cmp_eq_f32_e64 s[4:5], s16, 0
	s_mul_i32 s8, s2, s18
	s_ashr_i32 s9, s8, 31
	s_and_b64 vcc, exec, s[4:5]
	s_cbranch_vccnz .LBB422_7
; %bb.4:
	s_lshl_b64 s[4:5], s[8:9], 1
	s_add_u32 s4, s14, s4
	s_addc_u32 s5, s15, s5
	v_mov_b32_e32 v1, 0
	global_load_ushort v1, v1, s[4:5]
	s_waitcnt vmcnt(0)
	v_fma_mixlo_f16 v1, v1, s16, 0 op_sel_hi:[1,0,0]
	s_mov_b64 s[6:7], exec
	s_or_b64 exec, exec, s[12:13]
	s_and_b64 vcc, exec, s[10:11]
	s_cbranch_vccz .LBB422_27
	s_branch .LBB422_8
.LBB422_5:
	s_mov_b64 s[6:7], 0
                                        ; implicit-def: $vgpr1
                                        ; implicit-def: $sgpr8_sgpr9
	s_cbranch_execnz .LBB422_8
	s_branch .LBB422_27
.LBB422_6:
	s_or_b64 exec, exec, s[12:13]
	s_and_b64 vcc, exec, s[10:11]
	s_cbranch_vccnz .LBB422_8
	s_branch .LBB422_27
.LBB422_7:
	v_mov_b32_e32 v1, 0
	s_mov_b64 s[6:7], exec
	s_or_b64 exec, exec, s[12:13]
	s_and_b64 vcc, exec, s[10:11]
	s_cbranch_vccz .LBB422_27
.LBB422_8:
	s_load_dwordx2 s[12:13], s[0:1], 0x50
	s_load_dword s5, s[0:1], 0x0
	s_load_dwordx4 s[8:11], s[0:1], 0x18
	s_load_dword s4, s[0:1], 0x28
	s_load_dwordx4 s[20:23], s[0:1], 0x30
	s_load_dwordx2 s[24:25], s[0:1], 0x40
	s_load_dword s19, s[0:1], 0x48
	s_waitcnt lgkmcnt(0)
	s_mul_i32 s0, s3, s13
	s_mul_hi_u32 s1, s3, s12
	s_add_i32 s1, s1, s0
	s_mul_i32 s0, s3, s12
	s_lshl_b64 s[0:1], s[0:1], 1
	s_add_u32 s12, s22, s0
	s_addc_u32 s13, s23, s1
	s_lshl_b64 s[0:1], s[24:25], 1
	s_add_u32 s0, s12, s0
	s_addc_u32 s1, s13, s1
	s_mul_i32 s12, s3, s21
	s_mul_hi_u32 s13, s3, s20
	s_add_i32 s13, s13, s12
	s_mul_i32 s12, s3, s20
	s_lshl_b64 s[12:13], s[12:13], 1
	s_add_u32 s3, s8, s12
	s_addc_u32 s12, s9, s13
	s_lshl_b64 s[8:9], s[10:11], 1
	s_add_u32 s3, s3, s8
	s_mul_i32 s8, s2, s4
	s_addc_u32 s10, s12, s9
	s_ashr_i32 s9, s8, 31
	s_lshl_b64 s[8:9], s[8:9], 1
	s_add_u32 s8, s8, s3
	s_addc_u32 s9, s9, s10
	s_ashr_i32 s3, s5, 31
	v_cmp_gt_i32_e32 vcc, s5, v0
	s_lshr_b32 s3, s3, 22
	s_add_i32 s3, s5, s3
	v_cndmask_b32_e32 v1, 0, v0, vcc
	v_lshlrev_b32_e32 v2, 1, v1
	v_mov_b32_e32 v3, 0
	s_and_b32 s4, s3, 0xfffffc00
	v_lshl_add_u64 v[4:5], s[8:9], 0, v[2:3]
	v_cmp_gt_i32_e32 vcc, s4, v0
	s_and_saveexec_b64 s[8:9], vcc
	s_cbranch_execz .LBB422_12
; %bb.9:
	v_mul_lo_u32 v6, v0, s19
	s_lshl_b32 s3, s19, 10
	s_mov_b64 s[10:11], 0
	v_mov_b32_e32 v3, 0
	s_mov_b64 s[12:13], 0x800
	v_mov_b64_e32 v[8:9], v[4:5]
	v_mov_b32_e32 v1, v0
.LBB422_10:                             ; =>This Inner Loop Header: Depth=1
	v_ashrrev_i32_e32 v7, 31, v6
	v_lshl_add_u64 v[10:11], v[6:7], 1, s[0:1]
	global_load_ushort v2, v[8:9], off
	global_load_ushort v7, v[10:11], off
	v_add_u32_e32 v1, 0x400, v1
	v_cmp_le_i32_e32 vcc, s4, v1
	v_lshl_add_u64 v[8:9], v[8:9], 0, s[12:13]
	v_add_u32_e32 v6, s3, v6
	s_or_b64 s[10:11], vcc, s[10:11]
	s_waitcnt vmcnt(0)
	v_mul_f16_e32 v2, v2, v7
	v_cvt_f32_f16_e32 v2, v2
	v_add_f32_e32 v3, v3, v2
	s_andn2_b64 exec, exec, s[10:11]
	s_cbranch_execnz .LBB422_10
; %bb.11:
	s_or_b64 exec, exec, s[10:11]
.LBB422_12:
	s_or_b64 exec, exec, s[8:9]
	v_or_b32_e32 v1, s4, v0
	v_cmp_gt_i32_e32 vcc, s5, v1
	s_and_saveexec_b64 s[8:9], vcc
	s_cbranch_execz .LBB422_14
; %bb.13:
	s_ashr_i32 s5, s4, 31
	v_lshl_add_u64 v[4:5], s[4:5], 1, v[4:5]
	global_load_ushort v2, v[4:5], off
	v_mul_lo_u32 v4, v1, s19
	v_ashrrev_i32_e32 v5, 31, v4
	v_lshl_add_u64 v[4:5], v[4:5], 1, s[0:1]
	global_load_ushort v1, v[4:5], off
	s_waitcnt vmcnt(0)
	v_mul_f16_e32 v1, v2, v1
	v_cvt_f32_f16_e32 v1, v1
	v_add_f32_e32 v3, v3, v1
.LBB422_14:
	s_or_b64 exec, exec, s[8:9]
	v_and_b32_e32 v2, 63, v0
	v_cmp_gt_u32_e32 vcc, 64, v0
	v_lshlrev_b32_e32 v1, 2, v2
	s_and_saveexec_b64 s[0:1], vcc
	s_cbranch_execz .LBB422_16
; %bb.15:
	v_mov_b32_e32 v4, 0
	ds_write_b32 v1, v4
.LBB422_16:
	s_or_b64 exec, exec, s[0:1]
	v_mbcnt_lo_u32_b32 v4, -1, 0
	v_mbcnt_hi_u32_b32 v6, -1, v4
	v_and_b32_e32 v7, 63, v6
	v_cmp_gt_u32_e64 s[0:1], 32, v7
	s_waitcnt lgkmcnt(0)
	s_barrier
	v_cndmask_b32_e64 v4, 0, 1, s[0:1]
	v_lshlrev_b32_e32 v4, 5, v4
	v_add_lshl_u32 v4, v4, v6, 2
	ds_bpermute_b32 v4, v4, v3
	v_cmp_gt_u32_e64 s[0:1], 48, v7
	s_waitcnt lgkmcnt(0)
	v_add_f32_e32 v3, v3, v4
	v_cndmask_b32_e64 v5, 0, 1, s[0:1]
	v_lshlrev_b32_e32 v5, 4, v5
	v_add_lshl_u32 v4, v5, v6, 2
	ds_bpermute_b32 v4, v4, v3
	v_cmp_gt_u32_e64 s[0:1], 56, v7
	s_waitcnt lgkmcnt(0)
	v_add_f32_e32 v4, v3, v4
	;; [unrolled: 7-line block ×4, first 2 shown]
	v_cndmask_b32_e64 v9, 0, 1, s[0:1]
	v_lshlrev_b32_e32 v9, 1, v9
	v_add_lshl_u32 v5, v9, v6, 2
	ds_bpermute_b32 v9, v5, v8
	v_cmp_ne_u32_e64 s[0:1], 63, v7
	s_waitcnt lgkmcnt(0)
	v_add_f32_e32 v7, v8, v9
	v_addc_co_u32_e64 v6, s[0:1], 0, v6, s[0:1]
	v_lshlrev_b32_e32 v6, 2, v6
	ds_bpermute_b32 v8, v6, v7
	v_cmp_eq_u32_e64 s[0:1], 0, v2
	s_and_saveexec_b64 s[4:5], s[0:1]
	s_cbranch_execz .LBB422_18
; %bb.17:
	v_lshrrev_b32_e32 v2, 4, v0
	v_and_b32_e32 v2, 60, v2
	s_waitcnt lgkmcnt(0)
	v_add_f32_e32 v7, v7, v8
	ds_write_b32 v2, v7
.LBB422_18:
	s_or_b64 exec, exec, s[4:5]
	v_cmp_gt_u32_e64 s[0:1], 16, v0
	v_mov_b32_e32 v2, 0
	s_waitcnt lgkmcnt(0)
	s_barrier
	s_and_saveexec_b64 s[4:5], s[0:1]
	s_cbranch_execz .LBB422_20
; %bb.19:
	ds_read_b32 v2, v1
	s_or_b64 exec, exec, s[4:5]
	s_and_saveexec_b64 s[0:1], vcc
	s_cbranch_execz .LBB422_22
	s_branch .LBB422_21
.LBB422_20:
	s_or_b64 exec, exec, s[4:5]
	s_and_saveexec_b64 s[0:1], vcc
	s_cbranch_execz .LBB422_22
.LBB422_21:
	s_waitcnt lgkmcnt(0)
	ds_bpermute_b32 v1, v3, v2
	s_waitcnt lgkmcnt(0)
	v_add_f32_e32 v1, v2, v1
	ds_bpermute_b32 v2, v4, v1
	s_waitcnt lgkmcnt(0)
	v_add_f32_e32 v1, v1, v2
	;; [unrolled: 3-line block ×4, first 2 shown]
.LBB422_22:
	s_or_b64 exec, exec, s[0:1]
	v_cmp_eq_u32_e32 vcc, 0, v0
                                        ; implicit-def: $vgpr1
                                        ; implicit-def: $sgpr8_sgpr9
	s_and_saveexec_b64 s[0:1], vcc
	s_cbranch_execz .LBB422_26
; %bb.23:
	v_cmp_eq_f32_e64 s[4:5], s16, 0
	s_mul_i32 s8, s2, s18
	s_waitcnt lgkmcnt(0)
	v_mul_f32_e32 v0, s17, v2
	s_ashr_i32 s9, s8, 31
	s_and_b64 vcc, exec, s[4:5]
	s_cbranch_vccnz .LBB422_25
; %bb.24:
	s_lshl_b64 s[2:3], s[8:9], 1
	s_add_u32 s2, s14, s2
	s_addc_u32 s3, s15, s3
	v_mov_b32_e32 v1, 0
	global_load_ushort v1, v1, s[2:3]
	s_waitcnt vmcnt(0)
	v_fma_mix_f32 v0, v1, s16, v0 op_sel_hi:[1,0,0]
.LBB422_25:
	s_nop 0
	v_cvt_f16_f32_e32 v1, v0
	s_or_b64 s[6:7], s[6:7], exec
.LBB422_26:
	s_or_b64 exec, exec, s[0:1]
.LBB422_27:
	s_and_saveexec_b64 s[0:1], s[6:7]
	s_cbranch_execz .LBB422_29
; %bb.28:
	s_lshl_b64 s[0:1], s[8:9], 1
	s_add_u32 s0, s14, s0
	s_addc_u32 s1, s15, s1
	v_mov_b32_e32 v0, 0
	global_store_short v0, v1, s[0:1]
.LBB422_29:
	s_endpgm
	.section	.rodata,"a",@progbits
	.p2align	6, 0x0
	.amdhsa_kernel _ZL32rocblas_gemvt_warp_reduce_kernelILb1ELi1024EiDF16_fDF16_EviiT3_lPKT2_lT1_lS3_lS4_lS0_lPT4_lS4_li
		.amdhsa_group_segment_fixed_size 256
		.amdhsa_private_segment_fixed_size 0
		.amdhsa_kernarg_size 140
		.amdhsa_user_sgpr_count 2
		.amdhsa_user_sgpr_dispatch_ptr 0
		.amdhsa_user_sgpr_queue_ptr 0
		.amdhsa_user_sgpr_kernarg_segment_ptr 1
		.amdhsa_user_sgpr_dispatch_id 0
		.amdhsa_user_sgpr_kernarg_preload_length 0
		.amdhsa_user_sgpr_kernarg_preload_offset 0
		.amdhsa_user_sgpr_private_segment_size 0
		.amdhsa_uses_dynamic_stack 0
		.amdhsa_enable_private_segment 0
		.amdhsa_system_sgpr_workgroup_id_x 1
		.amdhsa_system_sgpr_workgroup_id_y 0
		.amdhsa_system_sgpr_workgroup_id_z 1
		.amdhsa_system_sgpr_workgroup_info 0
		.amdhsa_system_vgpr_workitem_id 0
		.amdhsa_next_free_vgpr 12
		.amdhsa_next_free_sgpr 26
		.amdhsa_accum_offset 12
		.amdhsa_reserve_vcc 1
		.amdhsa_float_round_mode_32 0
		.amdhsa_float_round_mode_16_64 0
		.amdhsa_float_denorm_mode_32 3
		.amdhsa_float_denorm_mode_16_64 3
		.amdhsa_dx10_clamp 1
		.amdhsa_ieee_mode 1
		.amdhsa_fp16_overflow 0
		.amdhsa_tg_split 0
		.amdhsa_exception_fp_ieee_invalid_op 0
		.amdhsa_exception_fp_denorm_src 0
		.amdhsa_exception_fp_ieee_div_zero 0
		.amdhsa_exception_fp_ieee_overflow 0
		.amdhsa_exception_fp_ieee_underflow 0
		.amdhsa_exception_fp_ieee_inexact 0
		.amdhsa_exception_int_div_zero 0
	.end_amdhsa_kernel
	.section	.text._ZL32rocblas_gemvt_warp_reduce_kernelILb1ELi1024EiDF16_fDF16_EviiT3_lPKT2_lT1_lS3_lS4_lS0_lPT4_lS4_li,"axG",@progbits,_ZL32rocblas_gemvt_warp_reduce_kernelILb1ELi1024EiDF16_fDF16_EviiT3_lPKT2_lT1_lS3_lS4_lS0_lPT4_lS4_li,comdat
.Lfunc_end422:
	.size	_ZL32rocblas_gemvt_warp_reduce_kernelILb1ELi1024EiDF16_fDF16_EviiT3_lPKT2_lT1_lS3_lS4_lS0_lPT4_lS4_li, .Lfunc_end422-_ZL32rocblas_gemvt_warp_reduce_kernelILb1ELi1024EiDF16_fDF16_EviiT3_lPKT2_lT1_lS3_lS4_lS0_lPT4_lS4_li
                                        ; -- End function
	.section	.AMDGPU.csdata,"",@progbits
; Kernel info:
; codeLenInByte = 1332
; NumSgprs: 32
; NumVgprs: 12
; NumAgprs: 0
; TotalNumVgprs: 12
; ScratchSize: 0
; MemoryBound: 0
; FloatMode: 240
; IeeeMode: 1
; LDSByteSize: 256 bytes/workgroup (compile time only)
; SGPRBlocks: 3
; VGPRBlocks: 1
; NumSGPRsForWavesPerEU: 32
; NumVGPRsForWavesPerEU: 12
; AccumOffset: 12
; Occupancy: 8
; WaveLimiterHint : 1
; COMPUTE_PGM_RSRC2:SCRATCH_EN: 0
; COMPUTE_PGM_RSRC2:USER_SGPR: 2
; COMPUTE_PGM_RSRC2:TRAP_HANDLER: 0
; COMPUTE_PGM_RSRC2:TGID_X_EN: 1
; COMPUTE_PGM_RSRC2:TGID_Y_EN: 0
; COMPUTE_PGM_RSRC2:TGID_Z_EN: 1
; COMPUTE_PGM_RSRC2:TIDIG_COMP_CNT: 0
; COMPUTE_PGM_RSRC3_GFX90A:ACCUM_OFFSET: 2
; COMPUTE_PGM_RSRC3_GFX90A:TG_SPLIT: 0
	.section	.text._ZL32rocblas_gemvt_warp_reduce_kernelILb1ELi1024ElDF16_fDF16_EviiT3_lPKT2_lT1_lS3_lS4_lS0_lPT4_lS4_li,"axG",@progbits,_ZL32rocblas_gemvt_warp_reduce_kernelILb1ELi1024ElDF16_fDF16_EviiT3_lPKT2_lT1_lS3_lS4_lS0_lPT4_lS4_li,comdat
	.globl	_ZL32rocblas_gemvt_warp_reduce_kernelILb1ELi1024ElDF16_fDF16_EviiT3_lPKT2_lT1_lS3_lS4_lS0_lPT4_lS4_li ; -- Begin function _ZL32rocblas_gemvt_warp_reduce_kernelILb1ELi1024ElDF16_fDF16_EviiT3_lPKT2_lT1_lS3_lS4_lS0_lPT4_lS4_li
	.p2align	8
	.type	_ZL32rocblas_gemvt_warp_reduce_kernelILb1ELi1024ElDF16_fDF16_EviiT3_lPKT2_lT1_lS3_lS4_lS0_lPT4_lS4_li,@function
_ZL32rocblas_gemvt_warp_reduce_kernelILb1ELi1024ElDF16_fDF16_EviiT3_lPKT2_lT1_lS3_lS4_lS0_lPT4_lS4_li: ; @_ZL32rocblas_gemvt_warp_reduce_kernelILb1ELi1024ElDF16_fDF16_EviiT3_lPKT2_lT1_lS3_lS4_lS0_lPT4_lS4_li
; %bb.0:
	s_load_dword s27, s[0:1], 0x8
	s_load_dword s26, s[0:1], 0x58
	s_waitcnt lgkmcnt(0)
	v_cmp_eq_f32_e64 s[4:5], s27, 0
	v_cmp_eq_f32_e64 s[6:7], s26, 1.0
	s_and_b64 s[4:5], s[4:5], s[6:7]
	s_and_b64 vcc, exec, s[4:5]
	s_cbranch_vccnz .LBB423_29
; %bb.1:
	s_load_dwordx8 s[16:23], s[0:1], 0x68
	v_cmp_neq_f32_e64 s[4:5], s27, 0
	s_waitcnt lgkmcnt(0)
	s_mul_i32 s7, s3, s23
	s_mul_hi_u32 s8, s3, s22
	s_mul_i32 s6, s3, s22
	s_add_i32 s7, s8, s7
	s_lshl_b64 s[6:7], s[6:7], 1
	s_add_u32 s8, s16, s6
	s_addc_u32 s9, s17, s7
	s_lshl_b64 s[6:7], s[18:19], 1
	s_add_u32 s24, s8, s6
	s_addc_u32 s25, s9, s7
	s_and_b64 vcc, exec, s[4:5]
	v_cmp_eq_u32_e64 s[4:5], 0, v0
	s_cbranch_vccnz .LBB423_5
; %bb.2:
	s_mov_b64 s[8:9], 0
	s_mov_b64 s[22:23], 0
                                        ; implicit-def: $vgpr1
                                        ; implicit-def: $sgpr6_sgpr7
	s_and_saveexec_b64 s[10:11], s[4:5]
	s_cbranch_execz .LBB423_6
; %bb.3:
	s_ashr_i32 s6, s2, 31
	s_mul_i32 s7, s2, s21
	s_mul_hi_u32 s12, s2, s20
	v_cmp_eq_f32_e64 s[4:5], s26, 0
	s_add_i32 s7, s12, s7
	s_mul_i32 s6, s6, s20
	s_add_i32 s7, s7, s6
	s_mul_i32 s6, s2, s20
	s_and_b64 vcc, exec, s[4:5]
	s_cbranch_vccnz .LBB423_7
; %bb.4:
	s_lshl_b64 s[4:5], s[6:7], 1
	s_add_u32 s4, s24, s4
	s_addc_u32 s5, s25, s5
	v_mov_b32_e32 v1, 0
	global_load_ushort v1, v1, s[4:5]
	s_waitcnt vmcnt(0)
	v_fma_mixlo_f16 v1, v1, s26, 0 op_sel_hi:[1,0,0]
	s_mov_b64 s[22:23], exec
	s_or_b64 exec, exec, s[10:11]
	s_and_b64 vcc, exec, s[8:9]
	s_cbranch_vccz .LBB423_27
	s_branch .LBB423_8
.LBB423_5:
	s_mov_b64 s[22:23], 0
                                        ; implicit-def: $vgpr1
                                        ; implicit-def: $sgpr6_sgpr7
	s_cbranch_execnz .LBB423_8
	s_branch .LBB423_27
.LBB423_6:
	s_or_b64 exec, exec, s[10:11]
	s_and_b64 vcc, exec, s[8:9]
	s_cbranch_vccnz .LBB423_8
	s_branch .LBB423_27
.LBB423_7:
	v_mov_b32_e32 v1, 0
	s_mov_b64 s[22:23], exec
	s_or_b64 exec, exec, s[10:11]
	s_and_b64 vcc, exec, s[8:9]
	s_cbranch_vccz .LBB423_27
.LBB423_8:
	s_load_dwordx16 s[4:19], s[0:1], 0x18
	s_load_dword s28, s[0:1], 0x0
	v_mov_b32_e32 v3, 0
	s_waitcnt lgkmcnt(0)
	s_mul_i32 s1, s3, s19
	s_mul_hi_u32 s19, s3, s18
	s_mul_i32 s0, s3, s18
	s_mul_i32 s11, s3, s11
	s_mul_hi_u32 s18, s3, s10
	s_add_i32 s11, s18, s11
	s_mul_i32 s10, s3, s10
	s_add_i32 s1, s19, s1
	s_lshl_b64 s[10:11], s[10:11], 1
	s_add_u32 s3, s4, s10
	s_addc_u32 s10, s5, s11
	s_lshl_b64 s[4:5], s[6:7], 1
	s_add_u32 s6, s3, s4
	s_addc_u32 s7, s10, s5
	s_ashr_i32 s3, s2, 31
	s_mul_i32 s4, s2, s9
	s_mul_hi_u32 s5, s2, s8
	s_add_i32 s4, s5, s4
	s_mul_i32 s5, s3, s8
	s_add_i32 s5, s4, s5
	s_mul_i32 s4, s2, s8
	v_cmp_gt_i32_e32 vcc, s28, v0
	s_lshl_b64 s[4:5], s[4:5], 1
	s_add_u32 s4, s4, s6
	v_cndmask_b32_e32 v1, 0, v0, vcc
	v_lshlrev_b32_e32 v2, 1, v1
	s_addc_u32 s5, s5, s7
	v_lshl_add_u64 v[4:5], s[4:5], 0, v[2:3]
	s_ashr_i32 s4, s28, 31
	s_lshr_b32 s4, s4, 22
	s_add_i32 s4, s28, s4
	s_and_b32 s4, s4, 0xfffffc00
	v_cmp_gt_i32_e32 vcc, s4, v0
	s_and_saveexec_b64 s[6:7], vcc
	s_cbranch_execz .LBB423_12
; %bb.9:
	v_mad_u64_u32 v[2:3], s[10:11], s16, v0, 0
	v_mov_b32_e32 v6, v3
	v_mad_u64_u32 v[6:7], s[10:11], s17, v0, v[6:7]
	s_lshl_b64 s[8:9], s[0:1], 1
	s_lshl_b64 s[10:11], s[14:15], 1
	s_add_u32 s5, s12, s10
	s_addc_u32 s10, s13, s11
	s_add_u32 s8, s5, s8
	v_mov_b32_e32 v3, v6
	s_addc_u32 s9, s10, s9
	v_lshl_add_u64 v[6:7], v[2:3], 1, s[8:9]
	s_lshl_b64 s[10:11], s[16:17], 11
	s_mov_b64 s[8:9], 0
	v_mov_b32_e32 v3, 0
	s_mov_b64 s[18:19], 0x800
	v_mov_b64_e32 v[8:9], v[4:5]
	v_mov_b32_e32 v1, v0
.LBB423_10:                             ; =>This Inner Loop Header: Depth=1
	global_load_ushort v2, v[8:9], off
	global_load_ushort v10, v[6:7], off
	v_add_u32_e32 v1, 0x400, v1
	v_cmp_le_i32_e32 vcc, s4, v1
	v_lshl_add_u64 v[8:9], v[8:9], 0, s[18:19]
	v_lshl_add_u64 v[6:7], v[6:7], 0, s[10:11]
	s_or_b64 s[8:9], vcc, s[8:9]
	s_waitcnt vmcnt(0)
	v_mul_f16_e32 v2, v2, v10
	v_cvt_f32_f16_e32 v2, v2
	v_add_f32_e32 v3, v3, v2
	s_andn2_b64 exec, exec, s[8:9]
	s_cbranch_execnz .LBB423_10
; %bb.11:
	s_or_b64 exec, exec, s[8:9]
.LBB423_12:
	s_or_b64 exec, exec, s[6:7]
	v_or_b32_e32 v1, s4, v0
	v_cmp_gt_i32_e32 vcc, s28, v1
	s_and_saveexec_b64 s[6:7], vcc
	s_cbranch_execz .LBB423_14
; %bb.13:
	s_lshl_b64 s[0:1], s[0:1], 1
	s_add_u32 s5, s12, s0
	s_addc_u32 s8, s13, s1
	s_lshl_b64 s[0:1], s[14:15], 1
	s_add_u32 s0, s5, s0
	s_addc_u32 s1, s8, s1
	s_ashr_i32 s5, s4, 31
	v_lshl_add_u64 v[4:5], s[4:5], 1, v[4:5]
	global_load_ushort v2, v[4:5], off
	v_ashrrev_i32_e32 v4, 31, v1
	v_mul_lo_u32 v6, v1, s17
	v_mul_lo_u32 v7, v4, s16
	v_mad_u64_u32 v[4:5], s[4:5], v1, s16, 0
	v_add3_u32 v5, v5, v6, v7
	v_lshl_add_u64 v[4:5], v[4:5], 1, s[0:1]
	global_load_ushort v1, v[4:5], off
	s_waitcnt vmcnt(0)
	v_mul_f16_e32 v1, v2, v1
	v_cvt_f32_f16_e32 v1, v1
	v_add_f32_e32 v3, v3, v1
.LBB423_14:
	s_or_b64 exec, exec, s[6:7]
	v_and_b32_e32 v2, 63, v0
	v_cmp_gt_u32_e32 vcc, 64, v0
	v_lshlrev_b32_e32 v1, 2, v2
	s_and_saveexec_b64 s[0:1], vcc
	s_cbranch_execz .LBB423_16
; %bb.15:
	v_mov_b32_e32 v4, 0
	ds_write_b32 v1, v4
.LBB423_16:
	s_or_b64 exec, exec, s[0:1]
	v_mbcnt_lo_u32_b32 v4, -1, 0
	v_mbcnt_hi_u32_b32 v6, -1, v4
	v_and_b32_e32 v7, 63, v6
	v_cmp_gt_u32_e64 s[0:1], 32, v7
	s_waitcnt lgkmcnt(0)
	s_barrier
	v_cndmask_b32_e64 v4, 0, 1, s[0:1]
	v_lshlrev_b32_e32 v4, 5, v4
	v_add_lshl_u32 v4, v4, v6, 2
	ds_bpermute_b32 v4, v4, v3
	v_cmp_gt_u32_e64 s[0:1], 48, v7
	s_waitcnt lgkmcnt(0)
	v_add_f32_e32 v3, v3, v4
	v_cndmask_b32_e64 v5, 0, 1, s[0:1]
	v_lshlrev_b32_e32 v5, 4, v5
	v_add_lshl_u32 v4, v5, v6, 2
	ds_bpermute_b32 v4, v4, v3
	v_cmp_gt_u32_e64 s[0:1], 56, v7
	s_waitcnt lgkmcnt(0)
	v_add_f32_e32 v4, v3, v4
	;; [unrolled: 7-line block ×4, first 2 shown]
	v_cndmask_b32_e64 v9, 0, 1, s[0:1]
	v_lshlrev_b32_e32 v9, 1, v9
	v_add_lshl_u32 v5, v9, v6, 2
	ds_bpermute_b32 v9, v5, v8
	v_cmp_ne_u32_e64 s[0:1], 63, v7
	s_waitcnt lgkmcnt(0)
	v_add_f32_e32 v7, v8, v9
	v_addc_co_u32_e64 v6, s[0:1], 0, v6, s[0:1]
	v_lshlrev_b32_e32 v6, 2, v6
	ds_bpermute_b32 v8, v6, v7
	v_cmp_eq_u32_e64 s[0:1], 0, v2
	s_and_saveexec_b64 s[4:5], s[0:1]
	s_cbranch_execz .LBB423_18
; %bb.17:
	v_lshrrev_b32_e32 v2, 4, v0
	v_and_b32_e32 v2, 60, v2
	s_waitcnt lgkmcnt(0)
	v_add_f32_e32 v7, v7, v8
	ds_write_b32 v2, v7
.LBB423_18:
	s_or_b64 exec, exec, s[4:5]
	v_cmp_gt_u32_e64 s[0:1], 16, v0
	v_mov_b32_e32 v2, 0
	s_waitcnt lgkmcnt(0)
	s_barrier
	s_and_saveexec_b64 s[4:5], s[0:1]
	s_cbranch_execz .LBB423_20
; %bb.19:
	ds_read_b32 v2, v1
	s_or_b64 exec, exec, s[4:5]
	s_and_saveexec_b64 s[0:1], vcc
	s_cbranch_execz .LBB423_22
	s_branch .LBB423_21
.LBB423_20:
	s_or_b64 exec, exec, s[4:5]
	s_and_saveexec_b64 s[0:1], vcc
	s_cbranch_execz .LBB423_22
.LBB423_21:
	s_waitcnt lgkmcnt(0)
	ds_bpermute_b32 v1, v3, v2
	s_waitcnt lgkmcnt(0)
	v_add_f32_e32 v1, v2, v1
	ds_bpermute_b32 v2, v4, v1
	s_waitcnt lgkmcnt(0)
	v_add_f32_e32 v1, v1, v2
	;; [unrolled: 3-line block ×4, first 2 shown]
.LBB423_22:
	s_or_b64 exec, exec, s[0:1]
	v_cmp_eq_u32_e32 vcc, 0, v0
                                        ; implicit-def: $vgpr1
                                        ; implicit-def: $sgpr6_sgpr7
	s_and_saveexec_b64 s[0:1], vcc
	s_cbranch_execz .LBB423_26
; %bb.23:
	s_mul_i32 s6, s2, s21
	s_mul_hi_u32 s7, s2, s20
	v_cmp_eq_f32_e64 s[4:5], s26, 0
	s_add_i32 s6, s7, s6
	s_mul_i32 s3, s3, s20
	s_waitcnt lgkmcnt(0)
	v_mul_f32_e32 v0, s27, v2
	s_add_i32 s7, s6, s3
	s_mul_i32 s6, s2, s20
	s_and_b64 vcc, exec, s[4:5]
	s_cbranch_vccnz .LBB423_25
; %bb.24:
	s_lshl_b64 s[2:3], s[6:7], 1
	s_add_u32 s2, s24, s2
	s_addc_u32 s3, s25, s3
	v_mov_b32_e32 v1, 0
	global_load_ushort v1, v1, s[2:3]
	s_waitcnt vmcnt(0)
	v_fma_mix_f32 v0, v1, s26, v0 op_sel_hi:[1,0,0]
.LBB423_25:
	s_nop 0
	v_cvt_f16_f32_e32 v1, v0
	s_or_b64 s[22:23], s[22:23], exec
.LBB423_26:
	s_or_b64 exec, exec, s[0:1]
.LBB423_27:
	s_and_saveexec_b64 s[0:1], s[22:23]
	s_cbranch_execz .LBB423_29
; %bb.28:
	s_lshl_b64 s[0:1], s[6:7], 1
	s_add_u32 s0, s24, s0
	s_addc_u32 s1, s25, s1
	v_mov_b32_e32 v0, 0
	global_store_short v0, v1, s[0:1]
.LBB423_29:
	s_endpgm
	.section	.rodata,"a",@progbits
	.p2align	6, 0x0
	.amdhsa_kernel _ZL32rocblas_gemvt_warp_reduce_kernelILb1ELi1024ElDF16_fDF16_EviiT3_lPKT2_lT1_lS3_lS4_lS0_lPT4_lS4_li
		.amdhsa_group_segment_fixed_size 256
		.amdhsa_private_segment_fixed_size 0
		.amdhsa_kernarg_size 140
		.amdhsa_user_sgpr_count 2
		.amdhsa_user_sgpr_dispatch_ptr 0
		.amdhsa_user_sgpr_queue_ptr 0
		.amdhsa_user_sgpr_kernarg_segment_ptr 1
		.amdhsa_user_sgpr_dispatch_id 0
		.amdhsa_user_sgpr_kernarg_preload_length 0
		.amdhsa_user_sgpr_kernarg_preload_offset 0
		.amdhsa_user_sgpr_private_segment_size 0
		.amdhsa_uses_dynamic_stack 0
		.amdhsa_enable_private_segment 0
		.amdhsa_system_sgpr_workgroup_id_x 1
		.amdhsa_system_sgpr_workgroup_id_y 0
		.amdhsa_system_sgpr_workgroup_id_z 1
		.amdhsa_system_sgpr_workgroup_info 0
		.amdhsa_system_vgpr_workitem_id 0
		.amdhsa_next_free_vgpr 11
		.amdhsa_next_free_sgpr 29
		.amdhsa_accum_offset 12
		.amdhsa_reserve_vcc 1
		.amdhsa_float_round_mode_32 0
		.amdhsa_float_round_mode_16_64 0
		.amdhsa_float_denorm_mode_32 3
		.amdhsa_float_denorm_mode_16_64 3
		.amdhsa_dx10_clamp 1
		.amdhsa_ieee_mode 1
		.amdhsa_fp16_overflow 0
		.amdhsa_tg_split 0
		.amdhsa_exception_fp_ieee_invalid_op 0
		.amdhsa_exception_fp_denorm_src 0
		.amdhsa_exception_fp_ieee_div_zero 0
		.amdhsa_exception_fp_ieee_overflow 0
		.amdhsa_exception_fp_ieee_underflow 0
		.amdhsa_exception_fp_ieee_inexact 0
		.amdhsa_exception_int_div_zero 0
	.end_amdhsa_kernel
	.section	.text._ZL32rocblas_gemvt_warp_reduce_kernelILb1ELi1024ElDF16_fDF16_EviiT3_lPKT2_lT1_lS3_lS4_lS0_lPT4_lS4_li,"axG",@progbits,_ZL32rocblas_gemvt_warp_reduce_kernelILb1ELi1024ElDF16_fDF16_EviiT3_lPKT2_lT1_lS3_lS4_lS0_lPT4_lS4_li,comdat
.Lfunc_end423:
	.size	_ZL32rocblas_gemvt_warp_reduce_kernelILb1ELi1024ElDF16_fDF16_EviiT3_lPKT2_lT1_lS3_lS4_lS0_lPT4_lS4_li, .Lfunc_end423-_ZL32rocblas_gemvt_warp_reduce_kernelILb1ELi1024ElDF16_fDF16_EviiT3_lPKT2_lT1_lS3_lS4_lS0_lPT4_lS4_li
                                        ; -- End function
	.section	.AMDGPU.csdata,"",@progbits
; Kernel info:
; codeLenInByte = 1396
; NumSgprs: 35
; NumVgprs: 11
; NumAgprs: 0
; TotalNumVgprs: 11
; ScratchSize: 0
; MemoryBound: 0
; FloatMode: 240
; IeeeMode: 1
; LDSByteSize: 256 bytes/workgroup (compile time only)
; SGPRBlocks: 4
; VGPRBlocks: 1
; NumSGPRsForWavesPerEU: 35
; NumVGPRsForWavesPerEU: 11
; AccumOffset: 12
; Occupancy: 8
; WaveLimiterHint : 1
; COMPUTE_PGM_RSRC2:SCRATCH_EN: 0
; COMPUTE_PGM_RSRC2:USER_SGPR: 2
; COMPUTE_PGM_RSRC2:TRAP_HANDLER: 0
; COMPUTE_PGM_RSRC2:TGID_X_EN: 1
; COMPUTE_PGM_RSRC2:TGID_Y_EN: 0
; COMPUTE_PGM_RSRC2:TGID_Z_EN: 1
; COMPUTE_PGM_RSRC2:TIDIG_COMP_CNT: 0
; COMPUTE_PGM_RSRC3_GFX90A:ACCUM_OFFSET: 2
; COMPUTE_PGM_RSRC3_GFX90A:TG_SPLIT: 0
	.section	.text._ZL34rocblas_gemvn_sm_mn_batched_kernelILi32ELi24EPKDF16_PKfKPDF16_EviiT2_lPKT1_lilS9_lilS6_lPT3_lili,"axG",@progbits,_ZL34rocblas_gemvn_sm_mn_batched_kernelILi32ELi24EPKDF16_PKfKPDF16_EviiT2_lPKT1_lilS9_lilS6_lPT3_lili,comdat
	.globl	_ZL34rocblas_gemvn_sm_mn_batched_kernelILi32ELi24EPKDF16_PKfKPDF16_EviiT2_lPKT1_lilS9_lilS6_lPT3_lili ; -- Begin function _ZL34rocblas_gemvn_sm_mn_batched_kernelILi32ELi24EPKDF16_PKfKPDF16_EviiT2_lPKT1_lilS9_lilS6_lPT3_lili
	.p2align	8
	.type	_ZL34rocblas_gemvn_sm_mn_batched_kernelILi32ELi24EPKDF16_PKfKPDF16_EviiT2_lPKT1_lilS9_lilS6_lPT3_lili,@function
_ZL34rocblas_gemvn_sm_mn_batched_kernelILi32ELi24EPKDF16_PKfKPDF16_EviiT2_lPKT1_lilS9_lilS6_lPT3_lili: ; @_ZL34rocblas_gemvn_sm_mn_batched_kernelILi32ELi24EPKDF16_PKfKPDF16_EviiT2_lPKT1_lilS9_lilS6_lPT3_lili
; %bb.0:
	s_load_dword s3, s[0:1], 0x9c
	s_load_dword s4, s[0:1], 0x88
	v_bfe_u32 v1, v0, 10, 10
	s_waitcnt lgkmcnt(0)
	s_lshr_b32 s3, s3, 16
	s_mul_i32 s2, s2, s3
	v_add_u32_e32 v2, s2, v1
	v_cmp_gt_i32_e32 vcc, s4, v2
	s_and_saveexec_b64 s[2:3], vcc
	s_cbranch_execz .LBB424_121
; %bb.1:
	s_load_dwordx8 s[12:19], s[0:1], 0x8
	s_load_dwordx8 s[4:11], s[0:1], 0x58
	s_waitcnt lgkmcnt(0)
	v_mad_u64_u32 v[8:9], s[2:3], v2, s14, 0
	v_mov_b32_e32 v10, v9
	v_mad_u64_u32 v[10:11], s[2:3], v2, s15, v[10:11]
	v_mov_b32_e32 v4, s12
	v_mov_b32_e32 v5, s13
	v_mov_b32_e32 v9, v10
	v_lshl_add_u64 v[4:5], v[8:9], 2, v[4:5]
	global_load_dword v11, v[4:5], off
	v_mad_u64_u32 v[4:5], s[2:3], v2, s6, 0
	v_mov_b32_e32 v8, v5
	v_mad_u64_u32 v[8:9], s[2:3], v2, s7, v[8:9]
	v_mov_b32_e32 v6, s4
	v_mov_b32_e32 v7, s5
	;; [unrolled: 1-line block ×3, first 2 shown]
	v_lshl_add_u64 v[4:5], v[4:5], 2, v[6:7]
	global_load_dword v10, v[4:5], off
	s_waitcnt vmcnt(1)
	v_cmp_neq_f32_e32 vcc, 0, v11
	s_waitcnt vmcnt(0)
	v_cmp_neq_f32_e64 s[2:3], 1.0, v10
	s_or_b64 s[2:3], vcc, s[2:3]
	s_and_b64 exec, exec, s[2:3]
	s_cbranch_execz .LBB424_121
; %bb.2:
	v_mov_b64_e32 v[6:7], 0
	v_mov_b32_e32 v3, 0
	v_cmp_eq_f32_e32 vcc, 0, v11
	v_cmp_neq_f32_e64 s[2:3], 0, v11
	v_mov_b64_e32 v[4:5], v[6:7]
	s_and_saveexec_b64 s[4:5], s[2:3]
	s_cbranch_execz .LBB424_4
; %bb.3:
	v_mov_b32_e32 v4, s16
	v_mov_b32_e32 v5, s17
	v_lshl_add_u64 v[4:5], v[2:3], 3, v[4:5]
	global_load_dwordx2 v[4:5], v[4:5], off
	s_waitcnt vmcnt(0)
	v_lshl_add_u64 v[4:5], s[18:19], 1, v[4:5]
.LBB424_4:
	s_or_b64 exec, exec, s[4:5]
	s_and_saveexec_b64 s[4:5], s[2:3]
	s_cbranch_execz .LBB424_6
; %bb.5:
	s_load_dwordx4 s[12:15], s[0:1], 0x38
	s_waitcnt lgkmcnt(0)
	v_mov_b32_e32 v6, s12
	v_mov_b32_e32 v7, s13
	v_lshl_add_u64 v[6:7], v[2:3], 3, v[6:7]
	global_load_dwordx2 v[6:7], v[6:7], off
	s_waitcnt vmcnt(0)
	v_lshl_add_u64 v[6:7], s[14:15], 1, v[6:7]
.LBB424_6:
	s_or_b64 exec, exec, s[4:5]
	v_mov_b32_e32 v8, s8
	v_mov_b32_e32 v9, s9
	v_lshl_add_u64 v[2:3], v[2:3], 3, v[8:9]
	global_load_dwordx2 v[2:3], v[2:3], off
	s_load_dwordx2 s[4:5], s[0:1], 0x0
	s_load_dword s33, s[0:1], 0x78
	v_and_b32_e32 v8, 0x3ff, v0
	s_waitcnt vmcnt(0)
	v_lshl_add_u64 v[2:3], s[10:11], 1, v[2:3]
	s_and_saveexec_b64 s[2:3], vcc
	s_xor_b64 s[6:7], exec, s[2:3]
	s_cbranch_execz .LBB424_16
; %bb.7:
	v_cmp_eq_f32_e64 s[2:3], 0, v10
	s_waitcnt lgkmcnt(0)
	v_cmp_gt_i32_e32 vcc, s4, v8
	s_and_saveexec_b64 s[8:9], s[2:3]
	s_xor_b64 s[2:3], exec, s[8:9]
	s_cbranch_execz .LBB424_11
; %bb.8:
	s_and_saveexec_b64 s[8:9], vcc
	s_cbranch_execz .LBB424_10
; %bb.9:
	v_mad_i64_i32 v[0:1], s[10:11], s33, v8, 0
	v_lshl_add_u64 v[0:1], v[0:1], 1, v[2:3]
	v_mov_b32_e32 v2, 0
	global_store_short v[0:1], v2, off
.LBB424_10:
	s_or_b64 exec, exec, s[8:9]
                                        ; implicit-def: $vgpr8
                                        ; implicit-def: $vgpr2_vgpr3
                                        ; implicit-def: $vgpr10
.LBB424_11:
	s_andn2_saveexec_b64 s[2:3], s[2:3]
	s_cbranch_execz .LBB424_15
; %bb.12:
	s_and_saveexec_b64 s[8:9], vcc
	s_cbranch_execz .LBB424_14
; %bb.13:
	v_mad_i64_i32 v[0:1], s[10:11], s33, v8, 0
	v_lshl_add_u64 v[0:1], v[0:1], 1, v[2:3]
	global_load_ushort v2, v[0:1], off
	s_waitcnt vmcnt(0)
	v_fma_mixlo_f16 v2, v10, v2, 0 op_sel_hi:[0,1,0]
	global_store_short v[0:1], v2, off
.LBB424_14:
	s_or_b64 exec, exec, s[8:9]
.LBB424_15:
	s_or_b64 exec, exec, s[2:3]
                                        ; implicit-def: $vgpr8
                                        ; implicit-def: $vgpr2_vgpr3
                                        ; implicit-def: $vgpr1
                                        ; implicit-def: $vgpr6_vgpr7
                                        ; implicit-def: $vgpr11
                                        ; implicit-def: $vgpr4_vgpr5
                                        ; implicit-def: $vgpr10
.LBB424_16:
	s_andn2_saveexec_b64 s[2:3], s[6:7]
	s_cbranch_execz .LBB424_121
; %bb.17:
	v_lshlrev_b32_e32 v9, 7, v1
	s_waitcnt lgkmcnt(0)
	v_cmp_gt_i32_e32 vcc, s5, v8
	s_and_saveexec_b64 s[2:3], vcc
	s_cbranch_execz .LBB424_19
; %bb.18:
	s_load_dword s6, s[0:1], 0x48
	s_waitcnt lgkmcnt(0)
	v_mad_i64_i32 v[0:1], s[6:7], s6, v8, 0
	v_lshl_add_u64 v[0:1], v[0:1], 1, v[6:7]
	flat_load_ushort v0, v[0:1]
	v_lshl_add_u32 v1, v8, 2, v9
	s_waitcnt vmcnt(0) lgkmcnt(0)
	v_cvt_f32_f16_e32 v0, v0
	v_mul_f32_e32 v0, v11, v0
	ds_write_b32 v1, v0
.LBB424_19:
	s_or_b64 exec, exec, s[2:3]
	v_cmp_gt_i32_e32 vcc, s4, v8
	s_waitcnt lgkmcnt(0)
	s_barrier
	s_and_saveexec_b64 s[2:3], vcc
	s_cbranch_execz .LBB424_121
; %bb.20:
	v_cmp_neq_f32_e32 vcc, 0, v10
	v_mov_b32_e32 v1, 0
	v_mov_b32_e32 v6, 0
	s_and_saveexec_b64 s[2:3], vcc
	s_cbranch_execz .LBB424_22
; %bb.21:
	v_mad_i64_i32 v[6:7], s[6:7], s33, v8, 0
	v_lshl_add_u64 v[6:7], v[6:7], 1, v[2:3]
	global_load_ushort v0, v[6:7], off
	s_waitcnt vmcnt(0)
	v_cvt_f32_f16_e32 v0, v0
	v_mul_f32_e32 v6, v10, v0
.LBB424_22:
	s_or_b64 exec, exec, s[2:3]
	v_lshlrev_b32_e32 v0, 1, v8
	s_cmp_gt_i32 s5, 0
	s_cselect_b64 s[2:3], -1, 0
	s_cmp_lt_i32 s5, 1
	v_lshl_add_u64 v[4:5], v[4:5], 0, v[0:1]
	s_cbranch_scc1 .LBB424_24
; %bb.23:
	flat_load_ushort v0, v[4:5]
	s_waitcnt vmcnt(0) lgkmcnt(0)
	v_cvt_f32_f16_e32 v1, v0
.LBB424_24:
	s_load_dword s36, s[0:1], 0x28
	v_mov_b32_e32 v0, 0
	v_mov_b32_e32 v15, 0
	s_waitcnt lgkmcnt(0)
	s_ashr_i32 s37, s36, 31
	s_cmp_gt_i32 s5, 1
	s_cselect_b64 s[0:1], -1, 0
	s_cmp_lt_i32 s5, 2
	s_cbranch_scc1 .LBB424_26
; %bb.25:
	v_lshl_add_u64 v[10:11], s[36:37], 1, v[4:5]
	flat_load_ushort v7, v[10:11]
	s_waitcnt vmcnt(0) lgkmcnt(0)
	v_cvt_f32_f16_e32 v15, v7
.LBB424_26:
	s_cmp_gt_i32 s5, 2
	s_cselect_b64 s[6:7], -1, 0
	s_cmp_lt_i32 s5, 3
	s_cbranch_scc1 .LBB424_28
; %bb.27:
	v_lshl_add_u64 v[10:11], s[36:37], 2, v[4:5]
	flat_load_ushort v0, v[10:11]
	s_waitcnt vmcnt(0) lgkmcnt(0)
	v_cvt_f32_f16_e32 v0, v0
.LBB424_28:
	s_cmp_gt_i32 s5, 3
	s_cselect_b64 s[8:9], -1, 0
	s_cmp_lt_i32 s5, 4
	v_mov_b32_e32 v7, 0
	v_mov_b32_e32 v16, 0
	s_cbranch_scc1 .LBB424_30
; %bb.29:
	v_mad_i64_i32 v[10:11], s[10:11], s36, 6, v[4:5]
	flat_load_ushort v10, v[10:11]
	s_waitcnt vmcnt(0) lgkmcnt(0)
	v_cvt_f32_f16_e32 v16, v10
.LBB424_30:
	s_cmp_gt_i32 s5, 4
	s_cselect_b64 s[10:11], -1, 0
	s_cmp_lt_i32 s5, 5
	s_cbranch_scc1 .LBB424_32
; %bb.31:
	v_lshl_add_u64 v[10:11], s[36:37], 3, v[4:5]
	flat_load_ushort v7, v[10:11]
	s_waitcnt vmcnt(0) lgkmcnt(0)
	v_cvt_f32_f16_e32 v7, v7
.LBB424_32:
	s_cmp_gt_i32 s5, 5
	s_cselect_b64 s[12:13], -1, 0
	s_cmp_lt_i32 s5, 6
	v_mov_b32_e32 v10, 0
	v_mov_b32_e32 v18, 0
	s_cbranch_scc1 .LBB424_34
; %bb.33:
	v_mad_i64_i32 v[12:13], s[14:15], s36, 10, v[4:5]
	flat_load_ushort v11, v[12:13]
	s_waitcnt vmcnt(0) lgkmcnt(0)
	v_cvt_f32_f16_e32 v18, v11
.LBB424_34:
	s_cmp_gt_i32 s5, 6
	s_cselect_b64 s[14:15], -1, 0
	s_cmp_lt_i32 s5, 7
	s_cbranch_scc1 .LBB424_36
; %bb.35:
	v_mad_i64_i32 v[10:11], s[16:17], s36, 12, v[4:5]
	flat_load_ushort v10, v[10:11]
	s_waitcnt vmcnt(0) lgkmcnt(0)
	v_cvt_f32_f16_e32 v10, v10
.LBB424_36:
	s_cmp_gt_i32 s5, 7
	s_cselect_b64 s[16:17], -1, 0
	s_cmp_lt_i32 s5, 8
	v_mov_b32_e32 v11, 0
	v_mov_b32_e32 v20, 0
	s_cbranch_scc1 .LBB424_38
; %bb.37:
	v_mad_i64_i32 v[12:13], s[18:19], s36, 14, v[4:5]
	flat_load_ushort v12, v[12:13]
	s_waitcnt vmcnt(0) lgkmcnt(0)
	v_cvt_f32_f16_e32 v20, v12
.LBB424_38:
	s_cmp_gt_i32 s5, 8
	s_cselect_b64 s[18:19], -1, 0
	s_cmp_lt_i32 s5, 9
	s_cbranch_scc1 .LBB424_40
; %bb.39:
	v_lshl_add_u64 v[12:13], s[36:37], 4, v[4:5]
	flat_load_ushort v11, v[12:13]
	s_waitcnt vmcnt(0) lgkmcnt(0)
	v_cvt_f32_f16_e32 v11, v11
.LBB424_40:
	s_cmp_gt_i32 s5, 9
	s_cselect_b64 s[20:21], -1, 0
	s_cmp_lt_i32 s5, 10
	v_mov_b32_e32 v12, 0
	v_mov_b32_e32 v22, 0
	s_cbranch_scc1 .LBB424_42
; %bb.41:
	v_mad_i64_i32 v[22:23], s[22:23], s36, 18, v[4:5]
	flat_load_ushort v13, v[22:23]
	s_waitcnt vmcnt(0) lgkmcnt(0)
	v_cvt_f32_f16_e32 v22, v13
.LBB424_42:
	s_cmp_gt_i32 s5, 10
	s_cselect_b64 s[22:23], -1, 0
	s_cmp_lt_i32 s5, 11
	s_cbranch_scc1 .LBB424_44
; %bb.43:
	v_mad_i64_i32 v[12:13], s[24:25], s36, 20, v[4:5]
	flat_load_ushort v12, v[12:13]
	s_waitcnt vmcnt(0) lgkmcnt(0)
	v_cvt_f32_f16_e32 v12, v12
.LBB424_44:
	s_cmp_gt_i32 s5, 11
	s_cselect_b64 s[24:25], -1, 0
	s_cmp_lt_i32 s5, 12
	v_mov_b32_e32 v13, 0
	v_mov_b32_e32 v24, 0
	s_cbranch_scc1 .LBB424_46
; %bb.45:
	v_mad_i64_i32 v[24:25], s[26:27], s36, 22, v[4:5]
	flat_load_ushort v14, v[24:25]
	s_waitcnt vmcnt(0) lgkmcnt(0)
	v_cvt_f32_f16_e32 v24, v14
.LBB424_46:
	s_cmp_gt_i32 s5, 12
	s_cselect_b64 s[26:27], -1, 0
	s_cmp_lt_i32 s5, 13
	s_cbranch_scc1 .LBB424_48
; %bb.47:
	v_mad_i64_i32 v[26:27], s[28:29], s36, 24, v[4:5]
	flat_load_ushort v13, v[26:27]
	s_waitcnt vmcnt(0) lgkmcnt(0)
	v_cvt_f32_f16_e32 v13, v13
.LBB424_48:
	;; [unrolled: 22-line block ×3, first 2 shown]
	s_cmp_gt_i32 s5, 15
	s_cselect_b64 s[34:35], -1, 0
	s_cmp_lt_i32 s5, 16
	v_mov_b32_e32 v17, 0
	v_mov_b32_e32 v28, 0
	s_cbranch_scc1 .LBB424_54
; %bb.53:
	v_mad_i64_i32 v[28:29], s[38:39], s36, 30, v[4:5]
	flat_load_ushort v19, v[28:29]
	s_waitcnt vmcnt(0) lgkmcnt(0)
	v_cvt_f32_f16_e32 v28, v19
.LBB424_54:
	s_cmp_gt_i32 s5, 16
	s_cselect_b64 s[38:39], -1, 0
	s_cmp_lt_i32 s5, 17
	s_cbranch_scc1 .LBB424_56
; %bb.55:
	s_lshl_b64 s[40:41], s[36:37], 5
	v_lshl_add_u64 v[30:31], v[4:5], 0, s[40:41]
	flat_load_ushort v17, v[30:31]
	s_waitcnt vmcnt(0) lgkmcnt(0)
	v_cvt_f32_f16_e32 v17, v17
.LBB424_56:
	s_cmp_gt_i32 s5, 17
	s_cselect_b64 s[40:41], -1, 0
	s_cmp_lt_i32 s5, 18
	v_mov_b32_e32 v19, 0
	v_mov_b32_e32 v31, 0
	s_cbranch_scc1 .LBB424_58
; %bb.57:
	v_mad_i64_i32 v[30:31], s[42:43], s36, 34, v[4:5]
	flat_load_ushort v21, v[30:31]
	s_waitcnt vmcnt(0) lgkmcnt(0)
	v_cvt_f32_f16_e32 v31, v21
.LBB424_58:
	s_cmp_gt_i32 s5, 18
	s_cselect_b64 s[42:43], -1, 0
	s_cmp_lt_i32 s5, 19
	s_cbranch_scc1 .LBB424_60
; %bb.59:
	v_mad_i64_i32 v[32:33], s[44:45], s36, 36, v[4:5]
	flat_load_ushort v19, v[32:33]
	s_waitcnt vmcnt(0) lgkmcnt(0)
	v_cvt_f32_f16_e32 v19, v19
.LBB424_60:
	s_cmp_gt_i32 s5, 19
	s_cselect_b64 s[44:45], -1, 0
	s_cmp_lt_i32 s5, 20
	v_mov_b32_e32 v21, 0
	v_mov_b32_e32 v32, 0
	s_cbranch_scc1 .LBB424_62
; %bb.61:
	v_mad_i64_i32 v[32:33], s[46:47], s36, 38, v[4:5]
	flat_load_ushort v23, v[32:33]
	s_waitcnt vmcnt(0) lgkmcnt(0)
	v_cvt_f32_f16_e32 v32, v23
.LBB424_62:
	s_cmp_gt_i32 s5, 20
	s_cselect_b64 s[46:47], -1, 0
	s_cmp_lt_i32 s5, 21
	s_cbranch_scc1 .LBB424_64
; %bb.63:
	v_mad_i64_i32 v[34:35], s[48:49], s36, 40, v[4:5]
	flat_load_ushort v21, v[34:35]
	s_waitcnt vmcnt(0) lgkmcnt(0)
	v_cvt_f32_f16_e32 v21, v21
.LBB424_64:
	;; [unrolled: 22-line block ×7, first 2 shown]
	s_cmp_gt_i32 s5, 31
	s_cselect_b64 s[68:69], -1, 0
	s_cmp_lt_i32 s5, 32
	v_mov_b32_e32 v36, 0
	v_mov_b32_e32 v39, 0
	s_cbranch_scc1 .LBB424_86
; %bb.85:
	v_mad_i64_i32 v[4:5], s[4:5], s36, 62, v[4:5]
	flat_load_ushort v4, v[4:5]
	s_waitcnt vmcnt(0) lgkmcnt(0)
	v_cvt_f32_f16_e32 v39, v4
.LBB424_86:
	s_andn2_b64 vcc, exec, s[2:3]
	s_cbranch_vccnz .LBB424_88
; %bb.87:
	ds_read_b32 v4, v9
	s_waitcnt lgkmcnt(0)
	v_mul_f32_e32 v36, v1, v4
.LBB424_88:
	s_andn2_b64 vcc, exec, s[0:1]
	v_mov_b32_e32 v1, 0
	v_mov_b32_e32 v4, 0
	s_cbranch_vccz .LBB424_122
; %bb.89:
	s_andn2_b64 vcc, exec, s[6:7]
	s_cbranch_vccz .LBB424_123
.LBB424_90:
	s_andn2_b64 vcc, exec, s[8:9]
	v_mov_b32_e32 v0, 0
	v_mov_b32_e32 v5, 0
	s_cbranch_vccz .LBB424_124
.LBB424_91:
	s_andn2_b64 vcc, exec, s[10:11]
	s_cbranch_vccz .LBB424_125
.LBB424_92:
	s_andn2_b64 vcc, exec, s[12:13]
	v_mov_b32_e32 v7, 0
	v_mov_b32_e32 v15, 0
	s_cbranch_vccz .LBB424_126
.LBB424_93:
	s_andn2_b64 vcc, exec, s[14:15]
	s_cbranch_vccz .LBB424_127
.LBB424_94:
	s_andn2_b64 vcc, exec, s[16:17]
	v_mov_b32_e32 v10, 0
	v_mov_b32_e32 v16, 0
	s_cbranch_vccz .LBB424_128
.LBB424_95:
	s_andn2_b64 vcc, exec, s[18:19]
	s_cbranch_vccz .LBB424_129
.LBB424_96:
	s_andn2_b64 vcc, exec, s[20:21]
	v_mov_b32_e32 v11, 0
	v_mov_b32_e32 v18, 0
	s_cbranch_vccz .LBB424_130
.LBB424_97:
	s_andn2_b64 vcc, exec, s[22:23]
	s_cbranch_vccz .LBB424_131
.LBB424_98:
	s_andn2_b64 vcc, exec, s[24:25]
	v_mov_b32_e32 v12, 0
	v_mov_b32_e32 v20, 0
	s_cbranch_vccz .LBB424_132
.LBB424_99:
	s_andn2_b64 vcc, exec, s[26:27]
	s_cbranch_vccz .LBB424_133
.LBB424_100:
	s_andn2_b64 vcc, exec, s[28:29]
	v_mov_b32_e32 v13, 0
	v_mov_b32_e32 v22, 0
	s_cbranch_vccz .LBB424_134
.LBB424_101:
	s_andn2_b64 vcc, exec, s[30:31]
	s_cbranch_vccz .LBB424_135
.LBB424_102:
	s_andn2_b64 vcc, exec, s[34:35]
	v_mov_b32_e32 v14, 0
	v_mov_b32_e32 v24, 0
	s_cbranch_vccz .LBB424_136
.LBB424_103:
	s_andn2_b64 vcc, exec, s[38:39]
	s_cbranch_vccz .LBB424_137
.LBB424_104:
	s_andn2_b64 vcc, exec, s[40:41]
	v_mov_b32_e32 v17, 0
	v_mov_b32_e32 v26, 0
	s_cbranch_vccz .LBB424_138
.LBB424_105:
	s_andn2_b64 vcc, exec, s[42:43]
	s_cbranch_vccz .LBB424_139
.LBB424_106:
	s_andn2_b64 vcc, exec, s[44:45]
	v_mov_b32_e32 v19, 0
	v_mov_b32_e32 v28, 0
	s_cbranch_vccz .LBB424_140
.LBB424_107:
	s_andn2_b64 vcc, exec, s[46:47]
	s_cbranch_vccz .LBB424_141
.LBB424_108:
	s_andn2_b64 vcc, exec, s[48:49]
	v_mov_b32_e32 v21, 0
	v_mov_b32_e32 v31, 0
	s_cbranch_vccz .LBB424_142
.LBB424_109:
	s_andn2_b64 vcc, exec, s[50:51]
	s_cbranch_vccz .LBB424_143
.LBB424_110:
	s_andn2_b64 vcc, exec, s[52:53]
	v_mov_b32_e32 v23, 0
	v_mov_b32_e32 v32, 0
	s_cbranch_vccz .LBB424_144
.LBB424_111:
	s_andn2_b64 vcc, exec, s[54:55]
	s_cbranch_vccz .LBB424_145
.LBB424_112:
	s_andn2_b64 vcc, exec, s[56:57]
	v_mov_b32_e32 v25, 0
	v_mov_b32_e32 v33, 0
	s_cbranch_vccz .LBB424_146
.LBB424_113:
	s_andn2_b64 vcc, exec, s[58:59]
	s_cbranch_vccz .LBB424_147
.LBB424_114:
	s_andn2_b64 vcc, exec, s[60:61]
	v_mov_b32_e32 v27, 0
	v_mov_b32_e32 v34, 0
	s_cbranch_vccz .LBB424_148
.LBB424_115:
	s_andn2_b64 vcc, exec, s[62:63]
	s_cbranch_vccz .LBB424_149
.LBB424_116:
	s_andn2_b64 vcc, exec, s[64:65]
	v_mov_b32_e32 v29, 0
	v_mov_b32_e32 v35, 0
	s_cbranch_vccz .LBB424_150
.LBB424_117:
	s_andn2_b64 vcc, exec, s[66:67]
	s_cbranch_vccz .LBB424_151
.LBB424_118:
	s_andn2_b64 vcc, exec, s[68:69]
	v_mov_b32_e32 v30, 0
	s_cbranch_vccnz .LBB424_120
.LBB424_119:
	ds_read_b32 v9, v9 offset:124
	s_waitcnt lgkmcnt(0)
	v_mul_f32_e32 v30, v39, v9
.LBB424_120:
	v_add_f32_e32 v6, v6, v36
	v_add_f32_e32 v4, v6, v4
	v_add_f32_e32 v1, v4, v1
	v_add_f32_e32 v1, v1, v5
	v_add_f32_e32 v0, v1, v0
	v_add_f32_e32 v0, v0, v15
	v_add_f32_e32 v0, v0, v7
	v_add_f32_e32 v0, v0, v16
	v_add_f32_e32 v0, v0, v10
	v_add_f32_e32 v0, v0, v18
	v_add_f32_e32 v0, v0, v11
	v_add_f32_e32 v0, v0, v20
	v_add_f32_e32 v0, v0, v12
	v_add_f32_e32 v0, v0, v22
	v_add_f32_e32 v0, v0, v13
	v_add_f32_e32 v0, v0, v24
	v_add_f32_e32 v0, v0, v14
	v_add_f32_e32 v0, v0, v26
	v_add_f32_e32 v0, v0, v17
	v_add_f32_e32 v0, v0, v28
	v_add_f32_e32 v0, v0, v19
	v_add_f32_e32 v0, v0, v31
	v_add_f32_e32 v0, v0, v21
	v_add_f32_e32 v0, v0, v32
	v_add_f32_e32 v0, v0, v23
	v_add_f32_e32 v0, v0, v33
	v_add_f32_e32 v0, v0, v25
	v_add_f32_e32 v0, v0, v34
	v_add_f32_e32 v0, v0, v27
	v_add_f32_e32 v0, v0, v35
	v_add_f32_e32 v0, v0, v29
	v_add_f32_e32 v0, v0, v30
	v_cvt_f16_f32_e32 v4, v0
	v_mad_i64_i32 v[0:1], s[0:1], s33, v8, 0
	v_lshl_add_u64 v[0:1], v[0:1], 1, v[2:3]
	global_store_short v[0:1], v4, off
.LBB424_121:
	s_endpgm
.LBB424_122:
	ds_read_b32 v4, v9 offset:4
	s_waitcnt lgkmcnt(0)
	v_mul_f32_e32 v4, v15, v4
	s_andn2_b64 vcc, exec, s[6:7]
	s_cbranch_vccnz .LBB424_90
.LBB424_123:
	ds_read_b32 v1, v9 offset:8
	s_waitcnt lgkmcnt(0)
	v_mul_f32_e32 v1, v0, v1
	s_andn2_b64 vcc, exec, s[8:9]
	v_mov_b32_e32 v0, 0
	v_mov_b32_e32 v5, 0
	s_cbranch_vccnz .LBB424_91
.LBB424_124:
	ds_read_b32 v5, v9 offset:12
	s_waitcnt lgkmcnt(0)
	v_mul_f32_e32 v5, v16, v5
	s_andn2_b64 vcc, exec, s[10:11]
	s_cbranch_vccnz .LBB424_92
.LBB424_125:
	ds_read_b32 v0, v9 offset:16
	s_waitcnt lgkmcnt(0)
	v_mul_f32_e32 v0, v7, v0
	s_andn2_b64 vcc, exec, s[12:13]
	v_mov_b32_e32 v7, 0
	v_mov_b32_e32 v15, 0
	s_cbranch_vccnz .LBB424_93
.LBB424_126:
	ds_read_b32 v15, v9 offset:20
	s_waitcnt lgkmcnt(0)
	v_mul_f32_e32 v15, v18, v15
	s_andn2_b64 vcc, exec, s[14:15]
	s_cbranch_vccnz .LBB424_94
.LBB424_127:
	ds_read_b32 v7, v9 offset:24
	s_waitcnt lgkmcnt(0)
	v_mul_f32_e32 v7, v10, v7
	s_andn2_b64 vcc, exec, s[16:17]
	v_mov_b32_e32 v10, 0
	v_mov_b32_e32 v16, 0
	s_cbranch_vccnz .LBB424_95
.LBB424_128:
	ds_read_b32 v16, v9 offset:28
	s_waitcnt lgkmcnt(0)
	v_mul_f32_e32 v16, v20, v16
	s_andn2_b64 vcc, exec, s[18:19]
	s_cbranch_vccnz .LBB424_96
.LBB424_129:
	ds_read_b32 v10, v9 offset:32
	s_waitcnt lgkmcnt(0)
	v_mul_f32_e32 v10, v11, v10
	s_andn2_b64 vcc, exec, s[20:21]
	v_mov_b32_e32 v11, 0
	v_mov_b32_e32 v18, 0
	s_cbranch_vccnz .LBB424_97
.LBB424_130:
	ds_read_b32 v18, v9 offset:36
	s_waitcnt lgkmcnt(0)
	v_mul_f32_e32 v18, v22, v18
	s_andn2_b64 vcc, exec, s[22:23]
	s_cbranch_vccnz .LBB424_98
.LBB424_131:
	ds_read_b32 v11, v9 offset:40
	s_waitcnt lgkmcnt(0)
	v_mul_f32_e32 v11, v12, v11
	s_andn2_b64 vcc, exec, s[24:25]
	v_mov_b32_e32 v12, 0
	v_mov_b32_e32 v20, 0
	s_cbranch_vccnz .LBB424_99
.LBB424_132:
	ds_read_b32 v20, v9 offset:44
	s_waitcnt lgkmcnt(0)
	v_mul_f32_e32 v20, v24, v20
	s_andn2_b64 vcc, exec, s[26:27]
	s_cbranch_vccnz .LBB424_100
.LBB424_133:
	ds_read_b32 v12, v9 offset:48
	s_waitcnt lgkmcnt(0)
	v_mul_f32_e32 v12, v13, v12
	s_andn2_b64 vcc, exec, s[28:29]
	v_mov_b32_e32 v13, 0
	v_mov_b32_e32 v22, 0
	s_cbranch_vccnz .LBB424_101
.LBB424_134:
	ds_read_b32 v22, v9 offset:52
	s_waitcnt lgkmcnt(0)
	v_mul_f32_e32 v22, v26, v22
	s_andn2_b64 vcc, exec, s[30:31]
	s_cbranch_vccnz .LBB424_102
.LBB424_135:
	ds_read_b32 v13, v9 offset:56
	s_waitcnt lgkmcnt(0)
	v_mul_f32_e32 v13, v14, v13
	s_andn2_b64 vcc, exec, s[34:35]
	v_mov_b32_e32 v14, 0
	v_mov_b32_e32 v24, 0
	s_cbranch_vccnz .LBB424_103
.LBB424_136:
	ds_read_b32 v24, v9 offset:60
	s_waitcnt lgkmcnt(0)
	v_mul_f32_e32 v24, v28, v24
	s_andn2_b64 vcc, exec, s[38:39]
	s_cbranch_vccnz .LBB424_104
.LBB424_137:
	ds_read_b32 v14, v9 offset:64
	s_waitcnt lgkmcnt(0)
	v_mul_f32_e32 v14, v17, v14
	s_andn2_b64 vcc, exec, s[40:41]
	v_mov_b32_e32 v17, 0
	v_mov_b32_e32 v26, 0
	s_cbranch_vccnz .LBB424_105
.LBB424_138:
	ds_read_b32 v26, v9 offset:68
	s_waitcnt lgkmcnt(0)
	v_mul_f32_e32 v26, v31, v26
	s_andn2_b64 vcc, exec, s[42:43]
	s_cbranch_vccnz .LBB424_106
.LBB424_139:
	ds_read_b32 v17, v9 offset:72
	s_waitcnt lgkmcnt(0)
	v_mul_f32_e32 v17, v19, v17
	s_andn2_b64 vcc, exec, s[44:45]
	v_mov_b32_e32 v19, 0
	v_mov_b32_e32 v28, 0
	s_cbranch_vccnz .LBB424_107
.LBB424_140:
	ds_read_b32 v28, v9 offset:76
	s_waitcnt lgkmcnt(0)
	v_mul_f32_e32 v28, v32, v28
	s_andn2_b64 vcc, exec, s[46:47]
	s_cbranch_vccnz .LBB424_108
.LBB424_141:
	ds_read_b32 v19, v9 offset:80
	s_waitcnt lgkmcnt(0)
	v_mul_f32_e32 v19, v21, v19
	s_andn2_b64 vcc, exec, s[48:49]
	v_mov_b32_e32 v21, 0
	v_mov_b32_e32 v31, 0
	s_cbranch_vccnz .LBB424_109
.LBB424_142:
	ds_read_b32 v31, v9 offset:84
	s_waitcnt lgkmcnt(0)
	v_mul_f32_e32 v31, v33, v31
	s_andn2_b64 vcc, exec, s[50:51]
	s_cbranch_vccnz .LBB424_110
.LBB424_143:
	ds_read_b32 v21, v9 offset:88
	s_waitcnt lgkmcnt(0)
	v_mul_f32_e32 v21, v23, v21
	s_andn2_b64 vcc, exec, s[52:53]
	v_mov_b32_e32 v23, 0
	v_mov_b32_e32 v32, 0
	s_cbranch_vccnz .LBB424_111
.LBB424_144:
	ds_read_b32 v32, v9 offset:92
	s_waitcnt lgkmcnt(0)
	v_mul_f32_e32 v32, v34, v32
	s_andn2_b64 vcc, exec, s[54:55]
	s_cbranch_vccnz .LBB424_112
.LBB424_145:
	ds_read_b32 v23, v9 offset:96
	s_waitcnt lgkmcnt(0)
	v_mul_f32_e32 v23, v25, v23
	s_andn2_b64 vcc, exec, s[56:57]
	v_mov_b32_e32 v25, 0
	v_mov_b32_e32 v33, 0
	s_cbranch_vccnz .LBB424_113
.LBB424_146:
	ds_read_b32 v33, v9 offset:100
	s_waitcnt lgkmcnt(0)
	v_mul_f32_e32 v33, v35, v33
	s_andn2_b64 vcc, exec, s[58:59]
	s_cbranch_vccnz .LBB424_114
.LBB424_147:
	ds_read_b32 v25, v9 offset:104
	s_waitcnt lgkmcnt(0)
	v_mul_f32_e32 v25, v27, v25
	s_andn2_b64 vcc, exec, s[60:61]
	v_mov_b32_e32 v27, 0
	v_mov_b32_e32 v34, 0
	s_cbranch_vccnz .LBB424_115
.LBB424_148:
	ds_read_b32 v34, v9 offset:108
	s_waitcnt lgkmcnt(0)
	v_mul_f32_e32 v34, v37, v34
	s_andn2_b64 vcc, exec, s[62:63]
	s_cbranch_vccnz .LBB424_116
.LBB424_149:
	ds_read_b32 v27, v9 offset:112
	s_waitcnt lgkmcnt(0)
	v_mul_f32_e32 v27, v29, v27
	s_andn2_b64 vcc, exec, s[64:65]
	v_mov_b32_e32 v29, 0
	v_mov_b32_e32 v35, 0
	s_cbranch_vccnz .LBB424_117
.LBB424_150:
	ds_read_b32 v35, v9 offset:116
	s_waitcnt lgkmcnt(0)
	v_mul_f32_e32 v35, v38, v35
	s_andn2_b64 vcc, exec, s[66:67]
	s_cbranch_vccnz .LBB424_118
.LBB424_151:
	ds_read_b32 v29, v9 offset:120
	s_waitcnt lgkmcnt(0)
	v_mul_f32_e32 v29, v30, v29
	s_andn2_b64 vcc, exec, s[68:69]
	v_mov_b32_e32 v30, 0
	s_cbranch_vccz .LBB424_119
	s_branch .LBB424_120
	.section	.rodata,"a",@progbits
	.p2align	6, 0x0
	.amdhsa_kernel _ZL34rocblas_gemvn_sm_mn_batched_kernelILi32ELi24EPKDF16_PKfKPDF16_EviiT2_lPKT1_lilS9_lilS6_lPT3_lili
		.amdhsa_group_segment_fixed_size 3072
		.amdhsa_private_segment_fixed_size 0
		.amdhsa_kernarg_size 400
		.amdhsa_user_sgpr_count 2
		.amdhsa_user_sgpr_dispatch_ptr 0
		.amdhsa_user_sgpr_queue_ptr 0
		.amdhsa_user_sgpr_kernarg_segment_ptr 1
		.amdhsa_user_sgpr_dispatch_id 0
		.amdhsa_user_sgpr_kernarg_preload_length 0
		.amdhsa_user_sgpr_kernarg_preload_offset 0
		.amdhsa_user_sgpr_private_segment_size 0
		.amdhsa_uses_dynamic_stack 0
		.amdhsa_enable_private_segment 0
		.amdhsa_system_sgpr_workgroup_id_x 1
		.amdhsa_system_sgpr_workgroup_id_y 0
		.amdhsa_system_sgpr_workgroup_id_z 0
		.amdhsa_system_sgpr_workgroup_info 0
		.amdhsa_system_vgpr_workitem_id 1
		.amdhsa_next_free_vgpr 42
		.amdhsa_next_free_sgpr 70
		.amdhsa_accum_offset 44
		.amdhsa_reserve_vcc 1
		.amdhsa_float_round_mode_32 0
		.amdhsa_float_round_mode_16_64 0
		.amdhsa_float_denorm_mode_32 3
		.amdhsa_float_denorm_mode_16_64 3
		.amdhsa_dx10_clamp 1
		.amdhsa_ieee_mode 1
		.amdhsa_fp16_overflow 0
		.amdhsa_tg_split 0
		.amdhsa_exception_fp_ieee_invalid_op 0
		.amdhsa_exception_fp_denorm_src 0
		.amdhsa_exception_fp_ieee_div_zero 0
		.amdhsa_exception_fp_ieee_overflow 0
		.amdhsa_exception_fp_ieee_underflow 0
		.amdhsa_exception_fp_ieee_inexact 0
		.amdhsa_exception_int_div_zero 0
	.end_amdhsa_kernel
	.section	.text._ZL34rocblas_gemvn_sm_mn_batched_kernelILi32ELi24EPKDF16_PKfKPDF16_EviiT2_lPKT1_lilS9_lilS6_lPT3_lili,"axG",@progbits,_ZL34rocblas_gemvn_sm_mn_batched_kernelILi32ELi24EPKDF16_PKfKPDF16_EviiT2_lPKT1_lilS9_lilS6_lPT3_lili,comdat
.Lfunc_end424:
	.size	_ZL34rocblas_gemvn_sm_mn_batched_kernelILi32ELi24EPKDF16_PKfKPDF16_EviiT2_lPKT1_lilS9_lilS6_lPT3_lili, .Lfunc_end424-_ZL34rocblas_gemvn_sm_mn_batched_kernelILi32ELi24EPKDF16_PKfKPDF16_EviiT2_lPKT1_lilS9_lilS6_lPT3_lili
                                        ; -- End function
	.section	.AMDGPU.csdata,"",@progbits
; Kernel info:
; codeLenInByte = 3560
; NumSgprs: 76
; NumVgprs: 42
; NumAgprs: 0
; TotalNumVgprs: 42
; ScratchSize: 0
; MemoryBound: 0
; FloatMode: 240
; IeeeMode: 1
; LDSByteSize: 3072 bytes/workgroup (compile time only)
; SGPRBlocks: 9
; VGPRBlocks: 5
; NumSGPRsForWavesPerEU: 76
; NumVGPRsForWavesPerEU: 42
; AccumOffset: 44
; Occupancy: 6
; WaveLimiterHint : 1
; COMPUTE_PGM_RSRC2:SCRATCH_EN: 0
; COMPUTE_PGM_RSRC2:USER_SGPR: 2
; COMPUTE_PGM_RSRC2:TRAP_HANDLER: 0
; COMPUTE_PGM_RSRC2:TGID_X_EN: 1
; COMPUTE_PGM_RSRC2:TGID_Y_EN: 0
; COMPUTE_PGM_RSRC2:TGID_Z_EN: 0
; COMPUTE_PGM_RSRC2:TIDIG_COMP_CNT: 1
; COMPUTE_PGM_RSRC3_GFX90A:ACCUM_OFFSET: 10
; COMPUTE_PGM_RSRC3_GFX90A:TG_SPLIT: 0
	.section	.text._ZL34rocblas_gemvn_sm_mn_batched_kernelILi32ELi24EPKDF16_fKPDF16_EviiT2_lPKT1_lilS7_lilS4_lPT3_lili,"axG",@progbits,_ZL34rocblas_gemvn_sm_mn_batched_kernelILi32ELi24EPKDF16_fKPDF16_EviiT2_lPKT1_lilS7_lilS4_lPT3_lili,comdat
	.globl	_ZL34rocblas_gemvn_sm_mn_batched_kernelILi32ELi24EPKDF16_fKPDF16_EviiT2_lPKT1_lilS7_lilS4_lPT3_lili ; -- Begin function _ZL34rocblas_gemvn_sm_mn_batched_kernelILi32ELi24EPKDF16_fKPDF16_EviiT2_lPKT1_lilS7_lilS4_lPT3_lili
	.p2align	8
	.type	_ZL34rocblas_gemvn_sm_mn_batched_kernelILi32ELi24EPKDF16_fKPDF16_EviiT2_lPKT1_lilS7_lilS4_lPT3_lili,@function
_ZL34rocblas_gemvn_sm_mn_batched_kernelILi32ELi24EPKDF16_fKPDF16_EviiT2_lPKT1_lilS7_lilS4_lPT3_lili: ; @_ZL34rocblas_gemvn_sm_mn_batched_kernelILi32ELi24EPKDF16_fKPDF16_EviiT2_lPKT1_lilS7_lilS4_lPT3_lili
; %bb.0:
	s_load_dword s3, s[0:1], 0x9c
	s_load_dword s4, s[0:1], 0x88
	v_bfe_u32 v9, v0, 10, 10
	s_waitcnt lgkmcnt(0)
	s_lshr_b32 s3, s3, 16
	s_mul_i32 s2, s2, s3
	v_add_u32_e32 v2, s2, v9
	v_cmp_gt_i32_e32 vcc, s4, v2
	s_and_saveexec_b64 s[2:3], vcc
	s_cbranch_execz .LBB425_124
; %bb.1:
	s_load_dwordx4 s[4:7], s[0:1], 0x0
	s_waitcnt lgkmcnt(0)
	s_load_dword s7, s[0:1], 0x58
	v_cmp_eq_f32_e64 s[2:3], s6, 0
	s_waitcnt lgkmcnt(0)
	v_cmp_eq_f32_e64 s[8:9], s7, 1.0
	s_and_b64 s[8:9], s[2:3], s[8:9]
	s_and_b64 vcc, exec, s[8:9]
	s_cbranch_vccnz .LBB425_124
; %bb.2:
	v_cmp_neq_f32_e64 s[8:9], s6, 0
	s_and_b64 vcc, exec, s[8:9]
	s_cbranch_vccnz .LBB425_4
; %bb.3:
	v_mov_b32_e32 v3, 0
	s_mov_b64 s[12:13], 0
	v_mov_b64_e32 v[4:5], s[12:13]
	s_cbranch_execz .LBB425_5
	s_branch .LBB425_6
.LBB425_4:
                                        ; implicit-def: $sgpr12_sgpr13
	v_mov_b64_e32 v[4:5], s[12:13]
.LBB425_5:
	s_load_dwordx4 s[12:15], s[0:1], 0x18
	v_mov_b32_e32 v3, 0
	s_waitcnt lgkmcnt(0)
	v_mov_b32_e32 v4, s12
	v_mov_b32_e32 v5, s13
	v_lshl_add_u64 v[4:5], v[2:3], 3, v[4:5]
	global_load_dwordx2 v[4:5], v[4:5], off
	s_waitcnt vmcnt(0)
	v_lshl_add_u64 v[4:5], s[14:15], 1, v[4:5]
.LBB425_6:
	s_andn2_b64 vcc, exec, s[8:9]
	s_cbranch_vccnz .LBB425_8
; %bb.7:
	s_load_dwordx4 s[8:11], s[0:1], 0x38
	s_waitcnt lgkmcnt(0)
	v_mov_b32_e32 v6, s8
	v_mov_b32_e32 v7, s9
	v_lshl_add_u64 v[6:7], v[2:3], 3, v[6:7]
	global_load_dwordx2 v[6:7], v[6:7], off
	s_waitcnt vmcnt(0)
	v_lshl_add_u64 v[6:7], s[10:11], 1, v[6:7]
	s_branch .LBB425_9
.LBB425_8:
	v_mov_b64_e32 v[6:7], 0
.LBB425_9:
	s_load_dwordx4 s[8:11], s[0:1], 0x68
	s_load_dword s33, s[0:1], 0x78
	v_and_b32_e32 v8, 0x3ff, v0
	s_andn2_b64 vcc, exec, s[2:3]
	v_cmp_gt_i32_e64 s[2:3], s4, v8
	s_waitcnt lgkmcnt(0)
	v_mov_b32_e32 v10, s8
	v_mov_b32_e32 v11, s9
	v_lshl_add_u64 v[2:3], v[2:3], 3, v[10:11]
	global_load_dwordx2 v[2:3], v[2:3], off
	s_mov_b64 s[8:9], -1
	s_waitcnt vmcnt(0)
	v_lshl_add_u64 v[0:1], s[10:11], 1, v[2:3]
	s_cbranch_vccnz .LBB425_19
; %bb.10:
	v_cmp_eq_f32_e64 s[8:9], s7, 0
	s_and_b64 vcc, exec, s[8:9]
	s_cbranch_vccz .LBB425_14
; %bb.11:
	s_and_saveexec_b64 s[8:9], s[2:3]
	s_cbranch_execz .LBB425_13
; %bb.12:
	v_mad_i64_i32 v[2:3], s[10:11], s33, v8, 0
	v_lshl_add_u64 v[2:3], v[2:3], 1, v[0:1]
	v_mov_b32_e32 v10, 0
	global_store_short v[2:3], v10, off
.LBB425_13:
	s_or_b64 exec, exec, s[8:9]
	s_cbranch_execz .LBB425_15
	s_branch .LBB425_18
.LBB425_14:
.LBB425_15:
	s_and_saveexec_b64 s[8:9], s[2:3]
	s_cbranch_execz .LBB425_17
; %bb.16:
	v_mad_i64_i32 v[2:3], s[2:3], s33, v8, 0
	v_lshl_add_u64 v[2:3], v[2:3], 1, v[0:1]
	global_load_ushort v10, v[2:3], off
	s_waitcnt vmcnt(0)
	v_fma_mixlo_f16 v10, v10, s7, 0 op_sel_hi:[1,0,0]
	global_store_short v[2:3], v10, off
.LBB425_17:
	s_or_b64 exec, exec, s[8:9]
.LBB425_18:
	s_mov_b64 s[8:9], 0
.LBB425_19:
	s_andn2_b64 vcc, exec, s[8:9]
	s_cbranch_vccnz .LBB425_124
; %bb.20:
	v_lshlrev_b32_e32 v9, 7, v9
	v_cmp_gt_i32_e32 vcc, s5, v8
	s_and_saveexec_b64 s[2:3], vcc
	s_cbranch_execz .LBB425_22
; %bb.21:
	s_load_dword s8, s[0:1], 0x48
	s_waitcnt lgkmcnt(0)
	v_mad_i64_i32 v[2:3], s[8:9], s8, v8, 0
	v_lshl_add_u64 v[2:3], v[2:3], 1, v[6:7]
	flat_load_ushort v2, v[2:3]
	v_lshl_add_u32 v3, v8, 2, v9
	s_waitcnt vmcnt(0) lgkmcnt(0)
	v_cvt_f32_f16_e32 v2, v2
	v_mul_f32_e32 v2, s6, v2
	ds_write_b32 v3, v2
.LBB425_22:
	s_or_b64 exec, exec, s[2:3]
	v_cmp_gt_i32_e32 vcc, s4, v8
	s_waitcnt lgkmcnt(0)
	s_barrier
	s_and_b64 exec, exec, vcc
	s_cbranch_execz .LBB425_124
; %bb.23:
	v_cmp_eq_f32_e64 s[2:3], s7, 0
	v_mov_b32_e32 v6, 0
	v_mov_b32_e32 v3, 0
	s_and_b64 vcc, exec, s[2:3]
	s_cbranch_vccnz .LBB425_25
; %bb.24:
	v_mad_i64_i32 v[6:7], s[2:3], s33, v8, 0
	v_lshl_add_u64 v[6:7], v[6:7], 1, v[0:1]
	global_load_ushort v2, v[6:7], off
	s_waitcnt vmcnt(0)
	v_cvt_f32_f16_e32 v2, v2
	v_mul_f32_e32 v6, s7, v2
.LBB425_25:
	v_lshlrev_b32_e32 v2, 1, v8
	s_cmp_gt_i32 s5, 0
	s_cselect_b64 s[2:3], -1, 0
	s_cmp_lt_i32 s5, 1
	v_lshl_add_u64 v[4:5], v[4:5], 0, v[2:3]
	s_cbranch_scc1 .LBB425_27
; %bb.26:
	flat_load_ushort v2, v[4:5]
	s_waitcnt vmcnt(0) lgkmcnt(0)
	v_cvt_f32_f16_e32 v3, v2
.LBB425_27:
	s_load_dword s36, s[0:1], 0x28
	v_mov_b32_e32 v2, 0
	v_mov_b32_e32 v15, 0
	s_waitcnt lgkmcnt(0)
	s_ashr_i32 s37, s36, 31
	s_cmp_gt_i32 s5, 1
	s_cselect_b64 s[0:1], -1, 0
	s_cmp_lt_i32 s5, 2
	s_cbranch_scc1 .LBB425_29
; %bb.28:
	v_lshl_add_u64 v[10:11], s[36:37], 1, v[4:5]
	flat_load_ushort v7, v[10:11]
	s_waitcnt vmcnt(0) lgkmcnt(0)
	v_cvt_f32_f16_e32 v15, v7
.LBB425_29:
	s_cmp_gt_i32 s5, 2
	s_cselect_b64 s[6:7], -1, 0
	s_cmp_lt_i32 s5, 3
	s_cbranch_scc1 .LBB425_31
; %bb.30:
	v_lshl_add_u64 v[10:11], s[36:37], 2, v[4:5]
	flat_load_ushort v2, v[10:11]
	s_waitcnt vmcnt(0) lgkmcnt(0)
	v_cvt_f32_f16_e32 v2, v2
.LBB425_31:
	s_cmp_gt_i32 s5, 3
	s_cselect_b64 s[8:9], -1, 0
	s_cmp_lt_i32 s5, 4
	v_mov_b32_e32 v7, 0
	v_mov_b32_e32 v16, 0
	s_cbranch_scc1 .LBB425_33
; %bb.32:
	v_mad_i64_i32 v[10:11], s[10:11], s36, 6, v[4:5]
	flat_load_ushort v10, v[10:11]
	s_waitcnt vmcnt(0) lgkmcnt(0)
	v_cvt_f32_f16_e32 v16, v10
.LBB425_33:
	s_cmp_gt_i32 s5, 4
	s_cselect_b64 s[10:11], -1, 0
	s_cmp_lt_i32 s5, 5
	s_cbranch_scc1 .LBB425_35
; %bb.34:
	v_lshl_add_u64 v[10:11], s[36:37], 3, v[4:5]
	flat_load_ushort v7, v[10:11]
	s_waitcnt vmcnt(0) lgkmcnt(0)
	v_cvt_f32_f16_e32 v7, v7
.LBB425_35:
	s_cmp_gt_i32 s5, 5
	s_cselect_b64 s[12:13], -1, 0
	s_cmp_lt_i32 s5, 6
	v_mov_b32_e32 v10, 0
	v_mov_b32_e32 v18, 0
	s_cbranch_scc1 .LBB425_37
; %bb.36:
	v_mad_i64_i32 v[12:13], s[14:15], s36, 10, v[4:5]
	flat_load_ushort v11, v[12:13]
	s_waitcnt vmcnt(0) lgkmcnt(0)
	v_cvt_f32_f16_e32 v18, v11
.LBB425_37:
	s_cmp_gt_i32 s5, 6
	s_cselect_b64 s[14:15], -1, 0
	s_cmp_lt_i32 s5, 7
	s_cbranch_scc1 .LBB425_39
; %bb.38:
	v_mad_i64_i32 v[10:11], s[16:17], s36, 12, v[4:5]
	flat_load_ushort v10, v[10:11]
	s_waitcnt vmcnt(0) lgkmcnt(0)
	v_cvt_f32_f16_e32 v10, v10
.LBB425_39:
	s_cmp_gt_i32 s5, 7
	s_cselect_b64 s[16:17], -1, 0
	s_cmp_lt_i32 s5, 8
	v_mov_b32_e32 v11, 0
	v_mov_b32_e32 v20, 0
	s_cbranch_scc1 .LBB425_41
; %bb.40:
	v_mad_i64_i32 v[12:13], s[18:19], s36, 14, v[4:5]
	flat_load_ushort v12, v[12:13]
	s_waitcnt vmcnt(0) lgkmcnt(0)
	v_cvt_f32_f16_e32 v20, v12
.LBB425_41:
	s_cmp_gt_i32 s5, 8
	s_cselect_b64 s[18:19], -1, 0
	s_cmp_lt_i32 s5, 9
	s_cbranch_scc1 .LBB425_43
; %bb.42:
	v_lshl_add_u64 v[12:13], s[36:37], 4, v[4:5]
	flat_load_ushort v11, v[12:13]
	s_waitcnt vmcnt(0) lgkmcnt(0)
	v_cvt_f32_f16_e32 v11, v11
.LBB425_43:
	s_cmp_gt_i32 s5, 9
	s_cselect_b64 s[20:21], -1, 0
	s_cmp_lt_i32 s5, 10
	v_mov_b32_e32 v12, 0
	v_mov_b32_e32 v22, 0
	s_cbranch_scc1 .LBB425_45
; %bb.44:
	v_mad_i64_i32 v[22:23], s[22:23], s36, 18, v[4:5]
	flat_load_ushort v13, v[22:23]
	s_waitcnt vmcnt(0) lgkmcnt(0)
	v_cvt_f32_f16_e32 v22, v13
.LBB425_45:
	s_cmp_gt_i32 s5, 10
	s_cselect_b64 s[22:23], -1, 0
	s_cmp_lt_i32 s5, 11
	s_cbranch_scc1 .LBB425_47
; %bb.46:
	v_mad_i64_i32 v[12:13], s[24:25], s36, 20, v[4:5]
	flat_load_ushort v12, v[12:13]
	s_waitcnt vmcnt(0) lgkmcnt(0)
	v_cvt_f32_f16_e32 v12, v12
.LBB425_47:
	s_cmp_gt_i32 s5, 11
	s_cselect_b64 s[24:25], -1, 0
	s_cmp_lt_i32 s5, 12
	v_mov_b32_e32 v13, 0
	v_mov_b32_e32 v24, 0
	s_cbranch_scc1 .LBB425_49
; %bb.48:
	v_mad_i64_i32 v[24:25], s[26:27], s36, 22, v[4:5]
	flat_load_ushort v14, v[24:25]
	s_waitcnt vmcnt(0) lgkmcnt(0)
	v_cvt_f32_f16_e32 v24, v14
.LBB425_49:
	s_cmp_gt_i32 s5, 12
	s_cselect_b64 s[26:27], -1, 0
	s_cmp_lt_i32 s5, 13
	s_cbranch_scc1 .LBB425_51
; %bb.50:
	v_mad_i64_i32 v[26:27], s[28:29], s36, 24, v[4:5]
	flat_load_ushort v13, v[26:27]
	s_waitcnt vmcnt(0) lgkmcnt(0)
	v_cvt_f32_f16_e32 v13, v13
.LBB425_51:
	;; [unrolled: 22-line block ×3, first 2 shown]
	s_cmp_gt_i32 s5, 15
	s_cselect_b64 s[34:35], -1, 0
	s_cmp_lt_i32 s5, 16
	v_mov_b32_e32 v17, 0
	v_mov_b32_e32 v28, 0
	s_cbranch_scc1 .LBB425_57
; %bb.56:
	v_mad_i64_i32 v[28:29], s[38:39], s36, 30, v[4:5]
	flat_load_ushort v19, v[28:29]
	s_waitcnt vmcnt(0) lgkmcnt(0)
	v_cvt_f32_f16_e32 v28, v19
.LBB425_57:
	s_cmp_gt_i32 s5, 16
	s_cselect_b64 s[38:39], -1, 0
	s_cmp_lt_i32 s5, 17
	s_cbranch_scc1 .LBB425_59
; %bb.58:
	s_lshl_b64 s[40:41], s[36:37], 5
	v_lshl_add_u64 v[30:31], v[4:5], 0, s[40:41]
	flat_load_ushort v17, v[30:31]
	s_waitcnt vmcnt(0) lgkmcnt(0)
	v_cvt_f32_f16_e32 v17, v17
.LBB425_59:
	s_cmp_gt_i32 s5, 17
	s_cselect_b64 s[40:41], -1, 0
	s_cmp_lt_i32 s5, 18
	v_mov_b32_e32 v19, 0
	v_mov_b32_e32 v31, 0
	s_cbranch_scc1 .LBB425_61
; %bb.60:
	v_mad_i64_i32 v[30:31], s[42:43], s36, 34, v[4:5]
	flat_load_ushort v21, v[30:31]
	s_waitcnt vmcnt(0) lgkmcnt(0)
	v_cvt_f32_f16_e32 v31, v21
.LBB425_61:
	s_cmp_gt_i32 s5, 18
	s_cselect_b64 s[42:43], -1, 0
	s_cmp_lt_i32 s5, 19
	s_cbranch_scc1 .LBB425_63
; %bb.62:
	v_mad_i64_i32 v[32:33], s[44:45], s36, 36, v[4:5]
	flat_load_ushort v19, v[32:33]
	s_waitcnt vmcnt(0) lgkmcnt(0)
	v_cvt_f32_f16_e32 v19, v19
.LBB425_63:
	s_cmp_gt_i32 s5, 19
	s_cselect_b64 s[44:45], -1, 0
	s_cmp_lt_i32 s5, 20
	v_mov_b32_e32 v21, 0
	v_mov_b32_e32 v32, 0
	s_cbranch_scc1 .LBB425_65
; %bb.64:
	v_mad_i64_i32 v[32:33], s[46:47], s36, 38, v[4:5]
	flat_load_ushort v23, v[32:33]
	s_waitcnt vmcnt(0) lgkmcnt(0)
	v_cvt_f32_f16_e32 v32, v23
.LBB425_65:
	s_cmp_gt_i32 s5, 20
	s_cselect_b64 s[46:47], -1, 0
	s_cmp_lt_i32 s5, 21
	s_cbranch_scc1 .LBB425_67
; %bb.66:
	v_mad_i64_i32 v[34:35], s[48:49], s36, 40, v[4:5]
	flat_load_ushort v21, v[34:35]
	s_waitcnt vmcnt(0) lgkmcnt(0)
	v_cvt_f32_f16_e32 v21, v21
.LBB425_67:
	;; [unrolled: 22-line block ×7, first 2 shown]
	s_cmp_gt_i32 s5, 31
	s_cselect_b64 s[68:69], -1, 0
	s_cmp_lt_i32 s5, 32
	v_mov_b32_e32 v36, 0
	v_mov_b32_e32 v39, 0
	s_cbranch_scc1 .LBB425_89
; %bb.88:
	v_mad_i64_i32 v[4:5], s[4:5], s36, 62, v[4:5]
	flat_load_ushort v4, v[4:5]
	s_waitcnt vmcnt(0) lgkmcnt(0)
	v_cvt_f32_f16_e32 v39, v4
.LBB425_89:
	s_andn2_b64 vcc, exec, s[2:3]
	s_cbranch_vccnz .LBB425_91
; %bb.90:
	ds_read_b32 v4, v9
	s_waitcnt lgkmcnt(0)
	v_mul_f32_e32 v36, v3, v4
.LBB425_91:
	s_andn2_b64 vcc, exec, s[0:1]
	v_mov_b32_e32 v3, 0
	v_mov_b32_e32 v4, 0
	s_cbranch_vccz .LBB425_125
; %bb.92:
	s_andn2_b64 vcc, exec, s[6:7]
	s_cbranch_vccz .LBB425_126
.LBB425_93:
	s_andn2_b64 vcc, exec, s[8:9]
	v_mov_b32_e32 v2, 0
	v_mov_b32_e32 v5, 0
	s_cbranch_vccz .LBB425_127
.LBB425_94:
	s_andn2_b64 vcc, exec, s[10:11]
	s_cbranch_vccz .LBB425_128
.LBB425_95:
	s_andn2_b64 vcc, exec, s[12:13]
	v_mov_b32_e32 v7, 0
	v_mov_b32_e32 v15, 0
	s_cbranch_vccz .LBB425_129
.LBB425_96:
	s_andn2_b64 vcc, exec, s[14:15]
	s_cbranch_vccz .LBB425_130
.LBB425_97:
	s_andn2_b64 vcc, exec, s[16:17]
	v_mov_b32_e32 v10, 0
	v_mov_b32_e32 v16, 0
	s_cbranch_vccz .LBB425_131
.LBB425_98:
	s_andn2_b64 vcc, exec, s[18:19]
	s_cbranch_vccz .LBB425_132
.LBB425_99:
	s_andn2_b64 vcc, exec, s[20:21]
	v_mov_b32_e32 v11, 0
	v_mov_b32_e32 v18, 0
	s_cbranch_vccz .LBB425_133
.LBB425_100:
	s_andn2_b64 vcc, exec, s[22:23]
	s_cbranch_vccz .LBB425_134
.LBB425_101:
	s_andn2_b64 vcc, exec, s[24:25]
	v_mov_b32_e32 v12, 0
	v_mov_b32_e32 v20, 0
	s_cbranch_vccz .LBB425_135
.LBB425_102:
	s_andn2_b64 vcc, exec, s[26:27]
	s_cbranch_vccz .LBB425_136
.LBB425_103:
	s_andn2_b64 vcc, exec, s[28:29]
	v_mov_b32_e32 v13, 0
	v_mov_b32_e32 v22, 0
	s_cbranch_vccz .LBB425_137
.LBB425_104:
	s_andn2_b64 vcc, exec, s[30:31]
	s_cbranch_vccz .LBB425_138
.LBB425_105:
	s_andn2_b64 vcc, exec, s[34:35]
	v_mov_b32_e32 v14, 0
	v_mov_b32_e32 v24, 0
	s_cbranch_vccz .LBB425_139
.LBB425_106:
	s_andn2_b64 vcc, exec, s[38:39]
	s_cbranch_vccz .LBB425_140
.LBB425_107:
	s_andn2_b64 vcc, exec, s[40:41]
	v_mov_b32_e32 v17, 0
	v_mov_b32_e32 v26, 0
	s_cbranch_vccz .LBB425_141
.LBB425_108:
	s_andn2_b64 vcc, exec, s[42:43]
	s_cbranch_vccz .LBB425_142
.LBB425_109:
	s_andn2_b64 vcc, exec, s[44:45]
	v_mov_b32_e32 v19, 0
	v_mov_b32_e32 v28, 0
	s_cbranch_vccz .LBB425_143
.LBB425_110:
	s_andn2_b64 vcc, exec, s[46:47]
	s_cbranch_vccz .LBB425_144
.LBB425_111:
	s_andn2_b64 vcc, exec, s[48:49]
	v_mov_b32_e32 v21, 0
	v_mov_b32_e32 v31, 0
	s_cbranch_vccz .LBB425_145
.LBB425_112:
	s_andn2_b64 vcc, exec, s[50:51]
	s_cbranch_vccz .LBB425_146
.LBB425_113:
	s_andn2_b64 vcc, exec, s[52:53]
	v_mov_b32_e32 v23, 0
	v_mov_b32_e32 v32, 0
	s_cbranch_vccz .LBB425_147
.LBB425_114:
	s_andn2_b64 vcc, exec, s[54:55]
	s_cbranch_vccz .LBB425_148
.LBB425_115:
	s_andn2_b64 vcc, exec, s[56:57]
	v_mov_b32_e32 v25, 0
	v_mov_b32_e32 v33, 0
	s_cbranch_vccz .LBB425_149
.LBB425_116:
	s_andn2_b64 vcc, exec, s[58:59]
	s_cbranch_vccz .LBB425_150
.LBB425_117:
	s_andn2_b64 vcc, exec, s[60:61]
	v_mov_b32_e32 v27, 0
	v_mov_b32_e32 v34, 0
	s_cbranch_vccz .LBB425_151
.LBB425_118:
	s_andn2_b64 vcc, exec, s[62:63]
	s_cbranch_vccz .LBB425_152
.LBB425_119:
	s_andn2_b64 vcc, exec, s[64:65]
	v_mov_b32_e32 v29, 0
	v_mov_b32_e32 v35, 0
	s_cbranch_vccz .LBB425_153
.LBB425_120:
	s_andn2_b64 vcc, exec, s[66:67]
	s_cbranch_vccz .LBB425_154
.LBB425_121:
	s_andn2_b64 vcc, exec, s[68:69]
	v_mov_b32_e32 v30, 0
	s_cbranch_vccnz .LBB425_123
.LBB425_122:
	ds_read_b32 v9, v9 offset:124
	s_waitcnt lgkmcnt(0)
	v_mul_f32_e32 v30, v39, v9
.LBB425_123:
	v_add_f32_e32 v6, v6, v36
	v_add_f32_e32 v4, v6, v4
	;; [unrolled: 1-line block ×32, first 2 shown]
	v_cvt_f16_f32_e32 v4, v2
	v_mad_i64_i32 v[2:3], s[0:1], s33, v8, 0
	v_lshl_add_u64 v[0:1], v[2:3], 1, v[0:1]
	global_store_short v[0:1], v4, off
.LBB425_124:
	s_endpgm
.LBB425_125:
	ds_read_b32 v4, v9 offset:4
	s_waitcnt lgkmcnt(0)
	v_mul_f32_e32 v4, v15, v4
	s_andn2_b64 vcc, exec, s[6:7]
	s_cbranch_vccnz .LBB425_93
.LBB425_126:
	ds_read_b32 v3, v9 offset:8
	s_waitcnt lgkmcnt(0)
	v_mul_f32_e32 v3, v2, v3
	s_andn2_b64 vcc, exec, s[8:9]
	v_mov_b32_e32 v2, 0
	v_mov_b32_e32 v5, 0
	s_cbranch_vccnz .LBB425_94
.LBB425_127:
	ds_read_b32 v5, v9 offset:12
	s_waitcnt lgkmcnt(0)
	v_mul_f32_e32 v5, v16, v5
	s_andn2_b64 vcc, exec, s[10:11]
	s_cbranch_vccnz .LBB425_95
.LBB425_128:
	ds_read_b32 v2, v9 offset:16
	s_waitcnt lgkmcnt(0)
	v_mul_f32_e32 v2, v7, v2
	s_andn2_b64 vcc, exec, s[12:13]
	v_mov_b32_e32 v7, 0
	v_mov_b32_e32 v15, 0
	s_cbranch_vccnz .LBB425_96
.LBB425_129:
	ds_read_b32 v15, v9 offset:20
	s_waitcnt lgkmcnt(0)
	v_mul_f32_e32 v15, v18, v15
	s_andn2_b64 vcc, exec, s[14:15]
	s_cbranch_vccnz .LBB425_97
.LBB425_130:
	ds_read_b32 v7, v9 offset:24
	s_waitcnt lgkmcnt(0)
	v_mul_f32_e32 v7, v10, v7
	s_andn2_b64 vcc, exec, s[16:17]
	v_mov_b32_e32 v10, 0
	v_mov_b32_e32 v16, 0
	s_cbranch_vccnz .LBB425_98
.LBB425_131:
	ds_read_b32 v16, v9 offset:28
	s_waitcnt lgkmcnt(0)
	v_mul_f32_e32 v16, v20, v16
	s_andn2_b64 vcc, exec, s[18:19]
	s_cbranch_vccnz .LBB425_99
.LBB425_132:
	ds_read_b32 v10, v9 offset:32
	s_waitcnt lgkmcnt(0)
	v_mul_f32_e32 v10, v11, v10
	s_andn2_b64 vcc, exec, s[20:21]
	v_mov_b32_e32 v11, 0
	v_mov_b32_e32 v18, 0
	s_cbranch_vccnz .LBB425_100
.LBB425_133:
	ds_read_b32 v18, v9 offset:36
	s_waitcnt lgkmcnt(0)
	v_mul_f32_e32 v18, v22, v18
	s_andn2_b64 vcc, exec, s[22:23]
	s_cbranch_vccnz .LBB425_101
.LBB425_134:
	ds_read_b32 v11, v9 offset:40
	s_waitcnt lgkmcnt(0)
	v_mul_f32_e32 v11, v12, v11
	s_andn2_b64 vcc, exec, s[24:25]
	v_mov_b32_e32 v12, 0
	v_mov_b32_e32 v20, 0
	s_cbranch_vccnz .LBB425_102
.LBB425_135:
	ds_read_b32 v20, v9 offset:44
	s_waitcnt lgkmcnt(0)
	v_mul_f32_e32 v20, v24, v20
	s_andn2_b64 vcc, exec, s[26:27]
	s_cbranch_vccnz .LBB425_103
.LBB425_136:
	ds_read_b32 v12, v9 offset:48
	s_waitcnt lgkmcnt(0)
	v_mul_f32_e32 v12, v13, v12
	s_andn2_b64 vcc, exec, s[28:29]
	v_mov_b32_e32 v13, 0
	v_mov_b32_e32 v22, 0
	s_cbranch_vccnz .LBB425_104
.LBB425_137:
	ds_read_b32 v22, v9 offset:52
	s_waitcnt lgkmcnt(0)
	v_mul_f32_e32 v22, v26, v22
	s_andn2_b64 vcc, exec, s[30:31]
	s_cbranch_vccnz .LBB425_105
.LBB425_138:
	ds_read_b32 v13, v9 offset:56
	s_waitcnt lgkmcnt(0)
	v_mul_f32_e32 v13, v14, v13
	s_andn2_b64 vcc, exec, s[34:35]
	v_mov_b32_e32 v14, 0
	v_mov_b32_e32 v24, 0
	s_cbranch_vccnz .LBB425_106
.LBB425_139:
	ds_read_b32 v24, v9 offset:60
	s_waitcnt lgkmcnt(0)
	v_mul_f32_e32 v24, v28, v24
	s_andn2_b64 vcc, exec, s[38:39]
	s_cbranch_vccnz .LBB425_107
.LBB425_140:
	ds_read_b32 v14, v9 offset:64
	s_waitcnt lgkmcnt(0)
	v_mul_f32_e32 v14, v17, v14
	s_andn2_b64 vcc, exec, s[40:41]
	v_mov_b32_e32 v17, 0
	v_mov_b32_e32 v26, 0
	s_cbranch_vccnz .LBB425_108
.LBB425_141:
	ds_read_b32 v26, v9 offset:68
	s_waitcnt lgkmcnt(0)
	v_mul_f32_e32 v26, v31, v26
	s_andn2_b64 vcc, exec, s[42:43]
	s_cbranch_vccnz .LBB425_109
.LBB425_142:
	ds_read_b32 v17, v9 offset:72
	s_waitcnt lgkmcnt(0)
	v_mul_f32_e32 v17, v19, v17
	s_andn2_b64 vcc, exec, s[44:45]
	v_mov_b32_e32 v19, 0
	v_mov_b32_e32 v28, 0
	s_cbranch_vccnz .LBB425_110
.LBB425_143:
	ds_read_b32 v28, v9 offset:76
	s_waitcnt lgkmcnt(0)
	v_mul_f32_e32 v28, v32, v28
	s_andn2_b64 vcc, exec, s[46:47]
	s_cbranch_vccnz .LBB425_111
.LBB425_144:
	ds_read_b32 v19, v9 offset:80
	s_waitcnt lgkmcnt(0)
	v_mul_f32_e32 v19, v21, v19
	s_andn2_b64 vcc, exec, s[48:49]
	v_mov_b32_e32 v21, 0
	v_mov_b32_e32 v31, 0
	s_cbranch_vccnz .LBB425_112
.LBB425_145:
	ds_read_b32 v31, v9 offset:84
	s_waitcnt lgkmcnt(0)
	v_mul_f32_e32 v31, v33, v31
	s_andn2_b64 vcc, exec, s[50:51]
	s_cbranch_vccnz .LBB425_113
.LBB425_146:
	ds_read_b32 v21, v9 offset:88
	s_waitcnt lgkmcnt(0)
	v_mul_f32_e32 v21, v23, v21
	s_andn2_b64 vcc, exec, s[52:53]
	v_mov_b32_e32 v23, 0
	v_mov_b32_e32 v32, 0
	s_cbranch_vccnz .LBB425_114
.LBB425_147:
	ds_read_b32 v32, v9 offset:92
	s_waitcnt lgkmcnt(0)
	v_mul_f32_e32 v32, v34, v32
	s_andn2_b64 vcc, exec, s[54:55]
	s_cbranch_vccnz .LBB425_115
.LBB425_148:
	ds_read_b32 v23, v9 offset:96
	s_waitcnt lgkmcnt(0)
	v_mul_f32_e32 v23, v25, v23
	s_andn2_b64 vcc, exec, s[56:57]
	v_mov_b32_e32 v25, 0
	v_mov_b32_e32 v33, 0
	s_cbranch_vccnz .LBB425_116
.LBB425_149:
	ds_read_b32 v33, v9 offset:100
	s_waitcnt lgkmcnt(0)
	v_mul_f32_e32 v33, v35, v33
	s_andn2_b64 vcc, exec, s[58:59]
	s_cbranch_vccnz .LBB425_117
.LBB425_150:
	ds_read_b32 v25, v9 offset:104
	s_waitcnt lgkmcnt(0)
	v_mul_f32_e32 v25, v27, v25
	s_andn2_b64 vcc, exec, s[60:61]
	v_mov_b32_e32 v27, 0
	v_mov_b32_e32 v34, 0
	s_cbranch_vccnz .LBB425_118
.LBB425_151:
	ds_read_b32 v34, v9 offset:108
	s_waitcnt lgkmcnt(0)
	v_mul_f32_e32 v34, v37, v34
	s_andn2_b64 vcc, exec, s[62:63]
	s_cbranch_vccnz .LBB425_119
.LBB425_152:
	ds_read_b32 v27, v9 offset:112
	s_waitcnt lgkmcnt(0)
	v_mul_f32_e32 v27, v29, v27
	s_andn2_b64 vcc, exec, s[64:65]
	v_mov_b32_e32 v29, 0
	v_mov_b32_e32 v35, 0
	s_cbranch_vccnz .LBB425_120
.LBB425_153:
	ds_read_b32 v35, v9 offset:116
	s_waitcnt lgkmcnt(0)
	v_mul_f32_e32 v35, v38, v35
	s_andn2_b64 vcc, exec, s[66:67]
	s_cbranch_vccnz .LBB425_121
.LBB425_154:
	ds_read_b32 v29, v9 offset:120
	s_waitcnt lgkmcnt(0)
	v_mul_f32_e32 v29, v30, v29
	s_andn2_b64 vcc, exec, s[68:69]
	v_mov_b32_e32 v30, 0
	s_cbranch_vccz .LBB425_122
	s_branch .LBB425_123
	.section	.rodata,"a",@progbits
	.p2align	6, 0x0
	.amdhsa_kernel _ZL34rocblas_gemvn_sm_mn_batched_kernelILi32ELi24EPKDF16_fKPDF16_EviiT2_lPKT1_lilS7_lilS4_lPT3_lili
		.amdhsa_group_segment_fixed_size 3072
		.amdhsa_private_segment_fixed_size 0
		.amdhsa_kernarg_size 400
		.amdhsa_user_sgpr_count 2
		.amdhsa_user_sgpr_dispatch_ptr 0
		.amdhsa_user_sgpr_queue_ptr 0
		.amdhsa_user_sgpr_kernarg_segment_ptr 1
		.amdhsa_user_sgpr_dispatch_id 0
		.amdhsa_user_sgpr_kernarg_preload_length 0
		.amdhsa_user_sgpr_kernarg_preload_offset 0
		.amdhsa_user_sgpr_private_segment_size 0
		.amdhsa_uses_dynamic_stack 0
		.amdhsa_enable_private_segment 0
		.amdhsa_system_sgpr_workgroup_id_x 1
		.amdhsa_system_sgpr_workgroup_id_y 0
		.amdhsa_system_sgpr_workgroup_id_z 0
		.amdhsa_system_sgpr_workgroup_info 0
		.amdhsa_system_vgpr_workitem_id 1
		.amdhsa_next_free_vgpr 42
		.amdhsa_next_free_sgpr 70
		.amdhsa_accum_offset 44
		.amdhsa_reserve_vcc 1
		.amdhsa_float_round_mode_32 0
		.amdhsa_float_round_mode_16_64 0
		.amdhsa_float_denorm_mode_32 3
		.amdhsa_float_denorm_mode_16_64 3
		.amdhsa_dx10_clamp 1
		.amdhsa_ieee_mode 1
		.amdhsa_fp16_overflow 0
		.amdhsa_tg_split 0
		.amdhsa_exception_fp_ieee_invalid_op 0
		.amdhsa_exception_fp_denorm_src 0
		.amdhsa_exception_fp_ieee_div_zero 0
		.amdhsa_exception_fp_ieee_overflow 0
		.amdhsa_exception_fp_ieee_underflow 0
		.amdhsa_exception_fp_ieee_inexact 0
		.amdhsa_exception_int_div_zero 0
	.end_amdhsa_kernel
	.section	.text._ZL34rocblas_gemvn_sm_mn_batched_kernelILi32ELi24EPKDF16_fKPDF16_EviiT2_lPKT1_lilS7_lilS4_lPT3_lili,"axG",@progbits,_ZL34rocblas_gemvn_sm_mn_batched_kernelILi32ELi24EPKDF16_fKPDF16_EviiT2_lPKT1_lilS7_lilS4_lPT3_lili,comdat
.Lfunc_end425:
	.size	_ZL34rocblas_gemvn_sm_mn_batched_kernelILi32ELi24EPKDF16_fKPDF16_EviiT2_lPKT1_lilS7_lilS4_lPT3_lili, .Lfunc_end425-_ZL34rocblas_gemvn_sm_mn_batched_kernelILi32ELi24EPKDF16_fKPDF16_EviiT2_lPKT1_lilS7_lilS4_lPT3_lili
                                        ; -- End function
	.section	.AMDGPU.csdata,"",@progbits
; Kernel info:
; codeLenInByte = 3484
; NumSgprs: 76
; NumVgprs: 42
; NumAgprs: 0
; TotalNumVgprs: 42
; ScratchSize: 0
; MemoryBound: 0
; FloatMode: 240
; IeeeMode: 1
; LDSByteSize: 3072 bytes/workgroup (compile time only)
; SGPRBlocks: 9
; VGPRBlocks: 5
; NumSGPRsForWavesPerEU: 76
; NumVGPRsForWavesPerEU: 42
; AccumOffset: 44
; Occupancy: 6
; WaveLimiterHint : 1
; COMPUTE_PGM_RSRC2:SCRATCH_EN: 0
; COMPUTE_PGM_RSRC2:USER_SGPR: 2
; COMPUTE_PGM_RSRC2:TRAP_HANDLER: 0
; COMPUTE_PGM_RSRC2:TGID_X_EN: 1
; COMPUTE_PGM_RSRC2:TGID_Y_EN: 0
; COMPUTE_PGM_RSRC2:TGID_Z_EN: 0
; COMPUTE_PGM_RSRC2:TIDIG_COMP_CNT: 1
; COMPUTE_PGM_RSRC3_GFX90A:ACCUM_OFFSET: 10
; COMPUTE_PGM_RSRC3_GFX90A:TG_SPLIT: 0
	.section	.text._ZL20rocblas_gemvn_kernelILi64ELi4EiPKDF16_PKfKPDF16_EviiT3_lPKT2_lT1_lS9_lSA_lS6_lPT4_lSA_li,"axG",@progbits,_ZL20rocblas_gemvn_kernelILi64ELi4EiPKDF16_PKfKPDF16_EviiT3_lPKT2_lT1_lS9_lSA_lS6_lPT4_lSA_li,comdat
	.globl	_ZL20rocblas_gemvn_kernelILi64ELi4EiPKDF16_PKfKPDF16_EviiT3_lPKT2_lT1_lS9_lSA_lS6_lPT4_lSA_li ; -- Begin function _ZL20rocblas_gemvn_kernelILi64ELi4EiPKDF16_PKfKPDF16_EviiT3_lPKT2_lT1_lS9_lSA_lS6_lPT4_lSA_li
	.p2align	8
	.type	_ZL20rocblas_gemvn_kernelILi64ELi4EiPKDF16_PKfKPDF16_EviiT3_lPKT2_lT1_lS9_lSA_lS6_lPT4_lSA_li,@function
_ZL20rocblas_gemvn_kernelILi64ELi4EiPKDF16_PKfKPDF16_EviiT3_lPKT2_lT1_lS9_lSA_lS6_lPT4_lSA_li: ; @_ZL20rocblas_gemvn_kernelILi64ELi4EiPKDF16_PKfKPDF16_EviiT3_lPKT2_lT1_lS9_lSA_lS6_lPT4_lSA_li
; %bb.0:
	s_load_dwordx2 s[4:5], s[0:1], 0x9c
	s_mov_b32 s22, s3
	s_waitcnt lgkmcnt(0)
	s_and_b32 s3, s5, 0xffff
	s_lshr_b32 s5, s4, 16
	s_and_b32 s4, s4, 0xffff
	s_mul_i32 s4, s5, s4
	s_mul_i32 s4, s4, s3
	s_cmpk_lg_i32 s4, 0x100
	s_cbranch_scc1 .LBB426_54
; %bb.1:
	s_load_dwordx8 s[12:19], s[0:1], 0x8
	s_load_dwordx8 s[4:11], s[0:1], 0x58
	s_waitcnt lgkmcnt(0)
	s_mul_i32 s3, s22, s15
	s_mul_hi_u32 s15, s22, s14
	s_mul_i32 s14, s22, s14
	s_add_i32 s15, s15, s3
	s_lshl_b64 s[14:15], s[14:15], 2
	s_mul_i32 s7, s22, s7
	s_add_u32 s12, s12, s14
	s_mul_hi_u32 s3, s22, s6
	s_addc_u32 s13, s13, s15
	s_add_i32 s7, s3, s7
	s_mul_i32 s6, s22, s6
	s_lshl_b64 s[6:7], s[6:7], 2
	s_add_u32 s4, s4, s6
	s_addc_u32 s5, s5, s7
	s_load_dword s28, s[12:13], 0x0
	s_load_dword s29, s[4:5], 0x0
	s_waitcnt lgkmcnt(0)
	v_cmp_eq_f32_e64 s[4:5], s28, 0
	v_cmp_eq_f32_e64 s[6:7], s29, 1.0
	s_and_b64 s[6:7], s[4:5], s[6:7]
	s_and_b64 vcc, exec, s[6:7]
	s_cbranch_vccnz .LBB426_54
; %bb.2:
	s_mov_b32 s23, 0
	v_cmp_neq_f32_e64 s[6:7], s28, 0
	s_mov_b64 s[20:21], 0
	s_and_b64 vcc, exec, s[4:5]
	s_mov_b64 s[14:15], 0
	s_cbranch_vccnz .LBB426_4
; %bb.3:
	s_lshl_b64 s[12:13], s[22:23], 3
	s_add_u32 s12, s16, s12
	s_addc_u32 s13, s17, s13
	s_load_dwordx2 s[12:13], s[12:13], 0x0
	s_lshl_b64 s[14:15], s[18:19], 1
	s_waitcnt lgkmcnt(0)
	s_add_u32 s14, s12, s14
	s_addc_u32 s15, s13, s15
.LBB426_4:
	s_andn2_b64 vcc, exec, s[6:7]
	s_cbranch_vccnz .LBB426_6
; %bb.5:
	s_load_dwordx4 s[16:19], s[0:1], 0x38
	s_lshl_b64 s[6:7], s[22:23], 3
	s_waitcnt lgkmcnt(0)
	s_add_u32 s6, s16, s6
	s_addc_u32 s7, s17, s7
	s_load_dwordx2 s[6:7], s[6:7], 0x0
	s_lshl_b64 s[12:13], s[18:19], 1
	s_waitcnt lgkmcnt(0)
	s_add_u32 s20, s6, s12
	s_addc_u32 s21, s7, s13
.LBB426_6:
	s_lshl_b64 s[6:7], s[22:23], 3
	s_add_u32 s6, s8, s6
	s_addc_u32 s7, s9, s7
	s_load_dwordx2 s[8:9], s[6:7], 0x0
	s_load_dwordx2 s[12:13], s[0:1], 0x0
	s_load_dword s30, s[0:1], 0x78
	s_lshl_b64 s[6:7], s[10:11], 1
	v_and_b32_e32 v2, 0x3ff, v0
	s_waitcnt lgkmcnt(0)
	s_add_u32 s8, s8, s6
	v_bfe_u32 v14, v0, 10, 10
	s_addc_u32 s9, s9, s7
	s_andn2_b64 vcc, exec, s[4:5]
	v_lshl_add_u32 v3, v14, 6, v2
	s_cbranch_vccnz .LBB426_13
; %bb.7:
	s_movk_i32 s3, 0x100
	v_cmp_gt_u32_e32 vcc, s3, v3
	s_mov_b64 s[4:5], 0
	s_mov_b64 s[10:11], 0
                                        ; implicit-def: $vgpr5
                                        ; implicit-def: $vgpr0_vgpr1
	s_and_saveexec_b64 s[6:7], vcc
	s_cbranch_execz .LBB426_14
; %bb.8:
	v_lshl_or_b32 v4, s2, 8, v3
	v_mov_b32_e32 v5, 0
	s_ashr_i32 s11, s12, 31
	s_mov_b32 s10, s12
	v_cmp_gt_i64_e32 vcc, s[10:11], v[4:5]
	s_mov_b64 s[16:17], 0
                                        ; implicit-def: $vgpr0_vgpr1
	s_and_saveexec_b64 s[10:11], vcc
	s_cbranch_execz .LBB426_12
; %bb.9:
	v_mad_u64_u32 v[0:1], s[18:19], s30, v4, 0
	s_ashr_i32 s3, s30, 31
	v_mov_b32_e32 v6, v1
	v_cmp_eq_f32_e64 s[16:17], s29, 0
	v_mad_u64_u32 v[6:7], s[18:19], s3, v4, v[6:7]
	v_mov_b32_e32 v1, v6
	s_and_b64 vcc, exec, s[16:17]
	s_cbranch_vccnz .LBB426_11
; %bb.10:
	v_lshl_add_u64 v[4:5], v[0:1], 1, s[8:9]
	global_load_ushort v4, v[4:5], off
	s_waitcnt vmcnt(0)
	v_fma_mixlo_f16 v5, s29, v4, 0 op_sel_hi:[0,1,0]
.LBB426_11:
	s_mov_b64 s[16:17], exec
.LBB426_12:
	s_or_b64 exec, exec, s[10:11]
	s_and_b64 s[10:11], s[16:17], exec
	s_or_b64 exec, exec, s[6:7]
	s_and_b64 vcc, exec, s[4:5]
	s_cbranch_vccnz .LBB426_15
	s_branch .LBB426_52
.LBB426_13:
	s_mov_b64 s[10:11], 0
                                        ; implicit-def: $vgpr5
                                        ; implicit-def: $vgpr0_vgpr1
	s_cbranch_execnz .LBB426_15
	s_branch .LBB426_52
.LBB426_14:
	s_or_b64 exec, exec, s[6:7]
	s_and_b64 vcc, exec, s[4:5]
	s_cbranch_vccz .LBB426_52
.LBB426_15:
	s_load_dword s33, s[0:1], 0x28
	s_load_dword s34, s[0:1], 0x48
	s_ashr_i32 s0, s13, 31
	s_lshr_b32 s0, s0, 28
	s_add_i32 s0, s13, s0
	s_lshl_b32 s31, s2, 8
	s_and_b32 s35, s0, -16
	v_lshlrev_b32_e32 v20, 2, v14
	v_add_u32_e32 v16, s31, v2
	v_cmp_gt_i32_e32 vcc, s35, v20
	v_mov_b32_e32 v19, 0
	v_mov_b32_e32 v18, 0
	;; [unrolled: 1-line block ×4, first 2 shown]
	s_and_saveexec_b64 s[16:17], vcc
	s_cbranch_execz .LBB426_27
; %bb.16:
	v_add_u32_e32 v0, 64, v16
	v_cmp_gt_i32_e64 s[0:1], s12, v0
	v_add_u32_e32 v0, 0x80, v16
	v_cmp_gt_i32_e64 s[2:3], s12, v0
	;; [unrolled: 2-line block ×3, first 2 shown]
	s_waitcnt lgkmcnt(0)
	v_mul_lo_u32 v0, s33, v20
	v_add_u32_e32 v6, 2, v20
	v_add_u32_e32 v7, 3, v20
	v_add3_u32 v21, v0, s33, v2
	v_mad_u64_u32 v[0:1], s[6:7], s33, v6, v[2:3]
	v_mad_u64_u32 v[4:5], s[6:7], s33, v7, v[2:3]
	v_mul_lo_u32 v1, v14, s33
	v_mul_lo_u32 v5, s34, v20
	;; [unrolled: 1-line block ×4, first 2 shown]
	v_cmp_gt_i32_e32 vcc, s12, v16
	s_lshl_b32 s36, s33, 4
	v_lshl_add_u32 v1, v1, 2, v2
	v_add_u32_e32 v5, s34, v5
	s_lshl_b32 s37, s34, 4
	v_mul_lo_u32 v23, s34, v7
	v_lshlrev_b32_e32 v24, 2, v6
	s_mov_b32 s38, 0
	s_mov_b64 s[18:19], 0
	v_mov_b32_e32 v19, 0
	v_mov_b32_e32 v18, 0
	;; [unrolled: 1-line block ×4, first 2 shown]
	s_branch .LBB426_21
.LBB426_17:                             ;   in Loop: Header=BB426_21 Depth=1
	s_or_b64 exec, exec, s[26:27]
	s_waitcnt vmcnt(0) lgkmcnt(0)
	v_fma_mix_f32 v6, v37, v41, v17 op_sel_hi:[0,1,0]
	v_fma_mix_f32 v6, v38, v42, v6 op_sel_hi:[0,1,0]
	;; [unrolled: 1-line block ×4, first 2 shown]
.LBB426_18:                             ;   in Loop: Header=BB426_21 Depth=1
	s_or_b64 exec, exec, s[24:25]
	v_fma_mix_f32 v6, v37, v33, v18 op_sel_hi:[0,1,0]
	v_fma_mix_f32 v6, v38, v34, v6 op_sel_hi:[0,1,0]
	;; [unrolled: 1-line block ×4, first 2 shown]
.LBB426_19:                             ;   in Loop: Header=BB426_21 Depth=1
	s_or_b64 exec, exec, s[22:23]
	s_waitcnt vmcnt(0) lgkmcnt(0)
	v_fma_mix_f32 v6, v25, v29, v19 op_sel_hi:[1,1,0]
	s_nop 0
	v_fma_mix_f32 v6, v26, v30, v6 op_sel_hi:[1,1,0]
	s_nop 0
	;; [unrolled: 2-line block ×3, first 2 shown]
	v_fma_mix_f32 v19, v28, v32, v6 op_sel_hi:[1,1,0]
.LBB426_20:                             ;   in Loop: Header=BB426_21 Depth=1
	s_or_b64 exec, exec, s[6:7]
	v_add_u32_e32 v20, 16, v20
	s_add_i32 s38, s38, s37
	v_cmp_le_i32_e64 s[6:7], s35, v20
	v_add_u32_e32 v21, s36, v21
	v_add_u32_e32 v0, s36, v0
	;; [unrolled: 1-line block ×3, first 2 shown]
	s_or_b64 s[18:19], s[6:7], s[18:19]
	v_add_u32_e32 v1, s36, v1
	s_andn2_b64 exec, exec, s[18:19]
	s_cbranch_execz .LBB426_26
.LBB426_21:                             ; =>This Inner Loop Header: Depth=1
	s_and_saveexec_b64 s[6:7], vcc
	s_cbranch_execz .LBB426_20
; %bb.22:                               ;   in Loop: Header=BB426_21 Depth=1
	v_add_u32_e32 v6, s38, v24
	v_ashrrev_i32_e32 v7, 31, v6
	v_add_u32_e32 v8, s38, v5
	v_add_u32_e32 v10, s38, v22
	;; [unrolled: 1-line block ×3, first 2 shown]
	v_lshl_add_u64 v[6:7], v[6:7], 1, s[20:21]
	v_ashrrev_i32_e32 v9, 31, v8
	v_ashrrev_i32_e32 v11, 31, v10
	;; [unrolled: 1-line block ×3, first 2 shown]
	v_lshl_add_u64 v[8:9], v[8:9], 1, s[20:21]
	v_lshl_add_u64 v[10:11], v[10:11], 1, s[20:21]
	;; [unrolled: 1-line block ×3, first 2 shown]
	flat_load_ushort v25, v[6:7]
	flat_load_ushort v26, v[8:9]
	;; [unrolled: 1-line block ×4, first 2 shown]
	v_add_u32_e32 v6, s31, v1
	v_ashrrev_i32_e32 v7, 31, v6
	v_add_u32_e32 v8, s31, v21
	v_add_u32_e32 v10, s31, v0
	;; [unrolled: 1-line block ×3, first 2 shown]
	v_lshl_add_u64 v[6:7], v[6:7], 1, s[14:15]
	v_ashrrev_i32_e32 v9, 31, v8
	v_ashrrev_i32_e32 v11, 31, v10
	;; [unrolled: 1-line block ×3, first 2 shown]
	v_lshl_add_u64 v[8:9], v[8:9], 1, s[14:15]
	v_lshl_add_u64 v[10:11], v[10:11], 1, s[14:15]
	;; [unrolled: 1-line block ×3, first 2 shown]
	flat_load_ushort v29, v[6:7]
	flat_load_ushort v30, v[8:9]
	flat_load_ushort v31, v[10:11]
	flat_load_ushort v32, v[12:13]
	s_and_saveexec_b64 s[22:23], s[0:1]
	s_cbranch_execz .LBB426_19
; %bb.23:                               ;   in Loop: Header=BB426_21 Depth=1
	flat_load_ushort v33, v[6:7] offset:128
	flat_load_ushort v34, v[8:9] offset:128
	;; [unrolled: 1-line block ×4, first 2 shown]
	s_waitcnt vmcnt(0) lgkmcnt(0)
	v_cvt_f32_f16_e32 v37, v25
	v_cvt_f32_f16_e32 v38, v26
	;; [unrolled: 1-line block ×4, first 2 shown]
	s_and_saveexec_b64 s[24:25], s[2:3]
	s_cbranch_execz .LBB426_18
; %bb.24:                               ;   in Loop: Header=BB426_21 Depth=1
	flat_load_ushort v41, v[6:7] offset:256
	flat_load_ushort v42, v[8:9] offset:256
	;; [unrolled: 1-line block ×4, first 2 shown]
	s_and_saveexec_b64 s[26:27], s[4:5]
	s_cbranch_execz .LBB426_17
; %bb.25:                               ;   in Loop: Header=BB426_21 Depth=1
	flat_load_ushort v45, v[6:7] offset:384
	flat_load_ushort v46, v[8:9] offset:384
	;; [unrolled: 1-line block ×4, first 2 shown]
	s_waitcnt vmcnt(0) lgkmcnt(0)
	v_fma_mix_f32 v6, v37, v45, v15 op_sel_hi:[0,1,0]
	v_fma_mix_f32 v6, v38, v46, v6 op_sel_hi:[0,1,0]
	;; [unrolled: 1-line block ×4, first 2 shown]
	s_branch .LBB426_17
.LBB426_26:
	s_or_b64 exec, exec, s[18:19]
.LBB426_27:
	s_or_b64 exec, exec, s[16:17]
	s_sub_i32 s0, s13, s35
	s_cmp_lt_i32 s0, 1
	s_cbranch_scc1 .LBB426_45
; %bb.28:
	v_cmp_gt_i32_e32 vcc, s13, v20
	v_mov_b32_e32 v10, 0
	v_or_b32_e32 v4, 1, v20
	v_mov_b32_e32 v11, 0
	v_mov_b32_e32 v12, 0
	;; [unrolled: 1-line block ×3, first 2 shown]
	s_and_saveexec_b64 s[2:3], vcc
	s_cbranch_execz .LBB426_36
; %bb.29:
	s_waitcnt lgkmcnt(0)
	v_mul_lo_u32 v0, v20, s34
	v_ashrrev_i32_e32 v1, 31, v0
	v_lshl_add_u64 v[0:1], v[0:1], 1, s[20:21]
	flat_load_ushort v0, v[0:1]
	v_cmp_gt_i32_e64 s[0:1], s13, v4
	v_mov_b32_e32 v12, 0
	v_mov_b32_e32 v11, 0
	;; [unrolled: 1-line block ×3, first 2 shown]
	s_and_saveexec_b64 s[4:5], s[0:1]
	s_cbranch_execz .LBB426_35
; %bb.30:
	v_mul_lo_u32 v6, v4, s34
	v_ashrrev_i32_e32 v7, 31, v6
	v_lshl_add_u64 v[6:7], v[6:7], 1, s[20:21]
	flat_load_ushort v1, v[6:7]
	v_or_b32_e32 v5, 2, v20
	v_cmp_gt_i32_e64 s[0:1], s13, v5
	v_mov_b32_e32 v11, 0
	v_mov_b32_e32 v10, 0
	s_and_saveexec_b64 s[6:7], s[0:1]
	s_cbranch_execz .LBB426_34
; %bb.31:
	v_mul_lo_u32 v6, v5, s34
	v_ashrrev_i32_e32 v7, 31, v6
	v_lshl_add_u64 v[6:7], v[6:7], 1, s[20:21]
	flat_load_ushort v5, v[6:7]
	v_or_b32_e32 v6, 3, v20
	v_cmp_gt_i32_e64 s[0:1], s13, v6
	v_mov_b32_e32 v10, 0
	s_and_saveexec_b64 s[16:17], s[0:1]
	s_cbranch_execz .LBB426_33
; %bb.32:
	v_mul_lo_u32 v6, v6, s34
	v_ashrrev_i32_e32 v7, 31, v6
	v_lshl_add_u64 v[6:7], v[6:7], 1, s[20:21]
	flat_load_ushort v6, v[6:7]
	s_waitcnt vmcnt(0) lgkmcnt(0)
	v_cvt_f32_f16_e32 v10, v6
.LBB426_33:
	s_or_b64 exec, exec, s[16:17]
	s_waitcnt vmcnt(0) lgkmcnt(0)
	v_cvt_f32_f16_e32 v11, v5
.LBB426_34:
	s_or_b64 exec, exec, s[6:7]
	s_waitcnt vmcnt(0) lgkmcnt(0)
	v_cvt_f32_f16_e32 v12, v1
.LBB426_35:
	s_or_b64 exec, exec, s[4:5]
	s_waitcnt vmcnt(0) lgkmcnt(0)
	v_cvt_f32_f16_e32 v13, v0
.LBB426_36:
	s_or_b64 exec, exec, s[2:3]
	v_cmp_gt_i32_e64 s[0:1], s12, v16
	s_and_saveexec_b64 s[2:3], s[0:1]
	s_cbranch_execz .LBB426_44
; %bb.37:
	s_waitcnt lgkmcnt(0)
	v_mul_lo_u32 v0, v20, s33
	v_cndmask_b32_e32 v0, 0, v0, vcc
	v_mul_lo_u32 v5, v4, s33
	v_cmp_gt_i32_e32 vcc, s13, v4
	v_or_b32_e32 v6, 2, v20
	v_mul_lo_u32 v7, v6, s33
	v_cndmask_b32_e32 v4, 0, v5, vcc
	v_cmp_gt_i32_e32 vcc, s13, v6
	v_or_b32_e32 v8, 3, v20
	v_mul_lo_u32 v9, v8, s33
	v_cndmask_b32_e32 v6, 0, v7, vcc
	v_cmp_gt_i32_e32 vcc, s13, v8
	v_add_u32_e32 v0, v0, v16
	v_ashrrev_i32_e32 v1, 31, v0
	v_cndmask_b32_e32 v8, 0, v9, vcc
	v_add_u32_e32 v4, v4, v16
	v_add_u32_e32 v6, v6, v16
	;; [unrolled: 1-line block ×3, first 2 shown]
	v_lshl_add_u64 v[0:1], v[0:1], 1, s[14:15]
	v_ashrrev_i32_e32 v5, 31, v4
	v_ashrrev_i32_e32 v7, 31, v6
	;; [unrolled: 1-line block ×3, first 2 shown]
	v_lshl_add_u64 v[4:5], v[4:5], 1, s[14:15]
	v_lshl_add_u64 v[6:7], v[6:7], 1, s[14:15]
	flat_load_ushort v21, v[0:1]
	flat_load_ushort v22, v[4:5]
	;; [unrolled: 1-line block ×3, first 2 shown]
	v_lshl_add_u64 v[8:9], v[8:9], 1, s[14:15]
	flat_load_ushort v20, v[8:9]
	v_add_u32_e32 v24, 64, v16
	v_cmp_gt_i32_e32 vcc, s12, v24
	s_waitcnt vmcnt(0) lgkmcnt(0)
	v_fma_mix_f32 v19, v13, v21, v19 op_sel_hi:[0,1,0]
	v_fma_mix_f32 v19, v12, v22, v19 op_sel_hi:[0,1,0]
	v_fma_mix_f32 v19, v11, v23, v19 op_sel_hi:[0,1,0]
	s_and_saveexec_b64 s[0:1], vcc
	s_cbranch_execz .LBB426_43
; %bb.38:
	flat_load_ushort v22, v[0:1] offset:128
	flat_load_ushort v23, v[4:5] offset:128
	flat_load_ushort v24, v[6:7] offset:128
	flat_load_ushort v21, v[8:9] offset:128
	v_add_u32_e32 v25, 0x80, v16
	v_cmp_gt_i32_e32 vcc, s12, v25
	s_waitcnt vmcnt(0) lgkmcnt(0)
	v_fma_mix_f32 v18, v13, v22, v18 op_sel_hi:[0,1,0]
	v_fma_mix_f32 v18, v12, v23, v18 op_sel_hi:[0,1,0]
	v_fma_mix_f32 v18, v11, v24, v18 op_sel_hi:[0,1,0]
	s_and_saveexec_b64 s[4:5], vcc
	s_cbranch_execz .LBB426_42
; %bb.39:
	flat_load_ushort v23, v[0:1] offset:256
	flat_load_ushort v24, v[4:5] offset:256
	flat_load_ushort v25, v[6:7] offset:256
	flat_load_ushort v22, v[8:9] offset:256
	;; [unrolled: 13-line block ×3, first 2 shown]
	s_waitcnt vmcnt(0) lgkmcnt(0)
	v_fma_mix_f32 v0, v13, v17, v15 op_sel_hi:[0,1,0]
	v_fma_mix_f32 v0, v12, v23, v0 op_sel_hi:[0,1,0]
	;; [unrolled: 1-line block ×4, first 2 shown]
.LBB426_41:
	s_or_b64 exec, exec, s[6:7]
	v_fma_mix_f32 v17, v10, v22, v16 op_sel_hi:[0,1,0]
.LBB426_42:
	s_or_b64 exec, exec, s[4:5]
	v_fma_mix_f32 v18, v10, v21, v18 op_sel_hi:[0,1,0]
.LBB426_43:
	s_or_b64 exec, exec, s[0:1]
	v_fma_mix_f32 v19, v10, v20, v19 op_sel_hi:[0,1,0]
.LBB426_44:
	s_or_b64 exec, exec, s[2:3]
.LBB426_45:
	v_lshlrev_b32_e32 v0, 8, v14
	s_movk_i32 s0, 0x100
	v_add_lshl_u32 v0, v0, v2, 2
	v_cmp_gt_u32_e32 vcc, s0, v3
	ds_write2st64_b32 v0, v19, v18 offset1:1
	ds_write2st64_b32 v0, v17, v15 offset0:2 offset1:3
	s_waitcnt lgkmcnt(0)
	s_barrier
	s_waitcnt lgkmcnt(0)
                                        ; implicit-def: $vgpr5
                                        ; implicit-def: $vgpr0_vgpr1
	s_and_saveexec_b64 s[0:1], vcc
	s_cbranch_execz .LBB426_51
; %bb.46:
	v_lshlrev_b32_e32 v6, 2, v3
	ds_read2st64_b32 v[0:1], v6 offset1:4
	ds_read2st64_b32 v[4:5], v6 offset0:8 offset1:12
	v_or_b32_e32 v3, s31, v3
	v_cmp_gt_i32_e32 vcc, s12, v3
	s_mov_b64 s[4:5], s[10:11]
	s_waitcnt lgkmcnt(1)
	v_add_f32_e32 v0, v0, v1
	s_waitcnt lgkmcnt(0)
	v_add_f32_e32 v0, v4, v0
	v_add_f32_e32 v2, v5, v0
	ds_write_b32 v6, v2
                                        ; implicit-def: $vgpr5
                                        ; implicit-def: $vgpr0_vgpr1
	s_and_saveexec_b64 s[2:3], vcc
	s_cbranch_execz .LBB426_50
; %bb.47:
	v_cmp_eq_f32_e64 s[4:5], s29, 0
	v_mul_lo_u32 v0, v3, s30
	v_mul_f32_e32 v2, s28, v2
	v_ashrrev_i32_e32 v1, 31, v0
	s_and_b64 vcc, exec, s[4:5]
	s_cbranch_vccnz .LBB426_49
; %bb.48:
	v_lshl_add_u64 v[4:5], v[0:1], 1, s[8:9]
	global_load_ushort v3, v[4:5], off
	s_waitcnt vmcnt(0)
	v_fma_mix_f32 v2, s29, v3, v2 op_sel_hi:[0,1,0]
.LBB426_49:
	v_cvt_f16_f32_e32 v5, v2
	s_or_b64 s[4:5], s[10:11], exec
.LBB426_50:
	s_or_b64 exec, exec, s[2:3]
	s_andn2_b64 s[2:3], s[10:11], exec
	s_and_b64 s[4:5], s[4:5], exec
	s_or_b64 s[10:11], s[2:3], s[4:5]
.LBB426_51:
	s_or_b64 exec, exec, s[0:1]
.LBB426_52:
	s_and_saveexec_b64 s[0:1], s[10:11]
	s_cbranch_execz .LBB426_54
; %bb.53:
	v_lshl_add_u64 v[0:1], v[0:1], 1, s[8:9]
	global_store_short v[0:1], v5, off
.LBB426_54:
	s_endpgm
	.section	.rodata,"a",@progbits
	.p2align	6, 0x0
	.amdhsa_kernel _ZL20rocblas_gemvn_kernelILi64ELi4EiPKDF16_PKfKPDF16_EviiT3_lPKT2_lT1_lS9_lSA_lS6_lPT4_lSA_li
		.amdhsa_group_segment_fixed_size 4096
		.amdhsa_private_segment_fixed_size 0
		.amdhsa_kernarg_size 400
		.amdhsa_user_sgpr_count 2
		.amdhsa_user_sgpr_dispatch_ptr 0
		.amdhsa_user_sgpr_queue_ptr 0
		.amdhsa_user_sgpr_kernarg_segment_ptr 1
		.amdhsa_user_sgpr_dispatch_id 0
		.amdhsa_user_sgpr_kernarg_preload_length 0
		.amdhsa_user_sgpr_kernarg_preload_offset 0
		.amdhsa_user_sgpr_private_segment_size 0
		.amdhsa_uses_dynamic_stack 0
		.amdhsa_enable_private_segment 0
		.amdhsa_system_sgpr_workgroup_id_x 1
		.amdhsa_system_sgpr_workgroup_id_y 0
		.amdhsa_system_sgpr_workgroup_id_z 1
		.amdhsa_system_sgpr_workgroup_info 0
		.amdhsa_system_vgpr_workitem_id 1
		.amdhsa_next_free_vgpr 49
		.amdhsa_next_free_sgpr 39
		.amdhsa_accum_offset 52
		.amdhsa_reserve_vcc 1
		.amdhsa_float_round_mode_32 0
		.amdhsa_float_round_mode_16_64 0
		.amdhsa_float_denorm_mode_32 3
		.amdhsa_float_denorm_mode_16_64 3
		.amdhsa_dx10_clamp 1
		.amdhsa_ieee_mode 1
		.amdhsa_fp16_overflow 0
		.amdhsa_tg_split 0
		.amdhsa_exception_fp_ieee_invalid_op 0
		.amdhsa_exception_fp_denorm_src 0
		.amdhsa_exception_fp_ieee_div_zero 0
		.amdhsa_exception_fp_ieee_overflow 0
		.amdhsa_exception_fp_ieee_underflow 0
		.amdhsa_exception_fp_ieee_inexact 0
		.amdhsa_exception_int_div_zero 0
	.end_amdhsa_kernel
	.section	.text._ZL20rocblas_gemvn_kernelILi64ELi4EiPKDF16_PKfKPDF16_EviiT3_lPKT2_lT1_lS9_lSA_lS6_lPT4_lSA_li,"axG",@progbits,_ZL20rocblas_gemvn_kernelILi64ELi4EiPKDF16_PKfKPDF16_EviiT3_lPKT2_lT1_lS9_lSA_lS6_lPT4_lSA_li,comdat
.Lfunc_end426:
	.size	_ZL20rocblas_gemvn_kernelILi64ELi4EiPKDF16_PKfKPDF16_EviiT3_lPKT2_lT1_lS9_lSA_lS6_lPT4_lSA_li, .Lfunc_end426-_ZL20rocblas_gemvn_kernelILi64ELi4EiPKDF16_PKfKPDF16_EviiT3_lPKT2_lT1_lS9_lSA_lS6_lPT4_lSA_li
                                        ; -- End function
	.section	.AMDGPU.csdata,"",@progbits
; Kernel info:
; codeLenInByte = 2408
; NumSgprs: 45
; NumVgprs: 49
; NumAgprs: 0
; TotalNumVgprs: 49
; ScratchSize: 0
; MemoryBound: 0
; FloatMode: 240
; IeeeMode: 1
; LDSByteSize: 4096 bytes/workgroup (compile time only)
; SGPRBlocks: 5
; VGPRBlocks: 6
; NumSGPRsForWavesPerEU: 45
; NumVGPRsForWavesPerEU: 49
; AccumOffset: 52
; Occupancy: 8
; WaveLimiterHint : 1
; COMPUTE_PGM_RSRC2:SCRATCH_EN: 0
; COMPUTE_PGM_RSRC2:USER_SGPR: 2
; COMPUTE_PGM_RSRC2:TRAP_HANDLER: 0
; COMPUTE_PGM_RSRC2:TGID_X_EN: 1
; COMPUTE_PGM_RSRC2:TGID_Y_EN: 0
; COMPUTE_PGM_RSRC2:TGID_Z_EN: 1
; COMPUTE_PGM_RSRC2:TIDIG_COMP_CNT: 1
; COMPUTE_PGM_RSRC3_GFX90A:ACCUM_OFFSET: 12
; COMPUTE_PGM_RSRC3_GFX90A:TG_SPLIT: 0
	.section	.text._ZL20rocblas_gemvn_kernelILi64ELi4ElPKDF16_PKfKPDF16_EviiT3_lPKT2_lT1_lS9_lSA_lS6_lPT4_lSA_li,"axG",@progbits,_ZL20rocblas_gemvn_kernelILi64ELi4ElPKDF16_PKfKPDF16_EviiT3_lPKT2_lT1_lS9_lSA_lS6_lPT4_lSA_li,comdat
	.globl	_ZL20rocblas_gemvn_kernelILi64ELi4ElPKDF16_PKfKPDF16_EviiT3_lPKT2_lT1_lS9_lSA_lS6_lPT4_lSA_li ; -- Begin function _ZL20rocblas_gemvn_kernelILi64ELi4ElPKDF16_PKfKPDF16_EviiT3_lPKT2_lT1_lS9_lSA_lS6_lPT4_lSA_li
	.p2align	8
	.type	_ZL20rocblas_gemvn_kernelILi64ELi4ElPKDF16_PKfKPDF16_EviiT3_lPKT2_lT1_lS9_lSA_lS6_lPT4_lSA_li,@function
_ZL20rocblas_gemvn_kernelILi64ELi4ElPKDF16_PKfKPDF16_EviiT3_lPKT2_lT1_lS9_lSA_lS6_lPT4_lSA_li: ; @_ZL20rocblas_gemvn_kernelILi64ELi4ElPKDF16_PKfKPDF16_EviiT3_lPKT2_lT1_lS9_lSA_lS6_lPT4_lSA_li
; %bb.0:
	s_load_dwordx2 s[4:5], s[0:1], 0x9c
	s_mov_b32 s26, s3
	s_waitcnt lgkmcnt(0)
	s_and_b32 s3, s5, 0xffff
	s_lshr_b32 s5, s4, 16
	s_and_b32 s4, s4, 0xffff
	s_mul_i32 s4, s5, s4
	s_mul_i32 s4, s4, s3
	s_cmpk_lg_i32 s4, 0x100
	s_cbranch_scc1 .LBB427_54
; %bb.1:
	s_load_dwordx8 s[12:19], s[0:1], 0x8
	s_load_dwordx8 s[4:11], s[0:1], 0x58
	s_waitcnt lgkmcnt(0)
	s_mul_i32 s3, s26, s15
	s_mul_hi_u32 s15, s26, s14
	s_mul_i32 s14, s26, s14
	s_add_i32 s15, s15, s3
	s_lshl_b64 s[14:15], s[14:15], 2
	s_mul_i32 s7, s26, s7
	s_add_u32 s12, s12, s14
	s_mul_hi_u32 s3, s26, s6
	s_addc_u32 s13, s13, s15
	s_add_i32 s7, s3, s7
	s_mul_i32 s6, s26, s6
	s_lshl_b64 s[6:7], s[6:7], 2
	s_add_u32 s4, s4, s6
	s_addc_u32 s5, s5, s7
	s_load_dword s42, s[12:13], 0x0
	s_load_dword s33, s[4:5], 0x0
	s_waitcnt lgkmcnt(0)
	v_cmp_eq_f32_e64 s[28:29], s42, 0
	v_cmp_eq_f32_e64 s[4:5], s33, 1.0
	s_and_b64 s[4:5], s[28:29], s[4:5]
	s_and_b64 vcc, exec, s[4:5]
	s_cbranch_vccnz .LBB427_54
; %bb.2:
	s_load_dwordx2 s[20:21], s[0:1], 0x28
	s_load_dwordx2 s[12:13], s[0:1], 0x78
	s_mov_b32 s27, 0
	v_cmp_neq_f32_e64 s[14:15], s42, 0
	s_mov_b64 s[24:25], 0
	s_and_b64 vcc, exec, s[28:29]
	s_mov_b64 s[22:23], 0
	s_cbranch_vccnz .LBB427_4
; %bb.3:
	s_lshl_b64 s[4:5], s[26:27], 3
	s_add_u32 s4, s16, s4
	s_addc_u32 s5, s17, s5
	s_load_dwordx2 s[4:5], s[4:5], 0x0
	s_lshl_b64 s[6:7], s[18:19], 1
	s_waitcnt lgkmcnt(0)
	s_add_u32 s22, s4, s6
	s_addc_u32 s23, s5, s7
.LBB427_4:
	s_load_dwordx4 s[4:7], s[0:1], 0x38
	s_load_dwordx2 s[16:17], s[0:1], 0x48
	s_andn2_b64 vcc, exec, s[14:15]
	s_cbranch_vccnz .LBB427_6
; %bb.5:
	s_lshl_b64 s[14:15], s[26:27], 3
	s_waitcnt lgkmcnt(0)
	s_add_u32 s4, s4, s14
	s_addc_u32 s5, s5, s15
	s_load_dwordx2 s[4:5], s[4:5], 0x0
	s_lshl_b64 s[6:7], s[6:7], 1
	s_waitcnt lgkmcnt(0)
	s_add_u32 s24, s4, s6
	s_addc_u32 s25, s5, s7
.LBB427_6:
	s_waitcnt lgkmcnt(0)
	s_lshl_b64 s[4:5], s[26:27], 3
	s_add_u32 s4, s8, s4
	s_addc_u32 s5, s9, s5
	s_load_dwordx2 s[6:7], s[4:5], 0x0
	s_load_dwordx2 s[14:15], s[0:1], 0x0
	s_lshl_b64 s[0:1], s[10:11], 1
	v_and_b32_e32 v29, 0x3ff, v0
	v_bfe_u32 v30, v0, 10, 10
	s_waitcnt lgkmcnt(0)
	s_add_u32 s8, s6, s0
	s_addc_u32 s9, s7, s1
	s_andn2_b64 vcc, exec, s[28:29]
	v_lshl_add_u32 v28, v30, 6, v29
	s_cbranch_vccnz .LBB427_13
; %bb.7:
	s_movk_i32 s0, 0x100
	v_cmp_gt_u32_e32 vcc, s0, v28
	s_mov_b64 s[0:1], 0
	s_mov_b64 s[10:11], 0
                                        ; implicit-def: $vgpr3
                                        ; implicit-def: $vgpr0_vgpr1
	s_and_saveexec_b64 s[4:5], vcc
	s_cbranch_execz .LBB427_14
; %bb.8:
	v_lshl_or_b32 v2, s2, 8, v28
	v_mov_b32_e32 v3, 0
	s_ashr_i32 s7, s14, 31
	s_mov_b32 s6, s14
	v_cmp_gt_i64_e32 vcc, s[6:7], v[2:3]
                                        ; implicit-def: $vgpr0_vgpr1
	s_and_saveexec_b64 s[6:7], vcc
	s_cbranch_execz .LBB427_12
; %bb.9:
	v_mad_u64_u32 v[0:1], s[18:19], v2, s12, 0
	v_mov_b32_e32 v4, v1
	v_cmp_eq_f32_e64 s[10:11], s33, 0
	v_mad_u64_u32 v[4:5], s[18:19], v2, s13, v[4:5]
	v_mov_b32_e32 v1, v4
	s_and_b64 vcc, exec, s[10:11]
	s_cbranch_vccnz .LBB427_11
; %bb.10:
	v_lshl_add_u64 v[2:3], v[0:1], 1, s[8:9]
	global_load_ushort v2, v[2:3], off
	s_waitcnt vmcnt(0)
	v_fma_mixlo_f16 v3, s33, v2, 0 op_sel_hi:[0,1,0]
.LBB427_11:
	s_mov_b64 s[10:11], exec
.LBB427_12:
	s_or_b64 exec, exec, s[6:7]
	s_and_b64 s[10:11], s[10:11], exec
	s_or_b64 exec, exec, s[4:5]
	s_and_b64 vcc, exec, s[0:1]
	s_cbranch_vccnz .LBB427_15
	s_branch .LBB427_52
.LBB427_13:
	s_mov_b64 s[10:11], 0
                                        ; implicit-def: $vgpr3
                                        ; implicit-def: $vgpr0_vgpr1
	s_cbranch_execnz .LBB427_15
	s_branch .LBB427_52
.LBB427_14:
	s_or_b64 exec, exec, s[4:5]
	s_and_b64 vcc, exec, s[0:1]
	s_cbranch_vccz .LBB427_52
.LBB427_15:
	s_ashr_i32 s0, s15, 31
	s_lshr_b32 s0, s0, 28
	s_add_i32 s0, s15, s0
	s_lshl_b32 s43, s2, 8
	s_and_b32 s44, s0, -16
	v_lshlrev_b32_e32 v33, 2, v30
	v_add_u32_e32 v0, s43, v29
	v_cmp_gt_i32_e32 vcc, s44, v33
	v_mov_b32_e32 v35, 0
	v_mov_b32_e32 v34, 0
	;; [unrolled: 1-line block ×4, first 2 shown]
	s_and_saveexec_b64 s[18:19], vcc
	s_cbranch_execz .LBB427_27
; %bb.16:
	v_add_u32_e32 v2, 64, v0
	v_cmp_gt_i32_e64 s[0:1], s14, v2
	v_add_u32_e32 v2, 0x80, v0
	v_ashrrev_i32_e32 v1, 31, v0
	v_cmp_gt_i32_e64 s[2:3], s14, v2
	v_add_u32_e32 v2, 0xc0, v0
	v_cmp_gt_i32_e64 s[4:5], s14, v2
	v_lshlrev_b64 v[2:3], 1, v[0:1]
	v_lshlrev_b32_e32 v1, 2, v30
	v_or_b32_e32 v15, 3, v1
	v_mad_u64_u32 v[4:5], s[6:7], s20, v15, 0
	v_mov_b32_e32 v6, v5
	v_mad_u64_u32 v[6:7], s[6:7], s21, v15, v[6:7]
	v_mov_b32_e32 v5, v6
	;; [unrolled: 2-line block ×6, first 2 shown]
	v_mov_b64_e32 v[10:11], s[16:17]
	v_mad_u64_u32 v[10:11], s[6:7], s16, v1, v[10:11]
	v_mov_b32_e32 v12, v11
	v_mad_u64_u32 v[12:13], s[6:7], s17, v1, v[12:13]
	v_mov_b32_e32 v11, v12
	;; [unrolled: 2-line block ×3, first 2 shown]
	v_mad_u64_u32 v[14:15], s[6:7], s17, v15, v[14:15]
	v_or_b32_e32 v21, 2, v1
	v_mov_b32_e32 v13, v14
	v_mad_u64_u32 v[14:15], s[6:7], s20, v21, 0
	v_mov_b32_e32 v16, v15
	v_mad_u64_u32 v[16:17], s[6:7], s21, v21, v[16:17]
	v_mov_b32_e32 v15, v16
	v_mov_b64_e32 v[16:17], s[20:21]
	v_mad_u64_u32 v[16:17], s[6:7], s20, v1, v[16:17]
	v_mov_b32_e32 v18, v17
	v_mad_u64_u32 v[18:19], s[6:7], s21, v1, v[18:19]
	v_mov_b32_e32 v17, v18
	;; [unrolled: 2-line block ×4, first 2 shown]
	v_cmp_gt_i32_e32 vcc, s14, v0
	v_lshl_add_u64 v[4:5], v[4:5], 1, s[22:23]
	s_lshl_b64 s[26:27], s[20:21], 5
	v_lshlrev_b64 v[6:7], 3, v[6:7]
	s_lshl_b64 s[28:29], s[16:17], 5
	v_lshl_add_u64 v[8:9], v[8:9], 3, s[22:23]
	v_lshlrev_b64 v[10:11], 1, v[10:11]
	v_lshlrev_b64 v[12:13], 1, v[12:13]
	v_lshl_add_u64 v[14:15], v[14:15], 1, s[22:23]
	v_lshl_add_u64 v[16:17], v[16:17], 1, s[22:23]
	v_lshlrev_b64 v[18:19], 1, v[18:19]
	s_mov_b64 s[30:31], 0
	v_mov_b32_e32 v35, 0
	s_mov_b64 s[34:35], s[24:25]
	v_mov_b32_e32 v34, 0
	v_mov_b32_e32 v32, 0
	;; [unrolled: 1-line block ×3, first 2 shown]
	s_branch .LBB427_21
.LBB427_17:                             ;   in Loop: Header=BB427_21 Depth=1
	s_or_b64 exec, exec, s[40:41]
	s_waitcnt vmcnt(0) lgkmcnt(0)
	v_fma_mix_f32 v20, v47, v51, v32 op_sel_hi:[0,1,0]
	v_fma_mix_f32 v20, v48, v52, v20 op_sel_hi:[0,1,0]
	;; [unrolled: 1-line block ×4, first 2 shown]
.LBB427_18:                             ;   in Loop: Header=BB427_21 Depth=1
	s_or_b64 exec, exec, s[38:39]
	v_fma_mix_f32 v20, v47, v43, v34 op_sel_hi:[0,1,0]
	v_fma_mix_f32 v20, v48, v44, v20 op_sel_hi:[0,1,0]
	;; [unrolled: 1-line block ×4, first 2 shown]
.LBB427_19:                             ;   in Loop: Header=BB427_21 Depth=1
	s_or_b64 exec, exec, s[36:37]
	s_waitcnt vmcnt(0) lgkmcnt(0)
	v_fma_mix_f32 v1, v1, v39, v35 op_sel_hi:[1,1,0]
	s_nop 0
	v_fma_mix_f32 v1, v36, v40, v1 op_sel_hi:[1,1,0]
	s_nop 0
	;; [unrolled: 2-line block ×3, first 2 shown]
	v_fma_mix_f32 v35, v38, v42, v1 op_sel_hi:[1,1,0]
.LBB427_20:                             ;   in Loop: Header=BB427_21 Depth=1
	s_or_b64 exec, exec, s[6:7]
	v_add_u32_e32 v33, 16, v33
	s_add_u32 s34, s34, s28
	s_addc_u32 s35, s35, s29
	v_cmp_le_i32_e64 s[6:7], s44, v33
	v_lshl_add_u64 v[4:5], v[4:5], 0, s[26:27]
	v_lshl_add_u64 v[8:9], v[8:9], 0, s[26:27]
	;; [unrolled: 1-line block ×3, first 2 shown]
	s_or_b64 s[30:31], s[6:7], s[30:31]
	v_lshl_add_u64 v[16:17], v[16:17], 0, s[26:27]
	s_andn2_b64 exec, exec, s[30:31]
	s_cbranch_execz .LBB427_26
.LBB427_21:                             ; =>This Inner Loop Header: Depth=1
	s_and_saveexec_b64 s[6:7], vcc
	s_cbranch_execz .LBB427_20
; %bb.22:                               ;   in Loop: Header=BB427_21 Depth=1
	v_lshl_add_u64 v[20:21], s[34:35], 0, v[6:7]
	v_lshl_add_u64 v[22:23], s[34:35], 0, v[10:11]
	;; [unrolled: 1-line block ×4, first 2 shown]
	flat_load_ushort v1, v[20:21]
	flat_load_ushort v36, v[22:23]
	;; [unrolled: 1-line block ×4, first 2 shown]
	v_lshl_add_u64 v[20:21], v[8:9], 0, v[2:3]
	v_lshl_add_u64 v[22:23], v[16:17], 0, v[2:3]
	;; [unrolled: 1-line block ×4, first 2 shown]
	flat_load_ushort v39, v[20:21]
	flat_load_ushort v40, v[22:23]
	flat_load_ushort v41, v[24:25]
	flat_load_ushort v42, v[26:27]
	s_and_saveexec_b64 s[36:37], s[0:1]
	s_cbranch_execz .LBB427_19
; %bb.23:                               ;   in Loop: Header=BB427_21 Depth=1
	flat_load_ushort v43, v[20:21] offset:128
	flat_load_ushort v44, v[22:23] offset:128
	;; [unrolled: 1-line block ×4, first 2 shown]
	s_waitcnt vmcnt(0) lgkmcnt(0)
	v_cvt_f32_f16_e32 v47, v1
	v_cvt_f32_f16_e32 v48, v36
	v_cvt_f32_f16_e32 v49, v37
	v_cvt_f32_f16_e32 v50, v38
	s_and_saveexec_b64 s[38:39], s[2:3]
	s_cbranch_execz .LBB427_18
; %bb.24:                               ;   in Loop: Header=BB427_21 Depth=1
	flat_load_ushort v51, v[20:21] offset:256
	flat_load_ushort v52, v[22:23] offset:256
	;; [unrolled: 1-line block ×4, first 2 shown]
	s_and_saveexec_b64 s[40:41], s[4:5]
	s_cbranch_execz .LBB427_17
; %bb.25:                               ;   in Loop: Header=BB427_21 Depth=1
	flat_load_ushort v55, v[20:21] offset:384
	flat_load_ushort v56, v[22:23] offset:384
	;; [unrolled: 1-line block ×4, first 2 shown]
	s_waitcnt vmcnt(0) lgkmcnt(0)
	v_fma_mix_f32 v20, v47, v55, v31 op_sel_hi:[0,1,0]
	v_fma_mix_f32 v20, v48, v56, v20 op_sel_hi:[0,1,0]
	;; [unrolled: 1-line block ×4, first 2 shown]
	s_branch .LBB427_17
.LBB427_26:
	s_or_b64 exec, exec, s[30:31]
.LBB427_27:
	s_or_b64 exec, exec, s[18:19]
	s_sub_i32 s0, s15, s44
	s_cmp_lt_i32 s0, 1
	s_cbranch_scc1 .LBB427_45
; %bb.28:
	v_cmp_gt_i32_e32 vcc, s15, v33
	v_mov_b32_e32 v10, 0
	v_or_b32_e32 v4, 1, v33
	v_mov_b32_e32 v11, 0
	v_mov_b32_e32 v12, 0
	v_mov_b32_e32 v13, 0
	s_and_saveexec_b64 s[2:3], vcc
	s_cbranch_execz .LBB427_36
; %bb.29:
	v_mad_u64_u32 v[2:3], s[0:1], v33, s16, 0
	v_mov_b32_e32 v6, v3
	v_mad_u64_u32 v[6:7], s[0:1], v33, s17, v[6:7]
	v_mov_b32_e32 v3, v6
	v_lshl_add_u64 v[2:3], v[2:3], 1, s[24:25]
	flat_load_ushort v1, v[2:3]
	v_cmp_gt_i32_e64 s[0:1], s15, v4
	v_mov_b32_e32 v12, 0
	v_mov_b32_e32 v11, 0
	;; [unrolled: 1-line block ×3, first 2 shown]
	s_and_saveexec_b64 s[4:5], s[0:1]
	s_cbranch_execz .LBB427_35
; %bb.30:
	v_mad_u64_u32 v[2:3], s[0:1], v4, s16, 0
	v_mov_b32_e32 v6, v3
	v_mad_u64_u32 v[6:7], s[0:1], v4, s17, v[6:7]
	v_mov_b32_e32 v3, v6
	v_lshl_add_u64 v[2:3], v[2:3], 1, s[24:25]
	flat_load_ushort v2, v[2:3]
	v_or_b32_e32 v3, 2, v33
	v_cmp_gt_i32_e64 s[0:1], s15, v3
	v_mov_b32_e32 v11, 0
	v_mov_b32_e32 v10, 0
	s_and_saveexec_b64 s[6:7], s[0:1]
	s_cbranch_execz .LBB427_34
; %bb.31:
	v_mad_u64_u32 v[6:7], s[0:1], v3, s16, 0
	v_mov_b32_e32 v8, v7
	v_mad_u64_u32 v[8:9], s[0:1], v3, s17, v[8:9]
	v_mov_b32_e32 v7, v8
	v_lshl_add_u64 v[6:7], v[6:7], 1, s[24:25]
	flat_load_ushort v3, v[6:7]
	v_or_b32_e32 v5, 3, v33
	v_cmp_gt_i32_e64 s[0:1], s15, v5
	v_mov_b32_e32 v10, 0
	s_and_saveexec_b64 s[18:19], s[0:1]
	s_cbranch_execz .LBB427_33
; %bb.32:
	v_mad_u64_u32 v[6:7], s[0:1], v5, s16, 0
	v_mov_b32_e32 v8, v7
	v_mad_u64_u32 v[8:9], s[0:1], v5, s17, v[8:9]
	v_mov_b32_e32 v7, v8
	v_lshl_add_u64 v[6:7], v[6:7], 1, s[24:25]
	flat_load_ushort v5, v[6:7]
	s_waitcnt vmcnt(0) lgkmcnt(0)
	v_cvt_f32_f16_e32 v10, v5
.LBB427_33:
	s_or_b64 exec, exec, s[18:19]
	s_waitcnt vmcnt(0) lgkmcnt(0)
	v_cvt_f32_f16_e32 v11, v3
.LBB427_34:
	s_or_b64 exec, exec, s[6:7]
	s_waitcnt vmcnt(0) lgkmcnt(0)
	v_cvt_f32_f16_e32 v12, v2
.LBB427_35:
	s_or_b64 exec, exec, s[4:5]
	s_waitcnt vmcnt(0) lgkmcnt(0)
	v_cvt_f32_f16_e32 v13, v1
.LBB427_36:
	s_or_b64 exec, exec, s[2:3]
	v_cmp_gt_i32_e64 s[0:1], s14, v0
	s_and_saveexec_b64 s[2:3], s[0:1]
	s_cbranch_execz .LBB427_44
; %bb.37:
	v_mad_u64_u32 v[2:3], s[0:1], v33, s20, 0
	v_mov_b32_e32 v6, v3
	v_mad_u64_u32 v[6:7], s[0:1], v33, s21, v[6:7]
	v_ashrrev_i32_e32 v1, 31, v0
	v_cndmask_b32_e32 v3, 0, v6, vcc
	v_mad_u64_u32 v[6:7], s[0:1], v4, s20, 0
	v_cndmask_b32_e32 v2, 0, v2, vcc
	v_lshlrev_b64 v[8:9], 1, v[0:1]
	v_mov_b32_e32 v14, v7
	v_cmp_gt_i32_e32 vcc, s15, v4
	v_or_b32_e32 v1, 2, v33
	v_mad_u64_u32 v[14:15], s[0:1], v4, s21, v[14:15]
	v_cndmask_b32_e32 v4, 0, v6, vcc
	v_mad_u64_u32 v[6:7], s[0:1], v1, s20, 0
	v_cndmask_b32_e32 v5, 0, v14, vcc
	v_mov_b32_e32 v14, v7
	v_mad_u64_u32 v[14:15], s[0:1], v1, s21, v[14:15]
	v_cmp_gt_i32_e32 vcc, s15, v1
	v_or_b32_e32 v1, 3, v33
	v_lshl_add_u64 v[2:3], v[2:3], 1, s[22:23]
	v_cndmask_b32_e32 v7, 0, v14, vcc
	v_mad_u64_u32 v[14:15], s[0:1], v1, s20, 0
	v_mov_b32_e32 v16, v15
	v_cndmask_b32_e32 v6, 0, v6, vcc
	v_mad_u64_u32 v[16:17], s[0:1], v1, s21, v[16:17]
	v_cmp_gt_i32_e32 vcc, s15, v1
	v_lshl_add_u64 v[2:3], v[2:3], 0, v[8:9]
	v_lshl_add_u64 v[4:5], v[4:5], 1, s[22:23]
	v_cndmask_b32_e32 v14, 0, v14, vcc
	v_cndmask_b32_e32 v15, 0, v16, vcc
	v_lshl_add_u64 v[6:7], v[6:7], 1, s[22:23]
	v_lshl_add_u64 v[14:15], v[14:15], 1, s[22:23]
	;; [unrolled: 1-line block ×4, first 2 shown]
	flat_load_ushort v16, v[2:3]
	flat_load_ushort v17, v[4:5]
	;; [unrolled: 1-line block ×3, first 2 shown]
	v_lshl_add_u64 v[8:9], v[14:15], 0, v[8:9]
	flat_load_ushort v1, v[8:9]
	v_add_u32_e32 v15, 64, v0
	v_cmp_gt_i32_e32 vcc, s14, v15
	s_waitcnt vmcnt(0) lgkmcnt(0)
	v_fma_mix_f32 v14, v13, v16, v35 op_sel_hi:[0,1,0]
	v_fma_mix_f32 v14, v12, v17, v14 op_sel_hi:[0,1,0]
	v_fma_mix_f32 v14, v11, v18, v14 op_sel_hi:[0,1,0]
	s_and_saveexec_b64 s[0:1], vcc
	s_cbranch_execz .LBB427_43
; %bb.38:
	flat_load_ushort v16, v[2:3] offset:128
	flat_load_ushort v17, v[4:5] offset:128
	flat_load_ushort v18, v[6:7] offset:128
	flat_load_ushort v15, v[8:9] offset:128
	v_add_u32_e32 v19, 0x80, v0
	v_cmp_gt_i32_e32 vcc, s14, v19
	s_waitcnt vmcnt(0) lgkmcnt(0)
	v_fma_mix_f32 v16, v13, v16, v34 op_sel_hi:[0,1,0]
	v_fma_mix_f32 v16, v12, v17, v16 op_sel_hi:[0,1,0]
	v_fma_mix_f32 v16, v11, v18, v16 op_sel_hi:[0,1,0]
	s_and_saveexec_b64 s[4:5], vcc
	s_cbranch_execz .LBB427_42
; %bb.39:
	flat_load_ushort v18, v[2:3] offset:256
	flat_load_ushort v19, v[4:5] offset:256
	flat_load_ushort v20, v[6:7] offset:256
	flat_load_ushort v17, v[8:9] offset:256
	;; [unrolled: 13-line block ×3, first 2 shown]
	s_waitcnt vmcnt(0) lgkmcnt(0)
	v_fma_mix_f32 v2, v13, v18, v31 op_sel_hi:[0,1,0]
	v_fma_mix_f32 v2, v12, v19, v2 op_sel_hi:[0,1,0]
	v_fma_mix_f32 v2, v11, v20, v2 op_sel_hi:[0,1,0]
	v_fma_mix_f32 v31, v10, v21, v2 op_sel_hi:[0,1,0]
.LBB427_41:
	s_or_b64 exec, exec, s[6:7]
	v_fma_mix_f32 v32, v10, v17, v0 op_sel_hi:[0,1,0]
.LBB427_42:
	s_or_b64 exec, exec, s[4:5]
	v_fma_mix_f32 v34, v10, v15, v16 op_sel_hi:[0,1,0]
.LBB427_43:
	s_or_b64 exec, exec, s[0:1]
	v_fma_mix_f32 v35, v10, v1, v14 op_sel_hi:[0,1,0]
.LBB427_44:
	s_or_b64 exec, exec, s[2:3]
.LBB427_45:
	v_lshlrev_b32_e32 v0, 8, v30
	s_movk_i32 s0, 0x100
	v_add_lshl_u32 v0, v0, v29, 2
	v_cmp_gt_u32_e32 vcc, s0, v28
	ds_write2st64_b32 v0, v35, v34 offset1:1
	ds_write2st64_b32 v0, v32, v31 offset0:2 offset1:3
	s_waitcnt lgkmcnt(0)
	s_barrier
	s_waitcnt lgkmcnt(0)
                                        ; implicit-def: $vgpr3
                                        ; implicit-def: $vgpr0_vgpr1
	s_and_saveexec_b64 s[0:1], vcc
	s_cbranch_execz .LBB427_51
; %bb.46:
	v_lshlrev_b32_e32 v5, 2, v28
	ds_read2st64_b32 v[0:1], v5 offset1:4
	ds_read2st64_b32 v[2:3], v5 offset0:8 offset1:12
	v_or_b32_e32 v4, s43, v28
	v_cmp_gt_i32_e32 vcc, s14, v4
	s_mov_b64 s[4:5], s[10:11]
	s_waitcnt lgkmcnt(1)
	v_add_f32_e32 v0, v0, v1
	s_waitcnt lgkmcnt(0)
	v_add_f32_e32 v0, v2, v0
	v_add_f32_e32 v2, v3, v0
	ds_write_b32 v5, v2
                                        ; implicit-def: $vgpr3
                                        ; implicit-def: $vgpr0_vgpr1
	s_and_saveexec_b64 s[2:3], vcc
	s_cbranch_execz .LBB427_50
; %bb.47:
	v_ashrrev_i32_e32 v0, 31, v4
	v_cmp_eq_f32_e64 s[4:5], s33, 0
	v_mul_lo_u32 v3, v4, s13
	v_mul_lo_u32 v5, v0, s12
	v_mad_u64_u32 v[0:1], s[6:7], v4, s12, 0
	v_mul_f32_e32 v2, s42, v2
	v_add3_u32 v1, v1, v3, v5
	s_and_b64 vcc, exec, s[4:5]
	s_cbranch_vccnz .LBB427_49
; %bb.48:
	v_lshl_add_u64 v[4:5], v[0:1], 1, s[8:9]
	global_load_ushort v3, v[4:5], off
	s_waitcnt vmcnt(0)
	v_fma_mix_f32 v2, s33, v3, v2 op_sel_hi:[0,1,0]
.LBB427_49:
	v_cvt_f16_f32_e32 v3, v2
	s_or_b64 s[4:5], s[10:11], exec
.LBB427_50:
	s_or_b64 exec, exec, s[2:3]
	s_andn2_b64 s[2:3], s[10:11], exec
	s_and_b64 s[4:5], s[4:5], exec
	s_or_b64 s[10:11], s[2:3], s[4:5]
.LBB427_51:
	s_or_b64 exec, exec, s[0:1]
.LBB427_52:
	s_and_saveexec_b64 s[0:1], s[10:11]
	s_cbranch_execz .LBB427_54
; %bb.53:
	v_lshl_add_u64 v[0:1], v[0:1], 1, s[8:9]
	global_store_short v[0:1], v3, off
.LBB427_54:
	s_endpgm
	.section	.rodata,"a",@progbits
	.p2align	6, 0x0
	.amdhsa_kernel _ZL20rocblas_gemvn_kernelILi64ELi4ElPKDF16_PKfKPDF16_EviiT3_lPKT2_lT1_lS9_lSA_lS6_lPT4_lSA_li
		.amdhsa_group_segment_fixed_size 4096
		.amdhsa_private_segment_fixed_size 0
		.amdhsa_kernarg_size 400
		.amdhsa_user_sgpr_count 2
		.amdhsa_user_sgpr_dispatch_ptr 0
		.amdhsa_user_sgpr_queue_ptr 0
		.amdhsa_user_sgpr_kernarg_segment_ptr 1
		.amdhsa_user_sgpr_dispatch_id 0
		.amdhsa_user_sgpr_kernarg_preload_length 0
		.amdhsa_user_sgpr_kernarg_preload_offset 0
		.amdhsa_user_sgpr_private_segment_size 0
		.amdhsa_uses_dynamic_stack 0
		.amdhsa_enable_private_segment 0
		.amdhsa_system_sgpr_workgroup_id_x 1
		.amdhsa_system_sgpr_workgroup_id_y 0
		.amdhsa_system_sgpr_workgroup_id_z 1
		.amdhsa_system_sgpr_workgroup_info 0
		.amdhsa_system_vgpr_workitem_id 1
		.amdhsa_next_free_vgpr 59
		.amdhsa_next_free_sgpr 45
		.amdhsa_accum_offset 60
		.amdhsa_reserve_vcc 1
		.amdhsa_float_round_mode_32 0
		.amdhsa_float_round_mode_16_64 0
		.amdhsa_float_denorm_mode_32 3
		.amdhsa_float_denorm_mode_16_64 3
		.amdhsa_dx10_clamp 1
		.amdhsa_ieee_mode 1
		.amdhsa_fp16_overflow 0
		.amdhsa_tg_split 0
		.amdhsa_exception_fp_ieee_invalid_op 0
		.amdhsa_exception_fp_denorm_src 0
		.amdhsa_exception_fp_ieee_div_zero 0
		.amdhsa_exception_fp_ieee_overflow 0
		.amdhsa_exception_fp_ieee_underflow 0
		.amdhsa_exception_fp_ieee_inexact 0
		.amdhsa_exception_int_div_zero 0
	.end_amdhsa_kernel
	.section	.text._ZL20rocblas_gemvn_kernelILi64ELi4ElPKDF16_PKfKPDF16_EviiT3_lPKT2_lT1_lS9_lSA_lS6_lPT4_lSA_li,"axG",@progbits,_ZL20rocblas_gemvn_kernelILi64ELi4ElPKDF16_PKfKPDF16_EviiT3_lPKT2_lT1_lS9_lSA_lS6_lPT4_lSA_li,comdat
.Lfunc_end427:
	.size	_ZL20rocblas_gemvn_kernelILi64ELi4ElPKDF16_PKfKPDF16_EviiT3_lPKT2_lT1_lS9_lSA_lS6_lPT4_lSA_li, .Lfunc_end427-_ZL20rocblas_gemvn_kernelILi64ELi4ElPKDF16_PKfKPDF16_EviiT3_lPKT2_lT1_lS9_lSA_lS6_lPT4_lSA_li
                                        ; -- End function
	.section	.AMDGPU.csdata,"",@progbits
; Kernel info:
; codeLenInByte = 2688
; NumSgprs: 51
; NumVgprs: 59
; NumAgprs: 0
; TotalNumVgprs: 59
; ScratchSize: 0
; MemoryBound: 0
; FloatMode: 240
; IeeeMode: 1
; LDSByteSize: 4096 bytes/workgroup (compile time only)
; SGPRBlocks: 6
; VGPRBlocks: 7
; NumSGPRsForWavesPerEU: 51
; NumVGPRsForWavesPerEU: 59
; AccumOffset: 60
; Occupancy: 8
; WaveLimiterHint : 1
; COMPUTE_PGM_RSRC2:SCRATCH_EN: 0
; COMPUTE_PGM_RSRC2:USER_SGPR: 2
; COMPUTE_PGM_RSRC2:TRAP_HANDLER: 0
; COMPUTE_PGM_RSRC2:TGID_X_EN: 1
; COMPUTE_PGM_RSRC2:TGID_Y_EN: 0
; COMPUTE_PGM_RSRC2:TGID_Z_EN: 1
; COMPUTE_PGM_RSRC2:TIDIG_COMP_CNT: 1
; COMPUTE_PGM_RSRC3_GFX90A:ACCUM_OFFSET: 14
; COMPUTE_PGM_RSRC3_GFX90A:TG_SPLIT: 0
	.section	.text._ZL20rocblas_gemvn_kernelILi64ELi4EiPKDF16_fKPDF16_EviiT3_lPKT2_lT1_lS7_lS8_lS4_lPT4_lS8_li,"axG",@progbits,_ZL20rocblas_gemvn_kernelILi64ELi4EiPKDF16_fKPDF16_EviiT3_lPKT2_lT1_lS7_lS8_lS4_lPT4_lS8_li,comdat
	.globl	_ZL20rocblas_gemvn_kernelILi64ELi4EiPKDF16_fKPDF16_EviiT3_lPKT2_lT1_lS7_lS8_lS4_lPT4_lS8_li ; -- Begin function _ZL20rocblas_gemvn_kernelILi64ELi4EiPKDF16_fKPDF16_EviiT3_lPKT2_lT1_lS7_lS8_lS4_lPT4_lS8_li
	.p2align	8
	.type	_ZL20rocblas_gemvn_kernelILi64ELi4EiPKDF16_fKPDF16_EviiT3_lPKT2_lT1_lS7_lS8_lS4_lPT4_lS8_li,@function
_ZL20rocblas_gemvn_kernelILi64ELi4EiPKDF16_fKPDF16_EviiT3_lPKT2_lT1_lS7_lS8_lS4_lPT4_lS8_li: ; @_ZL20rocblas_gemvn_kernelILi64ELi4EiPKDF16_fKPDF16_EviiT3_lPKT2_lT1_lS7_lS8_lS4_lPT4_lS8_li
; %bb.0:
	s_load_dwordx2 s[4:5], s[0:1], 0x9c
	s_mov_b32 s6, s3
	s_waitcnt lgkmcnt(0)
	s_and_b32 s3, s5, 0xffff
	s_lshr_b32 s5, s4, 16
	s_and_b32 s4, s4, 0xffff
	s_mul_i32 s4, s5, s4
	s_mul_i32 s4, s4, s3
	s_cmpk_lg_i32 s4, 0x100
	s_cbranch_scc1 .LBB428_56
; %bb.1:
	s_load_dwordx4 s[8:11], s[0:1], 0x0
	s_waitcnt lgkmcnt(0)
	s_load_dword s11, s[0:1], 0x58
	v_cmp_eq_f32_e64 s[4:5], s10, 0
	s_waitcnt lgkmcnt(0)
	v_cmp_eq_f32_e64 s[12:13], s11, 1.0
	s_and_b64 s[12:13], s[4:5], s[12:13]
	s_and_b64 vcc, exec, s[12:13]
	s_cbranch_vccnz .LBB428_56
; %bb.2:
	v_cmp_neq_f32_e64 s[12:13], s10, 0
	s_mov_b32 s7, 0
	s_and_b64 vcc, exec, s[12:13]
	s_cbranch_vccnz .LBB428_4
; %bb.3:
	s_mov_b64 s[16:17], 0
	s_cbranch_execz .LBB428_5
	s_branch .LBB428_6
.LBB428_4:
                                        ; implicit-def: $sgpr16_sgpr17
.LBB428_5:
	s_load_dwordx4 s[16:19], s[0:1], 0x18
	s_lshl_b64 s[14:15], s[6:7], 3
	s_waitcnt lgkmcnt(0)
	s_add_u32 s14, s16, s14
	s_addc_u32 s15, s17, s15
	s_load_dwordx2 s[14:15], s[14:15], 0x0
	s_lshl_b64 s[16:17], s[18:19], 1
	s_waitcnt lgkmcnt(0)
	s_add_u32 s16, s14, s16
	s_addc_u32 s17, s15, s17
.LBB428_6:
	s_mov_b64 s[14:15], 0
	s_andn2_b64 vcc, exec, s[12:13]
	s_mov_b64 s[18:19], 0
	s_cbranch_vccnz .LBB428_8
; %bb.7:
	s_load_dwordx4 s[20:23], s[0:1], 0x38
	s_lshl_b64 s[12:13], s[6:7], 3
	s_waitcnt lgkmcnt(0)
	s_add_u32 s12, s20, s12
	s_addc_u32 s13, s21, s13
	s_load_dwordx2 s[12:13], s[12:13], 0x0
	s_lshl_b64 s[18:19], s[22:23], 1
	s_waitcnt lgkmcnt(0)
	s_add_u32 s18, s12, s18
	s_addc_u32 s19, s13, s19
.LBB428_8:
	s_load_dwordx4 s[20:23], s[0:1], 0x68
	s_load_dword s30, s[0:1], 0x78
	s_lshl_b64 s[6:7], s[6:7], 3
	v_and_b32_e32 v2, 0x3ff, v0
	v_bfe_u32 v14, v0, 10, 10
	s_waitcnt lgkmcnt(0)
	s_add_u32 s6, s20, s6
	s_addc_u32 s7, s21, s7
	s_load_dwordx2 s[6:7], s[6:7], 0x0
	s_lshl_b64 s[12:13], s[22:23], 1
	v_lshl_add_u32 v3, v14, 6, v2
	s_waitcnt lgkmcnt(0)
	s_add_u32 s12, s6, s12
	s_addc_u32 s13, s7, s13
	s_andn2_b64 vcc, exec, s[4:5]
	s_cbranch_vccnz .LBB428_15
; %bb.9:
	s_movk_i32 s3, 0x100
	v_cmp_gt_u32_e32 vcc, s3, v3
	s_mov_b64 s[4:5], 0
                                        ; implicit-def: $vgpr5
                                        ; implicit-def: $vgpr0_vgpr1
	s_and_saveexec_b64 s[6:7], vcc
	s_cbranch_execz .LBB428_16
; %bb.10:
	v_lshl_or_b32 v4, s2, 8, v3
	v_mov_b32_e32 v5, 0
	s_ashr_i32 s15, s8, 31
	s_mov_b32 s14, s8
	v_cmp_gt_i64_e32 vcc, s[14:15], v[4:5]
	s_mov_b64 s[20:21], 0
                                        ; implicit-def: $vgpr0_vgpr1
	s_and_saveexec_b64 s[14:15], vcc
	s_cbranch_execz .LBB428_14
; %bb.11:
	v_mad_u64_u32 v[0:1], s[22:23], s30, v4, 0
	s_ashr_i32 s3, s30, 31
	v_mov_b32_e32 v6, v1
	v_cmp_eq_f32_e64 s[20:21], s11, 0
	v_mad_u64_u32 v[6:7], s[22:23], s3, v4, v[6:7]
	v_mov_b32_e32 v1, v6
	s_and_b64 vcc, exec, s[20:21]
	s_cbranch_vccnz .LBB428_13
; %bb.12:
	v_lshl_add_u64 v[4:5], v[0:1], 1, s[12:13]
	global_load_ushort v4, v[4:5], off
	s_waitcnt vmcnt(0)
	v_fma_mixlo_f16 v5, v4, s11, 0 op_sel_hi:[1,0,0]
.LBB428_13:
	s_mov_b64 s[20:21], exec
.LBB428_14:
	s_or_b64 exec, exec, s[14:15]
	s_and_b64 s[14:15], s[20:21], exec
	s_or_b64 exec, exec, s[6:7]
	s_and_b64 vcc, exec, s[4:5]
	s_cbranch_vccnz .LBB428_17
	s_branch .LBB428_54
.LBB428_15:
                                        ; implicit-def: $vgpr5
                                        ; implicit-def: $vgpr0_vgpr1
	s_cbranch_execnz .LBB428_17
	s_branch .LBB428_54
.LBB428_16:
	s_or_b64 exec, exec, s[6:7]
	s_and_b64 vcc, exec, s[4:5]
	s_cbranch_vccz .LBB428_54
.LBB428_17:
	s_load_dword s33, s[0:1], 0x28
	s_load_dword s34, s[0:1], 0x48
	s_ashr_i32 s0, s9, 31
	s_lshr_b32 s0, s0, 28
	s_add_i32 s0, s9, s0
	s_lshl_b32 s31, s2, 8
	s_and_b32 s35, s0, -16
	v_lshlrev_b32_e32 v20, 2, v14
	v_add_u32_e32 v16, s31, v2
	v_cmp_gt_i32_e32 vcc, s35, v20
	v_mov_b32_e32 v19, 0
	v_mov_b32_e32 v18, 0
	;; [unrolled: 1-line block ×4, first 2 shown]
	s_and_saveexec_b64 s[20:21], vcc
	s_cbranch_execz .LBB428_29
; %bb.18:
	v_add_u32_e32 v0, 64, v16
	v_cmp_gt_i32_e64 s[0:1], s8, v0
	v_add_u32_e32 v0, 0x80, v16
	v_cmp_gt_i32_e64 s[2:3], s8, v0
	;; [unrolled: 2-line block ×3, first 2 shown]
	s_waitcnt lgkmcnt(0)
	v_mul_lo_u32 v0, s33, v20
	v_add_u32_e32 v6, 2, v20
	v_add_u32_e32 v7, 3, v20
	v_add3_u32 v21, v0, s33, v2
	v_mad_u64_u32 v[0:1], s[6:7], s33, v6, v[2:3]
	v_mad_u64_u32 v[4:5], s[6:7], s33, v7, v[2:3]
	v_mul_lo_u32 v1, v14, s33
	v_mul_lo_u32 v5, s34, v20
	;; [unrolled: 1-line block ×4, first 2 shown]
	v_cmp_gt_i32_e32 vcc, s8, v16
	s_lshl_b32 s36, s33, 4
	v_lshl_add_u32 v1, v1, 2, v2
	v_add_u32_e32 v5, s34, v5
	s_lshl_b32 s37, s34, 4
	v_mul_lo_u32 v23, s34, v7
	v_lshlrev_b32_e32 v24, 2, v6
	s_mov_b32 s38, 0
	s_mov_b64 s[22:23], 0
	v_mov_b32_e32 v19, 0
	v_mov_b32_e32 v18, 0
	;; [unrolled: 1-line block ×4, first 2 shown]
	s_branch .LBB428_23
.LBB428_19:                             ;   in Loop: Header=BB428_23 Depth=1
	s_or_b64 exec, exec, s[28:29]
	s_waitcnt vmcnt(0) lgkmcnt(0)
	v_fma_mix_f32 v6, v37, v41, v17 op_sel_hi:[0,1,0]
	v_fma_mix_f32 v6, v38, v42, v6 op_sel_hi:[0,1,0]
	;; [unrolled: 1-line block ×4, first 2 shown]
.LBB428_20:                             ;   in Loop: Header=BB428_23 Depth=1
	s_or_b64 exec, exec, s[26:27]
	v_fma_mix_f32 v6, v37, v33, v18 op_sel_hi:[0,1,0]
	v_fma_mix_f32 v6, v38, v34, v6 op_sel_hi:[0,1,0]
	;; [unrolled: 1-line block ×4, first 2 shown]
.LBB428_21:                             ;   in Loop: Header=BB428_23 Depth=1
	s_or_b64 exec, exec, s[24:25]
	s_waitcnt vmcnt(0) lgkmcnt(0)
	v_fma_mix_f32 v6, v25, v29, v19 op_sel_hi:[1,1,0]
	s_nop 0
	v_fma_mix_f32 v6, v26, v30, v6 op_sel_hi:[1,1,0]
	s_nop 0
	;; [unrolled: 2-line block ×3, first 2 shown]
	v_fma_mix_f32 v19, v28, v32, v6 op_sel_hi:[1,1,0]
.LBB428_22:                             ;   in Loop: Header=BB428_23 Depth=1
	s_or_b64 exec, exec, s[6:7]
	v_add_u32_e32 v20, 16, v20
	s_add_i32 s38, s38, s37
	v_cmp_le_i32_e64 s[6:7], s35, v20
	v_add_u32_e32 v21, s36, v21
	v_add_u32_e32 v0, s36, v0
	;; [unrolled: 1-line block ×3, first 2 shown]
	s_or_b64 s[22:23], s[6:7], s[22:23]
	v_add_u32_e32 v1, s36, v1
	s_andn2_b64 exec, exec, s[22:23]
	s_cbranch_execz .LBB428_28
.LBB428_23:                             ; =>This Inner Loop Header: Depth=1
	s_and_saveexec_b64 s[6:7], vcc
	s_cbranch_execz .LBB428_22
; %bb.24:                               ;   in Loop: Header=BB428_23 Depth=1
	v_add_u32_e32 v6, s38, v24
	v_ashrrev_i32_e32 v7, 31, v6
	v_add_u32_e32 v8, s38, v5
	v_add_u32_e32 v10, s38, v22
	;; [unrolled: 1-line block ×3, first 2 shown]
	v_lshl_add_u64 v[6:7], v[6:7], 1, s[18:19]
	v_ashrrev_i32_e32 v9, 31, v8
	v_ashrrev_i32_e32 v11, 31, v10
	;; [unrolled: 1-line block ×3, first 2 shown]
	v_lshl_add_u64 v[8:9], v[8:9], 1, s[18:19]
	v_lshl_add_u64 v[10:11], v[10:11], 1, s[18:19]
	;; [unrolled: 1-line block ×3, first 2 shown]
	flat_load_ushort v25, v[6:7]
	flat_load_ushort v26, v[8:9]
	;; [unrolled: 1-line block ×4, first 2 shown]
	v_add_u32_e32 v6, s31, v1
	v_ashrrev_i32_e32 v7, 31, v6
	v_add_u32_e32 v8, s31, v21
	v_add_u32_e32 v10, s31, v0
	;; [unrolled: 1-line block ×3, first 2 shown]
	v_lshl_add_u64 v[6:7], v[6:7], 1, s[16:17]
	v_ashrrev_i32_e32 v9, 31, v8
	v_ashrrev_i32_e32 v11, 31, v10
	;; [unrolled: 1-line block ×3, first 2 shown]
	v_lshl_add_u64 v[8:9], v[8:9], 1, s[16:17]
	v_lshl_add_u64 v[10:11], v[10:11], 1, s[16:17]
	;; [unrolled: 1-line block ×3, first 2 shown]
	flat_load_ushort v29, v[6:7]
	flat_load_ushort v30, v[8:9]
	;; [unrolled: 1-line block ×4, first 2 shown]
	s_and_saveexec_b64 s[24:25], s[0:1]
	s_cbranch_execz .LBB428_21
; %bb.25:                               ;   in Loop: Header=BB428_23 Depth=1
	flat_load_ushort v33, v[6:7] offset:128
	flat_load_ushort v34, v[8:9] offset:128
	;; [unrolled: 1-line block ×4, first 2 shown]
	s_waitcnt vmcnt(0) lgkmcnt(0)
	v_cvt_f32_f16_e32 v37, v25
	v_cvt_f32_f16_e32 v38, v26
	;; [unrolled: 1-line block ×4, first 2 shown]
	s_and_saveexec_b64 s[26:27], s[2:3]
	s_cbranch_execz .LBB428_20
; %bb.26:                               ;   in Loop: Header=BB428_23 Depth=1
	flat_load_ushort v41, v[6:7] offset:256
	flat_load_ushort v42, v[8:9] offset:256
	;; [unrolled: 1-line block ×4, first 2 shown]
	s_and_saveexec_b64 s[28:29], s[4:5]
	s_cbranch_execz .LBB428_19
; %bb.27:                               ;   in Loop: Header=BB428_23 Depth=1
	flat_load_ushort v45, v[6:7] offset:384
	flat_load_ushort v46, v[8:9] offset:384
	;; [unrolled: 1-line block ×4, first 2 shown]
	s_waitcnt vmcnt(0) lgkmcnt(0)
	v_fma_mix_f32 v6, v37, v45, v15 op_sel_hi:[0,1,0]
	v_fma_mix_f32 v6, v38, v46, v6 op_sel_hi:[0,1,0]
	;; [unrolled: 1-line block ×4, first 2 shown]
	s_branch .LBB428_19
.LBB428_28:
	s_or_b64 exec, exec, s[22:23]
.LBB428_29:
	s_or_b64 exec, exec, s[20:21]
	s_sub_i32 s0, s9, s35
	s_cmp_lt_i32 s0, 1
	s_cbranch_scc1 .LBB428_47
; %bb.30:
	v_cmp_gt_i32_e32 vcc, s9, v20
	v_mov_b32_e32 v10, 0
	v_or_b32_e32 v4, 1, v20
	v_mov_b32_e32 v11, 0
	v_mov_b32_e32 v12, 0
	;; [unrolled: 1-line block ×3, first 2 shown]
	s_and_saveexec_b64 s[2:3], vcc
	s_cbranch_execz .LBB428_38
; %bb.31:
	s_waitcnt lgkmcnt(0)
	v_mul_lo_u32 v0, v20, s34
	v_ashrrev_i32_e32 v1, 31, v0
	v_lshl_add_u64 v[0:1], v[0:1], 1, s[18:19]
	flat_load_ushort v0, v[0:1]
	v_cmp_gt_i32_e64 s[0:1], s9, v4
	v_mov_b32_e32 v12, 0
	v_mov_b32_e32 v11, 0
	;; [unrolled: 1-line block ×3, first 2 shown]
	s_and_saveexec_b64 s[4:5], s[0:1]
	s_cbranch_execz .LBB428_37
; %bb.32:
	v_mul_lo_u32 v6, v4, s34
	v_ashrrev_i32_e32 v7, 31, v6
	v_lshl_add_u64 v[6:7], v[6:7], 1, s[18:19]
	flat_load_ushort v1, v[6:7]
	v_or_b32_e32 v5, 2, v20
	v_cmp_gt_i32_e64 s[0:1], s9, v5
	v_mov_b32_e32 v11, 0
	v_mov_b32_e32 v10, 0
	s_and_saveexec_b64 s[6:7], s[0:1]
	s_cbranch_execz .LBB428_36
; %bb.33:
	v_mul_lo_u32 v6, v5, s34
	v_ashrrev_i32_e32 v7, 31, v6
	v_lshl_add_u64 v[6:7], v[6:7], 1, s[18:19]
	flat_load_ushort v5, v[6:7]
	v_or_b32_e32 v6, 3, v20
	v_cmp_gt_i32_e64 s[0:1], s9, v6
	v_mov_b32_e32 v10, 0
	s_and_saveexec_b64 s[20:21], s[0:1]
	s_cbranch_execz .LBB428_35
; %bb.34:
	v_mul_lo_u32 v6, v6, s34
	v_ashrrev_i32_e32 v7, 31, v6
	v_lshl_add_u64 v[6:7], v[6:7], 1, s[18:19]
	flat_load_ushort v6, v[6:7]
	s_waitcnt vmcnt(0) lgkmcnt(0)
	v_cvt_f32_f16_e32 v10, v6
.LBB428_35:
	s_or_b64 exec, exec, s[20:21]
	s_waitcnt vmcnt(0) lgkmcnt(0)
	v_cvt_f32_f16_e32 v11, v5
.LBB428_36:
	s_or_b64 exec, exec, s[6:7]
	s_waitcnt vmcnt(0) lgkmcnt(0)
	v_cvt_f32_f16_e32 v12, v1
.LBB428_37:
	s_or_b64 exec, exec, s[4:5]
	s_waitcnt vmcnt(0) lgkmcnt(0)
	v_cvt_f32_f16_e32 v13, v0
.LBB428_38:
	s_or_b64 exec, exec, s[2:3]
	v_cmp_gt_i32_e64 s[0:1], s8, v16
	s_and_saveexec_b64 s[2:3], s[0:1]
	s_cbranch_execz .LBB428_46
; %bb.39:
	s_waitcnt lgkmcnt(0)
	v_mul_lo_u32 v0, v20, s33
	v_cndmask_b32_e32 v0, 0, v0, vcc
	v_mul_lo_u32 v5, v4, s33
	v_cmp_gt_i32_e32 vcc, s9, v4
	v_or_b32_e32 v6, 2, v20
	v_mul_lo_u32 v7, v6, s33
	v_cndmask_b32_e32 v4, 0, v5, vcc
	v_cmp_gt_i32_e32 vcc, s9, v6
	v_or_b32_e32 v8, 3, v20
	v_mul_lo_u32 v9, v8, s33
	v_cndmask_b32_e32 v6, 0, v7, vcc
	v_cmp_gt_i32_e32 vcc, s9, v8
	v_add_u32_e32 v0, v0, v16
	v_ashrrev_i32_e32 v1, 31, v0
	v_cndmask_b32_e32 v8, 0, v9, vcc
	v_add_u32_e32 v4, v4, v16
	v_add_u32_e32 v6, v6, v16
	;; [unrolled: 1-line block ×3, first 2 shown]
	v_lshl_add_u64 v[0:1], v[0:1], 1, s[16:17]
	v_ashrrev_i32_e32 v5, 31, v4
	v_ashrrev_i32_e32 v7, 31, v6
	;; [unrolled: 1-line block ×3, first 2 shown]
	v_lshl_add_u64 v[4:5], v[4:5], 1, s[16:17]
	v_lshl_add_u64 v[6:7], v[6:7], 1, s[16:17]
	flat_load_ushort v21, v[0:1]
	flat_load_ushort v22, v[4:5]
	;; [unrolled: 1-line block ×3, first 2 shown]
	v_lshl_add_u64 v[8:9], v[8:9], 1, s[16:17]
	flat_load_ushort v20, v[8:9]
	v_add_u32_e32 v24, 64, v16
	v_cmp_gt_i32_e32 vcc, s8, v24
	s_waitcnt vmcnt(0) lgkmcnt(0)
	v_fma_mix_f32 v19, v13, v21, v19 op_sel_hi:[0,1,0]
	v_fma_mix_f32 v19, v12, v22, v19 op_sel_hi:[0,1,0]
	v_fma_mix_f32 v19, v11, v23, v19 op_sel_hi:[0,1,0]
	s_and_saveexec_b64 s[0:1], vcc
	s_cbranch_execz .LBB428_45
; %bb.40:
	flat_load_ushort v22, v[0:1] offset:128
	flat_load_ushort v23, v[4:5] offset:128
	flat_load_ushort v24, v[6:7] offset:128
	flat_load_ushort v21, v[8:9] offset:128
	v_add_u32_e32 v25, 0x80, v16
	v_cmp_gt_i32_e32 vcc, s8, v25
	s_waitcnt vmcnt(0) lgkmcnt(0)
	v_fma_mix_f32 v18, v13, v22, v18 op_sel_hi:[0,1,0]
	v_fma_mix_f32 v18, v12, v23, v18 op_sel_hi:[0,1,0]
	v_fma_mix_f32 v18, v11, v24, v18 op_sel_hi:[0,1,0]
	s_and_saveexec_b64 s[4:5], vcc
	s_cbranch_execz .LBB428_44
; %bb.41:
	flat_load_ushort v23, v[0:1] offset:256
	flat_load_ushort v24, v[4:5] offset:256
	flat_load_ushort v25, v[6:7] offset:256
	flat_load_ushort v22, v[8:9] offset:256
	;; [unrolled: 13-line block ×3, first 2 shown]
	s_waitcnt vmcnt(0) lgkmcnt(0)
	v_fma_mix_f32 v0, v13, v17, v15 op_sel_hi:[0,1,0]
	v_fma_mix_f32 v0, v12, v23, v0 op_sel_hi:[0,1,0]
	;; [unrolled: 1-line block ×4, first 2 shown]
.LBB428_43:
	s_or_b64 exec, exec, s[6:7]
	v_fma_mix_f32 v17, v10, v22, v16 op_sel_hi:[0,1,0]
.LBB428_44:
	s_or_b64 exec, exec, s[4:5]
	v_fma_mix_f32 v18, v10, v21, v18 op_sel_hi:[0,1,0]
.LBB428_45:
	s_or_b64 exec, exec, s[0:1]
	v_fma_mix_f32 v19, v10, v20, v19 op_sel_hi:[0,1,0]
.LBB428_46:
	s_or_b64 exec, exec, s[2:3]
.LBB428_47:
	v_lshlrev_b32_e32 v0, 8, v14
	s_movk_i32 s0, 0x100
	v_add_lshl_u32 v0, v0, v2, 2
	v_cmp_gt_u32_e32 vcc, s0, v3
	ds_write2st64_b32 v0, v19, v18 offset1:1
	ds_write2st64_b32 v0, v17, v15 offset0:2 offset1:3
	s_waitcnt lgkmcnt(0)
	s_barrier
	s_waitcnt lgkmcnt(0)
                                        ; implicit-def: $vgpr5
                                        ; implicit-def: $vgpr0_vgpr1
	s_and_saveexec_b64 s[0:1], vcc
	s_cbranch_execz .LBB428_53
; %bb.48:
	v_lshlrev_b32_e32 v6, 2, v3
	ds_read2st64_b32 v[0:1], v6 offset1:4
	ds_read2st64_b32 v[4:5], v6 offset0:8 offset1:12
	v_or_b32_e32 v3, s31, v3
	v_cmp_gt_i32_e32 vcc, s8, v3
	s_mov_b64 s[4:5], s[14:15]
	s_waitcnt lgkmcnt(1)
	v_add_f32_e32 v0, v0, v1
	s_waitcnt lgkmcnt(0)
	v_add_f32_e32 v0, v4, v0
	v_add_f32_e32 v2, v5, v0
	ds_write_b32 v6, v2
                                        ; implicit-def: $vgpr5
                                        ; implicit-def: $vgpr0_vgpr1
	s_and_saveexec_b64 s[2:3], vcc
	s_cbranch_execz .LBB428_52
; %bb.49:
	v_cmp_eq_f32_e64 s[4:5], s11, 0
	v_mul_lo_u32 v0, v3, s30
	v_mul_f32_e32 v2, s10, v2
	v_ashrrev_i32_e32 v1, 31, v0
	s_and_b64 vcc, exec, s[4:5]
	s_cbranch_vccnz .LBB428_51
; %bb.50:
	v_lshl_add_u64 v[4:5], v[0:1], 1, s[12:13]
	global_load_ushort v3, v[4:5], off
	s_waitcnt vmcnt(0)
	v_fma_mix_f32 v2, v3, s11, v2 op_sel_hi:[1,0,0]
.LBB428_51:
	s_nop 0
	v_cvt_f16_f32_e32 v5, v2
	s_or_b64 s[4:5], s[14:15], exec
.LBB428_52:
	s_or_b64 exec, exec, s[2:3]
	s_andn2_b64 s[2:3], s[14:15], exec
	s_and_b64 s[4:5], s[4:5], exec
	s_or_b64 s[14:15], s[2:3], s[4:5]
.LBB428_53:
	s_or_b64 exec, exec, s[0:1]
.LBB428_54:
	s_and_saveexec_b64 s[0:1], s[14:15]
	s_cbranch_execz .LBB428_56
; %bb.55:
	v_lshl_add_u64 v[0:1], v[0:1], 1, s[12:13]
	global_store_short v[0:1], v5, off
.LBB428_56:
	s_endpgm
	.section	.rodata,"a",@progbits
	.p2align	6, 0x0
	.amdhsa_kernel _ZL20rocblas_gemvn_kernelILi64ELi4EiPKDF16_fKPDF16_EviiT3_lPKT2_lT1_lS7_lS8_lS4_lPT4_lS8_li
		.amdhsa_group_segment_fixed_size 4096
		.amdhsa_private_segment_fixed_size 0
		.amdhsa_kernarg_size 400
		.amdhsa_user_sgpr_count 2
		.amdhsa_user_sgpr_dispatch_ptr 0
		.amdhsa_user_sgpr_queue_ptr 0
		.amdhsa_user_sgpr_kernarg_segment_ptr 1
		.amdhsa_user_sgpr_dispatch_id 0
		.amdhsa_user_sgpr_kernarg_preload_length 0
		.amdhsa_user_sgpr_kernarg_preload_offset 0
		.amdhsa_user_sgpr_private_segment_size 0
		.amdhsa_uses_dynamic_stack 0
		.amdhsa_enable_private_segment 0
		.amdhsa_system_sgpr_workgroup_id_x 1
		.amdhsa_system_sgpr_workgroup_id_y 0
		.amdhsa_system_sgpr_workgroup_id_z 1
		.amdhsa_system_sgpr_workgroup_info 0
		.amdhsa_system_vgpr_workitem_id 1
		.amdhsa_next_free_vgpr 49
		.amdhsa_next_free_sgpr 39
		.amdhsa_accum_offset 52
		.amdhsa_reserve_vcc 1
		.amdhsa_float_round_mode_32 0
		.amdhsa_float_round_mode_16_64 0
		.amdhsa_float_denorm_mode_32 3
		.amdhsa_float_denorm_mode_16_64 3
		.amdhsa_dx10_clamp 1
		.amdhsa_ieee_mode 1
		.amdhsa_fp16_overflow 0
		.amdhsa_tg_split 0
		.amdhsa_exception_fp_ieee_invalid_op 0
		.amdhsa_exception_fp_denorm_src 0
		.amdhsa_exception_fp_ieee_div_zero 0
		.amdhsa_exception_fp_ieee_overflow 0
		.amdhsa_exception_fp_ieee_underflow 0
		.amdhsa_exception_fp_ieee_inexact 0
		.amdhsa_exception_int_div_zero 0
	.end_amdhsa_kernel
	.section	.text._ZL20rocblas_gemvn_kernelILi64ELi4EiPKDF16_fKPDF16_EviiT3_lPKT2_lT1_lS7_lS8_lS4_lPT4_lS8_li,"axG",@progbits,_ZL20rocblas_gemvn_kernelILi64ELi4EiPKDF16_fKPDF16_EviiT3_lPKT2_lT1_lS7_lS8_lS4_lPT4_lS8_li,comdat
.Lfunc_end428:
	.size	_ZL20rocblas_gemvn_kernelILi64ELi4EiPKDF16_fKPDF16_EviiT3_lPKT2_lT1_lS7_lS8_lS4_lPT4_lS8_li, .Lfunc_end428-_ZL20rocblas_gemvn_kernelILi64ELi4EiPKDF16_fKPDF16_EviiT3_lPKT2_lT1_lS7_lS8_lS4_lPT4_lS8_li
                                        ; -- End function
	.section	.AMDGPU.csdata,"",@progbits
; Kernel info:
; codeLenInByte = 2360
; NumSgprs: 45
; NumVgprs: 49
; NumAgprs: 0
; TotalNumVgprs: 49
; ScratchSize: 0
; MemoryBound: 0
; FloatMode: 240
; IeeeMode: 1
; LDSByteSize: 4096 bytes/workgroup (compile time only)
; SGPRBlocks: 5
; VGPRBlocks: 6
; NumSGPRsForWavesPerEU: 45
; NumVGPRsForWavesPerEU: 49
; AccumOffset: 52
; Occupancy: 8
; WaveLimiterHint : 1
; COMPUTE_PGM_RSRC2:SCRATCH_EN: 0
; COMPUTE_PGM_RSRC2:USER_SGPR: 2
; COMPUTE_PGM_RSRC2:TRAP_HANDLER: 0
; COMPUTE_PGM_RSRC2:TGID_X_EN: 1
; COMPUTE_PGM_RSRC2:TGID_Y_EN: 0
; COMPUTE_PGM_RSRC2:TGID_Z_EN: 1
; COMPUTE_PGM_RSRC2:TIDIG_COMP_CNT: 1
; COMPUTE_PGM_RSRC3_GFX90A:ACCUM_OFFSET: 12
; COMPUTE_PGM_RSRC3_GFX90A:TG_SPLIT: 0
	.section	.text._ZL20rocblas_gemvn_kernelILi64ELi4ElPKDF16_fKPDF16_EviiT3_lPKT2_lT1_lS7_lS8_lS4_lPT4_lS8_li,"axG",@progbits,_ZL20rocblas_gemvn_kernelILi64ELi4ElPKDF16_fKPDF16_EviiT3_lPKT2_lT1_lS7_lS8_lS4_lPT4_lS8_li,comdat
	.globl	_ZL20rocblas_gemvn_kernelILi64ELi4ElPKDF16_fKPDF16_EviiT3_lPKT2_lT1_lS7_lS8_lS4_lPT4_lS8_li ; -- Begin function _ZL20rocblas_gemvn_kernelILi64ELi4ElPKDF16_fKPDF16_EviiT3_lPKT2_lT1_lS7_lS8_lS4_lPT4_lS8_li
	.p2align	8
	.type	_ZL20rocblas_gemvn_kernelILi64ELi4ElPKDF16_fKPDF16_EviiT3_lPKT2_lT1_lS7_lS8_lS4_lPT4_lS8_li,@function
_ZL20rocblas_gemvn_kernelILi64ELi4ElPKDF16_fKPDF16_EviiT3_lPKT2_lT1_lS7_lS8_lS4_lPT4_lS8_li: ; @_ZL20rocblas_gemvn_kernelILi64ELi4ElPKDF16_fKPDF16_EviiT3_lPKT2_lT1_lS7_lS8_lS4_lPT4_lS8_li
; %bb.0:
	s_load_dwordx2 s[4:5], s[0:1], 0x9c
	s_mov_b32 s12, s3
	s_waitcnt lgkmcnt(0)
	s_and_b32 s3, s5, 0xffff
	s_lshr_b32 s5, s4, 16
	s_and_b32 s4, s4, 0xffff
	s_mul_i32 s4, s5, s4
	s_mul_i32 s4, s4, s3
	s_cmpk_lg_i32 s4, 0x100
	s_cbranch_scc1 .LBB429_56
; %bb.1:
	s_load_dwordx4 s[8:11], s[0:1], 0x0
	s_waitcnt lgkmcnt(0)
	s_load_dword s11, s[0:1], 0x58
	v_cmp_eq_f32_e64 s[26:27], s10, 0
	s_waitcnt lgkmcnt(0)
	v_cmp_eq_f32_e64 s[4:5], s11, 1.0
	s_and_b64 s[4:5], s[26:27], s[4:5]
	s_and_b64 vcc, exec, s[4:5]
	s_cbranch_vccnz .LBB429_56
; %bb.2:
	s_load_dwordx4 s[4:7], s[0:1], 0x18
	s_load_dwordx2 s[18:19], s[0:1], 0x28
	v_cmp_neq_f32_e64 s[16:17], s10, 0
	s_mov_b32 s13, 0
	s_and_b64 vcc, exec, s[16:17]
	s_cbranch_vccnz .LBB429_4
; %bb.3:
	s_mov_b64 s[20:21], 0
	s_cbranch_execz .LBB429_5
	s_branch .LBB429_6
.LBB429_4:
                                        ; implicit-def: $sgpr20_sgpr21
.LBB429_5:
	s_lshl_b64 s[14:15], s[12:13], 3
	s_waitcnt lgkmcnt(0)
	s_add_u32 s4, s4, s14
	s_addc_u32 s5, s5, s15
	s_load_dwordx2 s[4:5], s[4:5], 0x0
	s_lshl_b64 s[6:7], s[6:7], 1
	s_waitcnt lgkmcnt(0)
	s_add_u32 s20, s4, s6
	s_addc_u32 s21, s5, s7
.LBB429_6:
	s_waitcnt lgkmcnt(0)
	s_load_dwordx4 s[4:7], s[0:1], 0x38
	s_load_dwordx2 s[22:23], s[0:1], 0x48
	s_mov_b64 s[14:15], 0
	s_andn2_b64 vcc, exec, s[16:17]
	s_mov_b64 s[24:25], 0
	s_cbranch_vccnz .LBB429_8
; %bb.7:
	s_lshl_b64 s[16:17], s[12:13], 3
	s_waitcnt lgkmcnt(0)
	s_add_u32 s4, s4, s16
	s_addc_u32 s5, s5, s17
	s_load_dwordx2 s[4:5], s[4:5], 0x0
	s_lshl_b64 s[6:7], s[6:7], 1
	s_waitcnt lgkmcnt(0)
	s_add_u32 s24, s4, s6
	s_addc_u32 s25, s5, s7
.LBB429_8:
	s_waitcnt lgkmcnt(0)
	s_load_dwordx4 s[4:7], s[0:1], 0x68
	s_load_dwordx2 s[16:17], s[0:1], 0x78
	s_lshl_b64 s[0:1], s[12:13], 3
	v_and_b32_e32 v29, 0x3ff, v0
	v_bfe_u32 v30, v0, 10, 10
	s_waitcnt lgkmcnt(0)
	s_add_u32 s0, s4, s0
	s_addc_u32 s1, s5, s1
	s_load_dwordx2 s[0:1], s[0:1], 0x0
	s_lshl_b64 s[4:5], s[6:7], 1
	v_lshl_add_u32 v28, v30, 6, v29
	s_waitcnt lgkmcnt(0)
	s_add_u32 s12, s0, s4
	s_addc_u32 s13, s1, s5
	s_andn2_b64 vcc, exec, s[26:27]
	s_cbranch_vccnz .LBB429_15
; %bb.9:
	s_movk_i32 s0, 0x100
	v_cmp_gt_u32_e32 vcc, s0, v28
	s_mov_b64 s[0:1], 0
                                        ; implicit-def: $vgpr3
                                        ; implicit-def: $vgpr0_vgpr1
	s_and_saveexec_b64 s[4:5], vcc
	s_cbranch_execz .LBB429_16
; %bb.10:
	v_lshl_or_b32 v2, s2, 8, v28
	v_mov_b32_e32 v3, 0
	s_ashr_i32 s7, s8, 31
	s_mov_b32 s6, s8
	v_cmp_gt_i64_e32 vcc, s[6:7], v[2:3]
                                        ; implicit-def: $vgpr0_vgpr1
	s_and_saveexec_b64 s[6:7], vcc
	s_cbranch_execz .LBB429_14
; %bb.11:
	v_mad_u64_u32 v[0:1], s[26:27], v2, s16, 0
	v_mov_b32_e32 v4, v1
	v_cmp_eq_f32_e64 s[14:15], s11, 0
	v_mad_u64_u32 v[4:5], s[26:27], v2, s17, v[4:5]
	v_mov_b32_e32 v1, v4
	s_and_b64 vcc, exec, s[14:15]
	s_cbranch_vccnz .LBB429_13
; %bb.12:
	v_lshl_add_u64 v[2:3], v[0:1], 1, s[12:13]
	global_load_ushort v2, v[2:3], off
	s_waitcnt vmcnt(0)
	v_fma_mixlo_f16 v3, v2, s11, 0 op_sel_hi:[1,0,0]
.LBB429_13:
	s_mov_b64 s[14:15], exec
.LBB429_14:
	s_or_b64 exec, exec, s[6:7]
	s_and_b64 s[14:15], s[14:15], exec
	s_or_b64 exec, exec, s[4:5]
	s_and_b64 vcc, exec, s[0:1]
	s_cbranch_vccnz .LBB429_17
	s_branch .LBB429_54
.LBB429_15:
                                        ; implicit-def: $vgpr3
                                        ; implicit-def: $vgpr0_vgpr1
	s_cbranch_execnz .LBB429_17
	s_branch .LBB429_54
.LBB429_16:
	s_or_b64 exec, exec, s[4:5]
	s_and_b64 vcc, exec, s[0:1]
	s_cbranch_vccz .LBB429_54
.LBB429_17:
	s_ashr_i32 s0, s9, 31
	s_lshr_b32 s0, s0, 28
	s_add_i32 s0, s9, s0
	s_lshl_b32 s33, s2, 8
	s_and_b32 s44, s0, -16
	v_lshlrev_b32_e32 v33, 2, v30
	v_add_u32_e32 v0, s33, v29
	v_cmp_gt_i32_e32 vcc, s44, v33
	v_mov_b32_e32 v35, 0
	v_mov_b32_e32 v34, 0
	v_mov_b32_e32 v32, 0
	v_mov_b32_e32 v31, 0
	s_and_saveexec_b64 s[26:27], vcc
	s_cbranch_execz .LBB429_29
; %bb.18:
	v_add_u32_e32 v2, 64, v0
	v_cmp_gt_i32_e64 s[0:1], s8, v2
	v_add_u32_e32 v2, 0x80, v0
	v_ashrrev_i32_e32 v1, 31, v0
	v_cmp_gt_i32_e64 s[2:3], s8, v2
	v_add_u32_e32 v2, 0xc0, v0
	v_cmp_gt_i32_e64 s[4:5], s8, v2
	v_lshlrev_b64 v[2:3], 1, v[0:1]
	v_lshlrev_b32_e32 v1, 2, v30
	v_or_b32_e32 v15, 3, v1
	v_mad_u64_u32 v[4:5], s[6:7], s18, v15, 0
	v_mov_b32_e32 v6, v5
	v_mad_u64_u32 v[6:7], s[6:7], s19, v15, v[6:7]
	v_mov_b32_e32 v5, v6
	;; [unrolled: 2-line block ×6, first 2 shown]
	v_mov_b64_e32 v[10:11], s[22:23]
	v_mad_u64_u32 v[10:11], s[6:7], s22, v1, v[10:11]
	v_mov_b32_e32 v12, v11
	v_mad_u64_u32 v[12:13], s[6:7], s23, v1, v[12:13]
	v_mov_b32_e32 v11, v12
	;; [unrolled: 2-line block ×3, first 2 shown]
	v_mad_u64_u32 v[14:15], s[6:7], s23, v15, v[14:15]
	v_or_b32_e32 v21, 2, v1
	v_mov_b32_e32 v13, v14
	v_mad_u64_u32 v[14:15], s[6:7], s18, v21, 0
	v_mov_b32_e32 v16, v15
	v_mad_u64_u32 v[16:17], s[6:7], s19, v21, v[16:17]
	v_mov_b32_e32 v15, v16
	v_mov_b64_e32 v[16:17], s[18:19]
	v_mad_u64_u32 v[16:17], s[6:7], s18, v1, v[16:17]
	v_mov_b32_e32 v18, v17
	v_mad_u64_u32 v[18:19], s[6:7], s19, v1, v[18:19]
	v_mov_b32_e32 v17, v18
	;; [unrolled: 2-line block ×4, first 2 shown]
	v_cmp_gt_i32_e32 vcc, s8, v0
	v_lshl_add_u64 v[4:5], v[4:5], 1, s[20:21]
	s_lshl_b64 s[28:29], s[18:19], 5
	v_lshlrev_b64 v[6:7], 3, v[6:7]
	s_lshl_b64 s[30:31], s[22:23], 5
	v_lshl_add_u64 v[8:9], v[8:9], 3, s[20:21]
	v_lshlrev_b64 v[10:11], 1, v[10:11]
	v_lshlrev_b64 v[12:13], 1, v[12:13]
	v_lshl_add_u64 v[14:15], v[14:15], 1, s[20:21]
	v_lshl_add_u64 v[16:17], v[16:17], 1, s[20:21]
	v_lshlrev_b64 v[18:19], 1, v[18:19]
	s_mov_b64 s[34:35], 0
	v_mov_b32_e32 v35, 0
	s_mov_b64 s[36:37], s[24:25]
	v_mov_b32_e32 v34, 0
	v_mov_b32_e32 v32, 0
	;; [unrolled: 1-line block ×3, first 2 shown]
	s_branch .LBB429_23
.LBB429_19:                             ;   in Loop: Header=BB429_23 Depth=1
	s_or_b64 exec, exec, s[42:43]
	s_waitcnt vmcnt(0) lgkmcnt(0)
	v_fma_mix_f32 v20, v47, v51, v32 op_sel_hi:[0,1,0]
	v_fma_mix_f32 v20, v48, v52, v20 op_sel_hi:[0,1,0]
	;; [unrolled: 1-line block ×4, first 2 shown]
.LBB429_20:                             ;   in Loop: Header=BB429_23 Depth=1
	s_or_b64 exec, exec, s[40:41]
	v_fma_mix_f32 v20, v47, v43, v34 op_sel_hi:[0,1,0]
	v_fma_mix_f32 v20, v48, v44, v20 op_sel_hi:[0,1,0]
	;; [unrolled: 1-line block ×4, first 2 shown]
.LBB429_21:                             ;   in Loop: Header=BB429_23 Depth=1
	s_or_b64 exec, exec, s[38:39]
	s_waitcnt vmcnt(0) lgkmcnt(0)
	v_fma_mix_f32 v1, v1, v39, v35 op_sel_hi:[1,1,0]
	s_nop 0
	v_fma_mix_f32 v1, v36, v40, v1 op_sel_hi:[1,1,0]
	s_nop 0
	;; [unrolled: 2-line block ×3, first 2 shown]
	v_fma_mix_f32 v35, v38, v42, v1 op_sel_hi:[1,1,0]
.LBB429_22:                             ;   in Loop: Header=BB429_23 Depth=1
	s_or_b64 exec, exec, s[6:7]
	v_add_u32_e32 v33, 16, v33
	s_add_u32 s36, s36, s30
	s_addc_u32 s37, s37, s31
	v_cmp_le_i32_e64 s[6:7], s44, v33
	v_lshl_add_u64 v[4:5], v[4:5], 0, s[28:29]
	v_lshl_add_u64 v[8:9], v[8:9], 0, s[28:29]
	;; [unrolled: 1-line block ×3, first 2 shown]
	s_or_b64 s[34:35], s[6:7], s[34:35]
	v_lshl_add_u64 v[16:17], v[16:17], 0, s[28:29]
	s_andn2_b64 exec, exec, s[34:35]
	s_cbranch_execz .LBB429_28
.LBB429_23:                             ; =>This Inner Loop Header: Depth=1
	s_and_saveexec_b64 s[6:7], vcc
	s_cbranch_execz .LBB429_22
; %bb.24:                               ;   in Loop: Header=BB429_23 Depth=1
	v_lshl_add_u64 v[20:21], s[36:37], 0, v[6:7]
	v_lshl_add_u64 v[22:23], s[36:37], 0, v[10:11]
	;; [unrolled: 1-line block ×4, first 2 shown]
	flat_load_ushort v1, v[20:21]
	flat_load_ushort v36, v[22:23]
	;; [unrolled: 1-line block ×4, first 2 shown]
	v_lshl_add_u64 v[20:21], v[8:9], 0, v[2:3]
	v_lshl_add_u64 v[22:23], v[16:17], 0, v[2:3]
	;; [unrolled: 1-line block ×4, first 2 shown]
	flat_load_ushort v39, v[20:21]
	flat_load_ushort v40, v[22:23]
	;; [unrolled: 1-line block ×4, first 2 shown]
	s_and_saveexec_b64 s[38:39], s[0:1]
	s_cbranch_execz .LBB429_21
; %bb.25:                               ;   in Loop: Header=BB429_23 Depth=1
	flat_load_ushort v43, v[20:21] offset:128
	flat_load_ushort v44, v[22:23] offset:128
	;; [unrolled: 1-line block ×4, first 2 shown]
	s_waitcnt vmcnt(0) lgkmcnt(0)
	v_cvt_f32_f16_e32 v47, v1
	v_cvt_f32_f16_e32 v48, v36
	;; [unrolled: 1-line block ×4, first 2 shown]
	s_and_saveexec_b64 s[40:41], s[2:3]
	s_cbranch_execz .LBB429_20
; %bb.26:                               ;   in Loop: Header=BB429_23 Depth=1
	flat_load_ushort v51, v[20:21] offset:256
	flat_load_ushort v52, v[22:23] offset:256
	flat_load_ushort v53, v[24:25] offset:256
	flat_load_ushort v54, v[26:27] offset:256
	s_and_saveexec_b64 s[42:43], s[4:5]
	s_cbranch_execz .LBB429_19
; %bb.27:                               ;   in Loop: Header=BB429_23 Depth=1
	flat_load_ushort v55, v[20:21] offset:384
	flat_load_ushort v56, v[22:23] offset:384
	;; [unrolled: 1-line block ×4, first 2 shown]
	s_waitcnt vmcnt(0) lgkmcnt(0)
	v_fma_mix_f32 v20, v47, v55, v31 op_sel_hi:[0,1,0]
	v_fma_mix_f32 v20, v48, v56, v20 op_sel_hi:[0,1,0]
	;; [unrolled: 1-line block ×4, first 2 shown]
	s_branch .LBB429_19
.LBB429_28:
	s_or_b64 exec, exec, s[34:35]
.LBB429_29:
	s_or_b64 exec, exec, s[26:27]
	s_sub_i32 s0, s9, s44
	s_cmp_lt_i32 s0, 1
	s_cbranch_scc1 .LBB429_47
; %bb.30:
	v_cmp_gt_i32_e32 vcc, s9, v33
	v_mov_b32_e32 v10, 0
	v_or_b32_e32 v4, 1, v33
	v_mov_b32_e32 v11, 0
	v_mov_b32_e32 v12, 0
	;; [unrolled: 1-line block ×3, first 2 shown]
	s_and_saveexec_b64 s[2:3], vcc
	s_cbranch_execz .LBB429_38
; %bb.31:
	v_mad_u64_u32 v[2:3], s[0:1], v33, s22, 0
	v_mov_b32_e32 v6, v3
	v_mad_u64_u32 v[6:7], s[0:1], v33, s23, v[6:7]
	v_mov_b32_e32 v3, v6
	v_lshl_add_u64 v[2:3], v[2:3], 1, s[24:25]
	flat_load_ushort v1, v[2:3]
	v_cmp_gt_i32_e64 s[0:1], s9, v4
	v_mov_b32_e32 v12, 0
	v_mov_b32_e32 v11, 0
	;; [unrolled: 1-line block ×3, first 2 shown]
	s_and_saveexec_b64 s[4:5], s[0:1]
	s_cbranch_execz .LBB429_37
; %bb.32:
	v_mad_u64_u32 v[2:3], s[0:1], v4, s22, 0
	v_mov_b32_e32 v6, v3
	v_mad_u64_u32 v[6:7], s[0:1], v4, s23, v[6:7]
	v_mov_b32_e32 v3, v6
	v_lshl_add_u64 v[2:3], v[2:3], 1, s[24:25]
	flat_load_ushort v2, v[2:3]
	v_or_b32_e32 v3, 2, v33
	v_cmp_gt_i32_e64 s[0:1], s9, v3
	v_mov_b32_e32 v11, 0
	v_mov_b32_e32 v10, 0
	s_and_saveexec_b64 s[6:7], s[0:1]
	s_cbranch_execz .LBB429_36
; %bb.33:
	v_mad_u64_u32 v[6:7], s[0:1], v3, s22, 0
	v_mov_b32_e32 v8, v7
	v_mad_u64_u32 v[8:9], s[0:1], v3, s23, v[8:9]
	v_mov_b32_e32 v7, v8
	v_lshl_add_u64 v[6:7], v[6:7], 1, s[24:25]
	flat_load_ushort v3, v[6:7]
	v_or_b32_e32 v5, 3, v33
	v_cmp_gt_i32_e64 s[0:1], s9, v5
	v_mov_b32_e32 v10, 0
	s_and_saveexec_b64 s[26:27], s[0:1]
	s_cbranch_execz .LBB429_35
; %bb.34:
	v_mad_u64_u32 v[6:7], s[0:1], v5, s22, 0
	v_mov_b32_e32 v8, v7
	v_mad_u64_u32 v[8:9], s[0:1], v5, s23, v[8:9]
	v_mov_b32_e32 v7, v8
	v_lshl_add_u64 v[6:7], v[6:7], 1, s[24:25]
	flat_load_ushort v5, v[6:7]
	s_waitcnt vmcnt(0) lgkmcnt(0)
	v_cvt_f32_f16_e32 v10, v5
.LBB429_35:
	s_or_b64 exec, exec, s[26:27]
	s_waitcnt vmcnt(0) lgkmcnt(0)
	v_cvt_f32_f16_e32 v11, v3
.LBB429_36:
	s_or_b64 exec, exec, s[6:7]
	s_waitcnt vmcnt(0) lgkmcnt(0)
	v_cvt_f32_f16_e32 v12, v2
.LBB429_37:
	s_or_b64 exec, exec, s[4:5]
	s_waitcnt vmcnt(0) lgkmcnt(0)
	v_cvt_f32_f16_e32 v13, v1
.LBB429_38:
	s_or_b64 exec, exec, s[2:3]
	v_cmp_gt_i32_e64 s[0:1], s8, v0
	s_and_saveexec_b64 s[2:3], s[0:1]
	s_cbranch_execz .LBB429_46
; %bb.39:
	v_mad_u64_u32 v[2:3], s[0:1], v33, s18, 0
	v_mov_b32_e32 v6, v3
	v_mad_u64_u32 v[6:7], s[0:1], v33, s19, v[6:7]
	v_ashrrev_i32_e32 v1, 31, v0
	v_cndmask_b32_e32 v3, 0, v6, vcc
	v_mad_u64_u32 v[6:7], s[0:1], v4, s18, 0
	v_cndmask_b32_e32 v2, 0, v2, vcc
	v_lshlrev_b64 v[8:9], 1, v[0:1]
	v_mov_b32_e32 v14, v7
	v_cmp_gt_i32_e32 vcc, s9, v4
	v_or_b32_e32 v1, 2, v33
	v_mad_u64_u32 v[14:15], s[0:1], v4, s19, v[14:15]
	v_cndmask_b32_e32 v4, 0, v6, vcc
	v_mad_u64_u32 v[6:7], s[0:1], v1, s18, 0
	v_cndmask_b32_e32 v5, 0, v14, vcc
	v_mov_b32_e32 v14, v7
	v_mad_u64_u32 v[14:15], s[0:1], v1, s19, v[14:15]
	v_cmp_gt_i32_e32 vcc, s9, v1
	v_or_b32_e32 v1, 3, v33
	v_lshl_add_u64 v[2:3], v[2:3], 1, s[20:21]
	v_cndmask_b32_e32 v7, 0, v14, vcc
	v_mad_u64_u32 v[14:15], s[0:1], v1, s18, 0
	v_mov_b32_e32 v16, v15
	v_cndmask_b32_e32 v6, 0, v6, vcc
	v_mad_u64_u32 v[16:17], s[0:1], v1, s19, v[16:17]
	v_cmp_gt_i32_e32 vcc, s9, v1
	v_lshl_add_u64 v[2:3], v[2:3], 0, v[8:9]
	v_lshl_add_u64 v[4:5], v[4:5], 1, s[20:21]
	v_cndmask_b32_e32 v14, 0, v14, vcc
	v_cndmask_b32_e32 v15, 0, v16, vcc
	v_lshl_add_u64 v[6:7], v[6:7], 1, s[20:21]
	v_lshl_add_u64 v[14:15], v[14:15], 1, s[20:21]
	;; [unrolled: 1-line block ×4, first 2 shown]
	flat_load_ushort v16, v[2:3]
	flat_load_ushort v17, v[4:5]
	;; [unrolled: 1-line block ×3, first 2 shown]
	v_lshl_add_u64 v[8:9], v[14:15], 0, v[8:9]
	flat_load_ushort v1, v[8:9]
	v_add_u32_e32 v15, 64, v0
	v_cmp_gt_i32_e32 vcc, s8, v15
	s_waitcnt vmcnt(0) lgkmcnt(0)
	v_fma_mix_f32 v14, v13, v16, v35 op_sel_hi:[0,1,0]
	v_fma_mix_f32 v14, v12, v17, v14 op_sel_hi:[0,1,0]
	v_fma_mix_f32 v14, v11, v18, v14 op_sel_hi:[0,1,0]
	s_and_saveexec_b64 s[0:1], vcc
	s_cbranch_execz .LBB429_45
; %bb.40:
	flat_load_ushort v16, v[2:3] offset:128
	flat_load_ushort v17, v[4:5] offset:128
	flat_load_ushort v18, v[6:7] offset:128
	flat_load_ushort v15, v[8:9] offset:128
	v_add_u32_e32 v19, 0x80, v0
	v_cmp_gt_i32_e32 vcc, s8, v19
	s_waitcnt vmcnt(0) lgkmcnt(0)
	v_fma_mix_f32 v16, v13, v16, v34 op_sel_hi:[0,1,0]
	v_fma_mix_f32 v16, v12, v17, v16 op_sel_hi:[0,1,0]
	v_fma_mix_f32 v16, v11, v18, v16 op_sel_hi:[0,1,0]
	s_and_saveexec_b64 s[4:5], vcc
	s_cbranch_execz .LBB429_44
; %bb.41:
	flat_load_ushort v18, v[2:3] offset:256
	flat_load_ushort v19, v[4:5] offset:256
	flat_load_ushort v20, v[6:7] offset:256
	flat_load_ushort v17, v[8:9] offset:256
	;; [unrolled: 13-line block ×3, first 2 shown]
	s_waitcnt vmcnt(0) lgkmcnt(0)
	v_fma_mix_f32 v2, v13, v18, v31 op_sel_hi:[0,1,0]
	v_fma_mix_f32 v2, v12, v19, v2 op_sel_hi:[0,1,0]
	;; [unrolled: 1-line block ×4, first 2 shown]
.LBB429_43:
	s_or_b64 exec, exec, s[6:7]
	v_fma_mix_f32 v32, v10, v17, v0 op_sel_hi:[0,1,0]
.LBB429_44:
	s_or_b64 exec, exec, s[4:5]
	v_fma_mix_f32 v34, v10, v15, v16 op_sel_hi:[0,1,0]
.LBB429_45:
	s_or_b64 exec, exec, s[0:1]
	v_fma_mix_f32 v35, v10, v1, v14 op_sel_hi:[0,1,0]
.LBB429_46:
	s_or_b64 exec, exec, s[2:3]
.LBB429_47:
	v_lshlrev_b32_e32 v0, 8, v30
	s_movk_i32 s0, 0x100
	v_add_lshl_u32 v0, v0, v29, 2
	v_cmp_gt_u32_e32 vcc, s0, v28
	ds_write2st64_b32 v0, v35, v34 offset1:1
	ds_write2st64_b32 v0, v32, v31 offset0:2 offset1:3
	s_waitcnt lgkmcnt(0)
	s_barrier
	s_waitcnt lgkmcnt(0)
                                        ; implicit-def: $vgpr3
                                        ; implicit-def: $vgpr0_vgpr1
	s_and_saveexec_b64 s[0:1], vcc
	s_cbranch_execz .LBB429_53
; %bb.48:
	v_lshlrev_b32_e32 v5, 2, v28
	ds_read2st64_b32 v[0:1], v5 offset1:4
	ds_read2st64_b32 v[2:3], v5 offset0:8 offset1:12
	v_or_b32_e32 v4, s33, v28
	v_cmp_gt_i32_e32 vcc, s8, v4
	s_mov_b64 s[4:5], s[14:15]
	s_waitcnt lgkmcnt(1)
	v_add_f32_e32 v0, v0, v1
	s_waitcnt lgkmcnt(0)
	v_add_f32_e32 v0, v2, v0
	v_add_f32_e32 v2, v3, v0
	ds_write_b32 v5, v2
                                        ; implicit-def: $vgpr3
                                        ; implicit-def: $vgpr0_vgpr1
	s_and_saveexec_b64 s[2:3], vcc
	s_cbranch_execz .LBB429_52
; %bb.49:
	v_ashrrev_i32_e32 v0, 31, v4
	v_cmp_eq_f32_e64 s[4:5], s11, 0
	v_mul_lo_u32 v3, v4, s17
	v_mul_lo_u32 v5, v0, s16
	v_mad_u64_u32 v[0:1], s[6:7], v4, s16, 0
	v_mul_f32_e32 v2, s10, v2
	v_add3_u32 v1, v1, v3, v5
	s_and_b64 vcc, exec, s[4:5]
	s_cbranch_vccnz .LBB429_51
; %bb.50:
	v_lshl_add_u64 v[4:5], v[0:1], 1, s[12:13]
	global_load_ushort v3, v[4:5], off
	s_waitcnt vmcnt(0)
	v_fma_mix_f32 v2, v3, s11, v2 op_sel_hi:[1,0,0]
.LBB429_51:
	s_nop 0
	v_cvt_f16_f32_e32 v3, v2
	s_or_b64 s[4:5], s[14:15], exec
.LBB429_52:
	s_or_b64 exec, exec, s[2:3]
	s_andn2_b64 s[2:3], s[14:15], exec
	s_and_b64 s[4:5], s[4:5], exec
	s_or_b64 s[14:15], s[2:3], s[4:5]
.LBB429_53:
	s_or_b64 exec, exec, s[0:1]
.LBB429_54:
	s_and_saveexec_b64 s[0:1], s[14:15]
	s_cbranch_execz .LBB429_56
; %bb.55:
	v_lshl_add_u64 v[0:1], v[0:1], 1, s[12:13]
	global_store_short v[0:1], v3, off
.LBB429_56:
	s_endpgm
	.section	.rodata,"a",@progbits
	.p2align	6, 0x0
	.amdhsa_kernel _ZL20rocblas_gemvn_kernelILi64ELi4ElPKDF16_fKPDF16_EviiT3_lPKT2_lT1_lS7_lS8_lS4_lPT4_lS8_li
		.amdhsa_group_segment_fixed_size 4096
		.amdhsa_private_segment_fixed_size 0
		.amdhsa_kernarg_size 400
		.amdhsa_user_sgpr_count 2
		.amdhsa_user_sgpr_dispatch_ptr 0
		.amdhsa_user_sgpr_queue_ptr 0
		.amdhsa_user_sgpr_kernarg_segment_ptr 1
		.amdhsa_user_sgpr_dispatch_id 0
		.amdhsa_user_sgpr_kernarg_preload_length 0
		.amdhsa_user_sgpr_kernarg_preload_offset 0
		.amdhsa_user_sgpr_private_segment_size 0
		.amdhsa_uses_dynamic_stack 0
		.amdhsa_enable_private_segment 0
		.amdhsa_system_sgpr_workgroup_id_x 1
		.amdhsa_system_sgpr_workgroup_id_y 0
		.amdhsa_system_sgpr_workgroup_id_z 1
		.amdhsa_system_sgpr_workgroup_info 0
		.amdhsa_system_vgpr_workitem_id 1
		.amdhsa_next_free_vgpr 59
		.amdhsa_next_free_sgpr 45
		.amdhsa_accum_offset 60
		.amdhsa_reserve_vcc 1
		.amdhsa_float_round_mode_32 0
		.amdhsa_float_round_mode_16_64 0
		.amdhsa_float_denorm_mode_32 3
		.amdhsa_float_denorm_mode_16_64 3
		.amdhsa_dx10_clamp 1
		.amdhsa_ieee_mode 1
		.amdhsa_fp16_overflow 0
		.amdhsa_tg_split 0
		.amdhsa_exception_fp_ieee_invalid_op 0
		.amdhsa_exception_fp_denorm_src 0
		.amdhsa_exception_fp_ieee_div_zero 0
		.amdhsa_exception_fp_ieee_overflow 0
		.amdhsa_exception_fp_ieee_underflow 0
		.amdhsa_exception_fp_ieee_inexact 0
		.amdhsa_exception_int_div_zero 0
	.end_amdhsa_kernel
	.section	.text._ZL20rocblas_gemvn_kernelILi64ELi4ElPKDF16_fKPDF16_EviiT3_lPKT2_lT1_lS7_lS8_lS4_lPT4_lS8_li,"axG",@progbits,_ZL20rocblas_gemvn_kernelILi64ELi4ElPKDF16_fKPDF16_EviiT3_lPKT2_lT1_lS7_lS8_lS4_lPT4_lS8_li,comdat
.Lfunc_end429:
	.size	_ZL20rocblas_gemvn_kernelILi64ELi4ElPKDF16_fKPDF16_EviiT3_lPKT2_lT1_lS7_lS8_lS4_lPT4_lS8_li, .Lfunc_end429-_ZL20rocblas_gemvn_kernelILi64ELi4ElPKDF16_fKPDF16_EviiT3_lPKT2_lT1_lS7_lS8_lS4_lPT4_lS8_li
                                        ; -- End function
	.section	.AMDGPU.csdata,"",@progbits
; Kernel info:
; codeLenInByte = 2644
; NumSgprs: 51
; NumVgprs: 59
; NumAgprs: 0
; TotalNumVgprs: 59
; ScratchSize: 0
; MemoryBound: 0
; FloatMode: 240
; IeeeMode: 1
; LDSByteSize: 4096 bytes/workgroup (compile time only)
; SGPRBlocks: 6
; VGPRBlocks: 7
; NumSGPRsForWavesPerEU: 51
; NumVGPRsForWavesPerEU: 59
; AccumOffset: 60
; Occupancy: 8
; WaveLimiterHint : 1
; COMPUTE_PGM_RSRC2:SCRATCH_EN: 0
; COMPUTE_PGM_RSRC2:USER_SGPR: 2
; COMPUTE_PGM_RSRC2:TRAP_HANDLER: 0
; COMPUTE_PGM_RSRC2:TGID_X_EN: 1
; COMPUTE_PGM_RSRC2:TGID_Y_EN: 0
; COMPUTE_PGM_RSRC2:TGID_Z_EN: 1
; COMPUTE_PGM_RSRC2:TIDIG_COMP_CNT: 1
; COMPUTE_PGM_RSRC3_GFX90A:ACCUM_OFFSET: 14
; COMPUTE_PGM_RSRC3_GFX90A:TG_SPLIT: 0
	.section	.text._ZL20rocblas_gemvn_kernelILi32ELi16EiPKDF16_PKfKPDF16_EviiT3_lPKT2_lT1_lS9_lSA_lS6_lPT4_lSA_li,"axG",@progbits,_ZL20rocblas_gemvn_kernelILi32ELi16EiPKDF16_PKfKPDF16_EviiT3_lPKT2_lT1_lS9_lSA_lS6_lPT4_lSA_li,comdat
	.globl	_ZL20rocblas_gemvn_kernelILi32ELi16EiPKDF16_PKfKPDF16_EviiT3_lPKT2_lT1_lS9_lSA_lS6_lPT4_lSA_li ; -- Begin function _ZL20rocblas_gemvn_kernelILi32ELi16EiPKDF16_PKfKPDF16_EviiT3_lPKT2_lT1_lS9_lSA_lS6_lPT4_lSA_li
	.p2align	8
	.type	_ZL20rocblas_gemvn_kernelILi32ELi16EiPKDF16_PKfKPDF16_EviiT3_lPKT2_lT1_lS9_lSA_lS6_lPT4_lSA_li,@function
_ZL20rocblas_gemvn_kernelILi32ELi16EiPKDF16_PKfKPDF16_EviiT3_lPKT2_lT1_lS9_lSA_lS6_lPT4_lSA_li: ; @_ZL20rocblas_gemvn_kernelILi32ELi16EiPKDF16_PKfKPDF16_EviiT3_lPKT2_lT1_lS9_lSA_lS6_lPT4_lSA_li
; %bb.0:
	s_load_dwordx2 s[4:5], s[0:1], 0x9c
	s_mov_b32 s22, s3
	s_waitcnt lgkmcnt(0)
	s_and_b32 s3, s5, 0xffff
	s_lshr_b32 s5, s4, 16
	s_and_b32 s4, s4, 0xffff
	s_mul_i32 s4, s5, s4
	s_mul_i32 s4, s4, s3
	s_cmpk_lg_i32 s4, 0x200
	s_cbranch_scc1 .LBB430_54
; %bb.1:
	s_load_dwordx8 s[12:19], s[0:1], 0x8
	s_load_dwordx8 s[4:11], s[0:1], 0x58
	s_waitcnt lgkmcnt(0)
	s_mul_i32 s3, s22, s15
	s_mul_hi_u32 s15, s22, s14
	s_mul_i32 s14, s22, s14
	s_add_i32 s15, s15, s3
	s_lshl_b64 s[14:15], s[14:15], 2
	s_mul_i32 s7, s22, s7
	s_add_u32 s12, s12, s14
	s_mul_hi_u32 s3, s22, s6
	s_addc_u32 s13, s13, s15
	s_add_i32 s7, s3, s7
	s_mul_i32 s6, s22, s6
	s_lshl_b64 s[6:7], s[6:7], 2
	s_add_u32 s4, s4, s6
	s_addc_u32 s5, s5, s7
	s_load_dword s28, s[12:13], 0x0
	s_load_dword s29, s[4:5], 0x0
	s_waitcnt lgkmcnt(0)
	v_cmp_eq_f32_e64 s[4:5], s28, 0
	v_cmp_eq_f32_e64 s[6:7], s29, 1.0
	s_and_b64 s[6:7], s[4:5], s[6:7]
	s_and_b64 vcc, exec, s[6:7]
	s_cbranch_vccnz .LBB430_54
; %bb.2:
	s_mov_b32 s23, 0
	v_cmp_neq_f32_e64 s[6:7], s28, 0
	s_mov_b64 s[20:21], 0
	s_and_b64 vcc, exec, s[4:5]
	s_mov_b64 s[14:15], 0
	s_cbranch_vccnz .LBB430_4
; %bb.3:
	s_lshl_b64 s[12:13], s[22:23], 3
	s_add_u32 s12, s16, s12
	s_addc_u32 s13, s17, s13
	s_load_dwordx2 s[12:13], s[12:13], 0x0
	s_lshl_b64 s[14:15], s[18:19], 1
	s_waitcnt lgkmcnt(0)
	s_add_u32 s14, s12, s14
	s_addc_u32 s15, s13, s15
.LBB430_4:
	s_andn2_b64 vcc, exec, s[6:7]
	s_cbranch_vccnz .LBB430_6
; %bb.5:
	s_load_dwordx4 s[16:19], s[0:1], 0x38
	s_lshl_b64 s[6:7], s[22:23], 3
	s_waitcnt lgkmcnt(0)
	s_add_u32 s6, s16, s6
	s_addc_u32 s7, s17, s7
	s_load_dwordx2 s[6:7], s[6:7], 0x0
	s_lshl_b64 s[12:13], s[18:19], 1
	s_waitcnt lgkmcnt(0)
	s_add_u32 s20, s6, s12
	s_addc_u32 s21, s7, s13
.LBB430_6:
	s_lshl_b64 s[6:7], s[22:23], 3
	s_add_u32 s6, s8, s6
	s_addc_u32 s7, s9, s7
	s_load_dwordx2 s[8:9], s[6:7], 0x0
	s_load_dwordx2 s[12:13], s[0:1], 0x0
	s_load_dword s30, s[0:1], 0x78
	s_lshl_b64 s[6:7], s[10:11], 1
	v_and_b32_e32 v2, 0x3ff, v0
	s_waitcnt lgkmcnt(0)
	s_add_u32 s8, s8, s6
	v_bfe_u32 v14, v0, 10, 10
	s_addc_u32 s9, s9, s7
	s_andn2_b64 vcc, exec, s[4:5]
	v_lshl_add_u32 v3, v14, 5, v2
	s_cbranch_vccnz .LBB430_13
; %bb.7:
	s_movk_i32 s3, 0x80
	v_cmp_gt_u32_e32 vcc, s3, v3
	s_mov_b64 s[4:5], 0
	s_mov_b64 s[10:11], 0
                                        ; implicit-def: $vgpr5
                                        ; implicit-def: $vgpr0_vgpr1
	s_and_saveexec_b64 s[6:7], vcc
	s_cbranch_execz .LBB430_14
; %bb.8:
	v_lshl_or_b32 v4, s2, 7, v3
	v_mov_b32_e32 v5, 0
	s_ashr_i32 s11, s12, 31
	s_mov_b32 s10, s12
	v_cmp_gt_i64_e32 vcc, s[10:11], v[4:5]
	s_mov_b64 s[16:17], 0
                                        ; implicit-def: $vgpr0_vgpr1
	s_and_saveexec_b64 s[10:11], vcc
	s_cbranch_execz .LBB430_12
; %bb.9:
	v_mad_u64_u32 v[0:1], s[18:19], s30, v4, 0
	s_ashr_i32 s3, s30, 31
	v_mov_b32_e32 v6, v1
	v_cmp_eq_f32_e64 s[16:17], s29, 0
	v_mad_u64_u32 v[6:7], s[18:19], s3, v4, v[6:7]
	v_mov_b32_e32 v1, v6
	s_and_b64 vcc, exec, s[16:17]
	s_cbranch_vccnz .LBB430_11
; %bb.10:
	v_lshl_add_u64 v[4:5], v[0:1], 1, s[8:9]
	global_load_ushort v4, v[4:5], off
	s_waitcnt vmcnt(0)
	v_fma_mixlo_f16 v5, s29, v4, 0 op_sel_hi:[0,1,0]
.LBB430_11:
	s_mov_b64 s[16:17], exec
.LBB430_12:
	s_or_b64 exec, exec, s[10:11]
	s_and_b64 s[10:11], s[16:17], exec
	s_or_b64 exec, exec, s[6:7]
	s_and_b64 vcc, exec, s[4:5]
	s_cbranch_vccnz .LBB430_15
	s_branch .LBB430_52
.LBB430_13:
	s_mov_b64 s[10:11], 0
                                        ; implicit-def: $vgpr5
                                        ; implicit-def: $vgpr0_vgpr1
	s_cbranch_execnz .LBB430_15
	s_branch .LBB430_52
.LBB430_14:
	s_or_b64 exec, exec, s[6:7]
	s_and_b64 vcc, exec, s[4:5]
	s_cbranch_vccz .LBB430_52
.LBB430_15:
	s_load_dword s33, s[0:1], 0x28
	s_load_dword s34, s[0:1], 0x48
	s_ashr_i32 s0, s13, 31
	s_lshr_b32 s0, s0, 26
	s_add_i32 s35, s13, s0
	s_lshl_b32 s31, s2, 7
	s_andn2_b32 s35, s35, 63
	v_lshlrev_b32_e32 v20, 2, v14
	v_add_u32_e32 v16, s31, v2
	v_cmp_gt_i32_e32 vcc, s35, v20
	v_mov_b32_e32 v19, 0
	v_mov_b32_e32 v18, 0
	;; [unrolled: 1-line block ×4, first 2 shown]
	s_and_saveexec_b64 s[16:17], vcc
	s_cbranch_execz .LBB430_27
; %bb.16:
	v_add_u32_e32 v0, 32, v16
	v_cmp_gt_i32_e64 s[0:1], s12, v0
	v_add_u32_e32 v0, 64, v16
	v_cmp_gt_i32_e64 s[2:3], s12, v0
	;; [unrolled: 2-line block ×3, first 2 shown]
	s_waitcnt lgkmcnt(0)
	v_mul_lo_u32 v0, s33, v20
	v_add_u32_e32 v6, 2, v20
	v_add_u32_e32 v7, 3, v20
	v_add3_u32 v21, v0, s33, v2
	v_mad_u64_u32 v[0:1], s[6:7], s33, v6, v[2:3]
	v_mad_u64_u32 v[4:5], s[6:7], s33, v7, v[2:3]
	v_mul_lo_u32 v1, v14, s33
	v_mul_lo_u32 v5, s34, v20
	v_mul_lo_u32 v22, s34, v6
	v_mul_lo_u32 v6, v14, s34
	v_cmp_gt_i32_e32 vcc, s12, v16
	s_lshl_b32 s36, s33, 6
	v_lshl_add_u32 v1, v1, 2, v2
	v_add_u32_e32 v5, s34, v5
	s_lshl_b32 s37, s34, 6
	v_mul_lo_u32 v23, s34, v7
	v_lshlrev_b32_e32 v24, 2, v6
	s_mov_b32 s38, 0
	s_mov_b64 s[18:19], 0
	v_mov_b32_e32 v19, 0
	v_mov_b32_e32 v18, 0
	;; [unrolled: 1-line block ×4, first 2 shown]
	s_branch .LBB430_21
.LBB430_17:                             ;   in Loop: Header=BB430_21 Depth=1
	s_or_b64 exec, exec, s[26:27]
	s_waitcnt vmcnt(0) lgkmcnt(0)
	v_fma_mix_f32 v6, v37, v41, v17 op_sel_hi:[0,1,0]
	v_fma_mix_f32 v6, v38, v42, v6 op_sel_hi:[0,1,0]
	;; [unrolled: 1-line block ×4, first 2 shown]
.LBB430_18:                             ;   in Loop: Header=BB430_21 Depth=1
	s_or_b64 exec, exec, s[24:25]
	v_fma_mix_f32 v6, v37, v33, v18 op_sel_hi:[0,1,0]
	v_fma_mix_f32 v6, v38, v34, v6 op_sel_hi:[0,1,0]
	;; [unrolled: 1-line block ×4, first 2 shown]
.LBB430_19:                             ;   in Loop: Header=BB430_21 Depth=1
	s_or_b64 exec, exec, s[22:23]
	s_waitcnt vmcnt(0) lgkmcnt(0)
	v_fma_mix_f32 v6, v25, v29, v19 op_sel_hi:[1,1,0]
	s_nop 0
	v_fma_mix_f32 v6, v26, v30, v6 op_sel_hi:[1,1,0]
	s_nop 0
	;; [unrolled: 2-line block ×3, first 2 shown]
	v_fma_mix_f32 v19, v28, v32, v6 op_sel_hi:[1,1,0]
.LBB430_20:                             ;   in Loop: Header=BB430_21 Depth=1
	s_or_b64 exec, exec, s[6:7]
	v_add_u32_e32 v20, 64, v20
	s_add_i32 s38, s38, s37
	v_cmp_le_i32_e64 s[6:7], s35, v20
	v_add_u32_e32 v21, s36, v21
	v_add_u32_e32 v0, s36, v0
	;; [unrolled: 1-line block ×3, first 2 shown]
	s_or_b64 s[18:19], s[6:7], s[18:19]
	v_add_u32_e32 v1, s36, v1
	s_andn2_b64 exec, exec, s[18:19]
	s_cbranch_execz .LBB430_26
.LBB430_21:                             ; =>This Inner Loop Header: Depth=1
	s_and_saveexec_b64 s[6:7], vcc
	s_cbranch_execz .LBB430_20
; %bb.22:                               ;   in Loop: Header=BB430_21 Depth=1
	v_add_u32_e32 v6, s38, v24
	v_ashrrev_i32_e32 v7, 31, v6
	v_add_u32_e32 v8, s38, v5
	v_add_u32_e32 v10, s38, v22
	;; [unrolled: 1-line block ×3, first 2 shown]
	v_lshl_add_u64 v[6:7], v[6:7], 1, s[20:21]
	v_ashrrev_i32_e32 v9, 31, v8
	v_ashrrev_i32_e32 v11, 31, v10
	;; [unrolled: 1-line block ×3, first 2 shown]
	v_lshl_add_u64 v[8:9], v[8:9], 1, s[20:21]
	v_lshl_add_u64 v[10:11], v[10:11], 1, s[20:21]
	;; [unrolled: 1-line block ×3, first 2 shown]
	flat_load_ushort v25, v[6:7]
	flat_load_ushort v26, v[8:9]
	;; [unrolled: 1-line block ×4, first 2 shown]
	v_add_u32_e32 v6, s31, v1
	v_ashrrev_i32_e32 v7, 31, v6
	v_add_u32_e32 v8, s31, v21
	v_add_u32_e32 v10, s31, v0
	;; [unrolled: 1-line block ×3, first 2 shown]
	v_lshl_add_u64 v[6:7], v[6:7], 1, s[14:15]
	v_ashrrev_i32_e32 v9, 31, v8
	v_ashrrev_i32_e32 v11, 31, v10
	;; [unrolled: 1-line block ×3, first 2 shown]
	v_lshl_add_u64 v[8:9], v[8:9], 1, s[14:15]
	v_lshl_add_u64 v[10:11], v[10:11], 1, s[14:15]
	;; [unrolled: 1-line block ×3, first 2 shown]
	flat_load_ushort v29, v[6:7]
	flat_load_ushort v30, v[8:9]
	flat_load_ushort v31, v[10:11]
	flat_load_ushort v32, v[12:13]
	s_and_saveexec_b64 s[22:23], s[0:1]
	s_cbranch_execz .LBB430_19
; %bb.23:                               ;   in Loop: Header=BB430_21 Depth=1
	flat_load_ushort v33, v[6:7] offset:64
	flat_load_ushort v34, v[8:9] offset:64
	;; [unrolled: 1-line block ×4, first 2 shown]
	s_waitcnt vmcnt(0) lgkmcnt(0)
	v_cvt_f32_f16_e32 v37, v25
	v_cvt_f32_f16_e32 v38, v26
	;; [unrolled: 1-line block ×4, first 2 shown]
	s_and_saveexec_b64 s[24:25], s[2:3]
	s_cbranch_execz .LBB430_18
; %bb.24:                               ;   in Loop: Header=BB430_21 Depth=1
	flat_load_ushort v41, v[6:7] offset:128
	flat_load_ushort v42, v[8:9] offset:128
	;; [unrolled: 1-line block ×4, first 2 shown]
	s_and_saveexec_b64 s[26:27], s[4:5]
	s_cbranch_execz .LBB430_17
; %bb.25:                               ;   in Loop: Header=BB430_21 Depth=1
	flat_load_ushort v45, v[6:7] offset:192
	flat_load_ushort v46, v[8:9] offset:192
	flat_load_ushort v47, v[10:11] offset:192
	flat_load_ushort v48, v[12:13] offset:192
	s_waitcnt vmcnt(0) lgkmcnt(0)
	v_fma_mix_f32 v6, v37, v45, v15 op_sel_hi:[0,1,0]
	v_fma_mix_f32 v6, v38, v46, v6 op_sel_hi:[0,1,0]
	;; [unrolled: 1-line block ×4, first 2 shown]
	s_branch .LBB430_17
.LBB430_26:
	s_or_b64 exec, exec, s[18:19]
.LBB430_27:
	s_or_b64 exec, exec, s[16:17]
	s_sub_i32 s0, s13, s35
	s_cmp_lt_i32 s0, 1
	s_cbranch_scc1 .LBB430_45
; %bb.28:
	v_cmp_gt_i32_e32 vcc, s13, v20
	v_mov_b32_e32 v10, 0
	v_or_b32_e32 v4, 1, v20
	v_mov_b32_e32 v11, 0
	v_mov_b32_e32 v12, 0
	;; [unrolled: 1-line block ×3, first 2 shown]
	s_and_saveexec_b64 s[2:3], vcc
	s_cbranch_execz .LBB430_36
; %bb.29:
	s_waitcnt lgkmcnt(0)
	v_mul_lo_u32 v0, v20, s34
	v_ashrrev_i32_e32 v1, 31, v0
	v_lshl_add_u64 v[0:1], v[0:1], 1, s[20:21]
	flat_load_ushort v0, v[0:1]
	v_cmp_gt_i32_e64 s[0:1], s13, v4
	v_mov_b32_e32 v12, 0
	v_mov_b32_e32 v11, 0
	v_mov_b32_e32 v10, 0
	s_and_saveexec_b64 s[4:5], s[0:1]
	s_cbranch_execz .LBB430_35
; %bb.30:
	v_mul_lo_u32 v6, v4, s34
	v_ashrrev_i32_e32 v7, 31, v6
	v_lshl_add_u64 v[6:7], v[6:7], 1, s[20:21]
	flat_load_ushort v1, v[6:7]
	v_or_b32_e32 v5, 2, v20
	v_cmp_gt_i32_e64 s[0:1], s13, v5
	v_mov_b32_e32 v11, 0
	v_mov_b32_e32 v10, 0
	s_and_saveexec_b64 s[6:7], s[0:1]
	s_cbranch_execz .LBB430_34
; %bb.31:
	v_mul_lo_u32 v6, v5, s34
	v_ashrrev_i32_e32 v7, 31, v6
	v_lshl_add_u64 v[6:7], v[6:7], 1, s[20:21]
	flat_load_ushort v5, v[6:7]
	v_or_b32_e32 v6, 3, v20
	v_cmp_gt_i32_e64 s[0:1], s13, v6
	v_mov_b32_e32 v10, 0
	s_and_saveexec_b64 s[16:17], s[0:1]
	s_cbranch_execz .LBB430_33
; %bb.32:
	v_mul_lo_u32 v6, v6, s34
	v_ashrrev_i32_e32 v7, 31, v6
	v_lshl_add_u64 v[6:7], v[6:7], 1, s[20:21]
	flat_load_ushort v6, v[6:7]
	s_waitcnt vmcnt(0) lgkmcnt(0)
	v_cvt_f32_f16_e32 v10, v6
.LBB430_33:
	s_or_b64 exec, exec, s[16:17]
	s_waitcnt vmcnt(0) lgkmcnt(0)
	v_cvt_f32_f16_e32 v11, v5
.LBB430_34:
	s_or_b64 exec, exec, s[6:7]
	s_waitcnt vmcnt(0) lgkmcnt(0)
	v_cvt_f32_f16_e32 v12, v1
.LBB430_35:
	s_or_b64 exec, exec, s[4:5]
	s_waitcnt vmcnt(0) lgkmcnt(0)
	v_cvt_f32_f16_e32 v13, v0
.LBB430_36:
	s_or_b64 exec, exec, s[2:3]
	v_cmp_gt_i32_e64 s[0:1], s12, v16
	s_and_saveexec_b64 s[2:3], s[0:1]
	s_cbranch_execz .LBB430_44
; %bb.37:
	s_waitcnt lgkmcnt(0)
	v_mul_lo_u32 v0, v20, s33
	v_cndmask_b32_e32 v0, 0, v0, vcc
	v_mul_lo_u32 v5, v4, s33
	v_cmp_gt_i32_e32 vcc, s13, v4
	v_or_b32_e32 v6, 2, v20
	v_mul_lo_u32 v7, v6, s33
	v_cndmask_b32_e32 v4, 0, v5, vcc
	v_cmp_gt_i32_e32 vcc, s13, v6
	v_or_b32_e32 v8, 3, v20
	v_mul_lo_u32 v9, v8, s33
	v_cndmask_b32_e32 v6, 0, v7, vcc
	v_cmp_gt_i32_e32 vcc, s13, v8
	v_add_u32_e32 v0, v0, v16
	v_ashrrev_i32_e32 v1, 31, v0
	v_cndmask_b32_e32 v8, 0, v9, vcc
	v_add_u32_e32 v4, v4, v16
	v_add_u32_e32 v6, v6, v16
	;; [unrolled: 1-line block ×3, first 2 shown]
	v_lshl_add_u64 v[0:1], v[0:1], 1, s[14:15]
	v_ashrrev_i32_e32 v5, 31, v4
	v_ashrrev_i32_e32 v7, 31, v6
	;; [unrolled: 1-line block ×3, first 2 shown]
	v_lshl_add_u64 v[4:5], v[4:5], 1, s[14:15]
	v_lshl_add_u64 v[6:7], v[6:7], 1, s[14:15]
	flat_load_ushort v21, v[0:1]
	flat_load_ushort v22, v[4:5]
	;; [unrolled: 1-line block ×3, first 2 shown]
	v_lshl_add_u64 v[8:9], v[8:9], 1, s[14:15]
	flat_load_ushort v20, v[8:9]
	v_add_u32_e32 v24, 32, v16
	v_cmp_gt_i32_e32 vcc, s12, v24
	s_waitcnt vmcnt(0) lgkmcnt(0)
	v_fma_mix_f32 v19, v13, v21, v19 op_sel_hi:[0,1,0]
	v_fma_mix_f32 v19, v12, v22, v19 op_sel_hi:[0,1,0]
	v_fma_mix_f32 v19, v11, v23, v19 op_sel_hi:[0,1,0]
	s_and_saveexec_b64 s[0:1], vcc
	s_cbranch_execz .LBB430_43
; %bb.38:
	flat_load_ushort v22, v[0:1] offset:64
	flat_load_ushort v23, v[4:5] offset:64
	flat_load_ushort v24, v[6:7] offset:64
	flat_load_ushort v21, v[8:9] offset:64
	v_add_u32_e32 v25, 64, v16
	v_cmp_gt_i32_e32 vcc, s12, v25
	s_waitcnt vmcnt(0) lgkmcnt(0)
	v_fma_mix_f32 v18, v13, v22, v18 op_sel_hi:[0,1,0]
	v_fma_mix_f32 v18, v12, v23, v18 op_sel_hi:[0,1,0]
	v_fma_mix_f32 v18, v11, v24, v18 op_sel_hi:[0,1,0]
	s_and_saveexec_b64 s[4:5], vcc
	s_cbranch_execz .LBB430_42
; %bb.39:
	flat_load_ushort v23, v[0:1] offset:128
	flat_load_ushort v24, v[4:5] offset:128
	flat_load_ushort v25, v[6:7] offset:128
	flat_load_ushort v22, v[8:9] offset:128
	;; [unrolled: 13-line block ×3, first 2 shown]
	s_waitcnt vmcnt(0) lgkmcnt(0)
	v_fma_mix_f32 v0, v13, v17, v15 op_sel_hi:[0,1,0]
	v_fma_mix_f32 v0, v12, v23, v0 op_sel_hi:[0,1,0]
	;; [unrolled: 1-line block ×4, first 2 shown]
.LBB430_41:
	s_or_b64 exec, exec, s[6:7]
	v_fma_mix_f32 v17, v10, v22, v16 op_sel_hi:[0,1,0]
.LBB430_42:
	s_or_b64 exec, exec, s[4:5]
	v_fma_mix_f32 v18, v10, v21, v18 op_sel_hi:[0,1,0]
.LBB430_43:
	s_or_b64 exec, exec, s[0:1]
	v_fma_mix_f32 v19, v10, v20, v19 op_sel_hi:[0,1,0]
.LBB430_44:
	s_or_b64 exec, exec, s[2:3]
.LBB430_45:
	v_lshlrev_b32_e32 v0, 7, v14
	s_movk_i32 s0, 0x80
	v_add_lshl_u32 v0, v0, v2, 2
	v_cmp_gt_u32_e32 vcc, s0, v3
	ds_write2_b32 v0, v19, v18 offset1:32
	ds_write2_b32 v0, v17, v15 offset0:64 offset1:96
	s_waitcnt lgkmcnt(0)
	s_barrier
	s_waitcnt lgkmcnt(0)
                                        ; implicit-def: $vgpr5
                                        ; implicit-def: $vgpr0_vgpr1
	s_and_saveexec_b64 s[0:1], vcc
	s_cbranch_execz .LBB430_51
; %bb.46:
	v_lshlrev_b32_e32 v12, 2, v3
	ds_read2st64_b32 v[0:1], v12 offset1:2
	ds_read2st64_b32 v[4:5], v12 offset0:4 offset1:6
	ds_read2st64_b32 v[6:7], v12 offset0:8 offset1:10
	;; [unrolled: 1-line block ×4, first 2 shown]
	s_waitcnt lgkmcnt(4)
	v_add_f32_e32 v0, v0, v1
	s_waitcnt lgkmcnt(3)
	v_add_f32_e32 v0, v4, v0
	v_add_f32_e32 v0, v5, v0
	s_waitcnt lgkmcnt(2)
	v_add_f32_e32 v0, v6, v0
	v_add_f32_e32 v0, v7, v0
	s_waitcnt lgkmcnt(1)
	v_add_f32_e32 v0, v8, v0
	v_add_f32_e32 v2, v9, v0
	ds_read2st64_b32 v[0:1], v12 offset0:20 offset1:22
	ds_read2st64_b32 v[4:5], v12 offset0:24 offset1:26
	s_waitcnt lgkmcnt(2)
	v_add_f32_e32 v2, v10, v2
	v_add_f32_e32 v2, v11, v2
	ds_read2st64_b32 v[6:7], v12 offset0:28 offset1:30
	s_waitcnt lgkmcnt(2)
	v_add_f32_e32 v0, v0, v2
	v_add_f32_e32 v0, v1, v0
	s_waitcnt lgkmcnt(1)
	v_add_f32_e32 v0, v4, v0
	v_add_f32_e32 v0, v5, v0
	s_waitcnt lgkmcnt(0)
	v_add_f32_e32 v0, v6, v0
	v_or_b32_e32 v3, s31, v3
	v_add_f32_e32 v2, v7, v0
	v_cmp_gt_i32_e32 vcc, s12, v3
	s_mov_b64 s[4:5], s[10:11]
	ds_write_b32 v12, v2
                                        ; implicit-def: $vgpr5
                                        ; implicit-def: $vgpr0_vgpr1
	s_and_saveexec_b64 s[2:3], vcc
	s_cbranch_execz .LBB430_50
; %bb.47:
	v_cmp_eq_f32_e64 s[4:5], s29, 0
	v_mul_lo_u32 v0, v3, s30
	v_mul_f32_e32 v2, s28, v2
	v_ashrrev_i32_e32 v1, 31, v0
	s_and_b64 vcc, exec, s[4:5]
	s_cbranch_vccnz .LBB430_49
; %bb.48:
	v_lshl_add_u64 v[4:5], v[0:1], 1, s[8:9]
	global_load_ushort v3, v[4:5], off
	s_waitcnt vmcnt(0)
	v_fma_mix_f32 v2, s29, v3, v2 op_sel_hi:[0,1,0]
.LBB430_49:
	v_cvt_f16_f32_e32 v5, v2
	s_or_b64 s[4:5], s[10:11], exec
.LBB430_50:
	s_or_b64 exec, exec, s[2:3]
	s_andn2_b64 s[2:3], s[10:11], exec
	s_and_b64 s[4:5], s[4:5], exec
	s_or_b64 s[10:11], s[2:3], s[4:5]
.LBB430_51:
	s_or_b64 exec, exec, s[0:1]
.LBB430_52:
	s_and_saveexec_b64 s[0:1], s[10:11]
	s_cbranch_execz .LBB430_54
; %bb.53:
	v_lshl_add_u64 v[0:1], v[0:1], 1, s[8:9]
	global_store_short v[0:1], v5, off
.LBB430_54:
	s_endpgm
	.section	.rodata,"a",@progbits
	.p2align	6, 0x0
	.amdhsa_kernel _ZL20rocblas_gemvn_kernelILi32ELi16EiPKDF16_PKfKPDF16_EviiT3_lPKT2_lT1_lS9_lSA_lS6_lPT4_lSA_li
		.amdhsa_group_segment_fixed_size 8192
		.amdhsa_private_segment_fixed_size 0
		.amdhsa_kernarg_size 400
		.amdhsa_user_sgpr_count 2
		.amdhsa_user_sgpr_dispatch_ptr 0
		.amdhsa_user_sgpr_queue_ptr 0
		.amdhsa_user_sgpr_kernarg_segment_ptr 1
		.amdhsa_user_sgpr_dispatch_id 0
		.amdhsa_user_sgpr_kernarg_preload_length 0
		.amdhsa_user_sgpr_kernarg_preload_offset 0
		.amdhsa_user_sgpr_private_segment_size 0
		.amdhsa_uses_dynamic_stack 0
		.amdhsa_enable_private_segment 0
		.amdhsa_system_sgpr_workgroup_id_x 1
		.amdhsa_system_sgpr_workgroup_id_y 0
		.amdhsa_system_sgpr_workgroup_id_z 1
		.amdhsa_system_sgpr_workgroup_info 0
		.amdhsa_system_vgpr_workitem_id 1
		.amdhsa_next_free_vgpr 49
		.amdhsa_next_free_sgpr 39
		.amdhsa_accum_offset 52
		.amdhsa_reserve_vcc 1
		.amdhsa_float_round_mode_32 0
		.amdhsa_float_round_mode_16_64 0
		.amdhsa_float_denorm_mode_32 3
		.amdhsa_float_denorm_mode_16_64 3
		.amdhsa_dx10_clamp 1
		.amdhsa_ieee_mode 1
		.amdhsa_fp16_overflow 0
		.amdhsa_tg_split 0
		.amdhsa_exception_fp_ieee_invalid_op 0
		.amdhsa_exception_fp_denorm_src 0
		.amdhsa_exception_fp_ieee_div_zero 0
		.amdhsa_exception_fp_ieee_overflow 0
		.amdhsa_exception_fp_ieee_underflow 0
		.amdhsa_exception_fp_ieee_inexact 0
		.amdhsa_exception_int_div_zero 0
	.end_amdhsa_kernel
	.section	.text._ZL20rocblas_gemvn_kernelILi32ELi16EiPKDF16_PKfKPDF16_EviiT3_lPKT2_lT1_lS9_lSA_lS6_lPT4_lSA_li,"axG",@progbits,_ZL20rocblas_gemvn_kernelILi32ELi16EiPKDF16_PKfKPDF16_EviiT3_lPKT2_lT1_lS9_lSA_lS6_lPT4_lSA_li,comdat
.Lfunc_end430:
	.size	_ZL20rocblas_gemvn_kernelILi32ELi16EiPKDF16_PKfKPDF16_EviiT3_lPKT2_lT1_lS9_lSA_lS6_lPT4_lSA_li, .Lfunc_end430-_ZL20rocblas_gemvn_kernelILi32ELi16EiPKDF16_PKfKPDF16_EviiT3_lPKT2_lT1_lS9_lSA_lS6_lPT4_lSA_li
                                        ; -- End function
	.section	.AMDGPU.csdata,"",@progbits
; Kernel info:
; codeLenInByte = 2520
; NumSgprs: 45
; NumVgprs: 49
; NumAgprs: 0
; TotalNumVgprs: 49
; ScratchSize: 0
; MemoryBound: 0
; FloatMode: 240
; IeeeMode: 1
; LDSByteSize: 8192 bytes/workgroup (compile time only)
; SGPRBlocks: 5
; VGPRBlocks: 6
; NumSGPRsForWavesPerEU: 45
; NumVGPRsForWavesPerEU: 49
; AccumOffset: 52
; Occupancy: 8
; WaveLimiterHint : 1
; COMPUTE_PGM_RSRC2:SCRATCH_EN: 0
; COMPUTE_PGM_RSRC2:USER_SGPR: 2
; COMPUTE_PGM_RSRC2:TRAP_HANDLER: 0
; COMPUTE_PGM_RSRC2:TGID_X_EN: 1
; COMPUTE_PGM_RSRC2:TGID_Y_EN: 0
; COMPUTE_PGM_RSRC2:TGID_Z_EN: 1
; COMPUTE_PGM_RSRC2:TIDIG_COMP_CNT: 1
; COMPUTE_PGM_RSRC3_GFX90A:ACCUM_OFFSET: 12
; COMPUTE_PGM_RSRC3_GFX90A:TG_SPLIT: 0
	.section	.text._ZL20rocblas_gemvn_kernelILi32ELi16ElPKDF16_PKfKPDF16_EviiT3_lPKT2_lT1_lS9_lSA_lS6_lPT4_lSA_li,"axG",@progbits,_ZL20rocblas_gemvn_kernelILi32ELi16ElPKDF16_PKfKPDF16_EviiT3_lPKT2_lT1_lS9_lSA_lS6_lPT4_lSA_li,comdat
	.globl	_ZL20rocblas_gemvn_kernelILi32ELi16ElPKDF16_PKfKPDF16_EviiT3_lPKT2_lT1_lS9_lSA_lS6_lPT4_lSA_li ; -- Begin function _ZL20rocblas_gemvn_kernelILi32ELi16ElPKDF16_PKfKPDF16_EviiT3_lPKT2_lT1_lS9_lSA_lS6_lPT4_lSA_li
	.p2align	8
	.type	_ZL20rocblas_gemvn_kernelILi32ELi16ElPKDF16_PKfKPDF16_EviiT3_lPKT2_lT1_lS9_lSA_lS6_lPT4_lSA_li,@function
_ZL20rocblas_gemvn_kernelILi32ELi16ElPKDF16_PKfKPDF16_EviiT3_lPKT2_lT1_lS9_lSA_lS6_lPT4_lSA_li: ; @_ZL20rocblas_gemvn_kernelILi32ELi16ElPKDF16_PKfKPDF16_EviiT3_lPKT2_lT1_lS9_lSA_lS6_lPT4_lSA_li
; %bb.0:
	s_load_dwordx2 s[4:5], s[0:1], 0x9c
	s_mov_b32 s26, s3
	s_waitcnt lgkmcnt(0)
	s_and_b32 s3, s5, 0xffff
	s_lshr_b32 s5, s4, 16
	s_and_b32 s4, s4, 0xffff
	s_mul_i32 s4, s5, s4
	s_mul_i32 s4, s4, s3
	s_cmpk_lg_i32 s4, 0x200
	s_cbranch_scc1 .LBB431_54
; %bb.1:
	s_load_dwordx8 s[12:19], s[0:1], 0x8
	s_load_dwordx8 s[4:11], s[0:1], 0x58
	s_waitcnt lgkmcnt(0)
	s_mul_i32 s3, s26, s15
	s_mul_hi_u32 s15, s26, s14
	s_mul_i32 s14, s26, s14
	s_add_i32 s15, s15, s3
	s_lshl_b64 s[14:15], s[14:15], 2
	s_mul_i32 s7, s26, s7
	s_add_u32 s12, s12, s14
	s_mul_hi_u32 s3, s26, s6
	s_addc_u32 s13, s13, s15
	s_add_i32 s7, s3, s7
	s_mul_i32 s6, s26, s6
	s_lshl_b64 s[6:7], s[6:7], 2
	s_add_u32 s4, s4, s6
	s_addc_u32 s5, s5, s7
	s_load_dword s42, s[12:13], 0x0
	s_load_dword s33, s[4:5], 0x0
	s_waitcnt lgkmcnt(0)
	v_cmp_eq_f32_e64 s[28:29], s42, 0
	v_cmp_eq_f32_e64 s[4:5], s33, 1.0
	s_and_b64 s[4:5], s[28:29], s[4:5]
	s_and_b64 vcc, exec, s[4:5]
	s_cbranch_vccnz .LBB431_54
; %bb.2:
	s_load_dwordx2 s[20:21], s[0:1], 0x28
	s_load_dwordx2 s[12:13], s[0:1], 0x78
	s_mov_b32 s27, 0
	v_cmp_neq_f32_e64 s[14:15], s42, 0
	s_mov_b64 s[24:25], 0
	s_and_b64 vcc, exec, s[28:29]
	s_mov_b64 s[22:23], 0
	s_cbranch_vccnz .LBB431_4
; %bb.3:
	s_lshl_b64 s[4:5], s[26:27], 3
	s_add_u32 s4, s16, s4
	s_addc_u32 s5, s17, s5
	s_load_dwordx2 s[4:5], s[4:5], 0x0
	s_lshl_b64 s[6:7], s[18:19], 1
	s_waitcnt lgkmcnt(0)
	s_add_u32 s22, s4, s6
	s_addc_u32 s23, s5, s7
.LBB431_4:
	s_load_dwordx4 s[4:7], s[0:1], 0x38
	s_load_dwordx2 s[16:17], s[0:1], 0x48
	s_andn2_b64 vcc, exec, s[14:15]
	s_cbranch_vccnz .LBB431_6
; %bb.5:
	s_lshl_b64 s[14:15], s[26:27], 3
	s_waitcnt lgkmcnt(0)
	s_add_u32 s4, s4, s14
	s_addc_u32 s5, s5, s15
	s_load_dwordx2 s[4:5], s[4:5], 0x0
	s_lshl_b64 s[6:7], s[6:7], 1
	s_waitcnt lgkmcnt(0)
	s_add_u32 s24, s4, s6
	s_addc_u32 s25, s5, s7
.LBB431_6:
	s_waitcnt lgkmcnt(0)
	s_lshl_b64 s[4:5], s[26:27], 3
	s_add_u32 s4, s8, s4
	s_addc_u32 s5, s9, s5
	s_load_dwordx2 s[6:7], s[4:5], 0x0
	s_load_dwordx2 s[14:15], s[0:1], 0x0
	s_lshl_b64 s[0:1], s[10:11], 1
	v_and_b32_e32 v29, 0x3ff, v0
	v_bfe_u32 v30, v0, 10, 10
	s_waitcnt lgkmcnt(0)
	s_add_u32 s8, s6, s0
	s_addc_u32 s9, s7, s1
	s_andn2_b64 vcc, exec, s[28:29]
	v_lshl_add_u32 v28, v30, 5, v29
	s_cbranch_vccnz .LBB431_13
; %bb.7:
	s_movk_i32 s0, 0x80
	v_cmp_gt_u32_e32 vcc, s0, v28
	s_mov_b64 s[0:1], 0
	s_mov_b64 s[10:11], 0
                                        ; implicit-def: $vgpr3
                                        ; implicit-def: $vgpr0_vgpr1
	s_and_saveexec_b64 s[4:5], vcc
	s_cbranch_execz .LBB431_14
; %bb.8:
	v_lshl_or_b32 v2, s2, 7, v28
	v_mov_b32_e32 v3, 0
	s_ashr_i32 s7, s14, 31
	s_mov_b32 s6, s14
	v_cmp_gt_i64_e32 vcc, s[6:7], v[2:3]
                                        ; implicit-def: $vgpr0_vgpr1
	s_and_saveexec_b64 s[6:7], vcc
	s_cbranch_execz .LBB431_12
; %bb.9:
	v_mad_u64_u32 v[0:1], s[18:19], v2, s12, 0
	v_mov_b32_e32 v4, v1
	v_cmp_eq_f32_e64 s[10:11], s33, 0
	v_mad_u64_u32 v[4:5], s[18:19], v2, s13, v[4:5]
	v_mov_b32_e32 v1, v4
	s_and_b64 vcc, exec, s[10:11]
	s_cbranch_vccnz .LBB431_11
; %bb.10:
	v_lshl_add_u64 v[2:3], v[0:1], 1, s[8:9]
	global_load_ushort v2, v[2:3], off
	s_waitcnt vmcnt(0)
	v_fma_mixlo_f16 v3, s33, v2, 0 op_sel_hi:[0,1,0]
.LBB431_11:
	s_mov_b64 s[10:11], exec
.LBB431_12:
	s_or_b64 exec, exec, s[6:7]
	s_and_b64 s[10:11], s[10:11], exec
	s_or_b64 exec, exec, s[4:5]
	s_and_b64 vcc, exec, s[0:1]
	s_cbranch_vccnz .LBB431_15
	s_branch .LBB431_52
.LBB431_13:
	s_mov_b64 s[10:11], 0
                                        ; implicit-def: $vgpr3
                                        ; implicit-def: $vgpr0_vgpr1
	s_cbranch_execnz .LBB431_15
	s_branch .LBB431_52
.LBB431_14:
	s_or_b64 exec, exec, s[4:5]
	s_and_b64 vcc, exec, s[0:1]
	s_cbranch_vccz .LBB431_52
.LBB431_15:
	s_ashr_i32 s0, s15, 31
	s_lshr_b32 s0, s0, 26
	s_add_i32 s44, s15, s0
	s_lshl_b32 s43, s2, 7
	s_andn2_b32 s44, s44, 63
	v_lshlrev_b32_e32 v33, 2, v30
	v_add_u32_e32 v0, s43, v29
	v_cmp_gt_i32_e32 vcc, s44, v33
	v_mov_b32_e32 v35, 0
	v_mov_b32_e32 v34, 0
	;; [unrolled: 1-line block ×4, first 2 shown]
	s_and_saveexec_b64 s[18:19], vcc
	s_cbranch_execz .LBB431_27
; %bb.16:
	v_add_u32_e32 v2, 32, v0
	v_cmp_gt_i32_e64 s[0:1], s14, v2
	v_add_u32_e32 v2, 64, v0
	v_ashrrev_i32_e32 v1, 31, v0
	v_cmp_gt_i32_e64 s[2:3], s14, v2
	v_add_u32_e32 v2, 0x60, v0
	v_cmp_gt_i32_e64 s[4:5], s14, v2
	v_lshlrev_b64 v[2:3], 1, v[0:1]
	v_lshlrev_b32_e32 v1, 2, v30
	v_or_b32_e32 v15, 3, v1
	v_mad_u64_u32 v[4:5], s[6:7], s20, v15, 0
	v_mov_b32_e32 v6, v5
	v_mad_u64_u32 v[6:7], s[6:7], s21, v15, v[6:7]
	v_mov_b32_e32 v5, v6
	;; [unrolled: 2-line block ×6, first 2 shown]
	v_mov_b64_e32 v[10:11], s[16:17]
	v_mad_u64_u32 v[10:11], s[6:7], s16, v1, v[10:11]
	v_mov_b32_e32 v12, v11
	v_mad_u64_u32 v[12:13], s[6:7], s17, v1, v[12:13]
	v_mov_b32_e32 v11, v12
	;; [unrolled: 2-line block ×3, first 2 shown]
	v_mad_u64_u32 v[14:15], s[6:7], s17, v15, v[14:15]
	v_or_b32_e32 v21, 2, v1
	v_mov_b32_e32 v13, v14
	v_mad_u64_u32 v[14:15], s[6:7], s20, v21, 0
	v_mov_b32_e32 v16, v15
	v_mad_u64_u32 v[16:17], s[6:7], s21, v21, v[16:17]
	v_mov_b32_e32 v15, v16
	v_mov_b64_e32 v[16:17], s[20:21]
	v_mad_u64_u32 v[16:17], s[6:7], s20, v1, v[16:17]
	v_mov_b32_e32 v18, v17
	v_mad_u64_u32 v[18:19], s[6:7], s21, v1, v[18:19]
	v_mov_b32_e32 v17, v18
	;; [unrolled: 2-line block ×4, first 2 shown]
	v_cmp_gt_i32_e32 vcc, s14, v0
	v_lshl_add_u64 v[4:5], v[4:5], 1, s[22:23]
	s_lshl_b64 s[26:27], s[20:21], 7
	v_lshlrev_b64 v[6:7], 3, v[6:7]
	s_lshl_b64 s[28:29], s[16:17], 7
	v_lshl_add_u64 v[8:9], v[8:9], 3, s[22:23]
	v_lshlrev_b64 v[10:11], 1, v[10:11]
	v_lshlrev_b64 v[12:13], 1, v[12:13]
	v_lshl_add_u64 v[14:15], v[14:15], 1, s[22:23]
	v_lshl_add_u64 v[16:17], v[16:17], 1, s[22:23]
	v_lshlrev_b64 v[18:19], 1, v[18:19]
	s_mov_b64 s[30:31], 0
	v_mov_b32_e32 v35, 0
	s_mov_b64 s[34:35], s[24:25]
	v_mov_b32_e32 v34, 0
	v_mov_b32_e32 v32, 0
	;; [unrolled: 1-line block ×3, first 2 shown]
	s_branch .LBB431_21
.LBB431_17:                             ;   in Loop: Header=BB431_21 Depth=1
	s_or_b64 exec, exec, s[40:41]
	s_waitcnt vmcnt(0) lgkmcnt(0)
	v_fma_mix_f32 v20, v47, v51, v32 op_sel_hi:[0,1,0]
	v_fma_mix_f32 v20, v48, v52, v20 op_sel_hi:[0,1,0]
	;; [unrolled: 1-line block ×4, first 2 shown]
.LBB431_18:                             ;   in Loop: Header=BB431_21 Depth=1
	s_or_b64 exec, exec, s[38:39]
	v_fma_mix_f32 v20, v47, v43, v34 op_sel_hi:[0,1,0]
	v_fma_mix_f32 v20, v48, v44, v20 op_sel_hi:[0,1,0]
	;; [unrolled: 1-line block ×4, first 2 shown]
.LBB431_19:                             ;   in Loop: Header=BB431_21 Depth=1
	s_or_b64 exec, exec, s[36:37]
	s_waitcnt vmcnt(0) lgkmcnt(0)
	v_fma_mix_f32 v1, v1, v39, v35 op_sel_hi:[1,1,0]
	s_nop 0
	v_fma_mix_f32 v1, v36, v40, v1 op_sel_hi:[1,1,0]
	s_nop 0
	;; [unrolled: 2-line block ×3, first 2 shown]
	v_fma_mix_f32 v35, v38, v42, v1 op_sel_hi:[1,1,0]
.LBB431_20:                             ;   in Loop: Header=BB431_21 Depth=1
	s_or_b64 exec, exec, s[6:7]
	v_add_u32_e32 v33, 64, v33
	s_add_u32 s34, s34, s28
	s_addc_u32 s35, s35, s29
	v_cmp_le_i32_e64 s[6:7], s44, v33
	v_lshl_add_u64 v[4:5], v[4:5], 0, s[26:27]
	v_lshl_add_u64 v[8:9], v[8:9], 0, s[26:27]
	;; [unrolled: 1-line block ×3, first 2 shown]
	s_or_b64 s[30:31], s[6:7], s[30:31]
	v_lshl_add_u64 v[16:17], v[16:17], 0, s[26:27]
	s_andn2_b64 exec, exec, s[30:31]
	s_cbranch_execz .LBB431_26
.LBB431_21:                             ; =>This Inner Loop Header: Depth=1
	s_and_saveexec_b64 s[6:7], vcc
	s_cbranch_execz .LBB431_20
; %bb.22:                               ;   in Loop: Header=BB431_21 Depth=1
	v_lshl_add_u64 v[20:21], s[34:35], 0, v[6:7]
	v_lshl_add_u64 v[22:23], s[34:35], 0, v[10:11]
	;; [unrolled: 1-line block ×4, first 2 shown]
	flat_load_ushort v1, v[20:21]
	flat_load_ushort v36, v[22:23]
	;; [unrolled: 1-line block ×4, first 2 shown]
	v_lshl_add_u64 v[20:21], v[8:9], 0, v[2:3]
	v_lshl_add_u64 v[22:23], v[16:17], 0, v[2:3]
	;; [unrolled: 1-line block ×4, first 2 shown]
	flat_load_ushort v39, v[20:21]
	flat_load_ushort v40, v[22:23]
	;; [unrolled: 1-line block ×4, first 2 shown]
	s_and_saveexec_b64 s[36:37], s[0:1]
	s_cbranch_execz .LBB431_19
; %bb.23:                               ;   in Loop: Header=BB431_21 Depth=1
	flat_load_ushort v43, v[20:21] offset:64
	flat_load_ushort v44, v[22:23] offset:64
	flat_load_ushort v45, v[24:25] offset:64
	flat_load_ushort v46, v[26:27] offset:64
	s_waitcnt vmcnt(0) lgkmcnt(0)
	v_cvt_f32_f16_e32 v47, v1
	v_cvt_f32_f16_e32 v48, v36
	;; [unrolled: 1-line block ×4, first 2 shown]
	s_and_saveexec_b64 s[38:39], s[2:3]
	s_cbranch_execz .LBB431_18
; %bb.24:                               ;   in Loop: Header=BB431_21 Depth=1
	flat_load_ushort v51, v[20:21] offset:128
	flat_load_ushort v52, v[22:23] offset:128
	;; [unrolled: 1-line block ×4, first 2 shown]
	s_and_saveexec_b64 s[40:41], s[4:5]
	s_cbranch_execz .LBB431_17
; %bb.25:                               ;   in Loop: Header=BB431_21 Depth=1
	flat_load_ushort v55, v[20:21] offset:192
	flat_load_ushort v56, v[22:23] offset:192
	;; [unrolled: 1-line block ×4, first 2 shown]
	s_waitcnt vmcnt(0) lgkmcnt(0)
	v_fma_mix_f32 v20, v47, v55, v31 op_sel_hi:[0,1,0]
	v_fma_mix_f32 v20, v48, v56, v20 op_sel_hi:[0,1,0]
	;; [unrolled: 1-line block ×4, first 2 shown]
	s_branch .LBB431_17
.LBB431_26:
	s_or_b64 exec, exec, s[30:31]
.LBB431_27:
	s_or_b64 exec, exec, s[18:19]
	s_sub_i32 s0, s15, s44
	s_cmp_lt_i32 s0, 1
	s_cbranch_scc1 .LBB431_45
; %bb.28:
	v_cmp_gt_i32_e32 vcc, s15, v33
	v_mov_b32_e32 v10, 0
	v_or_b32_e32 v4, 1, v33
	v_mov_b32_e32 v11, 0
	v_mov_b32_e32 v12, 0
	;; [unrolled: 1-line block ×3, first 2 shown]
	s_and_saveexec_b64 s[2:3], vcc
	s_cbranch_execz .LBB431_36
; %bb.29:
	v_mad_u64_u32 v[2:3], s[0:1], v33, s16, 0
	v_mov_b32_e32 v6, v3
	v_mad_u64_u32 v[6:7], s[0:1], v33, s17, v[6:7]
	v_mov_b32_e32 v3, v6
	v_lshl_add_u64 v[2:3], v[2:3], 1, s[24:25]
	flat_load_ushort v1, v[2:3]
	v_cmp_gt_i32_e64 s[0:1], s15, v4
	v_mov_b32_e32 v12, 0
	v_mov_b32_e32 v11, 0
	;; [unrolled: 1-line block ×3, first 2 shown]
	s_and_saveexec_b64 s[4:5], s[0:1]
	s_cbranch_execz .LBB431_35
; %bb.30:
	v_mad_u64_u32 v[2:3], s[0:1], v4, s16, 0
	v_mov_b32_e32 v6, v3
	v_mad_u64_u32 v[6:7], s[0:1], v4, s17, v[6:7]
	v_mov_b32_e32 v3, v6
	v_lshl_add_u64 v[2:3], v[2:3], 1, s[24:25]
	flat_load_ushort v2, v[2:3]
	v_or_b32_e32 v3, 2, v33
	v_cmp_gt_i32_e64 s[0:1], s15, v3
	v_mov_b32_e32 v11, 0
	v_mov_b32_e32 v10, 0
	s_and_saveexec_b64 s[6:7], s[0:1]
	s_cbranch_execz .LBB431_34
; %bb.31:
	v_mad_u64_u32 v[6:7], s[0:1], v3, s16, 0
	v_mov_b32_e32 v8, v7
	v_mad_u64_u32 v[8:9], s[0:1], v3, s17, v[8:9]
	v_mov_b32_e32 v7, v8
	v_lshl_add_u64 v[6:7], v[6:7], 1, s[24:25]
	flat_load_ushort v3, v[6:7]
	v_or_b32_e32 v5, 3, v33
	v_cmp_gt_i32_e64 s[0:1], s15, v5
	v_mov_b32_e32 v10, 0
	s_and_saveexec_b64 s[18:19], s[0:1]
	s_cbranch_execz .LBB431_33
; %bb.32:
	v_mad_u64_u32 v[6:7], s[0:1], v5, s16, 0
	v_mov_b32_e32 v8, v7
	v_mad_u64_u32 v[8:9], s[0:1], v5, s17, v[8:9]
	v_mov_b32_e32 v7, v8
	v_lshl_add_u64 v[6:7], v[6:7], 1, s[24:25]
	flat_load_ushort v5, v[6:7]
	s_waitcnt vmcnt(0) lgkmcnt(0)
	v_cvt_f32_f16_e32 v10, v5
.LBB431_33:
	s_or_b64 exec, exec, s[18:19]
	s_waitcnt vmcnt(0) lgkmcnt(0)
	v_cvt_f32_f16_e32 v11, v3
.LBB431_34:
	s_or_b64 exec, exec, s[6:7]
	s_waitcnt vmcnt(0) lgkmcnt(0)
	v_cvt_f32_f16_e32 v12, v2
.LBB431_35:
	s_or_b64 exec, exec, s[4:5]
	s_waitcnt vmcnt(0) lgkmcnt(0)
	v_cvt_f32_f16_e32 v13, v1
.LBB431_36:
	s_or_b64 exec, exec, s[2:3]
	v_cmp_gt_i32_e64 s[0:1], s14, v0
	s_and_saveexec_b64 s[2:3], s[0:1]
	s_cbranch_execz .LBB431_44
; %bb.37:
	v_mad_u64_u32 v[2:3], s[0:1], v33, s20, 0
	v_mov_b32_e32 v6, v3
	v_mad_u64_u32 v[6:7], s[0:1], v33, s21, v[6:7]
	v_ashrrev_i32_e32 v1, 31, v0
	v_cndmask_b32_e32 v3, 0, v6, vcc
	v_mad_u64_u32 v[6:7], s[0:1], v4, s20, 0
	v_cndmask_b32_e32 v2, 0, v2, vcc
	v_lshlrev_b64 v[8:9], 1, v[0:1]
	v_mov_b32_e32 v14, v7
	v_cmp_gt_i32_e32 vcc, s15, v4
	v_or_b32_e32 v1, 2, v33
	v_mad_u64_u32 v[14:15], s[0:1], v4, s21, v[14:15]
	v_cndmask_b32_e32 v4, 0, v6, vcc
	v_mad_u64_u32 v[6:7], s[0:1], v1, s20, 0
	v_cndmask_b32_e32 v5, 0, v14, vcc
	v_mov_b32_e32 v14, v7
	v_mad_u64_u32 v[14:15], s[0:1], v1, s21, v[14:15]
	v_cmp_gt_i32_e32 vcc, s15, v1
	v_or_b32_e32 v1, 3, v33
	v_lshl_add_u64 v[2:3], v[2:3], 1, s[22:23]
	v_cndmask_b32_e32 v7, 0, v14, vcc
	v_mad_u64_u32 v[14:15], s[0:1], v1, s20, 0
	v_mov_b32_e32 v16, v15
	v_cndmask_b32_e32 v6, 0, v6, vcc
	v_mad_u64_u32 v[16:17], s[0:1], v1, s21, v[16:17]
	v_cmp_gt_i32_e32 vcc, s15, v1
	v_lshl_add_u64 v[2:3], v[2:3], 0, v[8:9]
	v_lshl_add_u64 v[4:5], v[4:5], 1, s[22:23]
	v_cndmask_b32_e32 v14, 0, v14, vcc
	v_cndmask_b32_e32 v15, 0, v16, vcc
	v_lshl_add_u64 v[6:7], v[6:7], 1, s[22:23]
	v_lshl_add_u64 v[14:15], v[14:15], 1, s[22:23]
	;; [unrolled: 1-line block ×4, first 2 shown]
	flat_load_ushort v16, v[2:3]
	flat_load_ushort v17, v[4:5]
	;; [unrolled: 1-line block ×3, first 2 shown]
	v_lshl_add_u64 v[8:9], v[14:15], 0, v[8:9]
	flat_load_ushort v1, v[8:9]
	v_add_u32_e32 v15, 32, v0
	v_cmp_gt_i32_e32 vcc, s14, v15
	s_waitcnt vmcnt(0) lgkmcnt(0)
	v_fma_mix_f32 v14, v13, v16, v35 op_sel_hi:[0,1,0]
	v_fma_mix_f32 v14, v12, v17, v14 op_sel_hi:[0,1,0]
	v_fma_mix_f32 v14, v11, v18, v14 op_sel_hi:[0,1,0]
	s_and_saveexec_b64 s[0:1], vcc
	s_cbranch_execz .LBB431_43
; %bb.38:
	flat_load_ushort v16, v[2:3] offset:64
	flat_load_ushort v17, v[4:5] offset:64
	flat_load_ushort v18, v[6:7] offset:64
	flat_load_ushort v15, v[8:9] offset:64
	v_add_u32_e32 v19, 64, v0
	v_cmp_gt_i32_e32 vcc, s14, v19
	s_waitcnt vmcnt(0) lgkmcnt(0)
	v_fma_mix_f32 v16, v13, v16, v34 op_sel_hi:[0,1,0]
	v_fma_mix_f32 v16, v12, v17, v16 op_sel_hi:[0,1,0]
	v_fma_mix_f32 v16, v11, v18, v16 op_sel_hi:[0,1,0]
	s_and_saveexec_b64 s[4:5], vcc
	s_cbranch_execz .LBB431_42
; %bb.39:
	flat_load_ushort v18, v[2:3] offset:128
	flat_load_ushort v19, v[4:5] offset:128
	flat_load_ushort v20, v[6:7] offset:128
	flat_load_ushort v17, v[8:9] offset:128
	;; [unrolled: 13-line block ×3, first 2 shown]
	s_waitcnt vmcnt(0) lgkmcnt(0)
	v_fma_mix_f32 v2, v13, v18, v31 op_sel_hi:[0,1,0]
	v_fma_mix_f32 v2, v12, v19, v2 op_sel_hi:[0,1,0]
	;; [unrolled: 1-line block ×4, first 2 shown]
.LBB431_41:
	s_or_b64 exec, exec, s[6:7]
	v_fma_mix_f32 v32, v10, v17, v0 op_sel_hi:[0,1,0]
.LBB431_42:
	s_or_b64 exec, exec, s[4:5]
	v_fma_mix_f32 v34, v10, v15, v16 op_sel_hi:[0,1,0]
.LBB431_43:
	s_or_b64 exec, exec, s[0:1]
	v_fma_mix_f32 v35, v10, v1, v14 op_sel_hi:[0,1,0]
.LBB431_44:
	s_or_b64 exec, exec, s[2:3]
.LBB431_45:
	v_lshlrev_b32_e32 v0, 7, v30
	s_movk_i32 s0, 0x80
	v_add_lshl_u32 v0, v0, v29, 2
	v_cmp_gt_u32_e32 vcc, s0, v28
	ds_write2_b32 v0, v35, v34 offset1:32
	ds_write2_b32 v0, v32, v31 offset0:64 offset1:96
	s_waitcnt lgkmcnt(0)
	s_barrier
	s_waitcnt lgkmcnt(0)
                                        ; implicit-def: $vgpr3
                                        ; implicit-def: $vgpr0_vgpr1
	s_and_saveexec_b64 s[0:1], vcc
	s_cbranch_execz .LBB431_51
; %bb.46:
	v_lshlrev_b32_e32 v10, 2, v28
	ds_read2st64_b32 v[0:1], v10 offset1:2
	ds_read2st64_b32 v[2:3], v10 offset0:4 offset1:6
	ds_read2st64_b32 v[4:5], v10 offset0:8 offset1:10
	;; [unrolled: 1-line block ×4, first 2 shown]
	s_waitcnt lgkmcnt(4)
	v_add_f32_e32 v0, v0, v1
	s_waitcnt lgkmcnt(3)
	v_add_f32_e32 v0, v2, v0
	v_add_f32_e32 v0, v3, v0
	s_waitcnt lgkmcnt(2)
	v_add_f32_e32 v0, v4, v0
	;; [unrolled: 3-line block ×3, first 2 shown]
	v_add_f32_e32 v2, v7, v0
	ds_read2st64_b32 v[0:1], v10 offset0:20 offset1:22
	s_waitcnt lgkmcnt(1)
	v_add_f32_e32 v4, v8, v2
	ds_read2st64_b32 v[2:3], v10 offset0:24 offset1:26
	v_add_f32_e32 v6, v9, v4
	ds_read2st64_b32 v[4:5], v10 offset0:28 offset1:30
	s_waitcnt lgkmcnt(2)
	v_add_f32_e32 v0, v0, v6
	v_add_f32_e32 v0, v1, v0
	s_waitcnt lgkmcnt(1)
	v_add_f32_e32 v0, v2, v0
	v_add_f32_e32 v0, v3, v0
	s_waitcnt lgkmcnt(0)
	v_add_f32_e32 v0, v4, v0
	v_or_b32_e32 v4, s43, v28
	v_add_f32_e32 v2, v5, v0
	v_cmp_gt_i32_e32 vcc, s14, v4
	s_mov_b64 s[4:5], s[10:11]
	ds_write_b32 v10, v2
                                        ; implicit-def: $vgpr3
                                        ; implicit-def: $vgpr0_vgpr1
	s_and_saveexec_b64 s[2:3], vcc
	s_cbranch_execz .LBB431_50
; %bb.47:
	v_ashrrev_i32_e32 v0, 31, v4
	v_cmp_eq_f32_e64 s[4:5], s33, 0
	v_mul_lo_u32 v3, v4, s13
	v_mul_lo_u32 v5, v0, s12
	v_mad_u64_u32 v[0:1], s[6:7], v4, s12, 0
	v_mul_f32_e32 v2, s42, v2
	v_add3_u32 v1, v1, v3, v5
	s_and_b64 vcc, exec, s[4:5]
	s_cbranch_vccnz .LBB431_49
; %bb.48:
	v_lshl_add_u64 v[4:5], v[0:1], 1, s[8:9]
	global_load_ushort v3, v[4:5], off
	s_waitcnt vmcnt(0)
	v_fma_mix_f32 v2, s33, v3, v2 op_sel_hi:[0,1,0]
.LBB431_49:
	v_cvt_f16_f32_e32 v3, v2
	s_or_b64 s[4:5], s[10:11], exec
.LBB431_50:
	s_or_b64 exec, exec, s[2:3]
	s_andn2_b64 s[2:3], s[10:11], exec
	s_and_b64 s[4:5], s[4:5], exec
	s_or_b64 s[10:11], s[2:3], s[4:5]
.LBB431_51:
	s_or_b64 exec, exec, s[0:1]
.LBB431_52:
	s_and_saveexec_b64 s[0:1], s[10:11]
	s_cbranch_execz .LBB431_54
; %bb.53:
	v_lshl_add_u64 v[0:1], v[0:1], 1, s[8:9]
	global_store_short v[0:1], v3, off
.LBB431_54:
	s_endpgm
	.section	.rodata,"a",@progbits
	.p2align	6, 0x0
	.amdhsa_kernel _ZL20rocblas_gemvn_kernelILi32ELi16ElPKDF16_PKfKPDF16_EviiT3_lPKT2_lT1_lS9_lSA_lS6_lPT4_lSA_li
		.amdhsa_group_segment_fixed_size 8192
		.amdhsa_private_segment_fixed_size 0
		.amdhsa_kernarg_size 400
		.amdhsa_user_sgpr_count 2
		.amdhsa_user_sgpr_dispatch_ptr 0
		.amdhsa_user_sgpr_queue_ptr 0
		.amdhsa_user_sgpr_kernarg_segment_ptr 1
		.amdhsa_user_sgpr_dispatch_id 0
		.amdhsa_user_sgpr_kernarg_preload_length 0
		.amdhsa_user_sgpr_kernarg_preload_offset 0
		.amdhsa_user_sgpr_private_segment_size 0
		.amdhsa_uses_dynamic_stack 0
		.amdhsa_enable_private_segment 0
		.amdhsa_system_sgpr_workgroup_id_x 1
		.amdhsa_system_sgpr_workgroup_id_y 0
		.amdhsa_system_sgpr_workgroup_id_z 1
		.amdhsa_system_sgpr_workgroup_info 0
		.amdhsa_system_vgpr_workitem_id 1
		.amdhsa_next_free_vgpr 59
		.amdhsa_next_free_sgpr 45
		.amdhsa_accum_offset 60
		.amdhsa_reserve_vcc 1
		.amdhsa_float_round_mode_32 0
		.amdhsa_float_round_mode_16_64 0
		.amdhsa_float_denorm_mode_32 3
		.amdhsa_float_denorm_mode_16_64 3
		.amdhsa_dx10_clamp 1
		.amdhsa_ieee_mode 1
		.amdhsa_fp16_overflow 0
		.amdhsa_tg_split 0
		.amdhsa_exception_fp_ieee_invalid_op 0
		.amdhsa_exception_fp_denorm_src 0
		.amdhsa_exception_fp_ieee_div_zero 0
		.amdhsa_exception_fp_ieee_overflow 0
		.amdhsa_exception_fp_ieee_underflow 0
		.amdhsa_exception_fp_ieee_inexact 0
		.amdhsa_exception_int_div_zero 0
	.end_amdhsa_kernel
	.section	.text._ZL20rocblas_gemvn_kernelILi32ELi16ElPKDF16_PKfKPDF16_EviiT3_lPKT2_lT1_lS9_lSA_lS6_lPT4_lSA_li,"axG",@progbits,_ZL20rocblas_gemvn_kernelILi32ELi16ElPKDF16_PKfKPDF16_EviiT3_lPKT2_lT1_lS9_lSA_lS6_lPT4_lSA_li,comdat
.Lfunc_end431:
	.size	_ZL20rocblas_gemvn_kernelILi32ELi16ElPKDF16_PKfKPDF16_EviiT3_lPKT2_lT1_lS9_lSA_lS6_lPT4_lSA_li, .Lfunc_end431-_ZL20rocblas_gemvn_kernelILi32ELi16ElPKDF16_PKfKPDF16_EviiT3_lPKT2_lT1_lS9_lSA_lS6_lPT4_lSA_li
                                        ; -- End function
	.section	.AMDGPU.csdata,"",@progbits
; Kernel info:
; codeLenInByte = 2800
; NumSgprs: 51
; NumVgprs: 59
; NumAgprs: 0
; TotalNumVgprs: 59
; ScratchSize: 0
; MemoryBound: 0
; FloatMode: 240
; IeeeMode: 1
; LDSByteSize: 8192 bytes/workgroup (compile time only)
; SGPRBlocks: 6
; VGPRBlocks: 7
; NumSGPRsForWavesPerEU: 51
; NumVGPRsForWavesPerEU: 59
; AccumOffset: 60
; Occupancy: 8
; WaveLimiterHint : 1
; COMPUTE_PGM_RSRC2:SCRATCH_EN: 0
; COMPUTE_PGM_RSRC2:USER_SGPR: 2
; COMPUTE_PGM_RSRC2:TRAP_HANDLER: 0
; COMPUTE_PGM_RSRC2:TGID_X_EN: 1
; COMPUTE_PGM_RSRC2:TGID_Y_EN: 0
; COMPUTE_PGM_RSRC2:TGID_Z_EN: 1
; COMPUTE_PGM_RSRC2:TIDIG_COMP_CNT: 1
; COMPUTE_PGM_RSRC3_GFX90A:ACCUM_OFFSET: 14
; COMPUTE_PGM_RSRC3_GFX90A:TG_SPLIT: 0
	.section	.text._ZL20rocblas_gemvn_kernelILi32ELi16EiPKDF16_fKPDF16_EviiT3_lPKT2_lT1_lS7_lS8_lS4_lPT4_lS8_li,"axG",@progbits,_ZL20rocblas_gemvn_kernelILi32ELi16EiPKDF16_fKPDF16_EviiT3_lPKT2_lT1_lS7_lS8_lS4_lPT4_lS8_li,comdat
	.globl	_ZL20rocblas_gemvn_kernelILi32ELi16EiPKDF16_fKPDF16_EviiT3_lPKT2_lT1_lS7_lS8_lS4_lPT4_lS8_li ; -- Begin function _ZL20rocblas_gemvn_kernelILi32ELi16EiPKDF16_fKPDF16_EviiT3_lPKT2_lT1_lS7_lS8_lS4_lPT4_lS8_li
	.p2align	8
	.type	_ZL20rocblas_gemvn_kernelILi32ELi16EiPKDF16_fKPDF16_EviiT3_lPKT2_lT1_lS7_lS8_lS4_lPT4_lS8_li,@function
_ZL20rocblas_gemvn_kernelILi32ELi16EiPKDF16_fKPDF16_EviiT3_lPKT2_lT1_lS7_lS8_lS4_lPT4_lS8_li: ; @_ZL20rocblas_gemvn_kernelILi32ELi16EiPKDF16_fKPDF16_EviiT3_lPKT2_lT1_lS7_lS8_lS4_lPT4_lS8_li
; %bb.0:
	s_load_dwordx2 s[4:5], s[0:1], 0x9c
	s_mov_b32 s6, s3
	s_waitcnt lgkmcnt(0)
	s_and_b32 s3, s5, 0xffff
	s_lshr_b32 s5, s4, 16
	s_and_b32 s4, s4, 0xffff
	s_mul_i32 s4, s5, s4
	s_mul_i32 s4, s4, s3
	s_cmpk_lg_i32 s4, 0x200
	s_cbranch_scc1 .LBB432_56
; %bb.1:
	s_load_dwordx4 s[8:11], s[0:1], 0x0
	s_waitcnt lgkmcnt(0)
	s_load_dword s11, s[0:1], 0x58
	v_cmp_eq_f32_e64 s[4:5], s10, 0
	s_waitcnt lgkmcnt(0)
	v_cmp_eq_f32_e64 s[12:13], s11, 1.0
	s_and_b64 s[12:13], s[4:5], s[12:13]
	s_and_b64 vcc, exec, s[12:13]
	s_cbranch_vccnz .LBB432_56
; %bb.2:
	v_cmp_neq_f32_e64 s[12:13], s10, 0
	s_mov_b32 s7, 0
	s_and_b64 vcc, exec, s[12:13]
	s_cbranch_vccnz .LBB432_4
; %bb.3:
	s_mov_b64 s[16:17], 0
	s_cbranch_execz .LBB432_5
	s_branch .LBB432_6
.LBB432_4:
                                        ; implicit-def: $sgpr16_sgpr17
.LBB432_5:
	s_load_dwordx4 s[16:19], s[0:1], 0x18
	s_lshl_b64 s[14:15], s[6:7], 3
	s_waitcnt lgkmcnt(0)
	s_add_u32 s14, s16, s14
	s_addc_u32 s15, s17, s15
	s_load_dwordx2 s[14:15], s[14:15], 0x0
	s_lshl_b64 s[16:17], s[18:19], 1
	s_waitcnt lgkmcnt(0)
	s_add_u32 s16, s14, s16
	s_addc_u32 s17, s15, s17
.LBB432_6:
	s_mov_b64 s[14:15], 0
	s_andn2_b64 vcc, exec, s[12:13]
	s_mov_b64 s[18:19], 0
	s_cbranch_vccnz .LBB432_8
; %bb.7:
	s_load_dwordx4 s[20:23], s[0:1], 0x38
	s_lshl_b64 s[12:13], s[6:7], 3
	s_waitcnt lgkmcnt(0)
	s_add_u32 s12, s20, s12
	s_addc_u32 s13, s21, s13
	s_load_dwordx2 s[12:13], s[12:13], 0x0
	s_lshl_b64 s[18:19], s[22:23], 1
	s_waitcnt lgkmcnt(0)
	s_add_u32 s18, s12, s18
	s_addc_u32 s19, s13, s19
.LBB432_8:
	s_load_dwordx4 s[20:23], s[0:1], 0x68
	s_load_dword s30, s[0:1], 0x78
	s_lshl_b64 s[6:7], s[6:7], 3
	v_and_b32_e32 v2, 0x3ff, v0
	v_bfe_u32 v14, v0, 10, 10
	s_waitcnt lgkmcnt(0)
	s_add_u32 s6, s20, s6
	s_addc_u32 s7, s21, s7
	s_load_dwordx2 s[6:7], s[6:7], 0x0
	s_lshl_b64 s[12:13], s[22:23], 1
	v_lshl_add_u32 v3, v14, 5, v2
	s_waitcnt lgkmcnt(0)
	s_add_u32 s12, s6, s12
	s_addc_u32 s13, s7, s13
	s_andn2_b64 vcc, exec, s[4:5]
	s_cbranch_vccnz .LBB432_15
; %bb.9:
	s_movk_i32 s3, 0x80
	v_cmp_gt_u32_e32 vcc, s3, v3
	s_mov_b64 s[4:5], 0
                                        ; implicit-def: $vgpr5
                                        ; implicit-def: $vgpr0_vgpr1
	s_and_saveexec_b64 s[6:7], vcc
	s_cbranch_execz .LBB432_16
; %bb.10:
	v_lshl_or_b32 v4, s2, 7, v3
	v_mov_b32_e32 v5, 0
	s_ashr_i32 s15, s8, 31
	s_mov_b32 s14, s8
	v_cmp_gt_i64_e32 vcc, s[14:15], v[4:5]
	s_mov_b64 s[20:21], 0
                                        ; implicit-def: $vgpr0_vgpr1
	s_and_saveexec_b64 s[14:15], vcc
	s_cbranch_execz .LBB432_14
; %bb.11:
	v_mad_u64_u32 v[0:1], s[22:23], s30, v4, 0
	s_ashr_i32 s3, s30, 31
	v_mov_b32_e32 v6, v1
	v_cmp_eq_f32_e64 s[20:21], s11, 0
	v_mad_u64_u32 v[6:7], s[22:23], s3, v4, v[6:7]
	v_mov_b32_e32 v1, v6
	s_and_b64 vcc, exec, s[20:21]
	s_cbranch_vccnz .LBB432_13
; %bb.12:
	v_lshl_add_u64 v[4:5], v[0:1], 1, s[12:13]
	global_load_ushort v4, v[4:5], off
	s_waitcnt vmcnt(0)
	v_fma_mixlo_f16 v5, v4, s11, 0 op_sel_hi:[1,0,0]
.LBB432_13:
	s_mov_b64 s[20:21], exec
.LBB432_14:
	s_or_b64 exec, exec, s[14:15]
	s_and_b64 s[14:15], s[20:21], exec
	s_or_b64 exec, exec, s[6:7]
	s_and_b64 vcc, exec, s[4:5]
	s_cbranch_vccnz .LBB432_17
	s_branch .LBB432_54
.LBB432_15:
                                        ; implicit-def: $vgpr5
                                        ; implicit-def: $vgpr0_vgpr1
	s_cbranch_execnz .LBB432_17
	s_branch .LBB432_54
.LBB432_16:
	s_or_b64 exec, exec, s[6:7]
	s_and_b64 vcc, exec, s[4:5]
	s_cbranch_vccz .LBB432_54
.LBB432_17:
	s_load_dword s33, s[0:1], 0x28
	s_load_dword s34, s[0:1], 0x48
	s_ashr_i32 s0, s9, 31
	s_lshr_b32 s0, s0, 26
	s_add_i32 s35, s9, s0
	s_lshl_b32 s31, s2, 7
	s_andn2_b32 s35, s35, 63
	v_lshlrev_b32_e32 v20, 2, v14
	v_add_u32_e32 v16, s31, v2
	v_cmp_gt_i32_e32 vcc, s35, v20
	v_mov_b32_e32 v19, 0
	v_mov_b32_e32 v18, 0
	;; [unrolled: 1-line block ×4, first 2 shown]
	s_and_saveexec_b64 s[20:21], vcc
	s_cbranch_execz .LBB432_29
; %bb.18:
	v_add_u32_e32 v0, 32, v16
	v_cmp_gt_i32_e64 s[0:1], s8, v0
	v_add_u32_e32 v0, 64, v16
	v_cmp_gt_i32_e64 s[2:3], s8, v0
	;; [unrolled: 2-line block ×3, first 2 shown]
	s_waitcnt lgkmcnt(0)
	v_mul_lo_u32 v0, s33, v20
	v_add_u32_e32 v6, 2, v20
	v_add_u32_e32 v7, 3, v20
	v_add3_u32 v21, v0, s33, v2
	v_mad_u64_u32 v[0:1], s[6:7], s33, v6, v[2:3]
	v_mad_u64_u32 v[4:5], s[6:7], s33, v7, v[2:3]
	v_mul_lo_u32 v1, v14, s33
	v_mul_lo_u32 v5, s34, v20
	;; [unrolled: 1-line block ×4, first 2 shown]
	v_cmp_gt_i32_e32 vcc, s8, v16
	s_lshl_b32 s36, s33, 6
	v_lshl_add_u32 v1, v1, 2, v2
	v_add_u32_e32 v5, s34, v5
	s_lshl_b32 s37, s34, 6
	v_mul_lo_u32 v23, s34, v7
	v_lshlrev_b32_e32 v24, 2, v6
	s_mov_b32 s38, 0
	s_mov_b64 s[22:23], 0
	v_mov_b32_e32 v19, 0
	v_mov_b32_e32 v18, 0
	;; [unrolled: 1-line block ×4, first 2 shown]
	s_branch .LBB432_23
.LBB432_19:                             ;   in Loop: Header=BB432_23 Depth=1
	s_or_b64 exec, exec, s[28:29]
	s_waitcnt vmcnt(0) lgkmcnt(0)
	v_fma_mix_f32 v6, v37, v41, v17 op_sel_hi:[0,1,0]
	v_fma_mix_f32 v6, v38, v42, v6 op_sel_hi:[0,1,0]
	v_fma_mix_f32 v6, v39, v43, v6 op_sel_hi:[0,1,0]
	v_fma_mix_f32 v17, v40, v44, v6 op_sel_hi:[0,1,0]
.LBB432_20:                             ;   in Loop: Header=BB432_23 Depth=1
	s_or_b64 exec, exec, s[26:27]
	v_fma_mix_f32 v6, v37, v33, v18 op_sel_hi:[0,1,0]
	v_fma_mix_f32 v6, v38, v34, v6 op_sel_hi:[0,1,0]
	;; [unrolled: 1-line block ×4, first 2 shown]
.LBB432_21:                             ;   in Loop: Header=BB432_23 Depth=1
	s_or_b64 exec, exec, s[24:25]
	s_waitcnt vmcnt(0) lgkmcnt(0)
	v_fma_mix_f32 v6, v25, v29, v19 op_sel_hi:[1,1,0]
	s_nop 0
	v_fma_mix_f32 v6, v26, v30, v6 op_sel_hi:[1,1,0]
	s_nop 0
	;; [unrolled: 2-line block ×3, first 2 shown]
	v_fma_mix_f32 v19, v28, v32, v6 op_sel_hi:[1,1,0]
.LBB432_22:                             ;   in Loop: Header=BB432_23 Depth=1
	s_or_b64 exec, exec, s[6:7]
	v_add_u32_e32 v20, 64, v20
	s_add_i32 s38, s38, s37
	v_cmp_le_i32_e64 s[6:7], s35, v20
	v_add_u32_e32 v21, s36, v21
	v_add_u32_e32 v0, s36, v0
	;; [unrolled: 1-line block ×3, first 2 shown]
	s_or_b64 s[22:23], s[6:7], s[22:23]
	v_add_u32_e32 v1, s36, v1
	s_andn2_b64 exec, exec, s[22:23]
	s_cbranch_execz .LBB432_28
.LBB432_23:                             ; =>This Inner Loop Header: Depth=1
	s_and_saveexec_b64 s[6:7], vcc
	s_cbranch_execz .LBB432_22
; %bb.24:                               ;   in Loop: Header=BB432_23 Depth=1
	v_add_u32_e32 v6, s38, v24
	v_ashrrev_i32_e32 v7, 31, v6
	v_add_u32_e32 v8, s38, v5
	v_add_u32_e32 v10, s38, v22
	;; [unrolled: 1-line block ×3, first 2 shown]
	v_lshl_add_u64 v[6:7], v[6:7], 1, s[18:19]
	v_ashrrev_i32_e32 v9, 31, v8
	v_ashrrev_i32_e32 v11, 31, v10
	;; [unrolled: 1-line block ×3, first 2 shown]
	v_lshl_add_u64 v[8:9], v[8:9], 1, s[18:19]
	v_lshl_add_u64 v[10:11], v[10:11], 1, s[18:19]
	;; [unrolled: 1-line block ×3, first 2 shown]
	flat_load_ushort v25, v[6:7]
	flat_load_ushort v26, v[8:9]
	;; [unrolled: 1-line block ×4, first 2 shown]
	v_add_u32_e32 v6, s31, v1
	v_ashrrev_i32_e32 v7, 31, v6
	v_add_u32_e32 v8, s31, v21
	v_add_u32_e32 v10, s31, v0
	;; [unrolled: 1-line block ×3, first 2 shown]
	v_lshl_add_u64 v[6:7], v[6:7], 1, s[16:17]
	v_ashrrev_i32_e32 v9, 31, v8
	v_ashrrev_i32_e32 v11, 31, v10
	;; [unrolled: 1-line block ×3, first 2 shown]
	v_lshl_add_u64 v[8:9], v[8:9], 1, s[16:17]
	v_lshl_add_u64 v[10:11], v[10:11], 1, s[16:17]
	;; [unrolled: 1-line block ×3, first 2 shown]
	flat_load_ushort v29, v[6:7]
	flat_load_ushort v30, v[8:9]
	;; [unrolled: 1-line block ×4, first 2 shown]
	s_and_saveexec_b64 s[24:25], s[0:1]
	s_cbranch_execz .LBB432_21
; %bb.25:                               ;   in Loop: Header=BB432_23 Depth=1
	flat_load_ushort v33, v[6:7] offset:64
	flat_load_ushort v34, v[8:9] offset:64
	;; [unrolled: 1-line block ×4, first 2 shown]
	s_waitcnt vmcnt(0) lgkmcnt(0)
	v_cvt_f32_f16_e32 v37, v25
	v_cvt_f32_f16_e32 v38, v26
	v_cvt_f32_f16_e32 v39, v27
	v_cvt_f32_f16_e32 v40, v28
	s_and_saveexec_b64 s[26:27], s[2:3]
	s_cbranch_execz .LBB432_20
; %bb.26:                               ;   in Loop: Header=BB432_23 Depth=1
	flat_load_ushort v41, v[6:7] offset:128
	flat_load_ushort v42, v[8:9] offset:128
	flat_load_ushort v43, v[10:11] offset:128
	flat_load_ushort v44, v[12:13] offset:128
	s_and_saveexec_b64 s[28:29], s[4:5]
	s_cbranch_execz .LBB432_19
; %bb.27:                               ;   in Loop: Header=BB432_23 Depth=1
	flat_load_ushort v45, v[6:7] offset:192
	flat_load_ushort v46, v[8:9] offset:192
	;; [unrolled: 1-line block ×4, first 2 shown]
	s_waitcnt vmcnt(0) lgkmcnt(0)
	v_fma_mix_f32 v6, v37, v45, v15 op_sel_hi:[0,1,0]
	v_fma_mix_f32 v6, v38, v46, v6 op_sel_hi:[0,1,0]
	;; [unrolled: 1-line block ×4, first 2 shown]
	s_branch .LBB432_19
.LBB432_28:
	s_or_b64 exec, exec, s[22:23]
.LBB432_29:
	s_or_b64 exec, exec, s[20:21]
	s_sub_i32 s0, s9, s35
	s_cmp_lt_i32 s0, 1
	s_cbranch_scc1 .LBB432_47
; %bb.30:
	v_cmp_gt_i32_e32 vcc, s9, v20
	v_mov_b32_e32 v10, 0
	v_or_b32_e32 v4, 1, v20
	v_mov_b32_e32 v11, 0
	v_mov_b32_e32 v12, 0
	;; [unrolled: 1-line block ×3, first 2 shown]
	s_and_saveexec_b64 s[2:3], vcc
	s_cbranch_execz .LBB432_38
; %bb.31:
	s_waitcnt lgkmcnt(0)
	v_mul_lo_u32 v0, v20, s34
	v_ashrrev_i32_e32 v1, 31, v0
	v_lshl_add_u64 v[0:1], v[0:1], 1, s[18:19]
	flat_load_ushort v0, v[0:1]
	v_cmp_gt_i32_e64 s[0:1], s9, v4
	v_mov_b32_e32 v12, 0
	v_mov_b32_e32 v11, 0
	;; [unrolled: 1-line block ×3, first 2 shown]
	s_and_saveexec_b64 s[4:5], s[0:1]
	s_cbranch_execz .LBB432_37
; %bb.32:
	v_mul_lo_u32 v6, v4, s34
	v_ashrrev_i32_e32 v7, 31, v6
	v_lshl_add_u64 v[6:7], v[6:7], 1, s[18:19]
	flat_load_ushort v1, v[6:7]
	v_or_b32_e32 v5, 2, v20
	v_cmp_gt_i32_e64 s[0:1], s9, v5
	v_mov_b32_e32 v11, 0
	v_mov_b32_e32 v10, 0
	s_and_saveexec_b64 s[6:7], s[0:1]
	s_cbranch_execz .LBB432_36
; %bb.33:
	v_mul_lo_u32 v6, v5, s34
	v_ashrrev_i32_e32 v7, 31, v6
	v_lshl_add_u64 v[6:7], v[6:7], 1, s[18:19]
	flat_load_ushort v5, v[6:7]
	v_or_b32_e32 v6, 3, v20
	v_cmp_gt_i32_e64 s[0:1], s9, v6
	v_mov_b32_e32 v10, 0
	s_and_saveexec_b64 s[20:21], s[0:1]
	s_cbranch_execz .LBB432_35
; %bb.34:
	v_mul_lo_u32 v6, v6, s34
	v_ashrrev_i32_e32 v7, 31, v6
	v_lshl_add_u64 v[6:7], v[6:7], 1, s[18:19]
	flat_load_ushort v6, v[6:7]
	s_waitcnt vmcnt(0) lgkmcnt(0)
	v_cvt_f32_f16_e32 v10, v6
.LBB432_35:
	s_or_b64 exec, exec, s[20:21]
	s_waitcnt vmcnt(0) lgkmcnt(0)
	v_cvt_f32_f16_e32 v11, v5
.LBB432_36:
	s_or_b64 exec, exec, s[6:7]
	s_waitcnt vmcnt(0) lgkmcnt(0)
	v_cvt_f32_f16_e32 v12, v1
.LBB432_37:
	s_or_b64 exec, exec, s[4:5]
	s_waitcnt vmcnt(0) lgkmcnt(0)
	v_cvt_f32_f16_e32 v13, v0
.LBB432_38:
	s_or_b64 exec, exec, s[2:3]
	v_cmp_gt_i32_e64 s[0:1], s8, v16
	s_and_saveexec_b64 s[2:3], s[0:1]
	s_cbranch_execz .LBB432_46
; %bb.39:
	s_waitcnt lgkmcnt(0)
	v_mul_lo_u32 v0, v20, s33
	v_cndmask_b32_e32 v0, 0, v0, vcc
	v_mul_lo_u32 v5, v4, s33
	v_cmp_gt_i32_e32 vcc, s9, v4
	v_or_b32_e32 v6, 2, v20
	v_mul_lo_u32 v7, v6, s33
	v_cndmask_b32_e32 v4, 0, v5, vcc
	v_cmp_gt_i32_e32 vcc, s9, v6
	v_or_b32_e32 v8, 3, v20
	v_mul_lo_u32 v9, v8, s33
	v_cndmask_b32_e32 v6, 0, v7, vcc
	v_cmp_gt_i32_e32 vcc, s9, v8
	v_add_u32_e32 v0, v0, v16
	v_ashrrev_i32_e32 v1, 31, v0
	v_cndmask_b32_e32 v8, 0, v9, vcc
	v_add_u32_e32 v4, v4, v16
	v_add_u32_e32 v6, v6, v16
	;; [unrolled: 1-line block ×3, first 2 shown]
	v_lshl_add_u64 v[0:1], v[0:1], 1, s[16:17]
	v_ashrrev_i32_e32 v5, 31, v4
	v_ashrrev_i32_e32 v7, 31, v6
	;; [unrolled: 1-line block ×3, first 2 shown]
	v_lshl_add_u64 v[4:5], v[4:5], 1, s[16:17]
	v_lshl_add_u64 v[6:7], v[6:7], 1, s[16:17]
	flat_load_ushort v21, v[0:1]
	flat_load_ushort v22, v[4:5]
	;; [unrolled: 1-line block ×3, first 2 shown]
	v_lshl_add_u64 v[8:9], v[8:9], 1, s[16:17]
	flat_load_ushort v20, v[8:9]
	v_add_u32_e32 v24, 32, v16
	v_cmp_gt_i32_e32 vcc, s8, v24
	s_waitcnt vmcnt(0) lgkmcnt(0)
	v_fma_mix_f32 v19, v13, v21, v19 op_sel_hi:[0,1,0]
	v_fma_mix_f32 v19, v12, v22, v19 op_sel_hi:[0,1,0]
	v_fma_mix_f32 v19, v11, v23, v19 op_sel_hi:[0,1,0]
	s_and_saveexec_b64 s[0:1], vcc
	s_cbranch_execz .LBB432_45
; %bb.40:
	flat_load_ushort v22, v[0:1] offset:64
	flat_load_ushort v23, v[4:5] offset:64
	flat_load_ushort v24, v[6:7] offset:64
	flat_load_ushort v21, v[8:9] offset:64
	v_add_u32_e32 v25, 64, v16
	v_cmp_gt_i32_e32 vcc, s8, v25
	s_waitcnt vmcnt(0) lgkmcnt(0)
	v_fma_mix_f32 v18, v13, v22, v18 op_sel_hi:[0,1,0]
	v_fma_mix_f32 v18, v12, v23, v18 op_sel_hi:[0,1,0]
	v_fma_mix_f32 v18, v11, v24, v18 op_sel_hi:[0,1,0]
	s_and_saveexec_b64 s[4:5], vcc
	s_cbranch_execz .LBB432_44
; %bb.41:
	flat_load_ushort v23, v[0:1] offset:128
	flat_load_ushort v24, v[4:5] offset:128
	flat_load_ushort v25, v[6:7] offset:128
	flat_load_ushort v22, v[8:9] offset:128
	;; [unrolled: 13-line block ×3, first 2 shown]
	s_waitcnt vmcnt(0) lgkmcnt(0)
	v_fma_mix_f32 v0, v13, v17, v15 op_sel_hi:[0,1,0]
	v_fma_mix_f32 v0, v12, v23, v0 op_sel_hi:[0,1,0]
	;; [unrolled: 1-line block ×4, first 2 shown]
.LBB432_43:
	s_or_b64 exec, exec, s[6:7]
	v_fma_mix_f32 v17, v10, v22, v16 op_sel_hi:[0,1,0]
.LBB432_44:
	s_or_b64 exec, exec, s[4:5]
	v_fma_mix_f32 v18, v10, v21, v18 op_sel_hi:[0,1,0]
.LBB432_45:
	s_or_b64 exec, exec, s[0:1]
	v_fma_mix_f32 v19, v10, v20, v19 op_sel_hi:[0,1,0]
.LBB432_46:
	s_or_b64 exec, exec, s[2:3]
.LBB432_47:
	v_lshlrev_b32_e32 v0, 7, v14
	s_movk_i32 s0, 0x80
	v_add_lshl_u32 v0, v0, v2, 2
	v_cmp_gt_u32_e32 vcc, s0, v3
	ds_write2_b32 v0, v19, v18 offset1:32
	ds_write2_b32 v0, v17, v15 offset0:64 offset1:96
	s_waitcnt lgkmcnt(0)
	s_barrier
	s_waitcnt lgkmcnt(0)
                                        ; implicit-def: $vgpr5
                                        ; implicit-def: $vgpr0_vgpr1
	s_and_saveexec_b64 s[0:1], vcc
	s_cbranch_execz .LBB432_53
; %bb.48:
	v_lshlrev_b32_e32 v12, 2, v3
	ds_read2st64_b32 v[0:1], v12 offset1:2
	ds_read2st64_b32 v[4:5], v12 offset0:4 offset1:6
	ds_read2st64_b32 v[6:7], v12 offset0:8 offset1:10
	;; [unrolled: 1-line block ×4, first 2 shown]
	s_waitcnt lgkmcnt(4)
	v_add_f32_e32 v0, v0, v1
	s_waitcnt lgkmcnt(3)
	v_add_f32_e32 v0, v4, v0
	v_add_f32_e32 v0, v5, v0
	s_waitcnt lgkmcnt(2)
	v_add_f32_e32 v0, v6, v0
	;; [unrolled: 3-line block ×3, first 2 shown]
	v_add_f32_e32 v2, v9, v0
	ds_read2st64_b32 v[0:1], v12 offset0:20 offset1:22
	ds_read2st64_b32 v[4:5], v12 offset0:24 offset1:26
	s_waitcnt lgkmcnt(2)
	v_add_f32_e32 v2, v10, v2
	v_add_f32_e32 v2, v11, v2
	ds_read2st64_b32 v[6:7], v12 offset0:28 offset1:30
	s_waitcnt lgkmcnt(2)
	v_add_f32_e32 v0, v0, v2
	v_add_f32_e32 v0, v1, v0
	s_waitcnt lgkmcnt(1)
	v_add_f32_e32 v0, v4, v0
	v_add_f32_e32 v0, v5, v0
	s_waitcnt lgkmcnt(0)
	v_add_f32_e32 v0, v6, v0
	v_or_b32_e32 v3, s31, v3
	v_add_f32_e32 v2, v7, v0
	v_cmp_gt_i32_e32 vcc, s8, v3
	s_mov_b64 s[4:5], s[14:15]
	ds_write_b32 v12, v2
                                        ; implicit-def: $vgpr5
                                        ; implicit-def: $vgpr0_vgpr1
	s_and_saveexec_b64 s[2:3], vcc
	s_cbranch_execz .LBB432_52
; %bb.49:
	v_cmp_eq_f32_e64 s[4:5], s11, 0
	v_mul_lo_u32 v0, v3, s30
	v_mul_f32_e32 v2, s10, v2
	v_ashrrev_i32_e32 v1, 31, v0
	s_and_b64 vcc, exec, s[4:5]
	s_cbranch_vccnz .LBB432_51
; %bb.50:
	v_lshl_add_u64 v[4:5], v[0:1], 1, s[12:13]
	global_load_ushort v3, v[4:5], off
	s_waitcnt vmcnt(0)
	v_fma_mix_f32 v2, v3, s11, v2 op_sel_hi:[1,0,0]
.LBB432_51:
	s_nop 0
	v_cvt_f16_f32_e32 v5, v2
	s_or_b64 s[4:5], s[14:15], exec
.LBB432_52:
	s_or_b64 exec, exec, s[2:3]
	s_andn2_b64 s[2:3], s[14:15], exec
	s_and_b64 s[4:5], s[4:5], exec
	s_or_b64 s[14:15], s[2:3], s[4:5]
.LBB432_53:
	s_or_b64 exec, exec, s[0:1]
.LBB432_54:
	s_and_saveexec_b64 s[0:1], s[14:15]
	s_cbranch_execz .LBB432_56
; %bb.55:
	v_lshl_add_u64 v[0:1], v[0:1], 1, s[12:13]
	global_store_short v[0:1], v5, off
.LBB432_56:
	s_endpgm
	.section	.rodata,"a",@progbits
	.p2align	6, 0x0
	.amdhsa_kernel _ZL20rocblas_gemvn_kernelILi32ELi16EiPKDF16_fKPDF16_EviiT3_lPKT2_lT1_lS7_lS8_lS4_lPT4_lS8_li
		.amdhsa_group_segment_fixed_size 8192
		.amdhsa_private_segment_fixed_size 0
		.amdhsa_kernarg_size 400
		.amdhsa_user_sgpr_count 2
		.amdhsa_user_sgpr_dispatch_ptr 0
		.amdhsa_user_sgpr_queue_ptr 0
		.amdhsa_user_sgpr_kernarg_segment_ptr 1
		.amdhsa_user_sgpr_dispatch_id 0
		.amdhsa_user_sgpr_kernarg_preload_length 0
		.amdhsa_user_sgpr_kernarg_preload_offset 0
		.amdhsa_user_sgpr_private_segment_size 0
		.amdhsa_uses_dynamic_stack 0
		.amdhsa_enable_private_segment 0
		.amdhsa_system_sgpr_workgroup_id_x 1
		.amdhsa_system_sgpr_workgroup_id_y 0
		.amdhsa_system_sgpr_workgroup_id_z 1
		.amdhsa_system_sgpr_workgroup_info 0
		.amdhsa_system_vgpr_workitem_id 1
		.amdhsa_next_free_vgpr 49
		.amdhsa_next_free_sgpr 39
		.amdhsa_accum_offset 52
		.amdhsa_reserve_vcc 1
		.amdhsa_float_round_mode_32 0
		.amdhsa_float_round_mode_16_64 0
		.amdhsa_float_denorm_mode_32 3
		.amdhsa_float_denorm_mode_16_64 3
		.amdhsa_dx10_clamp 1
		.amdhsa_ieee_mode 1
		.amdhsa_fp16_overflow 0
		.amdhsa_tg_split 0
		.amdhsa_exception_fp_ieee_invalid_op 0
		.amdhsa_exception_fp_denorm_src 0
		.amdhsa_exception_fp_ieee_div_zero 0
		.amdhsa_exception_fp_ieee_overflow 0
		.amdhsa_exception_fp_ieee_underflow 0
		.amdhsa_exception_fp_ieee_inexact 0
		.amdhsa_exception_int_div_zero 0
	.end_amdhsa_kernel
	.section	.text._ZL20rocblas_gemvn_kernelILi32ELi16EiPKDF16_fKPDF16_EviiT3_lPKT2_lT1_lS7_lS8_lS4_lPT4_lS8_li,"axG",@progbits,_ZL20rocblas_gemvn_kernelILi32ELi16EiPKDF16_fKPDF16_EviiT3_lPKT2_lT1_lS7_lS8_lS4_lPT4_lS8_li,comdat
.Lfunc_end432:
	.size	_ZL20rocblas_gemvn_kernelILi32ELi16EiPKDF16_fKPDF16_EviiT3_lPKT2_lT1_lS7_lS8_lS4_lPT4_lS8_li, .Lfunc_end432-_ZL20rocblas_gemvn_kernelILi32ELi16EiPKDF16_fKPDF16_EviiT3_lPKT2_lT1_lS7_lS8_lS4_lPT4_lS8_li
                                        ; -- End function
	.section	.AMDGPU.csdata,"",@progbits
; Kernel info:
; codeLenInByte = 2472
; NumSgprs: 45
; NumVgprs: 49
; NumAgprs: 0
; TotalNumVgprs: 49
; ScratchSize: 0
; MemoryBound: 0
; FloatMode: 240
; IeeeMode: 1
; LDSByteSize: 8192 bytes/workgroup (compile time only)
; SGPRBlocks: 5
; VGPRBlocks: 6
; NumSGPRsForWavesPerEU: 45
; NumVGPRsForWavesPerEU: 49
; AccumOffset: 52
; Occupancy: 8
; WaveLimiterHint : 1
; COMPUTE_PGM_RSRC2:SCRATCH_EN: 0
; COMPUTE_PGM_RSRC2:USER_SGPR: 2
; COMPUTE_PGM_RSRC2:TRAP_HANDLER: 0
; COMPUTE_PGM_RSRC2:TGID_X_EN: 1
; COMPUTE_PGM_RSRC2:TGID_Y_EN: 0
; COMPUTE_PGM_RSRC2:TGID_Z_EN: 1
; COMPUTE_PGM_RSRC2:TIDIG_COMP_CNT: 1
; COMPUTE_PGM_RSRC3_GFX90A:ACCUM_OFFSET: 12
; COMPUTE_PGM_RSRC3_GFX90A:TG_SPLIT: 0
	.section	.text._ZL20rocblas_gemvn_kernelILi32ELi16ElPKDF16_fKPDF16_EviiT3_lPKT2_lT1_lS7_lS8_lS4_lPT4_lS8_li,"axG",@progbits,_ZL20rocblas_gemvn_kernelILi32ELi16ElPKDF16_fKPDF16_EviiT3_lPKT2_lT1_lS7_lS8_lS4_lPT4_lS8_li,comdat
	.globl	_ZL20rocblas_gemvn_kernelILi32ELi16ElPKDF16_fKPDF16_EviiT3_lPKT2_lT1_lS7_lS8_lS4_lPT4_lS8_li ; -- Begin function _ZL20rocblas_gemvn_kernelILi32ELi16ElPKDF16_fKPDF16_EviiT3_lPKT2_lT1_lS7_lS8_lS4_lPT4_lS8_li
	.p2align	8
	.type	_ZL20rocblas_gemvn_kernelILi32ELi16ElPKDF16_fKPDF16_EviiT3_lPKT2_lT1_lS7_lS8_lS4_lPT4_lS8_li,@function
_ZL20rocblas_gemvn_kernelILi32ELi16ElPKDF16_fKPDF16_EviiT3_lPKT2_lT1_lS7_lS8_lS4_lPT4_lS8_li: ; @_ZL20rocblas_gemvn_kernelILi32ELi16ElPKDF16_fKPDF16_EviiT3_lPKT2_lT1_lS7_lS8_lS4_lPT4_lS8_li
; %bb.0:
	s_load_dwordx2 s[4:5], s[0:1], 0x9c
	s_mov_b32 s12, s3
	s_waitcnt lgkmcnt(0)
	s_and_b32 s3, s5, 0xffff
	s_lshr_b32 s5, s4, 16
	s_and_b32 s4, s4, 0xffff
	s_mul_i32 s4, s5, s4
	s_mul_i32 s4, s4, s3
	s_cmpk_lg_i32 s4, 0x200
	s_cbranch_scc1 .LBB433_56
; %bb.1:
	s_load_dwordx4 s[8:11], s[0:1], 0x0
	s_waitcnt lgkmcnt(0)
	s_load_dword s11, s[0:1], 0x58
	v_cmp_eq_f32_e64 s[26:27], s10, 0
	s_waitcnt lgkmcnt(0)
	v_cmp_eq_f32_e64 s[4:5], s11, 1.0
	s_and_b64 s[4:5], s[26:27], s[4:5]
	s_and_b64 vcc, exec, s[4:5]
	s_cbranch_vccnz .LBB433_56
; %bb.2:
	s_load_dwordx4 s[4:7], s[0:1], 0x18
	s_load_dwordx2 s[18:19], s[0:1], 0x28
	v_cmp_neq_f32_e64 s[16:17], s10, 0
	s_mov_b32 s13, 0
	s_and_b64 vcc, exec, s[16:17]
	s_cbranch_vccnz .LBB433_4
; %bb.3:
	s_mov_b64 s[20:21], 0
	s_cbranch_execz .LBB433_5
	s_branch .LBB433_6
.LBB433_4:
                                        ; implicit-def: $sgpr20_sgpr21
.LBB433_5:
	s_lshl_b64 s[14:15], s[12:13], 3
	s_waitcnt lgkmcnt(0)
	s_add_u32 s4, s4, s14
	s_addc_u32 s5, s5, s15
	s_load_dwordx2 s[4:5], s[4:5], 0x0
	s_lshl_b64 s[6:7], s[6:7], 1
	s_waitcnt lgkmcnt(0)
	s_add_u32 s20, s4, s6
	s_addc_u32 s21, s5, s7
.LBB433_6:
	s_waitcnt lgkmcnt(0)
	s_load_dwordx4 s[4:7], s[0:1], 0x38
	s_load_dwordx2 s[22:23], s[0:1], 0x48
	s_mov_b64 s[14:15], 0
	s_andn2_b64 vcc, exec, s[16:17]
	s_mov_b64 s[24:25], 0
	s_cbranch_vccnz .LBB433_8
; %bb.7:
	s_lshl_b64 s[16:17], s[12:13], 3
	s_waitcnt lgkmcnt(0)
	s_add_u32 s4, s4, s16
	s_addc_u32 s5, s5, s17
	s_load_dwordx2 s[4:5], s[4:5], 0x0
	s_lshl_b64 s[6:7], s[6:7], 1
	s_waitcnt lgkmcnt(0)
	s_add_u32 s24, s4, s6
	s_addc_u32 s25, s5, s7
.LBB433_8:
	s_waitcnt lgkmcnt(0)
	s_load_dwordx4 s[4:7], s[0:1], 0x68
	s_load_dwordx2 s[16:17], s[0:1], 0x78
	s_lshl_b64 s[0:1], s[12:13], 3
	v_and_b32_e32 v29, 0x3ff, v0
	v_bfe_u32 v30, v0, 10, 10
	s_waitcnt lgkmcnt(0)
	s_add_u32 s0, s4, s0
	s_addc_u32 s1, s5, s1
	s_load_dwordx2 s[0:1], s[0:1], 0x0
	s_lshl_b64 s[4:5], s[6:7], 1
	v_lshl_add_u32 v28, v30, 5, v29
	s_waitcnt lgkmcnt(0)
	s_add_u32 s12, s0, s4
	s_addc_u32 s13, s1, s5
	s_andn2_b64 vcc, exec, s[26:27]
	s_cbranch_vccnz .LBB433_15
; %bb.9:
	s_movk_i32 s0, 0x80
	v_cmp_gt_u32_e32 vcc, s0, v28
	s_mov_b64 s[0:1], 0
                                        ; implicit-def: $vgpr3
                                        ; implicit-def: $vgpr0_vgpr1
	s_and_saveexec_b64 s[4:5], vcc
	s_cbranch_execz .LBB433_16
; %bb.10:
	v_lshl_or_b32 v2, s2, 7, v28
	v_mov_b32_e32 v3, 0
	s_ashr_i32 s7, s8, 31
	s_mov_b32 s6, s8
	v_cmp_gt_i64_e32 vcc, s[6:7], v[2:3]
                                        ; implicit-def: $vgpr0_vgpr1
	s_and_saveexec_b64 s[6:7], vcc
	s_cbranch_execz .LBB433_14
; %bb.11:
	v_mad_u64_u32 v[0:1], s[26:27], v2, s16, 0
	v_mov_b32_e32 v4, v1
	v_cmp_eq_f32_e64 s[14:15], s11, 0
	v_mad_u64_u32 v[4:5], s[26:27], v2, s17, v[4:5]
	v_mov_b32_e32 v1, v4
	s_and_b64 vcc, exec, s[14:15]
	s_cbranch_vccnz .LBB433_13
; %bb.12:
	v_lshl_add_u64 v[2:3], v[0:1], 1, s[12:13]
	global_load_ushort v2, v[2:3], off
	s_waitcnt vmcnt(0)
	v_fma_mixlo_f16 v3, v2, s11, 0 op_sel_hi:[1,0,0]
.LBB433_13:
	s_mov_b64 s[14:15], exec
.LBB433_14:
	s_or_b64 exec, exec, s[6:7]
	s_and_b64 s[14:15], s[14:15], exec
	s_or_b64 exec, exec, s[4:5]
	s_and_b64 vcc, exec, s[0:1]
	s_cbranch_vccnz .LBB433_17
	s_branch .LBB433_54
.LBB433_15:
                                        ; implicit-def: $vgpr3
                                        ; implicit-def: $vgpr0_vgpr1
	s_cbranch_execnz .LBB433_17
	s_branch .LBB433_54
.LBB433_16:
	s_or_b64 exec, exec, s[4:5]
	s_and_b64 vcc, exec, s[0:1]
	s_cbranch_vccz .LBB433_54
.LBB433_17:
	s_ashr_i32 s0, s9, 31
	s_lshr_b32 s0, s0, 26
	s_add_i32 s44, s9, s0
	s_lshl_b32 s33, s2, 7
	s_andn2_b32 s44, s44, 63
	v_lshlrev_b32_e32 v33, 2, v30
	v_add_u32_e32 v0, s33, v29
	v_cmp_gt_i32_e32 vcc, s44, v33
	v_mov_b32_e32 v35, 0
	v_mov_b32_e32 v34, 0
	;; [unrolled: 1-line block ×4, first 2 shown]
	s_and_saveexec_b64 s[26:27], vcc
	s_cbranch_execz .LBB433_29
; %bb.18:
	v_add_u32_e32 v2, 32, v0
	v_cmp_gt_i32_e64 s[0:1], s8, v2
	v_add_u32_e32 v2, 64, v0
	v_ashrrev_i32_e32 v1, 31, v0
	v_cmp_gt_i32_e64 s[2:3], s8, v2
	v_add_u32_e32 v2, 0x60, v0
	v_cmp_gt_i32_e64 s[4:5], s8, v2
	v_lshlrev_b64 v[2:3], 1, v[0:1]
	v_lshlrev_b32_e32 v1, 2, v30
	v_or_b32_e32 v15, 3, v1
	v_mad_u64_u32 v[4:5], s[6:7], s18, v15, 0
	v_mov_b32_e32 v6, v5
	v_mad_u64_u32 v[6:7], s[6:7], s19, v15, v[6:7]
	v_mov_b32_e32 v5, v6
	;; [unrolled: 2-line block ×6, first 2 shown]
	v_mov_b64_e32 v[10:11], s[22:23]
	v_mad_u64_u32 v[10:11], s[6:7], s22, v1, v[10:11]
	v_mov_b32_e32 v12, v11
	v_mad_u64_u32 v[12:13], s[6:7], s23, v1, v[12:13]
	v_mov_b32_e32 v11, v12
	;; [unrolled: 2-line block ×3, first 2 shown]
	v_mad_u64_u32 v[14:15], s[6:7], s23, v15, v[14:15]
	v_or_b32_e32 v21, 2, v1
	v_mov_b32_e32 v13, v14
	v_mad_u64_u32 v[14:15], s[6:7], s18, v21, 0
	v_mov_b32_e32 v16, v15
	v_mad_u64_u32 v[16:17], s[6:7], s19, v21, v[16:17]
	v_mov_b32_e32 v15, v16
	v_mov_b64_e32 v[16:17], s[18:19]
	v_mad_u64_u32 v[16:17], s[6:7], s18, v1, v[16:17]
	v_mov_b32_e32 v18, v17
	v_mad_u64_u32 v[18:19], s[6:7], s19, v1, v[18:19]
	v_mov_b32_e32 v17, v18
	;; [unrolled: 2-line block ×4, first 2 shown]
	v_cmp_gt_i32_e32 vcc, s8, v0
	v_lshl_add_u64 v[4:5], v[4:5], 1, s[20:21]
	s_lshl_b64 s[28:29], s[18:19], 7
	v_lshlrev_b64 v[6:7], 3, v[6:7]
	s_lshl_b64 s[30:31], s[22:23], 7
	v_lshl_add_u64 v[8:9], v[8:9], 3, s[20:21]
	v_lshlrev_b64 v[10:11], 1, v[10:11]
	v_lshlrev_b64 v[12:13], 1, v[12:13]
	v_lshl_add_u64 v[14:15], v[14:15], 1, s[20:21]
	v_lshl_add_u64 v[16:17], v[16:17], 1, s[20:21]
	v_lshlrev_b64 v[18:19], 1, v[18:19]
	s_mov_b64 s[34:35], 0
	v_mov_b32_e32 v35, 0
	s_mov_b64 s[36:37], s[24:25]
	v_mov_b32_e32 v34, 0
	v_mov_b32_e32 v32, 0
	;; [unrolled: 1-line block ×3, first 2 shown]
	s_branch .LBB433_23
.LBB433_19:                             ;   in Loop: Header=BB433_23 Depth=1
	s_or_b64 exec, exec, s[42:43]
	s_waitcnt vmcnt(0) lgkmcnt(0)
	v_fma_mix_f32 v20, v47, v51, v32 op_sel_hi:[0,1,0]
	v_fma_mix_f32 v20, v48, v52, v20 op_sel_hi:[0,1,0]
	;; [unrolled: 1-line block ×4, first 2 shown]
.LBB433_20:                             ;   in Loop: Header=BB433_23 Depth=1
	s_or_b64 exec, exec, s[40:41]
	v_fma_mix_f32 v20, v47, v43, v34 op_sel_hi:[0,1,0]
	v_fma_mix_f32 v20, v48, v44, v20 op_sel_hi:[0,1,0]
	;; [unrolled: 1-line block ×4, first 2 shown]
.LBB433_21:                             ;   in Loop: Header=BB433_23 Depth=1
	s_or_b64 exec, exec, s[38:39]
	s_waitcnt vmcnt(0) lgkmcnt(0)
	v_fma_mix_f32 v1, v1, v39, v35 op_sel_hi:[1,1,0]
	s_nop 0
	v_fma_mix_f32 v1, v36, v40, v1 op_sel_hi:[1,1,0]
	s_nop 0
	;; [unrolled: 2-line block ×3, first 2 shown]
	v_fma_mix_f32 v35, v38, v42, v1 op_sel_hi:[1,1,0]
.LBB433_22:                             ;   in Loop: Header=BB433_23 Depth=1
	s_or_b64 exec, exec, s[6:7]
	v_add_u32_e32 v33, 64, v33
	s_add_u32 s36, s36, s30
	s_addc_u32 s37, s37, s31
	v_cmp_le_i32_e64 s[6:7], s44, v33
	v_lshl_add_u64 v[4:5], v[4:5], 0, s[28:29]
	v_lshl_add_u64 v[8:9], v[8:9], 0, s[28:29]
	v_lshl_add_u64 v[14:15], v[14:15], 0, s[28:29]
	s_or_b64 s[34:35], s[6:7], s[34:35]
	v_lshl_add_u64 v[16:17], v[16:17], 0, s[28:29]
	s_andn2_b64 exec, exec, s[34:35]
	s_cbranch_execz .LBB433_28
.LBB433_23:                             ; =>This Inner Loop Header: Depth=1
	s_and_saveexec_b64 s[6:7], vcc
	s_cbranch_execz .LBB433_22
; %bb.24:                               ;   in Loop: Header=BB433_23 Depth=1
	v_lshl_add_u64 v[20:21], s[36:37], 0, v[6:7]
	v_lshl_add_u64 v[22:23], s[36:37], 0, v[10:11]
	;; [unrolled: 1-line block ×4, first 2 shown]
	flat_load_ushort v1, v[20:21]
	flat_load_ushort v36, v[22:23]
	;; [unrolled: 1-line block ×4, first 2 shown]
	v_lshl_add_u64 v[20:21], v[8:9], 0, v[2:3]
	v_lshl_add_u64 v[22:23], v[16:17], 0, v[2:3]
	;; [unrolled: 1-line block ×4, first 2 shown]
	flat_load_ushort v39, v[20:21]
	flat_load_ushort v40, v[22:23]
	;; [unrolled: 1-line block ×4, first 2 shown]
	s_and_saveexec_b64 s[38:39], s[0:1]
	s_cbranch_execz .LBB433_21
; %bb.25:                               ;   in Loop: Header=BB433_23 Depth=1
	flat_load_ushort v43, v[20:21] offset:64
	flat_load_ushort v44, v[22:23] offset:64
	;; [unrolled: 1-line block ×4, first 2 shown]
	s_waitcnt vmcnt(0) lgkmcnt(0)
	v_cvt_f32_f16_e32 v47, v1
	v_cvt_f32_f16_e32 v48, v36
	;; [unrolled: 1-line block ×4, first 2 shown]
	s_and_saveexec_b64 s[40:41], s[2:3]
	s_cbranch_execz .LBB433_20
; %bb.26:                               ;   in Loop: Header=BB433_23 Depth=1
	flat_load_ushort v51, v[20:21] offset:128
	flat_load_ushort v52, v[22:23] offset:128
	;; [unrolled: 1-line block ×4, first 2 shown]
	s_and_saveexec_b64 s[42:43], s[4:5]
	s_cbranch_execz .LBB433_19
; %bb.27:                               ;   in Loop: Header=BB433_23 Depth=1
	flat_load_ushort v55, v[20:21] offset:192
	flat_load_ushort v56, v[22:23] offset:192
	flat_load_ushort v57, v[24:25] offset:192
	flat_load_ushort v58, v[26:27] offset:192
	s_waitcnt vmcnt(0) lgkmcnt(0)
	v_fma_mix_f32 v20, v47, v55, v31 op_sel_hi:[0,1,0]
	v_fma_mix_f32 v20, v48, v56, v20 op_sel_hi:[0,1,0]
	;; [unrolled: 1-line block ×4, first 2 shown]
	s_branch .LBB433_19
.LBB433_28:
	s_or_b64 exec, exec, s[34:35]
.LBB433_29:
	s_or_b64 exec, exec, s[26:27]
	s_sub_i32 s0, s9, s44
	s_cmp_lt_i32 s0, 1
	s_cbranch_scc1 .LBB433_47
; %bb.30:
	v_cmp_gt_i32_e32 vcc, s9, v33
	v_mov_b32_e32 v10, 0
	v_or_b32_e32 v4, 1, v33
	v_mov_b32_e32 v11, 0
	v_mov_b32_e32 v12, 0
	;; [unrolled: 1-line block ×3, first 2 shown]
	s_and_saveexec_b64 s[2:3], vcc
	s_cbranch_execz .LBB433_38
; %bb.31:
	v_mad_u64_u32 v[2:3], s[0:1], v33, s22, 0
	v_mov_b32_e32 v6, v3
	v_mad_u64_u32 v[6:7], s[0:1], v33, s23, v[6:7]
	v_mov_b32_e32 v3, v6
	v_lshl_add_u64 v[2:3], v[2:3], 1, s[24:25]
	flat_load_ushort v1, v[2:3]
	v_cmp_gt_i32_e64 s[0:1], s9, v4
	v_mov_b32_e32 v12, 0
	v_mov_b32_e32 v11, 0
	;; [unrolled: 1-line block ×3, first 2 shown]
	s_and_saveexec_b64 s[4:5], s[0:1]
	s_cbranch_execz .LBB433_37
; %bb.32:
	v_mad_u64_u32 v[2:3], s[0:1], v4, s22, 0
	v_mov_b32_e32 v6, v3
	v_mad_u64_u32 v[6:7], s[0:1], v4, s23, v[6:7]
	v_mov_b32_e32 v3, v6
	v_lshl_add_u64 v[2:3], v[2:3], 1, s[24:25]
	flat_load_ushort v2, v[2:3]
	v_or_b32_e32 v3, 2, v33
	v_cmp_gt_i32_e64 s[0:1], s9, v3
	v_mov_b32_e32 v11, 0
	v_mov_b32_e32 v10, 0
	s_and_saveexec_b64 s[6:7], s[0:1]
	s_cbranch_execz .LBB433_36
; %bb.33:
	v_mad_u64_u32 v[6:7], s[0:1], v3, s22, 0
	v_mov_b32_e32 v8, v7
	v_mad_u64_u32 v[8:9], s[0:1], v3, s23, v[8:9]
	v_mov_b32_e32 v7, v8
	v_lshl_add_u64 v[6:7], v[6:7], 1, s[24:25]
	flat_load_ushort v3, v[6:7]
	v_or_b32_e32 v5, 3, v33
	v_cmp_gt_i32_e64 s[0:1], s9, v5
	v_mov_b32_e32 v10, 0
	s_and_saveexec_b64 s[26:27], s[0:1]
	s_cbranch_execz .LBB433_35
; %bb.34:
	v_mad_u64_u32 v[6:7], s[0:1], v5, s22, 0
	v_mov_b32_e32 v8, v7
	v_mad_u64_u32 v[8:9], s[0:1], v5, s23, v[8:9]
	v_mov_b32_e32 v7, v8
	v_lshl_add_u64 v[6:7], v[6:7], 1, s[24:25]
	flat_load_ushort v5, v[6:7]
	s_waitcnt vmcnt(0) lgkmcnt(0)
	v_cvt_f32_f16_e32 v10, v5
.LBB433_35:
	s_or_b64 exec, exec, s[26:27]
	s_waitcnt vmcnt(0) lgkmcnt(0)
	v_cvt_f32_f16_e32 v11, v3
.LBB433_36:
	s_or_b64 exec, exec, s[6:7]
	s_waitcnt vmcnt(0) lgkmcnt(0)
	v_cvt_f32_f16_e32 v12, v2
.LBB433_37:
	s_or_b64 exec, exec, s[4:5]
	s_waitcnt vmcnt(0) lgkmcnt(0)
	v_cvt_f32_f16_e32 v13, v1
.LBB433_38:
	s_or_b64 exec, exec, s[2:3]
	v_cmp_gt_i32_e64 s[0:1], s8, v0
	s_and_saveexec_b64 s[2:3], s[0:1]
	s_cbranch_execz .LBB433_46
; %bb.39:
	v_mad_u64_u32 v[2:3], s[0:1], v33, s18, 0
	v_mov_b32_e32 v6, v3
	v_mad_u64_u32 v[6:7], s[0:1], v33, s19, v[6:7]
	v_ashrrev_i32_e32 v1, 31, v0
	v_cndmask_b32_e32 v3, 0, v6, vcc
	v_mad_u64_u32 v[6:7], s[0:1], v4, s18, 0
	v_cndmask_b32_e32 v2, 0, v2, vcc
	v_lshlrev_b64 v[8:9], 1, v[0:1]
	v_mov_b32_e32 v14, v7
	v_cmp_gt_i32_e32 vcc, s9, v4
	v_or_b32_e32 v1, 2, v33
	v_mad_u64_u32 v[14:15], s[0:1], v4, s19, v[14:15]
	v_cndmask_b32_e32 v4, 0, v6, vcc
	v_mad_u64_u32 v[6:7], s[0:1], v1, s18, 0
	v_cndmask_b32_e32 v5, 0, v14, vcc
	v_mov_b32_e32 v14, v7
	v_mad_u64_u32 v[14:15], s[0:1], v1, s19, v[14:15]
	v_cmp_gt_i32_e32 vcc, s9, v1
	v_or_b32_e32 v1, 3, v33
	v_lshl_add_u64 v[2:3], v[2:3], 1, s[20:21]
	v_cndmask_b32_e32 v7, 0, v14, vcc
	v_mad_u64_u32 v[14:15], s[0:1], v1, s18, 0
	v_mov_b32_e32 v16, v15
	v_cndmask_b32_e32 v6, 0, v6, vcc
	v_mad_u64_u32 v[16:17], s[0:1], v1, s19, v[16:17]
	v_cmp_gt_i32_e32 vcc, s9, v1
	v_lshl_add_u64 v[2:3], v[2:3], 0, v[8:9]
	v_lshl_add_u64 v[4:5], v[4:5], 1, s[20:21]
	v_cndmask_b32_e32 v14, 0, v14, vcc
	v_cndmask_b32_e32 v15, 0, v16, vcc
	v_lshl_add_u64 v[6:7], v[6:7], 1, s[20:21]
	v_lshl_add_u64 v[14:15], v[14:15], 1, s[20:21]
	;; [unrolled: 1-line block ×4, first 2 shown]
	flat_load_ushort v16, v[2:3]
	flat_load_ushort v17, v[4:5]
	;; [unrolled: 1-line block ×3, first 2 shown]
	v_lshl_add_u64 v[8:9], v[14:15], 0, v[8:9]
	flat_load_ushort v1, v[8:9]
	v_add_u32_e32 v15, 32, v0
	v_cmp_gt_i32_e32 vcc, s8, v15
	s_waitcnt vmcnt(0) lgkmcnt(0)
	v_fma_mix_f32 v14, v13, v16, v35 op_sel_hi:[0,1,0]
	v_fma_mix_f32 v14, v12, v17, v14 op_sel_hi:[0,1,0]
	v_fma_mix_f32 v14, v11, v18, v14 op_sel_hi:[0,1,0]
	s_and_saveexec_b64 s[0:1], vcc
	s_cbranch_execz .LBB433_45
; %bb.40:
	flat_load_ushort v16, v[2:3] offset:64
	flat_load_ushort v17, v[4:5] offset:64
	flat_load_ushort v18, v[6:7] offset:64
	flat_load_ushort v15, v[8:9] offset:64
	v_add_u32_e32 v19, 64, v0
	v_cmp_gt_i32_e32 vcc, s8, v19
	s_waitcnt vmcnt(0) lgkmcnt(0)
	v_fma_mix_f32 v16, v13, v16, v34 op_sel_hi:[0,1,0]
	v_fma_mix_f32 v16, v12, v17, v16 op_sel_hi:[0,1,0]
	v_fma_mix_f32 v16, v11, v18, v16 op_sel_hi:[0,1,0]
	s_and_saveexec_b64 s[4:5], vcc
	s_cbranch_execz .LBB433_44
; %bb.41:
	flat_load_ushort v18, v[2:3] offset:128
	flat_load_ushort v19, v[4:5] offset:128
	flat_load_ushort v20, v[6:7] offset:128
	flat_load_ushort v17, v[8:9] offset:128
	;; [unrolled: 13-line block ×3, first 2 shown]
	s_waitcnt vmcnt(0) lgkmcnt(0)
	v_fma_mix_f32 v2, v13, v18, v31 op_sel_hi:[0,1,0]
	v_fma_mix_f32 v2, v12, v19, v2 op_sel_hi:[0,1,0]
	;; [unrolled: 1-line block ×4, first 2 shown]
.LBB433_43:
	s_or_b64 exec, exec, s[6:7]
	v_fma_mix_f32 v32, v10, v17, v0 op_sel_hi:[0,1,0]
.LBB433_44:
	s_or_b64 exec, exec, s[4:5]
	v_fma_mix_f32 v34, v10, v15, v16 op_sel_hi:[0,1,0]
.LBB433_45:
	s_or_b64 exec, exec, s[0:1]
	v_fma_mix_f32 v35, v10, v1, v14 op_sel_hi:[0,1,0]
.LBB433_46:
	s_or_b64 exec, exec, s[2:3]
.LBB433_47:
	v_lshlrev_b32_e32 v0, 7, v30
	s_movk_i32 s0, 0x80
	v_add_lshl_u32 v0, v0, v29, 2
	v_cmp_gt_u32_e32 vcc, s0, v28
	ds_write2_b32 v0, v35, v34 offset1:32
	ds_write2_b32 v0, v32, v31 offset0:64 offset1:96
	s_waitcnt lgkmcnt(0)
	s_barrier
	s_waitcnt lgkmcnt(0)
                                        ; implicit-def: $vgpr3
                                        ; implicit-def: $vgpr0_vgpr1
	s_and_saveexec_b64 s[0:1], vcc
	s_cbranch_execz .LBB433_53
; %bb.48:
	v_lshlrev_b32_e32 v10, 2, v28
	ds_read2st64_b32 v[0:1], v10 offset1:2
	ds_read2st64_b32 v[2:3], v10 offset0:4 offset1:6
	ds_read2st64_b32 v[4:5], v10 offset0:8 offset1:10
	;; [unrolled: 1-line block ×4, first 2 shown]
	s_waitcnt lgkmcnt(4)
	v_add_f32_e32 v0, v0, v1
	s_waitcnt lgkmcnt(3)
	v_add_f32_e32 v0, v2, v0
	v_add_f32_e32 v0, v3, v0
	s_waitcnt lgkmcnt(2)
	v_add_f32_e32 v0, v4, v0
	;; [unrolled: 3-line block ×3, first 2 shown]
	v_add_f32_e32 v2, v7, v0
	ds_read2st64_b32 v[0:1], v10 offset0:20 offset1:22
	s_waitcnt lgkmcnt(1)
	v_add_f32_e32 v4, v8, v2
	ds_read2st64_b32 v[2:3], v10 offset0:24 offset1:26
	v_add_f32_e32 v6, v9, v4
	ds_read2st64_b32 v[4:5], v10 offset0:28 offset1:30
	s_waitcnt lgkmcnt(2)
	v_add_f32_e32 v0, v0, v6
	v_add_f32_e32 v0, v1, v0
	s_waitcnt lgkmcnt(1)
	v_add_f32_e32 v0, v2, v0
	v_add_f32_e32 v0, v3, v0
	s_waitcnt lgkmcnt(0)
	v_add_f32_e32 v0, v4, v0
	v_or_b32_e32 v4, s33, v28
	v_add_f32_e32 v2, v5, v0
	v_cmp_gt_i32_e32 vcc, s8, v4
	s_mov_b64 s[4:5], s[14:15]
	ds_write_b32 v10, v2
                                        ; implicit-def: $vgpr3
                                        ; implicit-def: $vgpr0_vgpr1
	s_and_saveexec_b64 s[2:3], vcc
	s_cbranch_execz .LBB433_52
; %bb.49:
	v_ashrrev_i32_e32 v0, 31, v4
	v_cmp_eq_f32_e64 s[4:5], s11, 0
	v_mul_lo_u32 v3, v4, s17
	v_mul_lo_u32 v5, v0, s16
	v_mad_u64_u32 v[0:1], s[6:7], v4, s16, 0
	v_mul_f32_e32 v2, s10, v2
	v_add3_u32 v1, v1, v3, v5
	s_and_b64 vcc, exec, s[4:5]
	s_cbranch_vccnz .LBB433_51
; %bb.50:
	v_lshl_add_u64 v[4:5], v[0:1], 1, s[12:13]
	global_load_ushort v3, v[4:5], off
	s_waitcnt vmcnt(0)
	v_fma_mix_f32 v2, v3, s11, v2 op_sel_hi:[1,0,0]
.LBB433_51:
	s_nop 0
	v_cvt_f16_f32_e32 v3, v2
	s_or_b64 s[4:5], s[14:15], exec
.LBB433_52:
	s_or_b64 exec, exec, s[2:3]
	s_andn2_b64 s[2:3], s[14:15], exec
	s_and_b64 s[4:5], s[4:5], exec
	s_or_b64 s[14:15], s[2:3], s[4:5]
.LBB433_53:
	s_or_b64 exec, exec, s[0:1]
.LBB433_54:
	s_and_saveexec_b64 s[0:1], s[14:15]
	s_cbranch_execz .LBB433_56
; %bb.55:
	v_lshl_add_u64 v[0:1], v[0:1], 1, s[12:13]
	global_store_short v[0:1], v3, off
.LBB433_56:
	s_endpgm
	.section	.rodata,"a",@progbits
	.p2align	6, 0x0
	.amdhsa_kernel _ZL20rocblas_gemvn_kernelILi32ELi16ElPKDF16_fKPDF16_EviiT3_lPKT2_lT1_lS7_lS8_lS4_lPT4_lS8_li
		.amdhsa_group_segment_fixed_size 8192
		.amdhsa_private_segment_fixed_size 0
		.amdhsa_kernarg_size 400
		.amdhsa_user_sgpr_count 2
		.amdhsa_user_sgpr_dispatch_ptr 0
		.amdhsa_user_sgpr_queue_ptr 0
		.amdhsa_user_sgpr_kernarg_segment_ptr 1
		.amdhsa_user_sgpr_dispatch_id 0
		.amdhsa_user_sgpr_kernarg_preload_length 0
		.amdhsa_user_sgpr_kernarg_preload_offset 0
		.amdhsa_user_sgpr_private_segment_size 0
		.amdhsa_uses_dynamic_stack 0
		.amdhsa_enable_private_segment 0
		.amdhsa_system_sgpr_workgroup_id_x 1
		.amdhsa_system_sgpr_workgroup_id_y 0
		.amdhsa_system_sgpr_workgroup_id_z 1
		.amdhsa_system_sgpr_workgroup_info 0
		.amdhsa_system_vgpr_workitem_id 1
		.amdhsa_next_free_vgpr 59
		.amdhsa_next_free_sgpr 45
		.amdhsa_accum_offset 60
		.amdhsa_reserve_vcc 1
		.amdhsa_float_round_mode_32 0
		.amdhsa_float_round_mode_16_64 0
		.amdhsa_float_denorm_mode_32 3
		.amdhsa_float_denorm_mode_16_64 3
		.amdhsa_dx10_clamp 1
		.amdhsa_ieee_mode 1
		.amdhsa_fp16_overflow 0
		.amdhsa_tg_split 0
		.amdhsa_exception_fp_ieee_invalid_op 0
		.amdhsa_exception_fp_denorm_src 0
		.amdhsa_exception_fp_ieee_div_zero 0
		.amdhsa_exception_fp_ieee_overflow 0
		.amdhsa_exception_fp_ieee_underflow 0
		.amdhsa_exception_fp_ieee_inexact 0
		.amdhsa_exception_int_div_zero 0
	.end_amdhsa_kernel
	.section	.text._ZL20rocblas_gemvn_kernelILi32ELi16ElPKDF16_fKPDF16_EviiT3_lPKT2_lT1_lS7_lS8_lS4_lPT4_lS8_li,"axG",@progbits,_ZL20rocblas_gemvn_kernelILi32ELi16ElPKDF16_fKPDF16_EviiT3_lPKT2_lT1_lS7_lS8_lS4_lPT4_lS8_li,comdat
.Lfunc_end433:
	.size	_ZL20rocblas_gemvn_kernelILi32ELi16ElPKDF16_fKPDF16_EviiT3_lPKT2_lT1_lS7_lS8_lS4_lPT4_lS8_li, .Lfunc_end433-_ZL20rocblas_gemvn_kernelILi32ELi16ElPKDF16_fKPDF16_EviiT3_lPKT2_lT1_lS7_lS8_lS4_lPT4_lS8_li
                                        ; -- End function
	.section	.AMDGPU.csdata,"",@progbits
; Kernel info:
; codeLenInByte = 2756
; NumSgprs: 51
; NumVgprs: 59
; NumAgprs: 0
; TotalNumVgprs: 59
; ScratchSize: 0
; MemoryBound: 0
; FloatMode: 240
; IeeeMode: 1
; LDSByteSize: 8192 bytes/workgroup (compile time only)
; SGPRBlocks: 6
; VGPRBlocks: 7
; NumSGPRsForWavesPerEU: 51
; NumVGPRsForWavesPerEU: 59
; AccumOffset: 60
; Occupancy: 8
; WaveLimiterHint : 1
; COMPUTE_PGM_RSRC2:SCRATCH_EN: 0
; COMPUTE_PGM_RSRC2:USER_SGPR: 2
; COMPUTE_PGM_RSRC2:TRAP_HANDLER: 0
; COMPUTE_PGM_RSRC2:TGID_X_EN: 1
; COMPUTE_PGM_RSRC2:TGID_Y_EN: 0
; COMPUTE_PGM_RSRC2:TGID_Z_EN: 1
; COMPUTE_PGM_RSRC2:TIDIG_COMP_CNT: 1
; COMPUTE_PGM_RSRC3_GFX90A:ACCUM_OFFSET: 14
; COMPUTE_PGM_RSRC3_GFX90A:TG_SPLIT: 0
	.section	.text._ZL20rocblas_gemvn_kernelILi64ELi16EiPKDF16_PKfKPDF16_EviiT3_lPKT2_lT1_lS9_lSA_lS6_lPT4_lSA_li,"axG",@progbits,_ZL20rocblas_gemvn_kernelILi64ELi16EiPKDF16_PKfKPDF16_EviiT3_lPKT2_lT1_lS9_lSA_lS6_lPT4_lSA_li,comdat
	.globl	_ZL20rocblas_gemvn_kernelILi64ELi16EiPKDF16_PKfKPDF16_EviiT3_lPKT2_lT1_lS9_lSA_lS6_lPT4_lSA_li ; -- Begin function _ZL20rocblas_gemvn_kernelILi64ELi16EiPKDF16_PKfKPDF16_EviiT3_lPKT2_lT1_lS9_lSA_lS6_lPT4_lSA_li
	.p2align	8
	.type	_ZL20rocblas_gemvn_kernelILi64ELi16EiPKDF16_PKfKPDF16_EviiT3_lPKT2_lT1_lS9_lSA_lS6_lPT4_lSA_li,@function
_ZL20rocblas_gemvn_kernelILi64ELi16EiPKDF16_PKfKPDF16_EviiT3_lPKT2_lT1_lS9_lSA_lS6_lPT4_lSA_li: ; @_ZL20rocblas_gemvn_kernelILi64ELi16EiPKDF16_PKfKPDF16_EviiT3_lPKT2_lT1_lS9_lSA_lS6_lPT4_lSA_li
; %bb.0:
	s_load_dwordx2 s[4:5], s[0:1], 0x9c
	s_mov_b32 s22, s3
	s_waitcnt lgkmcnt(0)
	s_and_b32 s3, s5, 0xffff
	s_lshr_b32 s5, s4, 16
	s_and_b32 s4, s4, 0xffff
	s_mul_i32 s4, s5, s4
	s_mul_i32 s4, s4, s3
	s_cmpk_lg_i32 s4, 0x400
	s_cbranch_scc1 .LBB434_54
; %bb.1:
	s_load_dwordx8 s[12:19], s[0:1], 0x8
	s_load_dwordx8 s[4:11], s[0:1], 0x58
	s_waitcnt lgkmcnt(0)
	s_mul_i32 s3, s22, s15
	s_mul_hi_u32 s15, s22, s14
	s_mul_i32 s14, s22, s14
	s_add_i32 s15, s15, s3
	s_lshl_b64 s[14:15], s[14:15], 2
	s_mul_i32 s7, s22, s7
	s_add_u32 s12, s12, s14
	s_mul_hi_u32 s3, s22, s6
	s_addc_u32 s13, s13, s15
	s_add_i32 s7, s3, s7
	s_mul_i32 s6, s22, s6
	s_lshl_b64 s[6:7], s[6:7], 2
	s_add_u32 s4, s4, s6
	s_addc_u32 s5, s5, s7
	s_load_dword s28, s[12:13], 0x0
	s_load_dword s29, s[4:5], 0x0
	s_waitcnt lgkmcnt(0)
	v_cmp_eq_f32_e64 s[4:5], s28, 0
	v_cmp_eq_f32_e64 s[6:7], s29, 1.0
	s_and_b64 s[6:7], s[4:5], s[6:7]
	s_and_b64 vcc, exec, s[6:7]
	s_cbranch_vccnz .LBB434_54
; %bb.2:
	s_mov_b32 s23, 0
	v_cmp_neq_f32_e64 s[6:7], s28, 0
	s_mov_b64 s[20:21], 0
	s_and_b64 vcc, exec, s[4:5]
	s_mov_b64 s[14:15], 0
	s_cbranch_vccnz .LBB434_4
; %bb.3:
	s_lshl_b64 s[12:13], s[22:23], 3
	s_add_u32 s12, s16, s12
	s_addc_u32 s13, s17, s13
	s_load_dwordx2 s[12:13], s[12:13], 0x0
	s_lshl_b64 s[14:15], s[18:19], 1
	s_waitcnt lgkmcnt(0)
	s_add_u32 s14, s12, s14
	s_addc_u32 s15, s13, s15
.LBB434_4:
	s_andn2_b64 vcc, exec, s[6:7]
	s_cbranch_vccnz .LBB434_6
; %bb.5:
	s_load_dwordx4 s[16:19], s[0:1], 0x38
	s_lshl_b64 s[6:7], s[22:23], 3
	s_waitcnt lgkmcnt(0)
	s_add_u32 s6, s16, s6
	s_addc_u32 s7, s17, s7
	s_load_dwordx2 s[6:7], s[6:7], 0x0
	s_lshl_b64 s[12:13], s[18:19], 1
	s_waitcnt lgkmcnt(0)
	s_add_u32 s20, s6, s12
	s_addc_u32 s21, s7, s13
.LBB434_6:
	s_lshl_b64 s[6:7], s[22:23], 3
	s_add_u32 s6, s8, s6
	s_addc_u32 s7, s9, s7
	s_load_dwordx2 s[8:9], s[6:7], 0x0
	s_load_dwordx2 s[12:13], s[0:1], 0x0
	s_load_dword s30, s[0:1], 0x78
	s_lshl_b64 s[6:7], s[10:11], 1
	v_and_b32_e32 v2, 0x3ff, v0
	s_waitcnt lgkmcnt(0)
	s_add_u32 s8, s8, s6
	v_bfe_u32 v14, v0, 10, 10
	s_addc_u32 s9, s9, s7
	s_andn2_b64 vcc, exec, s[4:5]
	v_lshl_add_u32 v3, v14, 6, v2
	s_cbranch_vccnz .LBB434_13
; %bb.7:
	s_movk_i32 s3, 0x100
	v_cmp_gt_u32_e32 vcc, s3, v3
	s_mov_b64 s[4:5], 0
	s_mov_b64 s[10:11], 0
                                        ; implicit-def: $vgpr5
                                        ; implicit-def: $vgpr0_vgpr1
	s_and_saveexec_b64 s[6:7], vcc
	s_cbranch_execz .LBB434_14
; %bb.8:
	v_lshl_or_b32 v4, s2, 8, v3
	v_mov_b32_e32 v5, 0
	s_ashr_i32 s11, s12, 31
	s_mov_b32 s10, s12
	v_cmp_gt_i64_e32 vcc, s[10:11], v[4:5]
	s_mov_b64 s[16:17], 0
                                        ; implicit-def: $vgpr0_vgpr1
	s_and_saveexec_b64 s[10:11], vcc
	s_cbranch_execz .LBB434_12
; %bb.9:
	v_mad_u64_u32 v[0:1], s[18:19], s30, v4, 0
	s_ashr_i32 s3, s30, 31
	v_mov_b32_e32 v6, v1
	v_cmp_eq_f32_e64 s[16:17], s29, 0
	v_mad_u64_u32 v[6:7], s[18:19], s3, v4, v[6:7]
	v_mov_b32_e32 v1, v6
	s_and_b64 vcc, exec, s[16:17]
	s_cbranch_vccnz .LBB434_11
; %bb.10:
	v_lshl_add_u64 v[4:5], v[0:1], 1, s[8:9]
	global_load_ushort v4, v[4:5], off
	s_waitcnt vmcnt(0)
	v_fma_mixlo_f16 v5, s29, v4, 0 op_sel_hi:[0,1,0]
.LBB434_11:
	s_mov_b64 s[16:17], exec
.LBB434_12:
	s_or_b64 exec, exec, s[10:11]
	s_and_b64 s[10:11], s[16:17], exec
	s_or_b64 exec, exec, s[6:7]
	s_and_b64 vcc, exec, s[4:5]
	s_cbranch_vccnz .LBB434_15
	s_branch .LBB434_52
.LBB434_13:
	s_mov_b64 s[10:11], 0
                                        ; implicit-def: $vgpr5
                                        ; implicit-def: $vgpr0_vgpr1
	s_cbranch_execnz .LBB434_15
	s_branch .LBB434_52
.LBB434_14:
	s_or_b64 exec, exec, s[6:7]
	s_and_b64 vcc, exec, s[4:5]
	s_cbranch_vccz .LBB434_52
.LBB434_15:
	s_load_dword s33, s[0:1], 0x28
	s_load_dword s34, s[0:1], 0x48
	s_ashr_i32 s0, s13, 31
	s_lshr_b32 s0, s0, 26
	s_add_i32 s35, s13, s0
	s_lshl_b32 s31, s2, 8
	s_andn2_b32 s35, s35, 63
	v_lshlrev_b32_e32 v20, 2, v14
	v_add_u32_e32 v16, s31, v2
	v_cmp_gt_i32_e32 vcc, s35, v20
	v_mov_b32_e32 v19, 0
	v_mov_b32_e32 v18, 0
	;; [unrolled: 1-line block ×4, first 2 shown]
	s_and_saveexec_b64 s[16:17], vcc
	s_cbranch_execz .LBB434_27
; %bb.16:
	v_add_u32_e32 v0, 64, v16
	v_cmp_gt_i32_e64 s[0:1], s12, v0
	v_add_u32_e32 v0, 0x80, v16
	v_cmp_gt_i32_e64 s[2:3], s12, v0
	;; [unrolled: 2-line block ×3, first 2 shown]
	s_waitcnt lgkmcnt(0)
	v_mul_lo_u32 v0, s33, v20
	v_add_u32_e32 v6, 2, v20
	v_add_u32_e32 v7, 3, v20
	v_add3_u32 v21, v0, s33, v2
	v_mad_u64_u32 v[0:1], s[6:7], s33, v6, v[2:3]
	v_mad_u64_u32 v[4:5], s[6:7], s33, v7, v[2:3]
	v_mul_lo_u32 v1, v14, s33
	v_mul_lo_u32 v5, s34, v20
	v_mul_lo_u32 v22, s34, v6
	v_mul_lo_u32 v6, v14, s34
	v_cmp_gt_i32_e32 vcc, s12, v16
	s_lshl_b32 s36, s33, 6
	v_lshl_add_u32 v1, v1, 2, v2
	v_add_u32_e32 v5, s34, v5
	s_lshl_b32 s37, s34, 6
	v_mul_lo_u32 v23, s34, v7
	v_lshlrev_b32_e32 v24, 2, v6
	s_mov_b32 s38, 0
	s_mov_b64 s[18:19], 0
	v_mov_b32_e32 v19, 0
	v_mov_b32_e32 v18, 0
	v_mov_b32_e32 v17, 0
	v_mov_b32_e32 v15, 0
	s_branch .LBB434_21
.LBB434_17:                             ;   in Loop: Header=BB434_21 Depth=1
	s_or_b64 exec, exec, s[26:27]
	s_waitcnt vmcnt(0) lgkmcnt(0)
	v_fma_mix_f32 v6, v37, v41, v17 op_sel_hi:[0,1,0]
	v_fma_mix_f32 v6, v38, v42, v6 op_sel_hi:[0,1,0]
	;; [unrolled: 1-line block ×4, first 2 shown]
.LBB434_18:                             ;   in Loop: Header=BB434_21 Depth=1
	s_or_b64 exec, exec, s[24:25]
	v_fma_mix_f32 v6, v37, v33, v18 op_sel_hi:[0,1,0]
	v_fma_mix_f32 v6, v38, v34, v6 op_sel_hi:[0,1,0]
	;; [unrolled: 1-line block ×4, first 2 shown]
.LBB434_19:                             ;   in Loop: Header=BB434_21 Depth=1
	s_or_b64 exec, exec, s[22:23]
	s_waitcnt vmcnt(0) lgkmcnt(0)
	v_fma_mix_f32 v6, v25, v29, v19 op_sel_hi:[1,1,0]
	s_nop 0
	v_fma_mix_f32 v6, v26, v30, v6 op_sel_hi:[1,1,0]
	s_nop 0
	;; [unrolled: 2-line block ×3, first 2 shown]
	v_fma_mix_f32 v19, v28, v32, v6 op_sel_hi:[1,1,0]
.LBB434_20:                             ;   in Loop: Header=BB434_21 Depth=1
	s_or_b64 exec, exec, s[6:7]
	v_add_u32_e32 v20, 64, v20
	s_add_i32 s38, s38, s37
	v_cmp_le_i32_e64 s[6:7], s35, v20
	v_add_u32_e32 v21, s36, v21
	v_add_u32_e32 v0, s36, v0
	;; [unrolled: 1-line block ×3, first 2 shown]
	s_or_b64 s[18:19], s[6:7], s[18:19]
	v_add_u32_e32 v1, s36, v1
	s_andn2_b64 exec, exec, s[18:19]
	s_cbranch_execz .LBB434_26
.LBB434_21:                             ; =>This Inner Loop Header: Depth=1
	s_and_saveexec_b64 s[6:7], vcc
	s_cbranch_execz .LBB434_20
; %bb.22:                               ;   in Loop: Header=BB434_21 Depth=1
	v_add_u32_e32 v6, s38, v24
	v_ashrrev_i32_e32 v7, 31, v6
	v_add_u32_e32 v8, s38, v5
	v_add_u32_e32 v10, s38, v22
	;; [unrolled: 1-line block ×3, first 2 shown]
	v_lshl_add_u64 v[6:7], v[6:7], 1, s[20:21]
	v_ashrrev_i32_e32 v9, 31, v8
	v_ashrrev_i32_e32 v11, 31, v10
	;; [unrolled: 1-line block ×3, first 2 shown]
	v_lshl_add_u64 v[8:9], v[8:9], 1, s[20:21]
	v_lshl_add_u64 v[10:11], v[10:11], 1, s[20:21]
	;; [unrolled: 1-line block ×3, first 2 shown]
	flat_load_ushort v25, v[6:7]
	flat_load_ushort v26, v[8:9]
	;; [unrolled: 1-line block ×4, first 2 shown]
	v_add_u32_e32 v6, s31, v1
	v_ashrrev_i32_e32 v7, 31, v6
	v_add_u32_e32 v8, s31, v21
	v_add_u32_e32 v10, s31, v0
	;; [unrolled: 1-line block ×3, first 2 shown]
	v_lshl_add_u64 v[6:7], v[6:7], 1, s[14:15]
	v_ashrrev_i32_e32 v9, 31, v8
	v_ashrrev_i32_e32 v11, 31, v10
	;; [unrolled: 1-line block ×3, first 2 shown]
	v_lshl_add_u64 v[8:9], v[8:9], 1, s[14:15]
	v_lshl_add_u64 v[10:11], v[10:11], 1, s[14:15]
	;; [unrolled: 1-line block ×3, first 2 shown]
	flat_load_ushort v29, v[6:7]
	flat_load_ushort v30, v[8:9]
	;; [unrolled: 1-line block ×4, first 2 shown]
	s_and_saveexec_b64 s[22:23], s[0:1]
	s_cbranch_execz .LBB434_19
; %bb.23:                               ;   in Loop: Header=BB434_21 Depth=1
	flat_load_ushort v33, v[6:7] offset:128
	flat_load_ushort v34, v[8:9] offset:128
	;; [unrolled: 1-line block ×4, first 2 shown]
	s_waitcnt vmcnt(0) lgkmcnt(0)
	v_cvt_f32_f16_e32 v37, v25
	v_cvt_f32_f16_e32 v38, v26
	;; [unrolled: 1-line block ×4, first 2 shown]
	s_and_saveexec_b64 s[24:25], s[2:3]
	s_cbranch_execz .LBB434_18
; %bb.24:                               ;   in Loop: Header=BB434_21 Depth=1
	flat_load_ushort v41, v[6:7] offset:256
	flat_load_ushort v42, v[8:9] offset:256
	flat_load_ushort v43, v[10:11] offset:256
	flat_load_ushort v44, v[12:13] offset:256
	s_and_saveexec_b64 s[26:27], s[4:5]
	s_cbranch_execz .LBB434_17
; %bb.25:                               ;   in Loop: Header=BB434_21 Depth=1
	flat_load_ushort v45, v[6:7] offset:384
	flat_load_ushort v46, v[8:9] offset:384
	;; [unrolled: 1-line block ×4, first 2 shown]
	s_waitcnt vmcnt(0) lgkmcnt(0)
	v_fma_mix_f32 v6, v37, v45, v15 op_sel_hi:[0,1,0]
	v_fma_mix_f32 v6, v38, v46, v6 op_sel_hi:[0,1,0]
	;; [unrolled: 1-line block ×4, first 2 shown]
	s_branch .LBB434_17
.LBB434_26:
	s_or_b64 exec, exec, s[18:19]
.LBB434_27:
	s_or_b64 exec, exec, s[16:17]
	s_sub_i32 s0, s13, s35
	s_cmp_lt_i32 s0, 1
	s_cbranch_scc1 .LBB434_45
; %bb.28:
	v_cmp_gt_i32_e32 vcc, s13, v20
	v_mov_b32_e32 v10, 0
	v_or_b32_e32 v4, 1, v20
	v_mov_b32_e32 v11, 0
	v_mov_b32_e32 v12, 0
	;; [unrolled: 1-line block ×3, first 2 shown]
	s_and_saveexec_b64 s[2:3], vcc
	s_cbranch_execz .LBB434_36
; %bb.29:
	s_waitcnt lgkmcnt(0)
	v_mul_lo_u32 v0, v20, s34
	v_ashrrev_i32_e32 v1, 31, v0
	v_lshl_add_u64 v[0:1], v[0:1], 1, s[20:21]
	flat_load_ushort v0, v[0:1]
	v_cmp_gt_i32_e64 s[0:1], s13, v4
	v_mov_b32_e32 v12, 0
	v_mov_b32_e32 v11, 0
	;; [unrolled: 1-line block ×3, first 2 shown]
	s_and_saveexec_b64 s[4:5], s[0:1]
	s_cbranch_execz .LBB434_35
; %bb.30:
	v_mul_lo_u32 v6, v4, s34
	v_ashrrev_i32_e32 v7, 31, v6
	v_lshl_add_u64 v[6:7], v[6:7], 1, s[20:21]
	flat_load_ushort v1, v[6:7]
	v_or_b32_e32 v5, 2, v20
	v_cmp_gt_i32_e64 s[0:1], s13, v5
	v_mov_b32_e32 v11, 0
	v_mov_b32_e32 v10, 0
	s_and_saveexec_b64 s[6:7], s[0:1]
	s_cbranch_execz .LBB434_34
; %bb.31:
	v_mul_lo_u32 v6, v5, s34
	v_ashrrev_i32_e32 v7, 31, v6
	v_lshl_add_u64 v[6:7], v[6:7], 1, s[20:21]
	flat_load_ushort v5, v[6:7]
	v_or_b32_e32 v6, 3, v20
	v_cmp_gt_i32_e64 s[0:1], s13, v6
	v_mov_b32_e32 v10, 0
	s_and_saveexec_b64 s[16:17], s[0:1]
	s_cbranch_execz .LBB434_33
; %bb.32:
	v_mul_lo_u32 v6, v6, s34
	v_ashrrev_i32_e32 v7, 31, v6
	v_lshl_add_u64 v[6:7], v[6:7], 1, s[20:21]
	flat_load_ushort v6, v[6:7]
	s_waitcnt vmcnt(0) lgkmcnt(0)
	v_cvt_f32_f16_e32 v10, v6
.LBB434_33:
	s_or_b64 exec, exec, s[16:17]
	s_waitcnt vmcnt(0) lgkmcnt(0)
	v_cvt_f32_f16_e32 v11, v5
.LBB434_34:
	s_or_b64 exec, exec, s[6:7]
	s_waitcnt vmcnt(0) lgkmcnt(0)
	v_cvt_f32_f16_e32 v12, v1
.LBB434_35:
	s_or_b64 exec, exec, s[4:5]
	s_waitcnt vmcnt(0) lgkmcnt(0)
	v_cvt_f32_f16_e32 v13, v0
.LBB434_36:
	s_or_b64 exec, exec, s[2:3]
	v_cmp_gt_i32_e64 s[0:1], s12, v16
	s_and_saveexec_b64 s[2:3], s[0:1]
	s_cbranch_execz .LBB434_44
; %bb.37:
	s_waitcnt lgkmcnt(0)
	v_mul_lo_u32 v0, v20, s33
	v_cndmask_b32_e32 v0, 0, v0, vcc
	v_mul_lo_u32 v5, v4, s33
	v_cmp_gt_i32_e32 vcc, s13, v4
	v_or_b32_e32 v6, 2, v20
	v_mul_lo_u32 v7, v6, s33
	v_cndmask_b32_e32 v4, 0, v5, vcc
	v_cmp_gt_i32_e32 vcc, s13, v6
	v_or_b32_e32 v8, 3, v20
	v_mul_lo_u32 v9, v8, s33
	v_cndmask_b32_e32 v6, 0, v7, vcc
	v_cmp_gt_i32_e32 vcc, s13, v8
	v_add_u32_e32 v0, v0, v16
	v_ashrrev_i32_e32 v1, 31, v0
	v_cndmask_b32_e32 v8, 0, v9, vcc
	v_add_u32_e32 v4, v4, v16
	v_add_u32_e32 v6, v6, v16
	;; [unrolled: 1-line block ×3, first 2 shown]
	v_lshl_add_u64 v[0:1], v[0:1], 1, s[14:15]
	v_ashrrev_i32_e32 v5, 31, v4
	v_ashrrev_i32_e32 v7, 31, v6
	;; [unrolled: 1-line block ×3, first 2 shown]
	v_lshl_add_u64 v[4:5], v[4:5], 1, s[14:15]
	v_lshl_add_u64 v[6:7], v[6:7], 1, s[14:15]
	flat_load_ushort v21, v[0:1]
	flat_load_ushort v22, v[4:5]
	;; [unrolled: 1-line block ×3, first 2 shown]
	v_lshl_add_u64 v[8:9], v[8:9], 1, s[14:15]
	flat_load_ushort v20, v[8:9]
	v_add_u32_e32 v24, 64, v16
	v_cmp_gt_i32_e32 vcc, s12, v24
	s_waitcnt vmcnt(0) lgkmcnt(0)
	v_fma_mix_f32 v19, v13, v21, v19 op_sel_hi:[0,1,0]
	v_fma_mix_f32 v19, v12, v22, v19 op_sel_hi:[0,1,0]
	v_fma_mix_f32 v19, v11, v23, v19 op_sel_hi:[0,1,0]
	s_and_saveexec_b64 s[0:1], vcc
	s_cbranch_execz .LBB434_43
; %bb.38:
	flat_load_ushort v22, v[0:1] offset:128
	flat_load_ushort v23, v[4:5] offset:128
	flat_load_ushort v24, v[6:7] offset:128
	flat_load_ushort v21, v[8:9] offset:128
	v_add_u32_e32 v25, 0x80, v16
	v_cmp_gt_i32_e32 vcc, s12, v25
	s_waitcnt vmcnt(0) lgkmcnt(0)
	v_fma_mix_f32 v18, v13, v22, v18 op_sel_hi:[0,1,0]
	v_fma_mix_f32 v18, v12, v23, v18 op_sel_hi:[0,1,0]
	v_fma_mix_f32 v18, v11, v24, v18 op_sel_hi:[0,1,0]
	s_and_saveexec_b64 s[4:5], vcc
	s_cbranch_execz .LBB434_42
; %bb.39:
	flat_load_ushort v23, v[0:1] offset:256
	flat_load_ushort v24, v[4:5] offset:256
	flat_load_ushort v25, v[6:7] offset:256
	flat_load_ushort v22, v[8:9] offset:256
	;; [unrolled: 13-line block ×3, first 2 shown]
	s_waitcnt vmcnt(0) lgkmcnt(0)
	v_fma_mix_f32 v0, v13, v17, v15 op_sel_hi:[0,1,0]
	v_fma_mix_f32 v0, v12, v23, v0 op_sel_hi:[0,1,0]
	;; [unrolled: 1-line block ×4, first 2 shown]
.LBB434_41:
	s_or_b64 exec, exec, s[6:7]
	v_fma_mix_f32 v17, v10, v22, v16 op_sel_hi:[0,1,0]
.LBB434_42:
	s_or_b64 exec, exec, s[4:5]
	v_fma_mix_f32 v18, v10, v21, v18 op_sel_hi:[0,1,0]
.LBB434_43:
	s_or_b64 exec, exec, s[0:1]
	v_fma_mix_f32 v19, v10, v20, v19 op_sel_hi:[0,1,0]
.LBB434_44:
	s_or_b64 exec, exec, s[2:3]
.LBB434_45:
	v_lshlrev_b32_e32 v0, 8, v14
	s_movk_i32 s0, 0x100
	v_add_lshl_u32 v0, v0, v2, 2
	v_cmp_gt_u32_e32 vcc, s0, v3
	ds_write2st64_b32 v0, v19, v18 offset1:1
	ds_write2st64_b32 v0, v17, v15 offset0:2 offset1:3
	s_waitcnt lgkmcnt(0)
	s_barrier
	s_waitcnt lgkmcnt(0)
                                        ; implicit-def: $vgpr5
                                        ; implicit-def: $vgpr0_vgpr1
	s_and_saveexec_b64 s[0:1], vcc
	s_cbranch_execz .LBB434_51
; %bb.46:
	v_lshlrev_b32_e32 v12, 2, v3
	ds_read2st64_b32 v[0:1], v12 offset1:4
	ds_read2st64_b32 v[4:5], v12 offset0:8 offset1:12
	ds_read2st64_b32 v[6:7], v12 offset0:16 offset1:20
	;; [unrolled: 1-line block ×4, first 2 shown]
	s_waitcnt lgkmcnt(4)
	v_add_f32_e32 v0, v0, v1
	s_waitcnt lgkmcnt(3)
	v_add_f32_e32 v0, v4, v0
	v_add_f32_e32 v0, v5, v0
	s_waitcnt lgkmcnt(2)
	v_add_f32_e32 v0, v6, v0
	;; [unrolled: 3-line block ×3, first 2 shown]
	v_add_f32_e32 v2, v9, v0
	ds_read2st64_b32 v[0:1], v12 offset0:40 offset1:44
	ds_read2st64_b32 v[4:5], v12 offset0:48 offset1:52
	s_waitcnt lgkmcnt(2)
	v_add_f32_e32 v2, v10, v2
	v_add_f32_e32 v2, v11, v2
	ds_read2st64_b32 v[6:7], v12 offset0:56 offset1:60
	s_waitcnt lgkmcnt(2)
	v_add_f32_e32 v0, v0, v2
	v_add_f32_e32 v0, v1, v0
	s_waitcnt lgkmcnt(1)
	v_add_f32_e32 v0, v4, v0
	v_add_f32_e32 v0, v5, v0
	s_waitcnt lgkmcnt(0)
	v_add_f32_e32 v0, v6, v0
	v_or_b32_e32 v3, s31, v3
	v_add_f32_e32 v2, v7, v0
	v_cmp_gt_i32_e32 vcc, s12, v3
	s_mov_b64 s[4:5], s[10:11]
	ds_write_b32 v12, v2
                                        ; implicit-def: $vgpr5
                                        ; implicit-def: $vgpr0_vgpr1
	s_and_saveexec_b64 s[2:3], vcc
	s_cbranch_execz .LBB434_50
; %bb.47:
	v_cmp_eq_f32_e64 s[4:5], s29, 0
	v_mul_lo_u32 v0, v3, s30
	v_mul_f32_e32 v2, s28, v2
	v_ashrrev_i32_e32 v1, 31, v0
	s_and_b64 vcc, exec, s[4:5]
	s_cbranch_vccnz .LBB434_49
; %bb.48:
	v_lshl_add_u64 v[4:5], v[0:1], 1, s[8:9]
	global_load_ushort v3, v[4:5], off
	s_waitcnt vmcnt(0)
	v_fma_mix_f32 v2, s29, v3, v2 op_sel_hi:[0,1,0]
.LBB434_49:
	v_cvt_f16_f32_e32 v5, v2
	s_or_b64 s[4:5], s[10:11], exec
.LBB434_50:
	s_or_b64 exec, exec, s[2:3]
	s_andn2_b64 s[2:3], s[10:11], exec
	s_and_b64 s[4:5], s[4:5], exec
	s_or_b64 s[10:11], s[2:3], s[4:5]
.LBB434_51:
	s_or_b64 exec, exec, s[0:1]
.LBB434_52:
	s_and_saveexec_b64 s[0:1], s[10:11]
	s_cbranch_execz .LBB434_54
; %bb.53:
	v_lshl_add_u64 v[0:1], v[0:1], 1, s[8:9]
	global_store_short v[0:1], v5, off
.LBB434_54:
	s_endpgm
	.section	.rodata,"a",@progbits
	.p2align	6, 0x0
	.amdhsa_kernel _ZL20rocblas_gemvn_kernelILi64ELi16EiPKDF16_PKfKPDF16_EviiT3_lPKT2_lT1_lS9_lSA_lS6_lPT4_lSA_li
		.amdhsa_group_segment_fixed_size 16384
		.amdhsa_private_segment_fixed_size 0
		.amdhsa_kernarg_size 400
		.amdhsa_user_sgpr_count 2
		.amdhsa_user_sgpr_dispatch_ptr 0
		.amdhsa_user_sgpr_queue_ptr 0
		.amdhsa_user_sgpr_kernarg_segment_ptr 1
		.amdhsa_user_sgpr_dispatch_id 0
		.amdhsa_user_sgpr_kernarg_preload_length 0
		.amdhsa_user_sgpr_kernarg_preload_offset 0
		.amdhsa_user_sgpr_private_segment_size 0
		.amdhsa_uses_dynamic_stack 0
		.amdhsa_enable_private_segment 0
		.amdhsa_system_sgpr_workgroup_id_x 1
		.amdhsa_system_sgpr_workgroup_id_y 0
		.amdhsa_system_sgpr_workgroup_id_z 1
		.amdhsa_system_sgpr_workgroup_info 0
		.amdhsa_system_vgpr_workitem_id 1
		.amdhsa_next_free_vgpr 49
		.amdhsa_next_free_sgpr 39
		.amdhsa_accum_offset 52
		.amdhsa_reserve_vcc 1
		.amdhsa_float_round_mode_32 0
		.amdhsa_float_round_mode_16_64 0
		.amdhsa_float_denorm_mode_32 3
		.amdhsa_float_denorm_mode_16_64 3
		.amdhsa_dx10_clamp 1
		.amdhsa_ieee_mode 1
		.amdhsa_fp16_overflow 0
		.amdhsa_tg_split 0
		.amdhsa_exception_fp_ieee_invalid_op 0
		.amdhsa_exception_fp_denorm_src 0
		.amdhsa_exception_fp_ieee_div_zero 0
		.amdhsa_exception_fp_ieee_overflow 0
		.amdhsa_exception_fp_ieee_underflow 0
		.amdhsa_exception_fp_ieee_inexact 0
		.amdhsa_exception_int_div_zero 0
	.end_amdhsa_kernel
	.section	.text._ZL20rocblas_gemvn_kernelILi64ELi16EiPKDF16_PKfKPDF16_EviiT3_lPKT2_lT1_lS9_lSA_lS6_lPT4_lSA_li,"axG",@progbits,_ZL20rocblas_gemvn_kernelILi64ELi16EiPKDF16_PKfKPDF16_EviiT3_lPKT2_lT1_lS9_lSA_lS6_lPT4_lSA_li,comdat
.Lfunc_end434:
	.size	_ZL20rocblas_gemvn_kernelILi64ELi16EiPKDF16_PKfKPDF16_EviiT3_lPKT2_lT1_lS9_lSA_lS6_lPT4_lSA_li, .Lfunc_end434-_ZL20rocblas_gemvn_kernelILi64ELi16EiPKDF16_PKfKPDF16_EviiT3_lPKT2_lT1_lS9_lSA_lS6_lPT4_lSA_li
                                        ; -- End function
	.section	.AMDGPU.csdata,"",@progbits
; Kernel info:
; codeLenInByte = 2528
; NumSgprs: 45
; NumVgprs: 49
; NumAgprs: 0
; TotalNumVgprs: 49
; ScratchSize: 0
; MemoryBound: 0
; FloatMode: 240
; IeeeMode: 1
; LDSByteSize: 16384 bytes/workgroup (compile time only)
; SGPRBlocks: 5
; VGPRBlocks: 6
; NumSGPRsForWavesPerEU: 45
; NumVGPRsForWavesPerEU: 49
; AccumOffset: 52
; Occupancy: 8
; WaveLimiterHint : 1
; COMPUTE_PGM_RSRC2:SCRATCH_EN: 0
; COMPUTE_PGM_RSRC2:USER_SGPR: 2
; COMPUTE_PGM_RSRC2:TRAP_HANDLER: 0
; COMPUTE_PGM_RSRC2:TGID_X_EN: 1
; COMPUTE_PGM_RSRC2:TGID_Y_EN: 0
; COMPUTE_PGM_RSRC2:TGID_Z_EN: 1
; COMPUTE_PGM_RSRC2:TIDIG_COMP_CNT: 1
; COMPUTE_PGM_RSRC3_GFX90A:ACCUM_OFFSET: 12
; COMPUTE_PGM_RSRC3_GFX90A:TG_SPLIT: 0
	.section	.text._ZL20rocblas_gemvn_kernelILi64ELi16ElPKDF16_PKfKPDF16_EviiT3_lPKT2_lT1_lS9_lSA_lS6_lPT4_lSA_li,"axG",@progbits,_ZL20rocblas_gemvn_kernelILi64ELi16ElPKDF16_PKfKPDF16_EviiT3_lPKT2_lT1_lS9_lSA_lS6_lPT4_lSA_li,comdat
	.globl	_ZL20rocblas_gemvn_kernelILi64ELi16ElPKDF16_PKfKPDF16_EviiT3_lPKT2_lT1_lS9_lSA_lS6_lPT4_lSA_li ; -- Begin function _ZL20rocblas_gemvn_kernelILi64ELi16ElPKDF16_PKfKPDF16_EviiT3_lPKT2_lT1_lS9_lSA_lS6_lPT4_lSA_li
	.p2align	8
	.type	_ZL20rocblas_gemvn_kernelILi64ELi16ElPKDF16_PKfKPDF16_EviiT3_lPKT2_lT1_lS9_lSA_lS6_lPT4_lSA_li,@function
_ZL20rocblas_gemvn_kernelILi64ELi16ElPKDF16_PKfKPDF16_EviiT3_lPKT2_lT1_lS9_lSA_lS6_lPT4_lSA_li: ; @_ZL20rocblas_gemvn_kernelILi64ELi16ElPKDF16_PKfKPDF16_EviiT3_lPKT2_lT1_lS9_lSA_lS6_lPT4_lSA_li
; %bb.0:
	s_load_dwordx2 s[4:5], s[0:1], 0x9c
	s_mov_b32 s26, s3
	s_waitcnt lgkmcnt(0)
	s_and_b32 s3, s5, 0xffff
	s_lshr_b32 s5, s4, 16
	s_and_b32 s4, s4, 0xffff
	s_mul_i32 s4, s5, s4
	s_mul_i32 s4, s4, s3
	s_cmpk_lg_i32 s4, 0x400
	s_cbranch_scc1 .LBB435_54
; %bb.1:
	s_load_dwordx8 s[12:19], s[0:1], 0x8
	s_load_dwordx8 s[4:11], s[0:1], 0x58
	s_waitcnt lgkmcnt(0)
	s_mul_i32 s3, s26, s15
	s_mul_hi_u32 s15, s26, s14
	s_mul_i32 s14, s26, s14
	s_add_i32 s15, s15, s3
	s_lshl_b64 s[14:15], s[14:15], 2
	s_mul_i32 s7, s26, s7
	s_add_u32 s12, s12, s14
	s_mul_hi_u32 s3, s26, s6
	s_addc_u32 s13, s13, s15
	s_add_i32 s7, s3, s7
	s_mul_i32 s6, s26, s6
	s_lshl_b64 s[6:7], s[6:7], 2
	s_add_u32 s4, s4, s6
	s_addc_u32 s5, s5, s7
	s_load_dword s42, s[12:13], 0x0
	s_load_dword s33, s[4:5], 0x0
	s_waitcnt lgkmcnt(0)
	v_cmp_eq_f32_e64 s[28:29], s42, 0
	v_cmp_eq_f32_e64 s[4:5], s33, 1.0
	s_and_b64 s[4:5], s[28:29], s[4:5]
	s_and_b64 vcc, exec, s[4:5]
	s_cbranch_vccnz .LBB435_54
; %bb.2:
	s_load_dwordx2 s[20:21], s[0:1], 0x28
	s_load_dwordx2 s[12:13], s[0:1], 0x78
	s_mov_b32 s27, 0
	v_cmp_neq_f32_e64 s[14:15], s42, 0
	s_mov_b64 s[24:25], 0
	s_and_b64 vcc, exec, s[28:29]
	s_mov_b64 s[22:23], 0
	s_cbranch_vccnz .LBB435_4
; %bb.3:
	s_lshl_b64 s[4:5], s[26:27], 3
	s_add_u32 s4, s16, s4
	s_addc_u32 s5, s17, s5
	s_load_dwordx2 s[4:5], s[4:5], 0x0
	s_lshl_b64 s[6:7], s[18:19], 1
	s_waitcnt lgkmcnt(0)
	s_add_u32 s22, s4, s6
	s_addc_u32 s23, s5, s7
.LBB435_4:
	s_load_dwordx4 s[4:7], s[0:1], 0x38
	s_load_dwordx2 s[16:17], s[0:1], 0x48
	s_andn2_b64 vcc, exec, s[14:15]
	s_cbranch_vccnz .LBB435_6
; %bb.5:
	s_lshl_b64 s[14:15], s[26:27], 3
	s_waitcnt lgkmcnt(0)
	s_add_u32 s4, s4, s14
	s_addc_u32 s5, s5, s15
	s_load_dwordx2 s[4:5], s[4:5], 0x0
	s_lshl_b64 s[6:7], s[6:7], 1
	s_waitcnt lgkmcnt(0)
	s_add_u32 s24, s4, s6
	s_addc_u32 s25, s5, s7
.LBB435_6:
	s_waitcnt lgkmcnt(0)
	s_lshl_b64 s[4:5], s[26:27], 3
	s_add_u32 s4, s8, s4
	s_addc_u32 s5, s9, s5
	s_load_dwordx2 s[6:7], s[4:5], 0x0
	s_load_dwordx2 s[14:15], s[0:1], 0x0
	s_lshl_b64 s[0:1], s[10:11], 1
	v_and_b32_e32 v29, 0x3ff, v0
	v_bfe_u32 v30, v0, 10, 10
	s_waitcnt lgkmcnt(0)
	s_add_u32 s8, s6, s0
	s_addc_u32 s9, s7, s1
	s_andn2_b64 vcc, exec, s[28:29]
	v_lshl_add_u32 v28, v30, 6, v29
	s_cbranch_vccnz .LBB435_13
; %bb.7:
	s_movk_i32 s0, 0x100
	v_cmp_gt_u32_e32 vcc, s0, v28
	s_mov_b64 s[0:1], 0
	s_mov_b64 s[10:11], 0
                                        ; implicit-def: $vgpr3
                                        ; implicit-def: $vgpr0_vgpr1
	s_and_saveexec_b64 s[4:5], vcc
	s_cbranch_execz .LBB435_14
; %bb.8:
	v_lshl_or_b32 v2, s2, 8, v28
	v_mov_b32_e32 v3, 0
	s_ashr_i32 s7, s14, 31
	s_mov_b32 s6, s14
	v_cmp_gt_i64_e32 vcc, s[6:7], v[2:3]
                                        ; implicit-def: $vgpr0_vgpr1
	s_and_saveexec_b64 s[6:7], vcc
	s_cbranch_execz .LBB435_12
; %bb.9:
	v_mad_u64_u32 v[0:1], s[18:19], v2, s12, 0
	v_mov_b32_e32 v4, v1
	v_cmp_eq_f32_e64 s[10:11], s33, 0
	v_mad_u64_u32 v[4:5], s[18:19], v2, s13, v[4:5]
	v_mov_b32_e32 v1, v4
	s_and_b64 vcc, exec, s[10:11]
	s_cbranch_vccnz .LBB435_11
; %bb.10:
	v_lshl_add_u64 v[2:3], v[0:1], 1, s[8:9]
	global_load_ushort v2, v[2:3], off
	s_waitcnt vmcnt(0)
	v_fma_mixlo_f16 v3, s33, v2, 0 op_sel_hi:[0,1,0]
.LBB435_11:
	s_mov_b64 s[10:11], exec
.LBB435_12:
	s_or_b64 exec, exec, s[6:7]
	s_and_b64 s[10:11], s[10:11], exec
	s_or_b64 exec, exec, s[4:5]
	s_and_b64 vcc, exec, s[0:1]
	s_cbranch_vccnz .LBB435_15
	s_branch .LBB435_52
.LBB435_13:
	s_mov_b64 s[10:11], 0
                                        ; implicit-def: $vgpr3
                                        ; implicit-def: $vgpr0_vgpr1
	s_cbranch_execnz .LBB435_15
	s_branch .LBB435_52
.LBB435_14:
	s_or_b64 exec, exec, s[4:5]
	s_and_b64 vcc, exec, s[0:1]
	s_cbranch_vccz .LBB435_52
.LBB435_15:
	s_ashr_i32 s0, s15, 31
	s_lshr_b32 s0, s0, 26
	s_add_i32 s44, s15, s0
	s_lshl_b32 s43, s2, 8
	s_andn2_b32 s44, s44, 63
	v_lshlrev_b32_e32 v33, 2, v30
	v_add_u32_e32 v0, s43, v29
	v_cmp_gt_i32_e32 vcc, s44, v33
	v_mov_b32_e32 v35, 0
	v_mov_b32_e32 v34, 0
	;; [unrolled: 1-line block ×4, first 2 shown]
	s_and_saveexec_b64 s[18:19], vcc
	s_cbranch_execz .LBB435_27
; %bb.16:
	v_add_u32_e32 v2, 64, v0
	v_cmp_gt_i32_e64 s[0:1], s14, v2
	v_add_u32_e32 v2, 0x80, v0
	v_ashrrev_i32_e32 v1, 31, v0
	v_cmp_gt_i32_e64 s[2:3], s14, v2
	v_add_u32_e32 v2, 0xc0, v0
	v_cmp_gt_i32_e64 s[4:5], s14, v2
	v_lshlrev_b64 v[2:3], 1, v[0:1]
	v_lshlrev_b32_e32 v1, 2, v30
	v_or_b32_e32 v15, 3, v1
	v_mad_u64_u32 v[4:5], s[6:7], s20, v15, 0
	v_mov_b32_e32 v6, v5
	v_mad_u64_u32 v[6:7], s[6:7], s21, v15, v[6:7]
	v_mov_b32_e32 v5, v6
	;; [unrolled: 2-line block ×6, first 2 shown]
	v_mov_b64_e32 v[10:11], s[16:17]
	v_mad_u64_u32 v[10:11], s[6:7], s16, v1, v[10:11]
	v_mov_b32_e32 v12, v11
	v_mad_u64_u32 v[12:13], s[6:7], s17, v1, v[12:13]
	v_mov_b32_e32 v11, v12
	;; [unrolled: 2-line block ×3, first 2 shown]
	v_mad_u64_u32 v[14:15], s[6:7], s17, v15, v[14:15]
	v_or_b32_e32 v21, 2, v1
	v_mov_b32_e32 v13, v14
	v_mad_u64_u32 v[14:15], s[6:7], s20, v21, 0
	v_mov_b32_e32 v16, v15
	v_mad_u64_u32 v[16:17], s[6:7], s21, v21, v[16:17]
	v_mov_b32_e32 v15, v16
	v_mov_b64_e32 v[16:17], s[20:21]
	v_mad_u64_u32 v[16:17], s[6:7], s20, v1, v[16:17]
	v_mov_b32_e32 v18, v17
	v_mad_u64_u32 v[18:19], s[6:7], s21, v1, v[18:19]
	v_mov_b32_e32 v17, v18
	v_mad_u64_u32 v[18:19], s[6:7], s16, v21, 0
	v_mov_b32_e32 v20, v19
	v_mad_u64_u32 v[20:21], s[6:7], s17, v21, v[20:21]
	v_mov_b32_e32 v19, v20
	v_cmp_gt_i32_e32 vcc, s14, v0
	v_lshl_add_u64 v[4:5], v[4:5], 1, s[22:23]
	s_lshl_b64 s[26:27], s[20:21], 7
	v_lshlrev_b64 v[6:7], 3, v[6:7]
	s_lshl_b64 s[28:29], s[16:17], 7
	v_lshl_add_u64 v[8:9], v[8:9], 3, s[22:23]
	v_lshlrev_b64 v[10:11], 1, v[10:11]
	v_lshlrev_b64 v[12:13], 1, v[12:13]
	v_lshl_add_u64 v[14:15], v[14:15], 1, s[22:23]
	v_lshl_add_u64 v[16:17], v[16:17], 1, s[22:23]
	v_lshlrev_b64 v[18:19], 1, v[18:19]
	s_mov_b64 s[30:31], 0
	v_mov_b32_e32 v35, 0
	s_mov_b64 s[34:35], s[24:25]
	v_mov_b32_e32 v34, 0
	v_mov_b32_e32 v32, 0
	;; [unrolled: 1-line block ×3, first 2 shown]
	s_branch .LBB435_21
.LBB435_17:                             ;   in Loop: Header=BB435_21 Depth=1
	s_or_b64 exec, exec, s[40:41]
	s_waitcnt vmcnt(0) lgkmcnt(0)
	v_fma_mix_f32 v20, v47, v51, v32 op_sel_hi:[0,1,0]
	v_fma_mix_f32 v20, v48, v52, v20 op_sel_hi:[0,1,0]
	;; [unrolled: 1-line block ×4, first 2 shown]
.LBB435_18:                             ;   in Loop: Header=BB435_21 Depth=1
	s_or_b64 exec, exec, s[38:39]
	v_fma_mix_f32 v20, v47, v43, v34 op_sel_hi:[0,1,0]
	v_fma_mix_f32 v20, v48, v44, v20 op_sel_hi:[0,1,0]
	;; [unrolled: 1-line block ×4, first 2 shown]
.LBB435_19:                             ;   in Loop: Header=BB435_21 Depth=1
	s_or_b64 exec, exec, s[36:37]
	s_waitcnt vmcnt(0) lgkmcnt(0)
	v_fma_mix_f32 v1, v1, v39, v35 op_sel_hi:[1,1,0]
	s_nop 0
	v_fma_mix_f32 v1, v36, v40, v1 op_sel_hi:[1,1,0]
	s_nop 0
	;; [unrolled: 2-line block ×3, first 2 shown]
	v_fma_mix_f32 v35, v38, v42, v1 op_sel_hi:[1,1,0]
.LBB435_20:                             ;   in Loop: Header=BB435_21 Depth=1
	s_or_b64 exec, exec, s[6:7]
	v_add_u32_e32 v33, 64, v33
	s_add_u32 s34, s34, s28
	s_addc_u32 s35, s35, s29
	v_cmp_le_i32_e64 s[6:7], s44, v33
	v_lshl_add_u64 v[4:5], v[4:5], 0, s[26:27]
	v_lshl_add_u64 v[8:9], v[8:9], 0, s[26:27]
	;; [unrolled: 1-line block ×3, first 2 shown]
	s_or_b64 s[30:31], s[6:7], s[30:31]
	v_lshl_add_u64 v[16:17], v[16:17], 0, s[26:27]
	s_andn2_b64 exec, exec, s[30:31]
	s_cbranch_execz .LBB435_26
.LBB435_21:                             ; =>This Inner Loop Header: Depth=1
	s_and_saveexec_b64 s[6:7], vcc
	s_cbranch_execz .LBB435_20
; %bb.22:                               ;   in Loop: Header=BB435_21 Depth=1
	v_lshl_add_u64 v[20:21], s[34:35], 0, v[6:7]
	v_lshl_add_u64 v[22:23], s[34:35], 0, v[10:11]
	;; [unrolled: 1-line block ×4, first 2 shown]
	flat_load_ushort v1, v[20:21]
	flat_load_ushort v36, v[22:23]
	flat_load_ushort v37, v[24:25]
	flat_load_ushort v38, v[26:27]
	v_lshl_add_u64 v[20:21], v[8:9], 0, v[2:3]
	v_lshl_add_u64 v[22:23], v[16:17], 0, v[2:3]
	;; [unrolled: 1-line block ×4, first 2 shown]
	flat_load_ushort v39, v[20:21]
	flat_load_ushort v40, v[22:23]
	;; [unrolled: 1-line block ×4, first 2 shown]
	s_and_saveexec_b64 s[36:37], s[0:1]
	s_cbranch_execz .LBB435_19
; %bb.23:                               ;   in Loop: Header=BB435_21 Depth=1
	flat_load_ushort v43, v[20:21] offset:128
	flat_load_ushort v44, v[22:23] offset:128
	;; [unrolled: 1-line block ×4, first 2 shown]
	s_waitcnt vmcnt(0) lgkmcnt(0)
	v_cvt_f32_f16_e32 v47, v1
	v_cvt_f32_f16_e32 v48, v36
	;; [unrolled: 1-line block ×4, first 2 shown]
	s_and_saveexec_b64 s[38:39], s[2:3]
	s_cbranch_execz .LBB435_18
; %bb.24:                               ;   in Loop: Header=BB435_21 Depth=1
	flat_load_ushort v51, v[20:21] offset:256
	flat_load_ushort v52, v[22:23] offset:256
	;; [unrolled: 1-line block ×4, first 2 shown]
	s_and_saveexec_b64 s[40:41], s[4:5]
	s_cbranch_execz .LBB435_17
; %bb.25:                               ;   in Loop: Header=BB435_21 Depth=1
	flat_load_ushort v55, v[20:21] offset:384
	flat_load_ushort v56, v[22:23] offset:384
	flat_load_ushort v57, v[24:25] offset:384
	flat_load_ushort v58, v[26:27] offset:384
	s_waitcnt vmcnt(0) lgkmcnt(0)
	v_fma_mix_f32 v20, v47, v55, v31 op_sel_hi:[0,1,0]
	v_fma_mix_f32 v20, v48, v56, v20 op_sel_hi:[0,1,0]
	v_fma_mix_f32 v20, v49, v57, v20 op_sel_hi:[0,1,0]
	v_fma_mix_f32 v31, v50, v58, v20 op_sel_hi:[0,1,0]
	s_branch .LBB435_17
.LBB435_26:
	s_or_b64 exec, exec, s[30:31]
.LBB435_27:
	s_or_b64 exec, exec, s[18:19]
	s_sub_i32 s0, s15, s44
	s_cmp_lt_i32 s0, 1
	s_cbranch_scc1 .LBB435_45
; %bb.28:
	v_cmp_gt_i32_e32 vcc, s15, v33
	v_mov_b32_e32 v10, 0
	v_or_b32_e32 v4, 1, v33
	v_mov_b32_e32 v11, 0
	v_mov_b32_e32 v12, 0
	;; [unrolled: 1-line block ×3, first 2 shown]
	s_and_saveexec_b64 s[2:3], vcc
	s_cbranch_execz .LBB435_36
; %bb.29:
	v_mad_u64_u32 v[2:3], s[0:1], v33, s16, 0
	v_mov_b32_e32 v6, v3
	v_mad_u64_u32 v[6:7], s[0:1], v33, s17, v[6:7]
	v_mov_b32_e32 v3, v6
	v_lshl_add_u64 v[2:3], v[2:3], 1, s[24:25]
	flat_load_ushort v1, v[2:3]
	v_cmp_gt_i32_e64 s[0:1], s15, v4
	v_mov_b32_e32 v12, 0
	v_mov_b32_e32 v11, 0
	;; [unrolled: 1-line block ×3, first 2 shown]
	s_and_saveexec_b64 s[4:5], s[0:1]
	s_cbranch_execz .LBB435_35
; %bb.30:
	v_mad_u64_u32 v[2:3], s[0:1], v4, s16, 0
	v_mov_b32_e32 v6, v3
	v_mad_u64_u32 v[6:7], s[0:1], v4, s17, v[6:7]
	v_mov_b32_e32 v3, v6
	v_lshl_add_u64 v[2:3], v[2:3], 1, s[24:25]
	flat_load_ushort v2, v[2:3]
	v_or_b32_e32 v3, 2, v33
	v_cmp_gt_i32_e64 s[0:1], s15, v3
	v_mov_b32_e32 v11, 0
	v_mov_b32_e32 v10, 0
	s_and_saveexec_b64 s[6:7], s[0:1]
	s_cbranch_execz .LBB435_34
; %bb.31:
	v_mad_u64_u32 v[6:7], s[0:1], v3, s16, 0
	v_mov_b32_e32 v8, v7
	v_mad_u64_u32 v[8:9], s[0:1], v3, s17, v[8:9]
	v_mov_b32_e32 v7, v8
	v_lshl_add_u64 v[6:7], v[6:7], 1, s[24:25]
	flat_load_ushort v3, v[6:7]
	v_or_b32_e32 v5, 3, v33
	v_cmp_gt_i32_e64 s[0:1], s15, v5
	v_mov_b32_e32 v10, 0
	s_and_saveexec_b64 s[18:19], s[0:1]
	s_cbranch_execz .LBB435_33
; %bb.32:
	v_mad_u64_u32 v[6:7], s[0:1], v5, s16, 0
	v_mov_b32_e32 v8, v7
	v_mad_u64_u32 v[8:9], s[0:1], v5, s17, v[8:9]
	v_mov_b32_e32 v7, v8
	v_lshl_add_u64 v[6:7], v[6:7], 1, s[24:25]
	flat_load_ushort v5, v[6:7]
	s_waitcnt vmcnt(0) lgkmcnt(0)
	v_cvt_f32_f16_e32 v10, v5
.LBB435_33:
	s_or_b64 exec, exec, s[18:19]
	s_waitcnt vmcnt(0) lgkmcnt(0)
	v_cvt_f32_f16_e32 v11, v3
.LBB435_34:
	s_or_b64 exec, exec, s[6:7]
	s_waitcnt vmcnt(0) lgkmcnt(0)
	v_cvt_f32_f16_e32 v12, v2
.LBB435_35:
	s_or_b64 exec, exec, s[4:5]
	s_waitcnt vmcnt(0) lgkmcnt(0)
	v_cvt_f32_f16_e32 v13, v1
.LBB435_36:
	s_or_b64 exec, exec, s[2:3]
	v_cmp_gt_i32_e64 s[0:1], s14, v0
	s_and_saveexec_b64 s[2:3], s[0:1]
	s_cbranch_execz .LBB435_44
; %bb.37:
	v_mad_u64_u32 v[2:3], s[0:1], v33, s20, 0
	v_mov_b32_e32 v6, v3
	v_mad_u64_u32 v[6:7], s[0:1], v33, s21, v[6:7]
	v_ashrrev_i32_e32 v1, 31, v0
	v_cndmask_b32_e32 v3, 0, v6, vcc
	v_mad_u64_u32 v[6:7], s[0:1], v4, s20, 0
	v_cndmask_b32_e32 v2, 0, v2, vcc
	v_lshlrev_b64 v[8:9], 1, v[0:1]
	v_mov_b32_e32 v14, v7
	v_cmp_gt_i32_e32 vcc, s15, v4
	v_or_b32_e32 v1, 2, v33
	v_mad_u64_u32 v[14:15], s[0:1], v4, s21, v[14:15]
	v_cndmask_b32_e32 v4, 0, v6, vcc
	v_mad_u64_u32 v[6:7], s[0:1], v1, s20, 0
	v_cndmask_b32_e32 v5, 0, v14, vcc
	v_mov_b32_e32 v14, v7
	v_mad_u64_u32 v[14:15], s[0:1], v1, s21, v[14:15]
	v_cmp_gt_i32_e32 vcc, s15, v1
	v_or_b32_e32 v1, 3, v33
	v_lshl_add_u64 v[2:3], v[2:3], 1, s[22:23]
	v_cndmask_b32_e32 v7, 0, v14, vcc
	v_mad_u64_u32 v[14:15], s[0:1], v1, s20, 0
	v_mov_b32_e32 v16, v15
	v_cndmask_b32_e32 v6, 0, v6, vcc
	v_mad_u64_u32 v[16:17], s[0:1], v1, s21, v[16:17]
	v_cmp_gt_i32_e32 vcc, s15, v1
	v_lshl_add_u64 v[2:3], v[2:3], 0, v[8:9]
	v_lshl_add_u64 v[4:5], v[4:5], 1, s[22:23]
	v_cndmask_b32_e32 v14, 0, v14, vcc
	v_cndmask_b32_e32 v15, 0, v16, vcc
	v_lshl_add_u64 v[6:7], v[6:7], 1, s[22:23]
	v_lshl_add_u64 v[14:15], v[14:15], 1, s[22:23]
	v_lshl_add_u64 v[4:5], v[4:5], 0, v[8:9]
	v_lshl_add_u64 v[6:7], v[6:7], 0, v[8:9]
	flat_load_ushort v16, v[2:3]
	flat_load_ushort v17, v[4:5]
	;; [unrolled: 1-line block ×3, first 2 shown]
	v_lshl_add_u64 v[8:9], v[14:15], 0, v[8:9]
	flat_load_ushort v1, v[8:9]
	v_add_u32_e32 v15, 64, v0
	v_cmp_gt_i32_e32 vcc, s14, v15
	s_waitcnt vmcnt(0) lgkmcnt(0)
	v_fma_mix_f32 v14, v13, v16, v35 op_sel_hi:[0,1,0]
	v_fma_mix_f32 v14, v12, v17, v14 op_sel_hi:[0,1,0]
	v_fma_mix_f32 v14, v11, v18, v14 op_sel_hi:[0,1,0]
	s_and_saveexec_b64 s[0:1], vcc
	s_cbranch_execz .LBB435_43
; %bb.38:
	flat_load_ushort v16, v[2:3] offset:128
	flat_load_ushort v17, v[4:5] offset:128
	flat_load_ushort v18, v[6:7] offset:128
	flat_load_ushort v15, v[8:9] offset:128
	v_add_u32_e32 v19, 0x80, v0
	v_cmp_gt_i32_e32 vcc, s14, v19
	s_waitcnt vmcnt(0) lgkmcnt(0)
	v_fma_mix_f32 v16, v13, v16, v34 op_sel_hi:[0,1,0]
	v_fma_mix_f32 v16, v12, v17, v16 op_sel_hi:[0,1,0]
	v_fma_mix_f32 v16, v11, v18, v16 op_sel_hi:[0,1,0]
	s_and_saveexec_b64 s[4:5], vcc
	s_cbranch_execz .LBB435_42
; %bb.39:
	flat_load_ushort v18, v[2:3] offset:256
	flat_load_ushort v19, v[4:5] offset:256
	flat_load_ushort v20, v[6:7] offset:256
	flat_load_ushort v17, v[8:9] offset:256
	;; [unrolled: 13-line block ×3, first 2 shown]
	s_waitcnt vmcnt(0) lgkmcnt(0)
	v_fma_mix_f32 v2, v13, v18, v31 op_sel_hi:[0,1,0]
	v_fma_mix_f32 v2, v12, v19, v2 op_sel_hi:[0,1,0]
	;; [unrolled: 1-line block ×4, first 2 shown]
.LBB435_41:
	s_or_b64 exec, exec, s[6:7]
	v_fma_mix_f32 v32, v10, v17, v0 op_sel_hi:[0,1,0]
.LBB435_42:
	s_or_b64 exec, exec, s[4:5]
	v_fma_mix_f32 v34, v10, v15, v16 op_sel_hi:[0,1,0]
.LBB435_43:
	s_or_b64 exec, exec, s[0:1]
	v_fma_mix_f32 v35, v10, v1, v14 op_sel_hi:[0,1,0]
.LBB435_44:
	s_or_b64 exec, exec, s[2:3]
.LBB435_45:
	v_lshlrev_b32_e32 v0, 8, v30
	s_movk_i32 s0, 0x100
	v_add_lshl_u32 v0, v0, v29, 2
	v_cmp_gt_u32_e32 vcc, s0, v28
	ds_write2st64_b32 v0, v35, v34 offset1:1
	ds_write2st64_b32 v0, v32, v31 offset0:2 offset1:3
	s_waitcnt lgkmcnt(0)
	s_barrier
	s_waitcnt lgkmcnt(0)
                                        ; implicit-def: $vgpr3
                                        ; implicit-def: $vgpr0_vgpr1
	s_and_saveexec_b64 s[0:1], vcc
	s_cbranch_execz .LBB435_51
; %bb.46:
	v_lshlrev_b32_e32 v10, 2, v28
	ds_read2st64_b32 v[0:1], v10 offset1:4
	ds_read2st64_b32 v[2:3], v10 offset0:8 offset1:12
	ds_read2st64_b32 v[4:5], v10 offset0:16 offset1:20
	;; [unrolled: 1-line block ×4, first 2 shown]
	s_waitcnt lgkmcnt(4)
	v_add_f32_e32 v0, v0, v1
	s_waitcnt lgkmcnt(3)
	v_add_f32_e32 v0, v2, v0
	v_add_f32_e32 v0, v3, v0
	s_waitcnt lgkmcnt(2)
	v_add_f32_e32 v0, v4, v0
	;; [unrolled: 3-line block ×3, first 2 shown]
	v_add_f32_e32 v2, v7, v0
	ds_read2st64_b32 v[0:1], v10 offset0:40 offset1:44
	s_waitcnt lgkmcnt(1)
	v_add_f32_e32 v4, v8, v2
	ds_read2st64_b32 v[2:3], v10 offset0:48 offset1:52
	v_add_f32_e32 v6, v9, v4
	ds_read2st64_b32 v[4:5], v10 offset0:56 offset1:60
	s_waitcnt lgkmcnt(2)
	v_add_f32_e32 v0, v0, v6
	v_add_f32_e32 v0, v1, v0
	s_waitcnt lgkmcnt(1)
	v_add_f32_e32 v0, v2, v0
	v_add_f32_e32 v0, v3, v0
	s_waitcnt lgkmcnt(0)
	v_add_f32_e32 v0, v4, v0
	v_or_b32_e32 v4, s43, v28
	v_add_f32_e32 v2, v5, v0
	v_cmp_gt_i32_e32 vcc, s14, v4
	s_mov_b64 s[4:5], s[10:11]
	ds_write_b32 v10, v2
                                        ; implicit-def: $vgpr3
                                        ; implicit-def: $vgpr0_vgpr1
	s_and_saveexec_b64 s[2:3], vcc
	s_cbranch_execz .LBB435_50
; %bb.47:
	v_ashrrev_i32_e32 v0, 31, v4
	v_cmp_eq_f32_e64 s[4:5], s33, 0
	v_mul_lo_u32 v3, v4, s13
	v_mul_lo_u32 v5, v0, s12
	v_mad_u64_u32 v[0:1], s[6:7], v4, s12, 0
	v_mul_f32_e32 v2, s42, v2
	v_add3_u32 v1, v1, v3, v5
	s_and_b64 vcc, exec, s[4:5]
	s_cbranch_vccnz .LBB435_49
; %bb.48:
	v_lshl_add_u64 v[4:5], v[0:1], 1, s[8:9]
	global_load_ushort v3, v[4:5], off
	s_waitcnt vmcnt(0)
	v_fma_mix_f32 v2, s33, v3, v2 op_sel_hi:[0,1,0]
.LBB435_49:
	v_cvt_f16_f32_e32 v3, v2
	s_or_b64 s[4:5], s[10:11], exec
.LBB435_50:
	s_or_b64 exec, exec, s[2:3]
	s_andn2_b64 s[2:3], s[10:11], exec
	s_and_b64 s[4:5], s[4:5], exec
	s_or_b64 s[10:11], s[2:3], s[4:5]
.LBB435_51:
	s_or_b64 exec, exec, s[0:1]
.LBB435_52:
	s_and_saveexec_b64 s[0:1], s[10:11]
	s_cbranch_execz .LBB435_54
; %bb.53:
	v_lshl_add_u64 v[0:1], v[0:1], 1, s[8:9]
	global_store_short v[0:1], v3, off
.LBB435_54:
	s_endpgm
	.section	.rodata,"a",@progbits
	.p2align	6, 0x0
	.amdhsa_kernel _ZL20rocblas_gemvn_kernelILi64ELi16ElPKDF16_PKfKPDF16_EviiT3_lPKT2_lT1_lS9_lSA_lS6_lPT4_lSA_li
		.amdhsa_group_segment_fixed_size 16384
		.amdhsa_private_segment_fixed_size 0
		.amdhsa_kernarg_size 400
		.amdhsa_user_sgpr_count 2
		.amdhsa_user_sgpr_dispatch_ptr 0
		.amdhsa_user_sgpr_queue_ptr 0
		.amdhsa_user_sgpr_kernarg_segment_ptr 1
		.amdhsa_user_sgpr_dispatch_id 0
		.amdhsa_user_sgpr_kernarg_preload_length 0
		.amdhsa_user_sgpr_kernarg_preload_offset 0
		.amdhsa_user_sgpr_private_segment_size 0
		.amdhsa_uses_dynamic_stack 0
		.amdhsa_enable_private_segment 0
		.amdhsa_system_sgpr_workgroup_id_x 1
		.amdhsa_system_sgpr_workgroup_id_y 0
		.amdhsa_system_sgpr_workgroup_id_z 1
		.amdhsa_system_sgpr_workgroup_info 0
		.amdhsa_system_vgpr_workitem_id 1
		.amdhsa_next_free_vgpr 59
		.amdhsa_next_free_sgpr 45
		.amdhsa_accum_offset 60
		.amdhsa_reserve_vcc 1
		.amdhsa_float_round_mode_32 0
		.amdhsa_float_round_mode_16_64 0
		.amdhsa_float_denorm_mode_32 3
		.amdhsa_float_denorm_mode_16_64 3
		.amdhsa_dx10_clamp 1
		.amdhsa_ieee_mode 1
		.amdhsa_fp16_overflow 0
		.amdhsa_tg_split 0
		.amdhsa_exception_fp_ieee_invalid_op 0
		.amdhsa_exception_fp_denorm_src 0
		.amdhsa_exception_fp_ieee_div_zero 0
		.amdhsa_exception_fp_ieee_overflow 0
		.amdhsa_exception_fp_ieee_underflow 0
		.amdhsa_exception_fp_ieee_inexact 0
		.amdhsa_exception_int_div_zero 0
	.end_amdhsa_kernel
	.section	.text._ZL20rocblas_gemvn_kernelILi64ELi16ElPKDF16_PKfKPDF16_EviiT3_lPKT2_lT1_lS9_lSA_lS6_lPT4_lSA_li,"axG",@progbits,_ZL20rocblas_gemvn_kernelILi64ELi16ElPKDF16_PKfKPDF16_EviiT3_lPKT2_lT1_lS9_lSA_lS6_lPT4_lSA_li,comdat
.Lfunc_end435:
	.size	_ZL20rocblas_gemvn_kernelILi64ELi16ElPKDF16_PKfKPDF16_EviiT3_lPKT2_lT1_lS9_lSA_lS6_lPT4_lSA_li, .Lfunc_end435-_ZL20rocblas_gemvn_kernelILi64ELi16ElPKDF16_PKfKPDF16_EviiT3_lPKT2_lT1_lS9_lSA_lS6_lPT4_lSA_li
                                        ; -- End function
	.section	.AMDGPU.csdata,"",@progbits
; Kernel info:
; codeLenInByte = 2808
; NumSgprs: 51
; NumVgprs: 59
; NumAgprs: 0
; TotalNumVgprs: 59
; ScratchSize: 0
; MemoryBound: 0
; FloatMode: 240
; IeeeMode: 1
; LDSByteSize: 16384 bytes/workgroup (compile time only)
; SGPRBlocks: 6
; VGPRBlocks: 7
; NumSGPRsForWavesPerEU: 51
; NumVGPRsForWavesPerEU: 59
; AccumOffset: 60
; Occupancy: 8
; WaveLimiterHint : 1
; COMPUTE_PGM_RSRC2:SCRATCH_EN: 0
; COMPUTE_PGM_RSRC2:USER_SGPR: 2
; COMPUTE_PGM_RSRC2:TRAP_HANDLER: 0
; COMPUTE_PGM_RSRC2:TGID_X_EN: 1
; COMPUTE_PGM_RSRC2:TGID_Y_EN: 0
; COMPUTE_PGM_RSRC2:TGID_Z_EN: 1
; COMPUTE_PGM_RSRC2:TIDIG_COMP_CNT: 1
; COMPUTE_PGM_RSRC3_GFX90A:ACCUM_OFFSET: 14
; COMPUTE_PGM_RSRC3_GFX90A:TG_SPLIT: 0
	.section	.text._ZL20rocblas_gemvn_kernelILi64ELi16EiPKDF16_fKPDF16_EviiT3_lPKT2_lT1_lS7_lS8_lS4_lPT4_lS8_li,"axG",@progbits,_ZL20rocblas_gemvn_kernelILi64ELi16EiPKDF16_fKPDF16_EviiT3_lPKT2_lT1_lS7_lS8_lS4_lPT4_lS8_li,comdat
	.globl	_ZL20rocblas_gemvn_kernelILi64ELi16EiPKDF16_fKPDF16_EviiT3_lPKT2_lT1_lS7_lS8_lS4_lPT4_lS8_li ; -- Begin function _ZL20rocblas_gemvn_kernelILi64ELi16EiPKDF16_fKPDF16_EviiT3_lPKT2_lT1_lS7_lS8_lS4_lPT4_lS8_li
	.p2align	8
	.type	_ZL20rocblas_gemvn_kernelILi64ELi16EiPKDF16_fKPDF16_EviiT3_lPKT2_lT1_lS7_lS8_lS4_lPT4_lS8_li,@function
_ZL20rocblas_gemvn_kernelILi64ELi16EiPKDF16_fKPDF16_EviiT3_lPKT2_lT1_lS7_lS8_lS4_lPT4_lS8_li: ; @_ZL20rocblas_gemvn_kernelILi64ELi16EiPKDF16_fKPDF16_EviiT3_lPKT2_lT1_lS7_lS8_lS4_lPT4_lS8_li
; %bb.0:
	s_load_dwordx2 s[4:5], s[0:1], 0x9c
	s_mov_b32 s6, s3
	s_waitcnt lgkmcnt(0)
	s_and_b32 s3, s5, 0xffff
	s_lshr_b32 s5, s4, 16
	s_and_b32 s4, s4, 0xffff
	s_mul_i32 s4, s5, s4
	s_mul_i32 s4, s4, s3
	s_cmpk_lg_i32 s4, 0x400
	s_cbranch_scc1 .LBB436_56
; %bb.1:
	s_load_dwordx4 s[8:11], s[0:1], 0x0
	s_waitcnt lgkmcnt(0)
	s_load_dword s11, s[0:1], 0x58
	v_cmp_eq_f32_e64 s[4:5], s10, 0
	s_waitcnt lgkmcnt(0)
	v_cmp_eq_f32_e64 s[12:13], s11, 1.0
	s_and_b64 s[12:13], s[4:5], s[12:13]
	s_and_b64 vcc, exec, s[12:13]
	s_cbranch_vccnz .LBB436_56
; %bb.2:
	v_cmp_neq_f32_e64 s[12:13], s10, 0
	s_mov_b32 s7, 0
	s_and_b64 vcc, exec, s[12:13]
	s_cbranch_vccnz .LBB436_4
; %bb.3:
	s_mov_b64 s[16:17], 0
	s_cbranch_execz .LBB436_5
	s_branch .LBB436_6
.LBB436_4:
                                        ; implicit-def: $sgpr16_sgpr17
.LBB436_5:
	s_load_dwordx4 s[16:19], s[0:1], 0x18
	s_lshl_b64 s[14:15], s[6:7], 3
	s_waitcnt lgkmcnt(0)
	s_add_u32 s14, s16, s14
	s_addc_u32 s15, s17, s15
	s_load_dwordx2 s[14:15], s[14:15], 0x0
	s_lshl_b64 s[16:17], s[18:19], 1
	s_waitcnt lgkmcnt(0)
	s_add_u32 s16, s14, s16
	s_addc_u32 s17, s15, s17
.LBB436_6:
	s_mov_b64 s[14:15], 0
	s_andn2_b64 vcc, exec, s[12:13]
	s_mov_b64 s[18:19], 0
	s_cbranch_vccnz .LBB436_8
; %bb.7:
	s_load_dwordx4 s[20:23], s[0:1], 0x38
	s_lshl_b64 s[12:13], s[6:7], 3
	s_waitcnt lgkmcnt(0)
	s_add_u32 s12, s20, s12
	s_addc_u32 s13, s21, s13
	s_load_dwordx2 s[12:13], s[12:13], 0x0
	s_lshl_b64 s[18:19], s[22:23], 1
	s_waitcnt lgkmcnt(0)
	s_add_u32 s18, s12, s18
	s_addc_u32 s19, s13, s19
.LBB436_8:
	s_load_dwordx4 s[20:23], s[0:1], 0x68
	s_load_dword s30, s[0:1], 0x78
	s_lshl_b64 s[6:7], s[6:7], 3
	v_and_b32_e32 v2, 0x3ff, v0
	v_bfe_u32 v14, v0, 10, 10
	s_waitcnt lgkmcnt(0)
	s_add_u32 s6, s20, s6
	s_addc_u32 s7, s21, s7
	s_load_dwordx2 s[6:7], s[6:7], 0x0
	s_lshl_b64 s[12:13], s[22:23], 1
	v_lshl_add_u32 v3, v14, 6, v2
	s_waitcnt lgkmcnt(0)
	s_add_u32 s12, s6, s12
	s_addc_u32 s13, s7, s13
	s_andn2_b64 vcc, exec, s[4:5]
	s_cbranch_vccnz .LBB436_15
; %bb.9:
	s_movk_i32 s3, 0x100
	v_cmp_gt_u32_e32 vcc, s3, v3
	s_mov_b64 s[4:5], 0
                                        ; implicit-def: $vgpr5
                                        ; implicit-def: $vgpr0_vgpr1
	s_and_saveexec_b64 s[6:7], vcc
	s_cbranch_execz .LBB436_16
; %bb.10:
	v_lshl_or_b32 v4, s2, 8, v3
	v_mov_b32_e32 v5, 0
	s_ashr_i32 s15, s8, 31
	s_mov_b32 s14, s8
	v_cmp_gt_i64_e32 vcc, s[14:15], v[4:5]
	s_mov_b64 s[20:21], 0
                                        ; implicit-def: $vgpr0_vgpr1
	s_and_saveexec_b64 s[14:15], vcc
	s_cbranch_execz .LBB436_14
; %bb.11:
	v_mad_u64_u32 v[0:1], s[22:23], s30, v4, 0
	s_ashr_i32 s3, s30, 31
	v_mov_b32_e32 v6, v1
	v_cmp_eq_f32_e64 s[20:21], s11, 0
	v_mad_u64_u32 v[6:7], s[22:23], s3, v4, v[6:7]
	v_mov_b32_e32 v1, v6
	s_and_b64 vcc, exec, s[20:21]
	s_cbranch_vccnz .LBB436_13
; %bb.12:
	v_lshl_add_u64 v[4:5], v[0:1], 1, s[12:13]
	global_load_ushort v4, v[4:5], off
	s_waitcnt vmcnt(0)
	v_fma_mixlo_f16 v5, v4, s11, 0 op_sel_hi:[1,0,0]
.LBB436_13:
	s_mov_b64 s[20:21], exec
.LBB436_14:
	s_or_b64 exec, exec, s[14:15]
	s_and_b64 s[14:15], s[20:21], exec
	s_or_b64 exec, exec, s[6:7]
	s_and_b64 vcc, exec, s[4:5]
	s_cbranch_vccnz .LBB436_17
	s_branch .LBB436_54
.LBB436_15:
                                        ; implicit-def: $vgpr5
                                        ; implicit-def: $vgpr0_vgpr1
	s_cbranch_execnz .LBB436_17
	s_branch .LBB436_54
.LBB436_16:
	s_or_b64 exec, exec, s[6:7]
	s_and_b64 vcc, exec, s[4:5]
	s_cbranch_vccz .LBB436_54
.LBB436_17:
	s_load_dword s33, s[0:1], 0x28
	s_load_dword s34, s[0:1], 0x48
	s_ashr_i32 s0, s9, 31
	s_lshr_b32 s0, s0, 26
	s_add_i32 s35, s9, s0
	s_lshl_b32 s31, s2, 8
	s_andn2_b32 s35, s35, 63
	v_lshlrev_b32_e32 v20, 2, v14
	v_add_u32_e32 v16, s31, v2
	v_cmp_gt_i32_e32 vcc, s35, v20
	v_mov_b32_e32 v19, 0
	v_mov_b32_e32 v18, 0
	;; [unrolled: 1-line block ×4, first 2 shown]
	s_and_saveexec_b64 s[20:21], vcc
	s_cbranch_execz .LBB436_29
; %bb.18:
	v_add_u32_e32 v0, 64, v16
	v_cmp_gt_i32_e64 s[0:1], s8, v0
	v_add_u32_e32 v0, 0x80, v16
	v_cmp_gt_i32_e64 s[2:3], s8, v0
	;; [unrolled: 2-line block ×3, first 2 shown]
	s_waitcnt lgkmcnt(0)
	v_mul_lo_u32 v0, s33, v20
	v_add_u32_e32 v6, 2, v20
	v_add_u32_e32 v7, 3, v20
	v_add3_u32 v21, v0, s33, v2
	v_mad_u64_u32 v[0:1], s[6:7], s33, v6, v[2:3]
	v_mad_u64_u32 v[4:5], s[6:7], s33, v7, v[2:3]
	v_mul_lo_u32 v1, v14, s33
	v_mul_lo_u32 v5, s34, v20
	;; [unrolled: 1-line block ×4, first 2 shown]
	v_cmp_gt_i32_e32 vcc, s8, v16
	s_lshl_b32 s36, s33, 6
	v_lshl_add_u32 v1, v1, 2, v2
	v_add_u32_e32 v5, s34, v5
	s_lshl_b32 s37, s34, 6
	v_mul_lo_u32 v23, s34, v7
	v_lshlrev_b32_e32 v24, 2, v6
	s_mov_b32 s38, 0
	s_mov_b64 s[22:23], 0
	v_mov_b32_e32 v19, 0
	v_mov_b32_e32 v18, 0
	;; [unrolled: 1-line block ×4, first 2 shown]
	s_branch .LBB436_23
.LBB436_19:                             ;   in Loop: Header=BB436_23 Depth=1
	s_or_b64 exec, exec, s[28:29]
	s_waitcnt vmcnt(0) lgkmcnt(0)
	v_fma_mix_f32 v6, v37, v41, v17 op_sel_hi:[0,1,0]
	v_fma_mix_f32 v6, v38, v42, v6 op_sel_hi:[0,1,0]
	;; [unrolled: 1-line block ×4, first 2 shown]
.LBB436_20:                             ;   in Loop: Header=BB436_23 Depth=1
	s_or_b64 exec, exec, s[26:27]
	v_fma_mix_f32 v6, v37, v33, v18 op_sel_hi:[0,1,0]
	v_fma_mix_f32 v6, v38, v34, v6 op_sel_hi:[0,1,0]
	;; [unrolled: 1-line block ×4, first 2 shown]
.LBB436_21:                             ;   in Loop: Header=BB436_23 Depth=1
	s_or_b64 exec, exec, s[24:25]
	s_waitcnt vmcnt(0) lgkmcnt(0)
	v_fma_mix_f32 v6, v25, v29, v19 op_sel_hi:[1,1,0]
	s_nop 0
	v_fma_mix_f32 v6, v26, v30, v6 op_sel_hi:[1,1,0]
	s_nop 0
	v_fma_mix_f32 v6, v27, v31, v6 op_sel_hi:[1,1,0]
	s_nop 0
	v_fma_mix_f32 v19, v28, v32, v6 op_sel_hi:[1,1,0]
.LBB436_22:                             ;   in Loop: Header=BB436_23 Depth=1
	s_or_b64 exec, exec, s[6:7]
	v_add_u32_e32 v20, 64, v20
	s_add_i32 s38, s38, s37
	v_cmp_le_i32_e64 s[6:7], s35, v20
	v_add_u32_e32 v21, s36, v21
	v_add_u32_e32 v0, s36, v0
	;; [unrolled: 1-line block ×3, first 2 shown]
	s_or_b64 s[22:23], s[6:7], s[22:23]
	v_add_u32_e32 v1, s36, v1
	s_andn2_b64 exec, exec, s[22:23]
	s_cbranch_execz .LBB436_28
.LBB436_23:                             ; =>This Inner Loop Header: Depth=1
	s_and_saveexec_b64 s[6:7], vcc
	s_cbranch_execz .LBB436_22
; %bb.24:                               ;   in Loop: Header=BB436_23 Depth=1
	v_add_u32_e32 v6, s38, v24
	v_ashrrev_i32_e32 v7, 31, v6
	v_add_u32_e32 v8, s38, v5
	v_add_u32_e32 v10, s38, v22
	;; [unrolled: 1-line block ×3, first 2 shown]
	v_lshl_add_u64 v[6:7], v[6:7], 1, s[18:19]
	v_ashrrev_i32_e32 v9, 31, v8
	v_ashrrev_i32_e32 v11, 31, v10
	;; [unrolled: 1-line block ×3, first 2 shown]
	v_lshl_add_u64 v[8:9], v[8:9], 1, s[18:19]
	v_lshl_add_u64 v[10:11], v[10:11], 1, s[18:19]
	;; [unrolled: 1-line block ×3, first 2 shown]
	flat_load_ushort v25, v[6:7]
	flat_load_ushort v26, v[8:9]
	;; [unrolled: 1-line block ×4, first 2 shown]
	v_add_u32_e32 v6, s31, v1
	v_ashrrev_i32_e32 v7, 31, v6
	v_add_u32_e32 v8, s31, v21
	v_add_u32_e32 v10, s31, v0
	;; [unrolled: 1-line block ×3, first 2 shown]
	v_lshl_add_u64 v[6:7], v[6:7], 1, s[16:17]
	v_ashrrev_i32_e32 v9, 31, v8
	v_ashrrev_i32_e32 v11, 31, v10
	;; [unrolled: 1-line block ×3, first 2 shown]
	v_lshl_add_u64 v[8:9], v[8:9], 1, s[16:17]
	v_lshl_add_u64 v[10:11], v[10:11], 1, s[16:17]
	;; [unrolled: 1-line block ×3, first 2 shown]
	flat_load_ushort v29, v[6:7]
	flat_load_ushort v30, v[8:9]
	;; [unrolled: 1-line block ×4, first 2 shown]
	s_and_saveexec_b64 s[24:25], s[0:1]
	s_cbranch_execz .LBB436_21
; %bb.25:                               ;   in Loop: Header=BB436_23 Depth=1
	flat_load_ushort v33, v[6:7] offset:128
	flat_load_ushort v34, v[8:9] offset:128
	;; [unrolled: 1-line block ×4, first 2 shown]
	s_waitcnt vmcnt(0) lgkmcnt(0)
	v_cvt_f32_f16_e32 v37, v25
	v_cvt_f32_f16_e32 v38, v26
	;; [unrolled: 1-line block ×4, first 2 shown]
	s_and_saveexec_b64 s[26:27], s[2:3]
	s_cbranch_execz .LBB436_20
; %bb.26:                               ;   in Loop: Header=BB436_23 Depth=1
	flat_load_ushort v41, v[6:7] offset:256
	flat_load_ushort v42, v[8:9] offset:256
	;; [unrolled: 1-line block ×4, first 2 shown]
	s_and_saveexec_b64 s[28:29], s[4:5]
	s_cbranch_execz .LBB436_19
; %bb.27:                               ;   in Loop: Header=BB436_23 Depth=1
	flat_load_ushort v45, v[6:7] offset:384
	flat_load_ushort v46, v[8:9] offset:384
	;; [unrolled: 1-line block ×4, first 2 shown]
	s_waitcnt vmcnt(0) lgkmcnt(0)
	v_fma_mix_f32 v6, v37, v45, v15 op_sel_hi:[0,1,0]
	v_fma_mix_f32 v6, v38, v46, v6 op_sel_hi:[0,1,0]
	;; [unrolled: 1-line block ×4, first 2 shown]
	s_branch .LBB436_19
.LBB436_28:
	s_or_b64 exec, exec, s[22:23]
.LBB436_29:
	s_or_b64 exec, exec, s[20:21]
	s_sub_i32 s0, s9, s35
	s_cmp_lt_i32 s0, 1
	s_cbranch_scc1 .LBB436_47
; %bb.30:
	v_cmp_gt_i32_e32 vcc, s9, v20
	v_mov_b32_e32 v10, 0
	v_or_b32_e32 v4, 1, v20
	v_mov_b32_e32 v11, 0
	v_mov_b32_e32 v12, 0
	;; [unrolled: 1-line block ×3, first 2 shown]
	s_and_saveexec_b64 s[2:3], vcc
	s_cbranch_execz .LBB436_38
; %bb.31:
	s_waitcnt lgkmcnt(0)
	v_mul_lo_u32 v0, v20, s34
	v_ashrrev_i32_e32 v1, 31, v0
	v_lshl_add_u64 v[0:1], v[0:1], 1, s[18:19]
	flat_load_ushort v0, v[0:1]
	v_cmp_gt_i32_e64 s[0:1], s9, v4
	v_mov_b32_e32 v12, 0
	v_mov_b32_e32 v11, 0
	;; [unrolled: 1-line block ×3, first 2 shown]
	s_and_saveexec_b64 s[4:5], s[0:1]
	s_cbranch_execz .LBB436_37
; %bb.32:
	v_mul_lo_u32 v6, v4, s34
	v_ashrrev_i32_e32 v7, 31, v6
	v_lshl_add_u64 v[6:7], v[6:7], 1, s[18:19]
	flat_load_ushort v1, v[6:7]
	v_or_b32_e32 v5, 2, v20
	v_cmp_gt_i32_e64 s[0:1], s9, v5
	v_mov_b32_e32 v11, 0
	v_mov_b32_e32 v10, 0
	s_and_saveexec_b64 s[6:7], s[0:1]
	s_cbranch_execz .LBB436_36
; %bb.33:
	v_mul_lo_u32 v6, v5, s34
	v_ashrrev_i32_e32 v7, 31, v6
	v_lshl_add_u64 v[6:7], v[6:7], 1, s[18:19]
	flat_load_ushort v5, v[6:7]
	v_or_b32_e32 v6, 3, v20
	v_cmp_gt_i32_e64 s[0:1], s9, v6
	v_mov_b32_e32 v10, 0
	s_and_saveexec_b64 s[20:21], s[0:1]
	s_cbranch_execz .LBB436_35
; %bb.34:
	v_mul_lo_u32 v6, v6, s34
	v_ashrrev_i32_e32 v7, 31, v6
	v_lshl_add_u64 v[6:7], v[6:7], 1, s[18:19]
	flat_load_ushort v6, v[6:7]
	s_waitcnt vmcnt(0) lgkmcnt(0)
	v_cvt_f32_f16_e32 v10, v6
.LBB436_35:
	s_or_b64 exec, exec, s[20:21]
	s_waitcnt vmcnt(0) lgkmcnt(0)
	v_cvt_f32_f16_e32 v11, v5
.LBB436_36:
	s_or_b64 exec, exec, s[6:7]
	s_waitcnt vmcnt(0) lgkmcnt(0)
	v_cvt_f32_f16_e32 v12, v1
.LBB436_37:
	s_or_b64 exec, exec, s[4:5]
	s_waitcnt vmcnt(0) lgkmcnt(0)
	v_cvt_f32_f16_e32 v13, v0
.LBB436_38:
	s_or_b64 exec, exec, s[2:3]
	v_cmp_gt_i32_e64 s[0:1], s8, v16
	s_and_saveexec_b64 s[2:3], s[0:1]
	s_cbranch_execz .LBB436_46
; %bb.39:
	s_waitcnt lgkmcnt(0)
	v_mul_lo_u32 v0, v20, s33
	v_cndmask_b32_e32 v0, 0, v0, vcc
	v_mul_lo_u32 v5, v4, s33
	v_cmp_gt_i32_e32 vcc, s9, v4
	v_or_b32_e32 v6, 2, v20
	v_mul_lo_u32 v7, v6, s33
	v_cndmask_b32_e32 v4, 0, v5, vcc
	v_cmp_gt_i32_e32 vcc, s9, v6
	v_or_b32_e32 v8, 3, v20
	v_mul_lo_u32 v9, v8, s33
	v_cndmask_b32_e32 v6, 0, v7, vcc
	v_cmp_gt_i32_e32 vcc, s9, v8
	v_add_u32_e32 v0, v0, v16
	v_ashrrev_i32_e32 v1, 31, v0
	v_cndmask_b32_e32 v8, 0, v9, vcc
	v_add_u32_e32 v4, v4, v16
	v_add_u32_e32 v6, v6, v16
	;; [unrolled: 1-line block ×3, first 2 shown]
	v_lshl_add_u64 v[0:1], v[0:1], 1, s[16:17]
	v_ashrrev_i32_e32 v5, 31, v4
	v_ashrrev_i32_e32 v7, 31, v6
	;; [unrolled: 1-line block ×3, first 2 shown]
	v_lshl_add_u64 v[4:5], v[4:5], 1, s[16:17]
	v_lshl_add_u64 v[6:7], v[6:7], 1, s[16:17]
	flat_load_ushort v21, v[0:1]
	flat_load_ushort v22, v[4:5]
	;; [unrolled: 1-line block ×3, first 2 shown]
	v_lshl_add_u64 v[8:9], v[8:9], 1, s[16:17]
	flat_load_ushort v20, v[8:9]
	v_add_u32_e32 v24, 64, v16
	v_cmp_gt_i32_e32 vcc, s8, v24
	s_waitcnt vmcnt(0) lgkmcnt(0)
	v_fma_mix_f32 v19, v13, v21, v19 op_sel_hi:[0,1,0]
	v_fma_mix_f32 v19, v12, v22, v19 op_sel_hi:[0,1,0]
	v_fma_mix_f32 v19, v11, v23, v19 op_sel_hi:[0,1,0]
	s_and_saveexec_b64 s[0:1], vcc
	s_cbranch_execz .LBB436_45
; %bb.40:
	flat_load_ushort v22, v[0:1] offset:128
	flat_load_ushort v23, v[4:5] offset:128
	flat_load_ushort v24, v[6:7] offset:128
	flat_load_ushort v21, v[8:9] offset:128
	v_add_u32_e32 v25, 0x80, v16
	v_cmp_gt_i32_e32 vcc, s8, v25
	s_waitcnt vmcnt(0) lgkmcnt(0)
	v_fma_mix_f32 v18, v13, v22, v18 op_sel_hi:[0,1,0]
	v_fma_mix_f32 v18, v12, v23, v18 op_sel_hi:[0,1,0]
	v_fma_mix_f32 v18, v11, v24, v18 op_sel_hi:[0,1,0]
	s_and_saveexec_b64 s[4:5], vcc
	s_cbranch_execz .LBB436_44
; %bb.41:
	flat_load_ushort v23, v[0:1] offset:256
	flat_load_ushort v24, v[4:5] offset:256
	flat_load_ushort v25, v[6:7] offset:256
	flat_load_ushort v22, v[8:9] offset:256
	;; [unrolled: 13-line block ×3, first 2 shown]
	s_waitcnt vmcnt(0) lgkmcnt(0)
	v_fma_mix_f32 v0, v13, v17, v15 op_sel_hi:[0,1,0]
	v_fma_mix_f32 v0, v12, v23, v0 op_sel_hi:[0,1,0]
	;; [unrolled: 1-line block ×4, first 2 shown]
.LBB436_43:
	s_or_b64 exec, exec, s[6:7]
	v_fma_mix_f32 v17, v10, v22, v16 op_sel_hi:[0,1,0]
.LBB436_44:
	s_or_b64 exec, exec, s[4:5]
	v_fma_mix_f32 v18, v10, v21, v18 op_sel_hi:[0,1,0]
.LBB436_45:
	s_or_b64 exec, exec, s[0:1]
	v_fma_mix_f32 v19, v10, v20, v19 op_sel_hi:[0,1,0]
.LBB436_46:
	s_or_b64 exec, exec, s[2:3]
.LBB436_47:
	v_lshlrev_b32_e32 v0, 8, v14
	s_movk_i32 s0, 0x100
	v_add_lshl_u32 v0, v0, v2, 2
	v_cmp_gt_u32_e32 vcc, s0, v3
	ds_write2st64_b32 v0, v19, v18 offset1:1
	ds_write2st64_b32 v0, v17, v15 offset0:2 offset1:3
	s_waitcnt lgkmcnt(0)
	s_barrier
	s_waitcnt lgkmcnt(0)
                                        ; implicit-def: $vgpr5
                                        ; implicit-def: $vgpr0_vgpr1
	s_and_saveexec_b64 s[0:1], vcc
	s_cbranch_execz .LBB436_53
; %bb.48:
	v_lshlrev_b32_e32 v12, 2, v3
	ds_read2st64_b32 v[0:1], v12 offset1:4
	ds_read2st64_b32 v[4:5], v12 offset0:8 offset1:12
	ds_read2st64_b32 v[6:7], v12 offset0:16 offset1:20
	;; [unrolled: 1-line block ×4, first 2 shown]
	s_waitcnt lgkmcnt(4)
	v_add_f32_e32 v0, v0, v1
	s_waitcnt lgkmcnt(3)
	v_add_f32_e32 v0, v4, v0
	v_add_f32_e32 v0, v5, v0
	s_waitcnt lgkmcnt(2)
	v_add_f32_e32 v0, v6, v0
	;; [unrolled: 3-line block ×3, first 2 shown]
	v_add_f32_e32 v2, v9, v0
	ds_read2st64_b32 v[0:1], v12 offset0:40 offset1:44
	ds_read2st64_b32 v[4:5], v12 offset0:48 offset1:52
	s_waitcnt lgkmcnt(2)
	v_add_f32_e32 v2, v10, v2
	v_add_f32_e32 v2, v11, v2
	ds_read2st64_b32 v[6:7], v12 offset0:56 offset1:60
	s_waitcnt lgkmcnt(2)
	v_add_f32_e32 v0, v0, v2
	v_add_f32_e32 v0, v1, v0
	s_waitcnt lgkmcnt(1)
	v_add_f32_e32 v0, v4, v0
	v_add_f32_e32 v0, v5, v0
	s_waitcnt lgkmcnt(0)
	v_add_f32_e32 v0, v6, v0
	v_or_b32_e32 v3, s31, v3
	v_add_f32_e32 v2, v7, v0
	v_cmp_gt_i32_e32 vcc, s8, v3
	s_mov_b64 s[4:5], s[14:15]
	ds_write_b32 v12, v2
                                        ; implicit-def: $vgpr5
                                        ; implicit-def: $vgpr0_vgpr1
	s_and_saveexec_b64 s[2:3], vcc
	s_cbranch_execz .LBB436_52
; %bb.49:
	v_cmp_eq_f32_e64 s[4:5], s11, 0
	v_mul_lo_u32 v0, v3, s30
	v_mul_f32_e32 v2, s10, v2
	v_ashrrev_i32_e32 v1, 31, v0
	s_and_b64 vcc, exec, s[4:5]
	s_cbranch_vccnz .LBB436_51
; %bb.50:
	v_lshl_add_u64 v[4:5], v[0:1], 1, s[12:13]
	global_load_ushort v3, v[4:5], off
	s_waitcnt vmcnt(0)
	v_fma_mix_f32 v2, v3, s11, v2 op_sel_hi:[1,0,0]
.LBB436_51:
	s_nop 0
	v_cvt_f16_f32_e32 v5, v2
	s_or_b64 s[4:5], s[14:15], exec
.LBB436_52:
	s_or_b64 exec, exec, s[2:3]
	s_andn2_b64 s[2:3], s[14:15], exec
	s_and_b64 s[4:5], s[4:5], exec
	s_or_b64 s[14:15], s[2:3], s[4:5]
.LBB436_53:
	s_or_b64 exec, exec, s[0:1]
.LBB436_54:
	s_and_saveexec_b64 s[0:1], s[14:15]
	s_cbranch_execz .LBB436_56
; %bb.55:
	v_lshl_add_u64 v[0:1], v[0:1], 1, s[12:13]
	global_store_short v[0:1], v5, off
.LBB436_56:
	s_endpgm
	.section	.rodata,"a",@progbits
	.p2align	6, 0x0
	.amdhsa_kernel _ZL20rocblas_gemvn_kernelILi64ELi16EiPKDF16_fKPDF16_EviiT3_lPKT2_lT1_lS7_lS8_lS4_lPT4_lS8_li
		.amdhsa_group_segment_fixed_size 16384
		.amdhsa_private_segment_fixed_size 0
		.amdhsa_kernarg_size 400
		.amdhsa_user_sgpr_count 2
		.amdhsa_user_sgpr_dispatch_ptr 0
		.amdhsa_user_sgpr_queue_ptr 0
		.amdhsa_user_sgpr_kernarg_segment_ptr 1
		.amdhsa_user_sgpr_dispatch_id 0
		.amdhsa_user_sgpr_kernarg_preload_length 0
		.amdhsa_user_sgpr_kernarg_preload_offset 0
		.amdhsa_user_sgpr_private_segment_size 0
		.amdhsa_uses_dynamic_stack 0
		.amdhsa_enable_private_segment 0
		.amdhsa_system_sgpr_workgroup_id_x 1
		.amdhsa_system_sgpr_workgroup_id_y 0
		.amdhsa_system_sgpr_workgroup_id_z 1
		.amdhsa_system_sgpr_workgroup_info 0
		.amdhsa_system_vgpr_workitem_id 1
		.amdhsa_next_free_vgpr 49
		.amdhsa_next_free_sgpr 39
		.amdhsa_accum_offset 52
		.amdhsa_reserve_vcc 1
		.amdhsa_float_round_mode_32 0
		.amdhsa_float_round_mode_16_64 0
		.amdhsa_float_denorm_mode_32 3
		.amdhsa_float_denorm_mode_16_64 3
		.amdhsa_dx10_clamp 1
		.amdhsa_ieee_mode 1
		.amdhsa_fp16_overflow 0
		.amdhsa_tg_split 0
		.amdhsa_exception_fp_ieee_invalid_op 0
		.amdhsa_exception_fp_denorm_src 0
		.amdhsa_exception_fp_ieee_div_zero 0
		.amdhsa_exception_fp_ieee_overflow 0
		.amdhsa_exception_fp_ieee_underflow 0
		.amdhsa_exception_fp_ieee_inexact 0
		.amdhsa_exception_int_div_zero 0
	.end_amdhsa_kernel
	.section	.text._ZL20rocblas_gemvn_kernelILi64ELi16EiPKDF16_fKPDF16_EviiT3_lPKT2_lT1_lS7_lS8_lS4_lPT4_lS8_li,"axG",@progbits,_ZL20rocblas_gemvn_kernelILi64ELi16EiPKDF16_fKPDF16_EviiT3_lPKT2_lT1_lS7_lS8_lS4_lPT4_lS8_li,comdat
.Lfunc_end436:
	.size	_ZL20rocblas_gemvn_kernelILi64ELi16EiPKDF16_fKPDF16_EviiT3_lPKT2_lT1_lS7_lS8_lS4_lPT4_lS8_li, .Lfunc_end436-_ZL20rocblas_gemvn_kernelILi64ELi16EiPKDF16_fKPDF16_EviiT3_lPKT2_lT1_lS7_lS8_lS4_lPT4_lS8_li
                                        ; -- End function
	.section	.AMDGPU.csdata,"",@progbits
; Kernel info:
; codeLenInByte = 2480
; NumSgprs: 45
; NumVgprs: 49
; NumAgprs: 0
; TotalNumVgprs: 49
; ScratchSize: 0
; MemoryBound: 0
; FloatMode: 240
; IeeeMode: 1
; LDSByteSize: 16384 bytes/workgroup (compile time only)
; SGPRBlocks: 5
; VGPRBlocks: 6
; NumSGPRsForWavesPerEU: 45
; NumVGPRsForWavesPerEU: 49
; AccumOffset: 52
; Occupancy: 8
; WaveLimiterHint : 1
; COMPUTE_PGM_RSRC2:SCRATCH_EN: 0
; COMPUTE_PGM_RSRC2:USER_SGPR: 2
; COMPUTE_PGM_RSRC2:TRAP_HANDLER: 0
; COMPUTE_PGM_RSRC2:TGID_X_EN: 1
; COMPUTE_PGM_RSRC2:TGID_Y_EN: 0
; COMPUTE_PGM_RSRC2:TGID_Z_EN: 1
; COMPUTE_PGM_RSRC2:TIDIG_COMP_CNT: 1
; COMPUTE_PGM_RSRC3_GFX90A:ACCUM_OFFSET: 12
; COMPUTE_PGM_RSRC3_GFX90A:TG_SPLIT: 0
	.section	.text._ZL20rocblas_gemvn_kernelILi64ELi16ElPKDF16_fKPDF16_EviiT3_lPKT2_lT1_lS7_lS8_lS4_lPT4_lS8_li,"axG",@progbits,_ZL20rocblas_gemvn_kernelILi64ELi16ElPKDF16_fKPDF16_EviiT3_lPKT2_lT1_lS7_lS8_lS4_lPT4_lS8_li,comdat
	.globl	_ZL20rocblas_gemvn_kernelILi64ELi16ElPKDF16_fKPDF16_EviiT3_lPKT2_lT1_lS7_lS8_lS4_lPT4_lS8_li ; -- Begin function _ZL20rocblas_gemvn_kernelILi64ELi16ElPKDF16_fKPDF16_EviiT3_lPKT2_lT1_lS7_lS8_lS4_lPT4_lS8_li
	.p2align	8
	.type	_ZL20rocblas_gemvn_kernelILi64ELi16ElPKDF16_fKPDF16_EviiT3_lPKT2_lT1_lS7_lS8_lS4_lPT4_lS8_li,@function
_ZL20rocblas_gemvn_kernelILi64ELi16ElPKDF16_fKPDF16_EviiT3_lPKT2_lT1_lS7_lS8_lS4_lPT4_lS8_li: ; @_ZL20rocblas_gemvn_kernelILi64ELi16ElPKDF16_fKPDF16_EviiT3_lPKT2_lT1_lS7_lS8_lS4_lPT4_lS8_li
; %bb.0:
	s_load_dwordx2 s[4:5], s[0:1], 0x9c
	s_mov_b32 s12, s3
	s_waitcnt lgkmcnt(0)
	s_and_b32 s3, s5, 0xffff
	s_lshr_b32 s5, s4, 16
	s_and_b32 s4, s4, 0xffff
	s_mul_i32 s4, s5, s4
	s_mul_i32 s4, s4, s3
	s_cmpk_lg_i32 s4, 0x400
	s_cbranch_scc1 .LBB437_56
; %bb.1:
	s_load_dwordx4 s[8:11], s[0:1], 0x0
	s_waitcnt lgkmcnt(0)
	s_load_dword s11, s[0:1], 0x58
	v_cmp_eq_f32_e64 s[26:27], s10, 0
	s_waitcnt lgkmcnt(0)
	v_cmp_eq_f32_e64 s[4:5], s11, 1.0
	s_and_b64 s[4:5], s[26:27], s[4:5]
	s_and_b64 vcc, exec, s[4:5]
	s_cbranch_vccnz .LBB437_56
; %bb.2:
	s_load_dwordx4 s[4:7], s[0:1], 0x18
	s_load_dwordx2 s[18:19], s[0:1], 0x28
	v_cmp_neq_f32_e64 s[16:17], s10, 0
	s_mov_b32 s13, 0
	s_and_b64 vcc, exec, s[16:17]
	s_cbranch_vccnz .LBB437_4
; %bb.3:
	s_mov_b64 s[20:21], 0
	s_cbranch_execz .LBB437_5
	s_branch .LBB437_6
.LBB437_4:
                                        ; implicit-def: $sgpr20_sgpr21
.LBB437_5:
	s_lshl_b64 s[14:15], s[12:13], 3
	s_waitcnt lgkmcnt(0)
	s_add_u32 s4, s4, s14
	s_addc_u32 s5, s5, s15
	s_load_dwordx2 s[4:5], s[4:5], 0x0
	s_lshl_b64 s[6:7], s[6:7], 1
	s_waitcnt lgkmcnt(0)
	s_add_u32 s20, s4, s6
	s_addc_u32 s21, s5, s7
.LBB437_6:
	s_waitcnt lgkmcnt(0)
	s_load_dwordx4 s[4:7], s[0:1], 0x38
	s_load_dwordx2 s[22:23], s[0:1], 0x48
	s_mov_b64 s[14:15], 0
	s_andn2_b64 vcc, exec, s[16:17]
	s_mov_b64 s[24:25], 0
	s_cbranch_vccnz .LBB437_8
; %bb.7:
	s_lshl_b64 s[16:17], s[12:13], 3
	s_waitcnt lgkmcnt(0)
	s_add_u32 s4, s4, s16
	s_addc_u32 s5, s5, s17
	s_load_dwordx2 s[4:5], s[4:5], 0x0
	s_lshl_b64 s[6:7], s[6:7], 1
	s_waitcnt lgkmcnt(0)
	s_add_u32 s24, s4, s6
	s_addc_u32 s25, s5, s7
.LBB437_8:
	s_waitcnt lgkmcnt(0)
	s_load_dwordx4 s[4:7], s[0:1], 0x68
	s_load_dwordx2 s[16:17], s[0:1], 0x78
	s_lshl_b64 s[0:1], s[12:13], 3
	v_and_b32_e32 v29, 0x3ff, v0
	v_bfe_u32 v30, v0, 10, 10
	s_waitcnt lgkmcnt(0)
	s_add_u32 s0, s4, s0
	s_addc_u32 s1, s5, s1
	s_load_dwordx2 s[0:1], s[0:1], 0x0
	s_lshl_b64 s[4:5], s[6:7], 1
	v_lshl_add_u32 v28, v30, 6, v29
	s_waitcnt lgkmcnt(0)
	s_add_u32 s12, s0, s4
	s_addc_u32 s13, s1, s5
	s_andn2_b64 vcc, exec, s[26:27]
	s_cbranch_vccnz .LBB437_15
; %bb.9:
	s_movk_i32 s0, 0x100
	v_cmp_gt_u32_e32 vcc, s0, v28
	s_mov_b64 s[0:1], 0
                                        ; implicit-def: $vgpr3
                                        ; implicit-def: $vgpr0_vgpr1
	s_and_saveexec_b64 s[4:5], vcc
	s_cbranch_execz .LBB437_16
; %bb.10:
	v_lshl_or_b32 v2, s2, 8, v28
	v_mov_b32_e32 v3, 0
	s_ashr_i32 s7, s8, 31
	s_mov_b32 s6, s8
	v_cmp_gt_i64_e32 vcc, s[6:7], v[2:3]
                                        ; implicit-def: $vgpr0_vgpr1
	s_and_saveexec_b64 s[6:7], vcc
	s_cbranch_execz .LBB437_14
; %bb.11:
	v_mad_u64_u32 v[0:1], s[26:27], v2, s16, 0
	v_mov_b32_e32 v4, v1
	v_cmp_eq_f32_e64 s[14:15], s11, 0
	v_mad_u64_u32 v[4:5], s[26:27], v2, s17, v[4:5]
	v_mov_b32_e32 v1, v4
	s_and_b64 vcc, exec, s[14:15]
	s_cbranch_vccnz .LBB437_13
; %bb.12:
	v_lshl_add_u64 v[2:3], v[0:1], 1, s[12:13]
	global_load_ushort v2, v[2:3], off
	s_waitcnt vmcnt(0)
	v_fma_mixlo_f16 v3, v2, s11, 0 op_sel_hi:[1,0,0]
.LBB437_13:
	s_mov_b64 s[14:15], exec
.LBB437_14:
	s_or_b64 exec, exec, s[6:7]
	s_and_b64 s[14:15], s[14:15], exec
	s_or_b64 exec, exec, s[4:5]
	s_and_b64 vcc, exec, s[0:1]
	s_cbranch_vccnz .LBB437_17
	s_branch .LBB437_54
.LBB437_15:
                                        ; implicit-def: $vgpr3
                                        ; implicit-def: $vgpr0_vgpr1
	s_cbranch_execnz .LBB437_17
	s_branch .LBB437_54
.LBB437_16:
	s_or_b64 exec, exec, s[4:5]
	s_and_b64 vcc, exec, s[0:1]
	s_cbranch_vccz .LBB437_54
.LBB437_17:
	s_ashr_i32 s0, s9, 31
	s_lshr_b32 s0, s0, 26
	s_add_i32 s44, s9, s0
	s_lshl_b32 s33, s2, 8
	s_andn2_b32 s44, s44, 63
	v_lshlrev_b32_e32 v33, 2, v30
	v_add_u32_e32 v0, s33, v29
	v_cmp_gt_i32_e32 vcc, s44, v33
	v_mov_b32_e32 v35, 0
	v_mov_b32_e32 v34, 0
	;; [unrolled: 1-line block ×4, first 2 shown]
	s_and_saveexec_b64 s[26:27], vcc
	s_cbranch_execz .LBB437_29
; %bb.18:
	v_add_u32_e32 v2, 64, v0
	v_cmp_gt_i32_e64 s[0:1], s8, v2
	v_add_u32_e32 v2, 0x80, v0
	v_ashrrev_i32_e32 v1, 31, v0
	v_cmp_gt_i32_e64 s[2:3], s8, v2
	v_add_u32_e32 v2, 0xc0, v0
	v_cmp_gt_i32_e64 s[4:5], s8, v2
	v_lshlrev_b64 v[2:3], 1, v[0:1]
	v_lshlrev_b32_e32 v1, 2, v30
	v_or_b32_e32 v15, 3, v1
	v_mad_u64_u32 v[4:5], s[6:7], s18, v15, 0
	v_mov_b32_e32 v6, v5
	v_mad_u64_u32 v[6:7], s[6:7], s19, v15, v[6:7]
	v_mov_b32_e32 v5, v6
	;; [unrolled: 2-line block ×6, first 2 shown]
	v_mov_b64_e32 v[10:11], s[22:23]
	v_mad_u64_u32 v[10:11], s[6:7], s22, v1, v[10:11]
	v_mov_b32_e32 v12, v11
	v_mad_u64_u32 v[12:13], s[6:7], s23, v1, v[12:13]
	v_mov_b32_e32 v11, v12
	;; [unrolled: 2-line block ×3, first 2 shown]
	v_mad_u64_u32 v[14:15], s[6:7], s23, v15, v[14:15]
	v_or_b32_e32 v21, 2, v1
	v_mov_b32_e32 v13, v14
	v_mad_u64_u32 v[14:15], s[6:7], s18, v21, 0
	v_mov_b32_e32 v16, v15
	v_mad_u64_u32 v[16:17], s[6:7], s19, v21, v[16:17]
	v_mov_b32_e32 v15, v16
	v_mov_b64_e32 v[16:17], s[18:19]
	v_mad_u64_u32 v[16:17], s[6:7], s18, v1, v[16:17]
	v_mov_b32_e32 v18, v17
	v_mad_u64_u32 v[18:19], s[6:7], s19, v1, v[18:19]
	v_mov_b32_e32 v17, v18
	;; [unrolled: 2-line block ×4, first 2 shown]
	v_cmp_gt_i32_e32 vcc, s8, v0
	v_lshl_add_u64 v[4:5], v[4:5], 1, s[20:21]
	s_lshl_b64 s[28:29], s[18:19], 7
	v_lshlrev_b64 v[6:7], 3, v[6:7]
	s_lshl_b64 s[30:31], s[22:23], 7
	v_lshl_add_u64 v[8:9], v[8:9], 3, s[20:21]
	v_lshlrev_b64 v[10:11], 1, v[10:11]
	v_lshlrev_b64 v[12:13], 1, v[12:13]
	v_lshl_add_u64 v[14:15], v[14:15], 1, s[20:21]
	v_lshl_add_u64 v[16:17], v[16:17], 1, s[20:21]
	v_lshlrev_b64 v[18:19], 1, v[18:19]
	s_mov_b64 s[34:35], 0
	v_mov_b32_e32 v35, 0
	s_mov_b64 s[36:37], s[24:25]
	v_mov_b32_e32 v34, 0
	v_mov_b32_e32 v32, 0
	;; [unrolled: 1-line block ×3, first 2 shown]
	s_branch .LBB437_23
.LBB437_19:                             ;   in Loop: Header=BB437_23 Depth=1
	s_or_b64 exec, exec, s[42:43]
	s_waitcnt vmcnt(0) lgkmcnt(0)
	v_fma_mix_f32 v20, v47, v51, v32 op_sel_hi:[0,1,0]
	v_fma_mix_f32 v20, v48, v52, v20 op_sel_hi:[0,1,0]
	v_fma_mix_f32 v20, v49, v53, v20 op_sel_hi:[0,1,0]
	v_fma_mix_f32 v32, v50, v54, v20 op_sel_hi:[0,1,0]
.LBB437_20:                             ;   in Loop: Header=BB437_23 Depth=1
	s_or_b64 exec, exec, s[40:41]
	v_fma_mix_f32 v20, v47, v43, v34 op_sel_hi:[0,1,0]
	v_fma_mix_f32 v20, v48, v44, v20 op_sel_hi:[0,1,0]
	;; [unrolled: 1-line block ×4, first 2 shown]
.LBB437_21:                             ;   in Loop: Header=BB437_23 Depth=1
	s_or_b64 exec, exec, s[38:39]
	s_waitcnt vmcnt(0) lgkmcnt(0)
	v_fma_mix_f32 v1, v1, v39, v35 op_sel_hi:[1,1,0]
	s_nop 0
	v_fma_mix_f32 v1, v36, v40, v1 op_sel_hi:[1,1,0]
	s_nop 0
	;; [unrolled: 2-line block ×3, first 2 shown]
	v_fma_mix_f32 v35, v38, v42, v1 op_sel_hi:[1,1,0]
.LBB437_22:                             ;   in Loop: Header=BB437_23 Depth=1
	s_or_b64 exec, exec, s[6:7]
	v_add_u32_e32 v33, 64, v33
	s_add_u32 s36, s36, s30
	s_addc_u32 s37, s37, s31
	v_cmp_le_i32_e64 s[6:7], s44, v33
	v_lshl_add_u64 v[4:5], v[4:5], 0, s[28:29]
	v_lshl_add_u64 v[8:9], v[8:9], 0, s[28:29]
	;; [unrolled: 1-line block ×3, first 2 shown]
	s_or_b64 s[34:35], s[6:7], s[34:35]
	v_lshl_add_u64 v[16:17], v[16:17], 0, s[28:29]
	s_andn2_b64 exec, exec, s[34:35]
	s_cbranch_execz .LBB437_28
.LBB437_23:                             ; =>This Inner Loop Header: Depth=1
	s_and_saveexec_b64 s[6:7], vcc
	s_cbranch_execz .LBB437_22
; %bb.24:                               ;   in Loop: Header=BB437_23 Depth=1
	v_lshl_add_u64 v[20:21], s[36:37], 0, v[6:7]
	v_lshl_add_u64 v[22:23], s[36:37], 0, v[10:11]
	;; [unrolled: 1-line block ×4, first 2 shown]
	flat_load_ushort v1, v[20:21]
	flat_load_ushort v36, v[22:23]
	flat_load_ushort v37, v[24:25]
	flat_load_ushort v38, v[26:27]
	v_lshl_add_u64 v[20:21], v[8:9], 0, v[2:3]
	v_lshl_add_u64 v[22:23], v[16:17], 0, v[2:3]
	v_lshl_add_u64 v[24:25], v[14:15], 0, v[2:3]
	v_lshl_add_u64 v[26:27], v[4:5], 0, v[2:3]
	flat_load_ushort v39, v[20:21]
	flat_load_ushort v40, v[22:23]
	;; [unrolled: 1-line block ×4, first 2 shown]
	s_and_saveexec_b64 s[38:39], s[0:1]
	s_cbranch_execz .LBB437_21
; %bb.25:                               ;   in Loop: Header=BB437_23 Depth=1
	flat_load_ushort v43, v[20:21] offset:128
	flat_load_ushort v44, v[22:23] offset:128
	;; [unrolled: 1-line block ×4, first 2 shown]
	s_waitcnt vmcnt(0) lgkmcnt(0)
	v_cvt_f32_f16_e32 v47, v1
	v_cvt_f32_f16_e32 v48, v36
	;; [unrolled: 1-line block ×4, first 2 shown]
	s_and_saveexec_b64 s[40:41], s[2:3]
	s_cbranch_execz .LBB437_20
; %bb.26:                               ;   in Loop: Header=BB437_23 Depth=1
	flat_load_ushort v51, v[20:21] offset:256
	flat_load_ushort v52, v[22:23] offset:256
	flat_load_ushort v53, v[24:25] offset:256
	flat_load_ushort v54, v[26:27] offset:256
	s_and_saveexec_b64 s[42:43], s[4:5]
	s_cbranch_execz .LBB437_19
; %bb.27:                               ;   in Loop: Header=BB437_23 Depth=1
	flat_load_ushort v55, v[20:21] offset:384
	flat_load_ushort v56, v[22:23] offset:384
	;; [unrolled: 1-line block ×4, first 2 shown]
	s_waitcnt vmcnt(0) lgkmcnt(0)
	v_fma_mix_f32 v20, v47, v55, v31 op_sel_hi:[0,1,0]
	v_fma_mix_f32 v20, v48, v56, v20 op_sel_hi:[0,1,0]
	;; [unrolled: 1-line block ×4, first 2 shown]
	s_branch .LBB437_19
.LBB437_28:
	s_or_b64 exec, exec, s[34:35]
.LBB437_29:
	s_or_b64 exec, exec, s[26:27]
	s_sub_i32 s0, s9, s44
	s_cmp_lt_i32 s0, 1
	s_cbranch_scc1 .LBB437_47
; %bb.30:
	v_cmp_gt_i32_e32 vcc, s9, v33
	v_mov_b32_e32 v10, 0
	v_or_b32_e32 v4, 1, v33
	v_mov_b32_e32 v11, 0
	v_mov_b32_e32 v12, 0
	;; [unrolled: 1-line block ×3, first 2 shown]
	s_and_saveexec_b64 s[2:3], vcc
	s_cbranch_execz .LBB437_38
; %bb.31:
	v_mad_u64_u32 v[2:3], s[0:1], v33, s22, 0
	v_mov_b32_e32 v6, v3
	v_mad_u64_u32 v[6:7], s[0:1], v33, s23, v[6:7]
	v_mov_b32_e32 v3, v6
	v_lshl_add_u64 v[2:3], v[2:3], 1, s[24:25]
	flat_load_ushort v1, v[2:3]
	v_cmp_gt_i32_e64 s[0:1], s9, v4
	v_mov_b32_e32 v12, 0
	v_mov_b32_e32 v11, 0
	;; [unrolled: 1-line block ×3, first 2 shown]
	s_and_saveexec_b64 s[4:5], s[0:1]
	s_cbranch_execz .LBB437_37
; %bb.32:
	v_mad_u64_u32 v[2:3], s[0:1], v4, s22, 0
	v_mov_b32_e32 v6, v3
	v_mad_u64_u32 v[6:7], s[0:1], v4, s23, v[6:7]
	v_mov_b32_e32 v3, v6
	v_lshl_add_u64 v[2:3], v[2:3], 1, s[24:25]
	flat_load_ushort v2, v[2:3]
	v_or_b32_e32 v3, 2, v33
	v_cmp_gt_i32_e64 s[0:1], s9, v3
	v_mov_b32_e32 v11, 0
	v_mov_b32_e32 v10, 0
	s_and_saveexec_b64 s[6:7], s[0:1]
	s_cbranch_execz .LBB437_36
; %bb.33:
	v_mad_u64_u32 v[6:7], s[0:1], v3, s22, 0
	v_mov_b32_e32 v8, v7
	v_mad_u64_u32 v[8:9], s[0:1], v3, s23, v[8:9]
	v_mov_b32_e32 v7, v8
	v_lshl_add_u64 v[6:7], v[6:7], 1, s[24:25]
	flat_load_ushort v3, v[6:7]
	v_or_b32_e32 v5, 3, v33
	v_cmp_gt_i32_e64 s[0:1], s9, v5
	v_mov_b32_e32 v10, 0
	s_and_saveexec_b64 s[26:27], s[0:1]
	s_cbranch_execz .LBB437_35
; %bb.34:
	v_mad_u64_u32 v[6:7], s[0:1], v5, s22, 0
	v_mov_b32_e32 v8, v7
	v_mad_u64_u32 v[8:9], s[0:1], v5, s23, v[8:9]
	v_mov_b32_e32 v7, v8
	v_lshl_add_u64 v[6:7], v[6:7], 1, s[24:25]
	flat_load_ushort v5, v[6:7]
	s_waitcnt vmcnt(0) lgkmcnt(0)
	v_cvt_f32_f16_e32 v10, v5
.LBB437_35:
	s_or_b64 exec, exec, s[26:27]
	s_waitcnt vmcnt(0) lgkmcnt(0)
	v_cvt_f32_f16_e32 v11, v3
.LBB437_36:
	s_or_b64 exec, exec, s[6:7]
	s_waitcnt vmcnt(0) lgkmcnt(0)
	v_cvt_f32_f16_e32 v12, v2
.LBB437_37:
	s_or_b64 exec, exec, s[4:5]
	s_waitcnt vmcnt(0) lgkmcnt(0)
	v_cvt_f32_f16_e32 v13, v1
.LBB437_38:
	s_or_b64 exec, exec, s[2:3]
	v_cmp_gt_i32_e64 s[0:1], s8, v0
	s_and_saveexec_b64 s[2:3], s[0:1]
	s_cbranch_execz .LBB437_46
; %bb.39:
	v_mad_u64_u32 v[2:3], s[0:1], v33, s18, 0
	v_mov_b32_e32 v6, v3
	v_mad_u64_u32 v[6:7], s[0:1], v33, s19, v[6:7]
	v_ashrrev_i32_e32 v1, 31, v0
	v_cndmask_b32_e32 v3, 0, v6, vcc
	v_mad_u64_u32 v[6:7], s[0:1], v4, s18, 0
	v_cndmask_b32_e32 v2, 0, v2, vcc
	v_lshlrev_b64 v[8:9], 1, v[0:1]
	v_mov_b32_e32 v14, v7
	v_cmp_gt_i32_e32 vcc, s9, v4
	v_or_b32_e32 v1, 2, v33
	v_mad_u64_u32 v[14:15], s[0:1], v4, s19, v[14:15]
	v_cndmask_b32_e32 v4, 0, v6, vcc
	v_mad_u64_u32 v[6:7], s[0:1], v1, s18, 0
	v_cndmask_b32_e32 v5, 0, v14, vcc
	v_mov_b32_e32 v14, v7
	v_mad_u64_u32 v[14:15], s[0:1], v1, s19, v[14:15]
	v_cmp_gt_i32_e32 vcc, s9, v1
	v_or_b32_e32 v1, 3, v33
	v_lshl_add_u64 v[2:3], v[2:3], 1, s[20:21]
	v_cndmask_b32_e32 v7, 0, v14, vcc
	v_mad_u64_u32 v[14:15], s[0:1], v1, s18, 0
	v_mov_b32_e32 v16, v15
	v_cndmask_b32_e32 v6, 0, v6, vcc
	v_mad_u64_u32 v[16:17], s[0:1], v1, s19, v[16:17]
	v_cmp_gt_i32_e32 vcc, s9, v1
	v_lshl_add_u64 v[2:3], v[2:3], 0, v[8:9]
	v_lshl_add_u64 v[4:5], v[4:5], 1, s[20:21]
	v_cndmask_b32_e32 v14, 0, v14, vcc
	v_cndmask_b32_e32 v15, 0, v16, vcc
	v_lshl_add_u64 v[6:7], v[6:7], 1, s[20:21]
	v_lshl_add_u64 v[14:15], v[14:15], 1, s[20:21]
	;; [unrolled: 1-line block ×4, first 2 shown]
	flat_load_ushort v16, v[2:3]
	flat_load_ushort v17, v[4:5]
	;; [unrolled: 1-line block ×3, first 2 shown]
	v_lshl_add_u64 v[8:9], v[14:15], 0, v[8:9]
	flat_load_ushort v1, v[8:9]
	v_add_u32_e32 v15, 64, v0
	v_cmp_gt_i32_e32 vcc, s8, v15
	s_waitcnt vmcnt(0) lgkmcnt(0)
	v_fma_mix_f32 v14, v13, v16, v35 op_sel_hi:[0,1,0]
	v_fma_mix_f32 v14, v12, v17, v14 op_sel_hi:[0,1,0]
	v_fma_mix_f32 v14, v11, v18, v14 op_sel_hi:[0,1,0]
	s_and_saveexec_b64 s[0:1], vcc
	s_cbranch_execz .LBB437_45
; %bb.40:
	flat_load_ushort v16, v[2:3] offset:128
	flat_load_ushort v17, v[4:5] offset:128
	flat_load_ushort v18, v[6:7] offset:128
	flat_load_ushort v15, v[8:9] offset:128
	v_add_u32_e32 v19, 0x80, v0
	v_cmp_gt_i32_e32 vcc, s8, v19
	s_waitcnt vmcnt(0) lgkmcnt(0)
	v_fma_mix_f32 v16, v13, v16, v34 op_sel_hi:[0,1,0]
	v_fma_mix_f32 v16, v12, v17, v16 op_sel_hi:[0,1,0]
	v_fma_mix_f32 v16, v11, v18, v16 op_sel_hi:[0,1,0]
	s_and_saveexec_b64 s[4:5], vcc
	s_cbranch_execz .LBB437_44
; %bb.41:
	flat_load_ushort v18, v[2:3] offset:256
	flat_load_ushort v19, v[4:5] offset:256
	flat_load_ushort v20, v[6:7] offset:256
	flat_load_ushort v17, v[8:9] offset:256
	;; [unrolled: 13-line block ×3, first 2 shown]
	s_waitcnt vmcnt(0) lgkmcnt(0)
	v_fma_mix_f32 v2, v13, v18, v31 op_sel_hi:[0,1,0]
	v_fma_mix_f32 v2, v12, v19, v2 op_sel_hi:[0,1,0]
	;; [unrolled: 1-line block ×4, first 2 shown]
.LBB437_43:
	s_or_b64 exec, exec, s[6:7]
	v_fma_mix_f32 v32, v10, v17, v0 op_sel_hi:[0,1,0]
.LBB437_44:
	s_or_b64 exec, exec, s[4:5]
	v_fma_mix_f32 v34, v10, v15, v16 op_sel_hi:[0,1,0]
.LBB437_45:
	s_or_b64 exec, exec, s[0:1]
	v_fma_mix_f32 v35, v10, v1, v14 op_sel_hi:[0,1,0]
.LBB437_46:
	s_or_b64 exec, exec, s[2:3]
.LBB437_47:
	v_lshlrev_b32_e32 v0, 8, v30
	s_movk_i32 s0, 0x100
	v_add_lshl_u32 v0, v0, v29, 2
	v_cmp_gt_u32_e32 vcc, s0, v28
	ds_write2st64_b32 v0, v35, v34 offset1:1
	ds_write2st64_b32 v0, v32, v31 offset0:2 offset1:3
	s_waitcnt lgkmcnt(0)
	s_barrier
	s_waitcnt lgkmcnt(0)
                                        ; implicit-def: $vgpr3
                                        ; implicit-def: $vgpr0_vgpr1
	s_and_saveexec_b64 s[0:1], vcc
	s_cbranch_execz .LBB437_53
; %bb.48:
	v_lshlrev_b32_e32 v10, 2, v28
	ds_read2st64_b32 v[0:1], v10 offset1:4
	ds_read2st64_b32 v[2:3], v10 offset0:8 offset1:12
	ds_read2st64_b32 v[4:5], v10 offset0:16 offset1:20
	;; [unrolled: 1-line block ×4, first 2 shown]
	s_waitcnt lgkmcnt(4)
	v_add_f32_e32 v0, v0, v1
	s_waitcnt lgkmcnt(3)
	v_add_f32_e32 v0, v2, v0
	v_add_f32_e32 v0, v3, v0
	s_waitcnt lgkmcnt(2)
	v_add_f32_e32 v0, v4, v0
	;; [unrolled: 3-line block ×3, first 2 shown]
	v_add_f32_e32 v2, v7, v0
	ds_read2st64_b32 v[0:1], v10 offset0:40 offset1:44
	s_waitcnt lgkmcnt(1)
	v_add_f32_e32 v4, v8, v2
	ds_read2st64_b32 v[2:3], v10 offset0:48 offset1:52
	v_add_f32_e32 v6, v9, v4
	ds_read2st64_b32 v[4:5], v10 offset0:56 offset1:60
	s_waitcnt lgkmcnt(2)
	v_add_f32_e32 v0, v0, v6
	v_add_f32_e32 v0, v1, v0
	s_waitcnt lgkmcnt(1)
	v_add_f32_e32 v0, v2, v0
	v_add_f32_e32 v0, v3, v0
	s_waitcnt lgkmcnt(0)
	v_add_f32_e32 v0, v4, v0
	v_or_b32_e32 v4, s33, v28
	v_add_f32_e32 v2, v5, v0
	v_cmp_gt_i32_e32 vcc, s8, v4
	s_mov_b64 s[4:5], s[14:15]
	ds_write_b32 v10, v2
                                        ; implicit-def: $vgpr3
                                        ; implicit-def: $vgpr0_vgpr1
	s_and_saveexec_b64 s[2:3], vcc
	s_cbranch_execz .LBB437_52
; %bb.49:
	v_ashrrev_i32_e32 v0, 31, v4
	v_cmp_eq_f32_e64 s[4:5], s11, 0
	v_mul_lo_u32 v3, v4, s17
	v_mul_lo_u32 v5, v0, s16
	v_mad_u64_u32 v[0:1], s[6:7], v4, s16, 0
	v_mul_f32_e32 v2, s10, v2
	v_add3_u32 v1, v1, v3, v5
	s_and_b64 vcc, exec, s[4:5]
	s_cbranch_vccnz .LBB437_51
; %bb.50:
	v_lshl_add_u64 v[4:5], v[0:1], 1, s[12:13]
	global_load_ushort v3, v[4:5], off
	s_waitcnt vmcnt(0)
	v_fma_mix_f32 v2, v3, s11, v2 op_sel_hi:[1,0,0]
.LBB437_51:
	s_nop 0
	v_cvt_f16_f32_e32 v3, v2
	s_or_b64 s[4:5], s[14:15], exec
.LBB437_52:
	s_or_b64 exec, exec, s[2:3]
	s_andn2_b64 s[2:3], s[14:15], exec
	s_and_b64 s[4:5], s[4:5], exec
	s_or_b64 s[14:15], s[2:3], s[4:5]
.LBB437_53:
	s_or_b64 exec, exec, s[0:1]
.LBB437_54:
	s_and_saveexec_b64 s[0:1], s[14:15]
	s_cbranch_execz .LBB437_56
; %bb.55:
	v_lshl_add_u64 v[0:1], v[0:1], 1, s[12:13]
	global_store_short v[0:1], v3, off
.LBB437_56:
	s_endpgm
	.section	.rodata,"a",@progbits
	.p2align	6, 0x0
	.amdhsa_kernel _ZL20rocblas_gemvn_kernelILi64ELi16ElPKDF16_fKPDF16_EviiT3_lPKT2_lT1_lS7_lS8_lS4_lPT4_lS8_li
		.amdhsa_group_segment_fixed_size 16384
		.amdhsa_private_segment_fixed_size 0
		.amdhsa_kernarg_size 400
		.amdhsa_user_sgpr_count 2
		.amdhsa_user_sgpr_dispatch_ptr 0
		.amdhsa_user_sgpr_queue_ptr 0
		.amdhsa_user_sgpr_kernarg_segment_ptr 1
		.amdhsa_user_sgpr_dispatch_id 0
		.amdhsa_user_sgpr_kernarg_preload_length 0
		.amdhsa_user_sgpr_kernarg_preload_offset 0
		.amdhsa_user_sgpr_private_segment_size 0
		.amdhsa_uses_dynamic_stack 0
		.amdhsa_enable_private_segment 0
		.amdhsa_system_sgpr_workgroup_id_x 1
		.amdhsa_system_sgpr_workgroup_id_y 0
		.amdhsa_system_sgpr_workgroup_id_z 1
		.amdhsa_system_sgpr_workgroup_info 0
		.amdhsa_system_vgpr_workitem_id 1
		.amdhsa_next_free_vgpr 59
		.amdhsa_next_free_sgpr 45
		.amdhsa_accum_offset 60
		.amdhsa_reserve_vcc 1
		.amdhsa_float_round_mode_32 0
		.amdhsa_float_round_mode_16_64 0
		.amdhsa_float_denorm_mode_32 3
		.amdhsa_float_denorm_mode_16_64 3
		.amdhsa_dx10_clamp 1
		.amdhsa_ieee_mode 1
		.amdhsa_fp16_overflow 0
		.amdhsa_tg_split 0
		.amdhsa_exception_fp_ieee_invalid_op 0
		.amdhsa_exception_fp_denorm_src 0
		.amdhsa_exception_fp_ieee_div_zero 0
		.amdhsa_exception_fp_ieee_overflow 0
		.amdhsa_exception_fp_ieee_underflow 0
		.amdhsa_exception_fp_ieee_inexact 0
		.amdhsa_exception_int_div_zero 0
	.end_amdhsa_kernel
	.section	.text._ZL20rocblas_gemvn_kernelILi64ELi16ElPKDF16_fKPDF16_EviiT3_lPKT2_lT1_lS7_lS8_lS4_lPT4_lS8_li,"axG",@progbits,_ZL20rocblas_gemvn_kernelILi64ELi16ElPKDF16_fKPDF16_EviiT3_lPKT2_lT1_lS7_lS8_lS4_lPT4_lS8_li,comdat
.Lfunc_end437:
	.size	_ZL20rocblas_gemvn_kernelILi64ELi16ElPKDF16_fKPDF16_EviiT3_lPKT2_lT1_lS7_lS8_lS4_lPT4_lS8_li, .Lfunc_end437-_ZL20rocblas_gemvn_kernelILi64ELi16ElPKDF16_fKPDF16_EviiT3_lPKT2_lT1_lS7_lS8_lS4_lPT4_lS8_li
                                        ; -- End function
	.section	.AMDGPU.csdata,"",@progbits
; Kernel info:
; codeLenInByte = 2764
; NumSgprs: 51
; NumVgprs: 59
; NumAgprs: 0
; TotalNumVgprs: 59
; ScratchSize: 0
; MemoryBound: 0
; FloatMode: 240
; IeeeMode: 1
; LDSByteSize: 16384 bytes/workgroup (compile time only)
; SGPRBlocks: 6
; VGPRBlocks: 7
; NumSGPRsForWavesPerEU: 51
; NumVGPRsForWavesPerEU: 59
; AccumOffset: 60
; Occupancy: 8
; WaveLimiterHint : 1
; COMPUTE_PGM_RSRC2:SCRATCH_EN: 0
; COMPUTE_PGM_RSRC2:USER_SGPR: 2
; COMPUTE_PGM_RSRC2:TRAP_HANDLER: 0
; COMPUTE_PGM_RSRC2:TGID_X_EN: 1
; COMPUTE_PGM_RSRC2:TGID_Y_EN: 0
; COMPUTE_PGM_RSRC2:TGID_Z_EN: 1
; COMPUTE_PGM_RSRC2:TIDIG_COMP_CNT: 1
; COMPUTE_PGM_RSRC3_GFX90A:ACCUM_OFFSET: 14
; COMPUTE_PGM_RSRC3_GFX90A:TG_SPLIT: 0
	.section	.text._ZL22rocblas_gemvtsm_kernelILb0ELi256EPKDF16_PKfKPDF16_EviiT2_lPKT1_lilS9_lilS6_lPT3_lil,"axG",@progbits,_ZL22rocblas_gemvtsm_kernelILb0ELi256EPKDF16_PKfKPDF16_EviiT2_lPKT1_lilS9_lilS6_lPT3_lil,comdat
	.globl	_ZL22rocblas_gemvtsm_kernelILb0ELi256EPKDF16_PKfKPDF16_EviiT2_lPKT1_lilS9_lilS6_lPT3_lil ; -- Begin function _ZL22rocblas_gemvtsm_kernelILb0ELi256EPKDF16_PKfKPDF16_EviiT2_lPKT1_lilS9_lilS6_lPT3_lil
	.p2align	8
	.type	_ZL22rocblas_gemvtsm_kernelILb0ELi256EPKDF16_PKfKPDF16_EviiT2_lPKT1_lilS9_lilS6_lPT3_lil,@function
_ZL22rocblas_gemvtsm_kernelILb0ELi256EPKDF16_PKfKPDF16_EviiT2_lPKT1_lilS9_lilS6_lPT3_lil: ; @_ZL22rocblas_gemvtsm_kernelILb0ELi256EPKDF16_PKfKPDF16_EviiT2_lPKT1_lilS9_lilS6_lPT3_lil
; %bb.0:
	s_load_dwordx8 s[12:19], s[0:1], 0x8
	s_load_dwordx8 s[4:11], s[0:1], 0x58
	s_waitcnt lgkmcnt(0)
	s_mul_i32 s3, s2, s15
	s_mul_hi_u32 s15, s2, s14
	s_add_i32 s15, s15, s3
	s_mul_i32 s14, s2, s14
	s_lshl_b64 s[14:15], s[14:15], 2
	s_add_u32 s12, s12, s14
	s_mul_i32 s3, s2, s7
	s_mul_hi_u32 s7, s2, s6
	s_addc_u32 s13, s13, s15
	s_add_i32 s7, s7, s3
	s_mul_i32 s6, s2, s6
	s_lshl_b64 s[6:7], s[6:7], 2
	s_add_u32 s4, s4, s6
	s_addc_u32 s5, s5, s7
	s_load_dword s23, s[12:13], 0x0
	s_load_dword s22, s[4:5], 0x0
	s_waitcnt lgkmcnt(0)
	v_cmp_eq_f32_e64 s[20:21], s23, 0
	v_cmp_eq_f32_e64 s[4:5], s22, 1.0
	s_and_b64 s[4:5], s[20:21], s[4:5]
	s_and_b64 vcc, exec, s[4:5]
	s_cbranch_vccnz .LBB438_38
; %bb.1:
	s_mov_b32 s3, 0
	v_cmp_neq_f32_e64 s[12:13], s23, 0
	s_mov_b64 s[6:7], 0
	s_and_b64 vcc, exec, s[20:21]
	s_mov_b64 s[4:5], 0
	s_cbranch_vccnz .LBB438_3
; %bb.2:
	s_lshl_b64 s[4:5], s[2:3], 3
	s_add_u32 s4, s16, s4
	s_addc_u32 s5, s17, s5
	s_load_dwordx2 s[4:5], s[4:5], 0x0
	s_lshl_b64 s[14:15], s[18:19], 1
	s_waitcnt lgkmcnt(0)
	s_add_u32 s4, s4, s14
	s_addc_u32 s5, s5, s15
.LBB438_3:
	s_andn2_b64 vcc, exec, s[12:13]
	s_cbranch_vccnz .LBB438_5
; %bb.4:
	s_load_dwordx4 s[12:15], s[0:1], 0x38
	s_lshl_b64 s[6:7], s[2:3], 3
	s_waitcnt lgkmcnt(0)
	s_add_u32 s6, s12, s6
	s_addc_u32 s7, s13, s7
	s_load_dwordx2 s[6:7], s[6:7], 0x0
	s_lshl_b64 s[12:13], s[14:15], 1
	s_waitcnt lgkmcnt(0)
	s_add_u32 s6, s6, s12
	s_addc_u32 s7, s7, s13
.LBB438_5:
	s_lshl_b64 s[2:3], s[2:3], 3
	s_add_u32 s2, s8, s2
	s_addc_u32 s3, s9, s3
	s_load_dwordx2 s[12:13], s[0:1], 0x0
	s_load_dword s14, s[0:1], 0x78
	s_load_dwordx2 s[8:9], s[2:3], 0x0
	s_andn2_b64 vcc, exec, s[20:21]
	s_mov_b64 s[2:3], -1
	s_cbranch_vccnz .LBB438_20
; %bb.6:
	s_waitcnt lgkmcnt(0)
	s_cmp_gt_i32 s13, 0
	s_cselect_b64 s[16:17], -1, 0
	v_cmp_neq_f32_e64 s[2:3], s22, 0
	v_cndmask_b32_e64 v1, 0, 1, s[16:17]
	s_and_b64 vcc, exec, s[2:3]
	v_cmp_ne_u32_e64 s[2:3], 1, v1
	s_cbranch_vccnz .LBB438_13
; %bb.7:
	s_and_b64 vcc, exec, s[2:3]
	s_cbranch_vccnz .LBB438_12
; %bb.8:
	v_mad_i64_i32 v[2:3], s[16:17], s14, v0, 0
	s_ashr_i32 s15, s14, 31
	s_lshl_b64 s[16:17], s[10:11], 1
	s_add_u32 s16, s8, s16
	s_addc_u32 s17, s9, s17
	v_lshl_add_u64 v[2:3], v[2:3], 1, s[16:17]
	s_lshl_b64 s[16:17], s[14:15], 9
	s_mov_b32 s15, 0
	v_mov_b32_e32 v1, 0
	s_branch .LBB438_10
.LBB438_9:                              ;   in Loop: Header=BB438_10 Depth=1
	s_or_b64 exec, exec, s[18:19]
	s_addk_i32 s15, 0x100
	s_cmp_ge_i32 s15, s13
	v_lshl_add_u64 v[2:3], v[2:3], 0, s[16:17]
	s_cbranch_scc1 .LBB438_12
.LBB438_10:                             ; =>This Inner Loop Header: Depth=1
	v_add_u32_e32 v4, s15, v0
	v_cmp_gt_i32_e32 vcc, s13, v4
	s_and_saveexec_b64 s[18:19], vcc
	s_cbranch_execz .LBB438_9
; %bb.11:                               ;   in Loop: Header=BB438_10 Depth=1
	global_store_short v[2:3], v1, off
	s_branch .LBB438_9
.LBB438_12:
	s_cbranch_execz .LBB438_14
	s_branch .LBB438_19
.LBB438_13:
.LBB438_14:
	s_and_b64 vcc, exec, s[2:3]
	s_cbranch_vccnz .LBB438_19
; %bb.15:
	v_mad_i64_i32 v[2:3], s[2:3], s14, v0, 0
	s_ashr_i32 s15, s14, 31
	s_lshl_b64 s[2:3], s[10:11], 1
	s_add_u32 s2, s8, s2
	s_addc_u32 s3, s9, s3
	v_lshl_add_u64 v[2:3], v[2:3], 1, s[2:3]
	s_lshl_b64 s[2:3], s[14:15], 9
	s_mov_b32 s15, 0
	s_branch .LBB438_17
.LBB438_16:                             ;   in Loop: Header=BB438_17 Depth=1
	s_or_b64 exec, exec, s[16:17]
	s_addk_i32 s15, 0x100
	s_cmp_ge_i32 s15, s13
	v_lshl_add_u64 v[2:3], v[2:3], 0, s[2:3]
	s_cbranch_scc1 .LBB438_19
.LBB438_17:                             ; =>This Inner Loop Header: Depth=1
	v_add_u32_e32 v1, s15, v0
	v_cmp_gt_i32_e32 vcc, s13, v1
	s_and_saveexec_b64 s[16:17], vcc
	s_cbranch_execz .LBB438_16
; %bb.18:                               ;   in Loop: Header=BB438_17 Depth=1
	global_load_ushort v1, v[2:3], off
	s_waitcnt vmcnt(0)
	v_fma_mixlo_f16 v1, s22, v1, 0 op_sel_hi:[0,1,0]
	global_store_short v[2:3], v1, off
	s_branch .LBB438_16
.LBB438_19:
	s_mov_b64 s[2:3], 0
.LBB438_20:
	s_andn2_b64 vcc, exec, s[2:3]
	s_cbranch_vccnz .LBB438_38
; %bb.21:
	s_waitcnt lgkmcnt(0)
	v_cmp_gt_i32_e32 vcc, s12, v0
	s_and_saveexec_b64 s[2:3], vcc
	s_cbranch_execz .LBB438_23
; %bb.22:
	s_load_dword s15, s[0:1], 0x48
	s_waitcnt lgkmcnt(0)
	v_mad_i64_i32 v[2:3], s[16:17], s15, v0, 0
	v_lshl_add_u64 v[2:3], v[2:3], 1, s[6:7]
	flat_load_ushort v1, v[2:3]
	v_lshlrev_b32_e32 v2, 2, v0
	s_waitcnt vmcnt(0) lgkmcnt(0)
	v_cvt_f32_f16_e32 v1, v1
	v_mul_f32_e32 v1, s23, v1
	ds_write_b32 v2, v1
.LBB438_23:
	s_or_b64 exec, exec, s[2:3]
	s_cmp_lt_i32 s13, 1
	s_waitcnt lgkmcnt(0)
	s_barrier
	s_cbranch_scc1 .LBB438_38
; %bb.24:
	s_load_dword s0, s[0:1], 0x28
	s_lshl_b64 s[2:3], s[10:11], 1
	s_add_u32 s8, s8, s2
	s_addc_u32 s9, s9, s3
	s_ashr_i32 s15, s14, 31
	s_waitcnt lgkmcnt(0)
	s_ashr_i32 s1, s0, 31
	s_cmp_gt_i32 s12, 0
	s_cselect_b64 s[2:3], -1, 0
	s_and_b32 s20, s12, 7
	s_cmp_gt_u32 s12, 7
	s_cselect_b64 s[6:7], -1, 0
	s_and_b32 s12, s12, 0x7ffffff8
	s_cmp_lg_u32 s20, 0
	v_mad_i64_i32 v[2:3], s[16:17], s0, v0, 0
	s_cselect_b64 s[18:19], -1, 0
	s_lshl_b64 s[16:17], s[0:1], 9
	v_cmp_neq_f32_e64 s[0:1], s22, 0
	v_lshl_add_u64 v[2:3], v[2:3], 1, s[4:5]
	s_mov_b32 s11, 0
	v_cndmask_b32_e64 v1, 0, 1, s[0:1]
	v_cmp_ne_u32_e64 s[0:1], 1, v1
	v_cndmask_b32_e64 v1, 0, 1, s[2:3]
	v_cmp_ne_u32_e64 s[2:3], 1, v1
	;; [unrolled: 2-line block ×4, first 2 shown]
	s_mov_b32 s21, 0
	s_branch .LBB438_27
.LBB438_25:                             ;   in Loop: Header=BB438_27 Depth=1
	v_cvt_f16_f32_e32 v1, v1
	global_store_short v[4:5], v1, off
.LBB438_26:                             ;   in Loop: Header=BB438_27 Depth=1
	s_or_b64 exec, exec, s[18:19]
	s_addk_i32 s21, 0x100
	s_cmp_ge_i32 s21, s13
	v_lshl_add_u64 v[2:3], v[2:3], 0, s[16:17]
	s_cbranch_scc1 .LBB438_38
.LBB438_27:                             ; =>This Loop Header: Depth=1
                                        ;     Child Loop BB438_33 Depth 2
                                        ;     Child Loop BB438_37 Depth 2
	v_add_u32_e32 v1, s21, v0
	v_cmp_gt_i32_e32 vcc, s13, v1
	s_and_saveexec_b64 s[18:19], vcc
	s_cbranch_execz .LBB438_26
; %bb.28:                               ;   in Loop: Header=BB438_27 Depth=1
	v_mad_u64_u32 v[4:5], s[24:25], v1, s14, 0
	v_mov_b32_e32 v6, v5
	v_mad_u64_u32 v[6:7], s[24:25], v1, s15, v[6:7]
	v_mov_b32_e32 v5, v6
	s_and_b64 vcc, exec, s[0:1]
	v_lshl_add_u64 v[4:5], v[4:5], 1, s[8:9]
	s_cbranch_vccnz .LBB438_30
; %bb.29:                               ;   in Loop: Header=BB438_27 Depth=1
	global_load_ushort v1, v[4:5], off
	s_waitcnt vmcnt(0)
	v_cvt_f32_f16_e32 v1, v1
	v_mul_f32_e32 v1, s22, v1
	s_and_b64 vcc, exec, s[2:3]
	s_cbranch_vccz .LBB438_31
	s_branch .LBB438_25
.LBB438_30:                             ;   in Loop: Header=BB438_27 Depth=1
	v_mov_b32_e32 v1, 0
	s_and_b64 vcc, exec, s[2:3]
	s_cbranch_vccnz .LBB438_25
.LBB438_31:                             ;   in Loop: Header=BB438_27 Depth=1
	s_mov_b32 s10, 0
	s_and_b64 vcc, exec, s[4:5]
	s_cbranch_vccnz .LBB438_35
; %bb.32:                               ;   in Loop: Header=BB438_27 Depth=1
	s_mov_b32 s23, 0
	v_mov_b64_e32 v[6:7], v[2:3]
.LBB438_33:                             ;   Parent Loop BB438_27 Depth=1
                                        ; =>  This Inner Loop Header: Depth=2
	flat_load_dwordx4 v[8:11], v[6:7]
	v_mov_b32_e32 v16, s10
	ds_read_b128 v[12:15], v16
	ds_read_b128 v[16:19], v16 offset:16
	s_add_i32 s23, s23, 8
	s_add_i32 s10, s10, 32
	v_lshl_add_u64 v[6:7], v[6:7], 0, 16
	s_cmp_eq_u32 s12, s23
	s_waitcnt vmcnt(0) lgkmcnt(0)
	v_fma_mix_f32 v1, v12, v8, v1 op_sel_hi:[0,1,0]
	v_fma_mix_f32 v1, v13, v8, v1 op_sel:[0,1,0] op_sel_hi:[0,1,0]
	v_fma_mix_f32 v1, v14, v9, v1 op_sel_hi:[0,1,0]
	v_fma_mix_f32 v1, v15, v9, v1 op_sel:[0,1,0] op_sel_hi:[0,1,0]
	;; [unrolled: 2-line block ×4, first 2 shown]
	s_cbranch_scc0 .LBB438_33
; %bb.34:                               ;   in Loop: Header=BB438_27 Depth=1
	s_mov_b32 s10, s12
.LBB438_35:                             ;   in Loop: Header=BB438_27 Depth=1
	s_and_b64 vcc, exec, s[6:7]
	s_cbranch_vccnz .LBB438_25
; %bb.36:                               ;   in Loop: Header=BB438_27 Depth=1
	s_lshl_b32 s23, s10, 2
	s_lshl_b32 s10, s10, 1
	v_lshl_add_u64 v[6:7], v[2:3], 0, s[10:11]
	s_mov_b32 s10, s20
.LBB438_37:                             ;   Parent Loop BB438_27 Depth=1
                                        ; =>  This Inner Loop Header: Depth=2
	flat_load_ushort v8, v[6:7]
	v_mov_b32_e32 v9, s23
	ds_read_b32 v9, v9
	s_add_i32 s23, s23, 4
	s_add_i32 s10, s10, -1
	v_lshl_add_u64 v[6:7], v[6:7], 0, 2
	s_cmp_lg_u32 s10, 0
	s_waitcnt vmcnt(0) lgkmcnt(0)
	v_fma_mix_f32 v1, v9, v8, v1 op_sel_hi:[0,1,0]
	s_cbranch_scc1 .LBB438_37
	s_branch .LBB438_25
.LBB438_38:
	s_endpgm
	.section	.rodata,"a",@progbits
	.p2align	6, 0x0
	.amdhsa_kernel _ZL22rocblas_gemvtsm_kernelILb0ELi256EPKDF16_PKfKPDF16_EviiT2_lPKT1_lilS9_lilS6_lPT3_lil
		.amdhsa_group_segment_fixed_size 256
		.amdhsa_private_segment_fixed_size 0
		.amdhsa_kernarg_size 136
		.amdhsa_user_sgpr_count 2
		.amdhsa_user_sgpr_dispatch_ptr 0
		.amdhsa_user_sgpr_queue_ptr 0
		.amdhsa_user_sgpr_kernarg_segment_ptr 1
		.amdhsa_user_sgpr_dispatch_id 0
		.amdhsa_user_sgpr_kernarg_preload_length 0
		.amdhsa_user_sgpr_kernarg_preload_offset 0
		.amdhsa_user_sgpr_private_segment_size 0
		.amdhsa_uses_dynamic_stack 0
		.amdhsa_enable_private_segment 0
		.amdhsa_system_sgpr_workgroup_id_x 1
		.amdhsa_system_sgpr_workgroup_id_y 0
		.amdhsa_system_sgpr_workgroup_id_z 0
		.amdhsa_system_sgpr_workgroup_info 0
		.amdhsa_system_vgpr_workitem_id 0
		.amdhsa_next_free_vgpr 20
		.amdhsa_next_free_sgpr 26
		.amdhsa_accum_offset 20
		.amdhsa_reserve_vcc 1
		.amdhsa_float_round_mode_32 0
		.amdhsa_float_round_mode_16_64 0
		.amdhsa_float_denorm_mode_32 3
		.amdhsa_float_denorm_mode_16_64 3
		.amdhsa_dx10_clamp 1
		.amdhsa_ieee_mode 1
		.amdhsa_fp16_overflow 0
		.amdhsa_tg_split 0
		.amdhsa_exception_fp_ieee_invalid_op 0
		.amdhsa_exception_fp_denorm_src 0
		.amdhsa_exception_fp_ieee_div_zero 0
		.amdhsa_exception_fp_ieee_overflow 0
		.amdhsa_exception_fp_ieee_underflow 0
		.amdhsa_exception_fp_ieee_inexact 0
		.amdhsa_exception_int_div_zero 0
	.end_amdhsa_kernel
	.section	.text._ZL22rocblas_gemvtsm_kernelILb0ELi256EPKDF16_PKfKPDF16_EviiT2_lPKT1_lilS9_lilS6_lPT3_lil,"axG",@progbits,_ZL22rocblas_gemvtsm_kernelILb0ELi256EPKDF16_PKfKPDF16_EviiT2_lPKT1_lilS9_lilS6_lPT3_lil,comdat
.Lfunc_end438:
	.size	_ZL22rocblas_gemvtsm_kernelILb0ELi256EPKDF16_PKfKPDF16_EviiT2_lPKT1_lilS9_lilS6_lPT3_lil, .Lfunc_end438-_ZL22rocblas_gemvtsm_kernelILb0ELi256EPKDF16_PKfKPDF16_EviiT2_lPKT1_lilS9_lilS6_lPT3_lil
                                        ; -- End function
	.section	.AMDGPU.csdata,"",@progbits
; Kernel info:
; codeLenInByte = 1228
; NumSgprs: 32
; NumVgprs: 20
; NumAgprs: 0
; TotalNumVgprs: 20
; ScratchSize: 0
; MemoryBound: 0
; FloatMode: 240
; IeeeMode: 1
; LDSByteSize: 256 bytes/workgroup (compile time only)
; SGPRBlocks: 3
; VGPRBlocks: 2
; NumSGPRsForWavesPerEU: 32
; NumVGPRsForWavesPerEU: 20
; AccumOffset: 20
; Occupancy: 8
; WaveLimiterHint : 1
; COMPUTE_PGM_RSRC2:SCRATCH_EN: 0
; COMPUTE_PGM_RSRC2:USER_SGPR: 2
; COMPUTE_PGM_RSRC2:TRAP_HANDLER: 0
; COMPUTE_PGM_RSRC2:TGID_X_EN: 1
; COMPUTE_PGM_RSRC2:TGID_Y_EN: 0
; COMPUTE_PGM_RSRC2:TGID_Z_EN: 0
; COMPUTE_PGM_RSRC2:TIDIG_COMP_CNT: 0
; COMPUTE_PGM_RSRC3_GFX90A:ACCUM_OFFSET: 4
; COMPUTE_PGM_RSRC3_GFX90A:TG_SPLIT: 0
	.section	.text._ZL22rocblas_gemvtsm_kernelILb0ELi256EPKDF16_fKPDF16_EviiT2_lPKT1_lilS7_lilS4_lPT3_lil,"axG",@progbits,_ZL22rocblas_gemvtsm_kernelILb0ELi256EPKDF16_fKPDF16_EviiT2_lPKT1_lilS7_lilS4_lPT3_lil,comdat
	.globl	_ZL22rocblas_gemvtsm_kernelILb0ELi256EPKDF16_fKPDF16_EviiT2_lPKT1_lilS7_lilS4_lPT3_lil ; -- Begin function _ZL22rocblas_gemvtsm_kernelILb0ELi256EPKDF16_fKPDF16_EviiT2_lPKT1_lilS7_lilS4_lPT3_lil
	.p2align	8
	.type	_ZL22rocblas_gemvtsm_kernelILb0ELi256EPKDF16_fKPDF16_EviiT2_lPKT1_lilS7_lilS4_lPT3_lil,@function
_ZL22rocblas_gemvtsm_kernelILb0ELi256EPKDF16_fKPDF16_EviiT2_lPKT1_lilS7_lilS4_lPT3_lil: ; @_ZL22rocblas_gemvtsm_kernelILb0ELi256EPKDF16_fKPDF16_EviiT2_lPKT1_lilS7_lilS4_lPT3_lil
; %bb.0:
	s_load_dwordx4 s[8:11], s[0:1], 0x0
	s_load_dword s22, s[0:1], 0x58
	s_waitcnt lgkmcnt(0)
	v_cmp_eq_f32_e64 s[18:19], s10, 0
	v_cmp_eq_f32_e64 s[4:5], s22, 1.0
	s_and_b64 s[4:5], s[18:19], s[4:5]
	s_and_b64 vcc, exec, s[4:5]
	s_cbranch_vccnz .LBB439_41
; %bb.1:
	v_cmp_neq_f32_e64 s[4:5], s10, 0
	s_mov_b32 s3, 0
	s_and_b64 vcc, exec, s[4:5]
	s_cbranch_vccnz .LBB439_3
; %bb.2:
	s_mov_b64 s[14:15], 0
	s_cbranch_execz .LBB439_4
	s_branch .LBB439_5
.LBB439_3:
                                        ; implicit-def: $sgpr14_sgpr15
.LBB439_4:
	s_load_dwordx4 s[12:15], s[0:1], 0x18
	s_lshl_b64 s[6:7], s[2:3], 3
	s_waitcnt lgkmcnt(0)
	s_add_u32 s6, s12, s6
	s_addc_u32 s7, s13, s7
	s_load_dwordx2 s[6:7], s[6:7], 0x0
	s_lshl_b64 s[12:13], s[14:15], 1
	s_waitcnt lgkmcnt(0)
	s_add_u32 s14, s6, s12
	s_addc_u32 s15, s7, s13
.LBB439_5:
	s_andn2_b64 vcc, exec, s[4:5]
	s_cbranch_vccnz .LBB439_7
; %bb.6:
	s_load_dwordx4 s[4:7], s[0:1], 0x38
	s_lshl_b64 s[12:13], s[2:3], 3
	s_waitcnt lgkmcnt(0)
	s_add_u32 s4, s4, s12
	s_addc_u32 s5, s5, s13
	s_load_dwordx2 s[4:5], s[4:5], 0x0
	s_lshl_b64 s[6:7], s[6:7], 1
	s_waitcnt lgkmcnt(0)
	s_add_u32 s16, s4, s6
	s_addc_u32 s17, s5, s7
	s_branch .LBB439_8
.LBB439_7:
	s_mov_b64 s[16:17], 0
.LBB439_8:
	s_load_dwordx4 s[4:7], s[0:1], 0x68
	s_load_dword s12, s[0:1], 0x78
	s_lshl_b64 s[2:3], s[2:3], 3
	s_waitcnt lgkmcnt(0)
	s_add_u32 s2, s4, s2
	s_addc_u32 s3, s5, s3
	s_load_dwordx2 s[4:5], s[2:3], 0x0
	s_andn2_b64 vcc, exec, s[18:19]
	s_mov_b64 s[2:3], -1
	s_cbranch_vccnz .LBB439_23
; %bb.9:
	s_cmp_gt_i32 s9, 0
	s_cselect_b64 s[18:19], -1, 0
	v_cmp_neq_f32_e64 s[2:3], s22, 0
	v_cndmask_b32_e64 v1, 0, 1, s[18:19]
	s_and_b64 vcc, exec, s[2:3]
	v_cmp_ne_u32_e64 s[2:3], 1, v1
	s_cbranch_vccnz .LBB439_16
; %bb.10:
	s_and_b64 vcc, exec, s[2:3]
	s_cbranch_vccnz .LBB439_15
; %bb.11:
	v_mad_i64_i32 v[2:3], s[18:19], s12, v0, 0
	s_ashr_i32 s13, s12, 31
	s_lshl_b64 s[18:19], s[6:7], 1
	s_waitcnt lgkmcnt(0)
	s_add_u32 s18, s4, s18
	s_addc_u32 s19, s5, s19
	v_lshl_add_u64 v[2:3], v[2:3], 1, s[18:19]
	s_lshl_b64 s[18:19], s[12:13], 9
	s_mov_b32 s11, 0
	v_mov_b32_e32 v1, 0
	s_branch .LBB439_13
.LBB439_12:                             ;   in Loop: Header=BB439_13 Depth=1
	s_or_b64 exec, exec, s[20:21]
	s_addk_i32 s11, 0x100
	s_cmp_ge_i32 s11, s9
	v_lshl_add_u64 v[2:3], v[2:3], 0, s[18:19]
	s_cbranch_scc1 .LBB439_15
.LBB439_13:                             ; =>This Inner Loop Header: Depth=1
	v_add_u32_e32 v4, s11, v0
	v_cmp_gt_i32_e32 vcc, s9, v4
	s_and_saveexec_b64 s[20:21], vcc
	s_cbranch_execz .LBB439_12
; %bb.14:                               ;   in Loop: Header=BB439_13 Depth=1
	global_store_short v[2:3], v1, off
	s_branch .LBB439_12
.LBB439_15:
	s_cbranch_execz .LBB439_17
	s_branch .LBB439_22
.LBB439_16:
.LBB439_17:
	s_and_b64 vcc, exec, s[2:3]
	s_cbranch_vccnz .LBB439_22
; %bb.18:
	v_mad_i64_i32 v[2:3], s[2:3], s12, v0, 0
	s_ashr_i32 s13, s12, 31
	s_lshl_b64 s[2:3], s[6:7], 1
	s_waitcnt lgkmcnt(0)
	s_add_u32 s2, s4, s2
	s_addc_u32 s3, s5, s3
	v_lshl_add_u64 v[2:3], v[2:3], 1, s[2:3]
	s_lshl_b64 s[2:3], s[12:13], 9
	s_mov_b32 s11, 0
	s_branch .LBB439_20
.LBB439_19:                             ;   in Loop: Header=BB439_20 Depth=1
	s_or_b64 exec, exec, s[18:19]
	s_addk_i32 s11, 0x100
	s_cmp_ge_i32 s11, s9
	v_lshl_add_u64 v[2:3], v[2:3], 0, s[2:3]
	s_cbranch_scc1 .LBB439_22
.LBB439_20:                             ; =>This Inner Loop Header: Depth=1
	v_add_u32_e32 v1, s11, v0
	v_cmp_gt_i32_e32 vcc, s9, v1
	s_and_saveexec_b64 s[18:19], vcc
	s_cbranch_execz .LBB439_19
; %bb.21:                               ;   in Loop: Header=BB439_20 Depth=1
	global_load_ushort v1, v[2:3], off
	s_waitcnt vmcnt(0)
	v_fma_mixlo_f16 v1, v1, s22, 0 op_sel_hi:[1,0,0]
	global_store_short v[2:3], v1, off
	s_branch .LBB439_19
.LBB439_22:
	s_mov_b64 s[2:3], 0
.LBB439_23:
	s_andn2_b64 vcc, exec, s[2:3]
	s_cbranch_vccnz .LBB439_41
; %bb.24:
	v_cmp_gt_i32_e32 vcc, s8, v0
	s_and_saveexec_b64 s[2:3], vcc
	s_cbranch_execz .LBB439_26
; %bb.25:
	s_load_dword s11, s[0:1], 0x48
	s_waitcnt lgkmcnt(0)
	v_mad_i64_i32 v[2:3], s[18:19], s11, v0, 0
	v_lshl_add_u64 v[2:3], v[2:3], 1, s[16:17]
	flat_load_ushort v1, v[2:3]
	v_lshlrev_b32_e32 v2, 2, v0
	s_waitcnt vmcnt(0) lgkmcnt(0)
	v_cvt_f32_f16_e32 v1, v1
	v_mul_f32_e32 v1, s10, v1
	ds_write_b32 v2, v1
.LBB439_26:
	s_or_b64 exec, exec, s[2:3]
	s_cmp_lt_i32 s9, 1
	s_waitcnt lgkmcnt(0)
	s_barrier
	s_cbranch_scc1 .LBB439_41
; %bb.27:
	s_load_dword s0, s[0:1], 0x28
	s_lshl_b64 s[2:3], s[6:7], 1
	s_add_u32 s10, s4, s2
	s_addc_u32 s11, s5, s3
	s_ashr_i32 s13, s12, 31
	s_waitcnt lgkmcnt(0)
	s_ashr_i32 s1, s0, 31
	s_cmp_gt_i32 s8, 0
	s_cselect_b64 s[2:3], -1, 0
	s_and_b32 s20, s8, 7
	s_cmp_gt_u32 s8, 7
	s_cselect_b64 s[4:5], -1, 0
	s_and_b32 s8, s8, 0x7ffffff8
	s_cmp_lg_u32 s20, 0
	v_mad_i64_i32 v[2:3], s[18:19], s0, v0, 0
	s_cselect_b64 s[6:7], -1, 0
	v_lshl_add_u64 v[2:3], v[2:3], 1, s[14:15]
	s_lshl_b64 s[14:15], s[0:1], 9
	v_cmp_neq_f32_e64 s[0:1], s22, 0
	s_mov_b32 s17, 0
	s_mov_b32 s21, 0
	v_cndmask_b32_e64 v1, 0, 1, s[0:1]
	v_cmp_ne_u32_e64 s[0:1], 1, v1
	v_cndmask_b32_e64 v1, 0, 1, s[2:3]
	v_cmp_ne_u32_e64 s[2:3], 1, v1
	;; [unrolled: 2-line block ×4, first 2 shown]
	s_branch .LBB439_30
.LBB439_28:                             ;   in Loop: Header=BB439_30 Depth=1
	v_cvt_f16_f32_e32 v1, v1
	global_store_short v[4:5], v1, off
.LBB439_29:                             ;   in Loop: Header=BB439_30 Depth=1
	s_or_b64 exec, exec, s[18:19]
	s_addk_i32 s21, 0x100
	s_cmp_ge_i32 s21, s9
	v_lshl_add_u64 v[2:3], v[2:3], 0, s[14:15]
	s_cbranch_scc1 .LBB439_41
.LBB439_30:                             ; =>This Loop Header: Depth=1
                                        ;     Child Loop BB439_36 Depth 2
                                        ;     Child Loop BB439_40 Depth 2
	v_add_u32_e32 v1, s21, v0
	v_cmp_gt_i32_e32 vcc, s9, v1
	s_and_saveexec_b64 s[18:19], vcc
	s_cbranch_execz .LBB439_29
; %bb.31:                               ;   in Loop: Header=BB439_30 Depth=1
	v_mad_u64_u32 v[4:5], s[24:25], v1, s12, 0
	v_mov_b32_e32 v6, v5
	v_mad_u64_u32 v[6:7], s[24:25], v1, s13, v[6:7]
	v_mov_b32_e32 v5, v6
	s_and_b64 vcc, exec, s[0:1]
	v_lshl_add_u64 v[4:5], v[4:5], 1, s[10:11]
	s_cbranch_vccnz .LBB439_33
; %bb.32:                               ;   in Loop: Header=BB439_30 Depth=1
	global_load_ushort v1, v[4:5], off
	s_waitcnt vmcnt(0)
	v_cvt_f32_f16_e32 v1, v1
	v_mul_f32_e32 v1, s22, v1
	s_and_b64 vcc, exec, s[2:3]
	s_cbranch_vccz .LBB439_34
	s_branch .LBB439_28
.LBB439_33:                             ;   in Loop: Header=BB439_30 Depth=1
	v_mov_b32_e32 v1, 0
	s_and_b64 vcc, exec, s[2:3]
	s_cbranch_vccnz .LBB439_28
.LBB439_34:                             ;   in Loop: Header=BB439_30 Depth=1
	s_mov_b32 s16, 0
	s_and_b64 vcc, exec, s[4:5]
	s_cbranch_vccnz .LBB439_38
; %bb.35:                               ;   in Loop: Header=BB439_30 Depth=1
	s_mov_b32 s23, 0
	v_mov_b64_e32 v[6:7], v[2:3]
.LBB439_36:                             ;   Parent Loop BB439_30 Depth=1
                                        ; =>  This Inner Loop Header: Depth=2
	flat_load_dwordx4 v[8:11], v[6:7]
	v_mov_b32_e32 v16, s16
	ds_read_b128 v[12:15], v16
	ds_read_b128 v[16:19], v16 offset:16
	s_add_i32 s23, s23, 8
	s_add_i32 s16, s16, 32
	v_lshl_add_u64 v[6:7], v[6:7], 0, 16
	s_cmp_eq_u32 s8, s23
	s_waitcnt vmcnt(0) lgkmcnt(0)
	v_fma_mix_f32 v1, v12, v8, v1 op_sel_hi:[0,1,0]
	v_fma_mix_f32 v1, v13, v8, v1 op_sel:[0,1,0] op_sel_hi:[0,1,0]
	v_fma_mix_f32 v1, v14, v9, v1 op_sel_hi:[0,1,0]
	v_fma_mix_f32 v1, v15, v9, v1 op_sel:[0,1,0] op_sel_hi:[0,1,0]
	;; [unrolled: 2-line block ×4, first 2 shown]
	s_cbranch_scc0 .LBB439_36
; %bb.37:                               ;   in Loop: Header=BB439_30 Depth=1
	s_mov_b32 s16, s8
.LBB439_38:                             ;   in Loop: Header=BB439_30 Depth=1
	s_and_b64 vcc, exec, s[6:7]
	s_cbranch_vccnz .LBB439_28
; %bb.39:                               ;   in Loop: Header=BB439_30 Depth=1
	s_lshl_b32 s23, s16, 2
	s_lshl_b32 s16, s16, 1
	v_lshl_add_u64 v[6:7], v[2:3], 0, s[16:17]
	s_mov_b32 s16, s20
.LBB439_40:                             ;   Parent Loop BB439_30 Depth=1
                                        ; =>  This Inner Loop Header: Depth=2
	flat_load_ushort v8, v[6:7]
	v_mov_b32_e32 v9, s23
	ds_read_b32 v9, v9
	s_add_i32 s23, s23, 4
	s_add_i32 s16, s16, -1
	v_lshl_add_u64 v[6:7], v[6:7], 0, 2
	s_cmp_lg_u32 s16, 0
	s_waitcnt vmcnt(0) lgkmcnt(0)
	v_fma_mix_f32 v1, v9, v8, v1 op_sel_hi:[0,1,0]
	s_cbranch_scc1 .LBB439_40
	s_branch .LBB439_28
.LBB439_41:
	s_endpgm
	.section	.rodata,"a",@progbits
	.p2align	6, 0x0
	.amdhsa_kernel _ZL22rocblas_gemvtsm_kernelILb0ELi256EPKDF16_fKPDF16_EviiT2_lPKT1_lilS7_lilS4_lPT3_lil
		.amdhsa_group_segment_fixed_size 256
		.amdhsa_private_segment_fixed_size 0
		.amdhsa_kernarg_size 136
		.amdhsa_user_sgpr_count 2
		.amdhsa_user_sgpr_dispatch_ptr 0
		.amdhsa_user_sgpr_queue_ptr 0
		.amdhsa_user_sgpr_kernarg_segment_ptr 1
		.amdhsa_user_sgpr_dispatch_id 0
		.amdhsa_user_sgpr_kernarg_preload_length 0
		.amdhsa_user_sgpr_kernarg_preload_offset 0
		.amdhsa_user_sgpr_private_segment_size 0
		.amdhsa_uses_dynamic_stack 0
		.amdhsa_enable_private_segment 0
		.amdhsa_system_sgpr_workgroup_id_x 1
		.amdhsa_system_sgpr_workgroup_id_y 0
		.amdhsa_system_sgpr_workgroup_id_z 0
		.amdhsa_system_sgpr_workgroup_info 0
		.amdhsa_system_vgpr_workitem_id 0
		.amdhsa_next_free_vgpr 20
		.amdhsa_next_free_sgpr 26
		.amdhsa_accum_offset 20
		.amdhsa_reserve_vcc 1
		.amdhsa_float_round_mode_32 0
		.amdhsa_float_round_mode_16_64 0
		.amdhsa_float_denorm_mode_32 3
		.amdhsa_float_denorm_mode_16_64 3
		.amdhsa_dx10_clamp 1
		.amdhsa_ieee_mode 1
		.amdhsa_fp16_overflow 0
		.amdhsa_tg_split 0
		.amdhsa_exception_fp_ieee_invalid_op 0
		.amdhsa_exception_fp_denorm_src 0
		.amdhsa_exception_fp_ieee_div_zero 0
		.amdhsa_exception_fp_ieee_overflow 0
		.amdhsa_exception_fp_ieee_underflow 0
		.amdhsa_exception_fp_ieee_inexact 0
		.amdhsa_exception_int_div_zero 0
	.end_amdhsa_kernel
	.section	.text._ZL22rocblas_gemvtsm_kernelILb0ELi256EPKDF16_fKPDF16_EviiT2_lPKT1_lilS7_lilS4_lPT3_lil,"axG",@progbits,_ZL22rocblas_gemvtsm_kernelILb0ELi256EPKDF16_fKPDF16_EviiT2_lPKT1_lilS7_lilS4_lPT3_lil,comdat
.Lfunc_end439:
	.size	_ZL22rocblas_gemvtsm_kernelILb0ELi256EPKDF16_fKPDF16_EviiT2_lPKT1_lilS7_lilS4_lPT3_lil, .Lfunc_end439-_ZL22rocblas_gemvtsm_kernelILb0ELi256EPKDF16_fKPDF16_EviiT2_lPKT1_lilS7_lilS4_lPT3_lil
                                        ; -- End function
	.section	.AMDGPU.csdata,"",@progbits
; Kernel info:
; codeLenInByte = 1180
; NumSgprs: 32
; NumVgprs: 20
; NumAgprs: 0
; TotalNumVgprs: 20
; ScratchSize: 0
; MemoryBound: 0
; FloatMode: 240
; IeeeMode: 1
; LDSByteSize: 256 bytes/workgroup (compile time only)
; SGPRBlocks: 3
; VGPRBlocks: 2
; NumSGPRsForWavesPerEU: 32
; NumVGPRsForWavesPerEU: 20
; AccumOffset: 20
; Occupancy: 8
; WaveLimiterHint : 1
; COMPUTE_PGM_RSRC2:SCRATCH_EN: 0
; COMPUTE_PGM_RSRC2:USER_SGPR: 2
; COMPUTE_PGM_RSRC2:TRAP_HANDLER: 0
; COMPUTE_PGM_RSRC2:TGID_X_EN: 1
; COMPUTE_PGM_RSRC2:TGID_Y_EN: 0
; COMPUTE_PGM_RSRC2:TGID_Z_EN: 0
; COMPUTE_PGM_RSRC2:TIDIG_COMP_CNT: 0
; COMPUTE_PGM_RSRC3_GFX90A:ACCUM_OFFSET: 4
; COMPUTE_PGM_RSRC3_GFX90A:TG_SPLIT: 0
	.section	.text._ZL23rocblas_gemvt_sn_kernelILb0ELi256ELi4EiPKDF16_PKffEviiT4_lPKT3_lilS7_lilPT5_i,"axG",@progbits,_ZL23rocblas_gemvt_sn_kernelILb0ELi256ELi4EiPKDF16_PKffEviiT4_lPKT3_lilS7_lilPT5_i,comdat
	.globl	_ZL23rocblas_gemvt_sn_kernelILb0ELi256ELi4EiPKDF16_PKffEviiT4_lPKT3_lilS7_lilPT5_i ; -- Begin function _ZL23rocblas_gemvt_sn_kernelILb0ELi256ELi4EiPKDF16_PKffEviiT4_lPKT3_lilS7_lilPT5_i
	.p2align	8
	.type	_ZL23rocblas_gemvt_sn_kernelILb0ELi256ELi4EiPKDF16_PKffEviiT4_lPKT3_lilS7_lilPT5_i,@function
_ZL23rocblas_gemvt_sn_kernelILb0ELi256ELi4EiPKDF16_PKffEviiT4_lPKT3_lilS7_lilPT5_i: ; @_ZL23rocblas_gemvt_sn_kernelILb0ELi256ELi4EiPKDF16_PKffEviiT4_lPKT3_lilS7_lilPT5_i
; %bb.0:
	s_load_dwordx8 s[4:11], s[0:1], 0x8
	s_mov_b32 s12, s3
	s_mov_b32 s13, 0
	s_mov_b64 s[22:23], 0
	s_waitcnt lgkmcnt(0)
	s_mul_i32 s3, s3, s7
	s_mul_hi_u32 s7, s12, s6
	s_add_i32 s7, s7, s3
	s_mul_i32 s6, s12, s6
	s_lshl_b64 s[6:7], s[6:7], 2
	s_add_u32 s4, s4, s6
	s_addc_u32 s5, s5, s7
	s_load_dword s33, s[4:5], 0x0
	s_mov_b64 s[4:5], 0
	s_waitcnt lgkmcnt(0)
	v_cmp_eq_f32_e64 s[14:15], s33, 0
	v_cmp_neq_f32_e64 s[6:7], s33, 0
	s_and_b64 vcc, exec, s[14:15]
	s_cbranch_vccnz .LBB440_2
; %bb.1:
	s_lshl_b64 s[4:5], s[12:13], 3
	s_add_u32 s4, s8, s4
	s_addc_u32 s5, s9, s5
	s_load_dwordx2 s[4:5], s[4:5], 0x0
	s_lshl_b64 s[8:9], s[10:11], 1
	s_waitcnt lgkmcnt(0)
	s_add_u32 s4, s4, s8
	s_addc_u32 s5, s5, s9
.LBB440_2:
	s_andn2_b64 vcc, exec, s[6:7]
	s_cbranch_vccnz .LBB440_4
; %bb.3:
	s_load_dwordx4 s[8:11], s[0:1], 0x38
	s_lshl_b64 s[6:7], s[12:13], 3
	s_waitcnt lgkmcnt(0)
	s_add_u32 s6, s8, s6
	s_addc_u32 s7, s9, s7
	s_load_dwordx2 s[6:7], s[6:7], 0x0
	s_lshl_b64 s[8:9], s[10:11], 1
	s_waitcnt lgkmcnt(0)
	s_add_u32 s22, s6, s8
	s_addc_u32 s23, s7, s9
.LBB440_4:
	s_load_dwordx2 s[24:25], s[0:1], 0x0
	s_load_dwordx2 s[6:7], s[0:1], 0x58
	s_load_dword s26, s[0:1], 0x68
	s_mov_b32 s27, 0
	s_waitcnt lgkmcnt(0)
	s_ashr_i32 s16, s25, 31
	s_mul_hi_u32 s3, s25, s12
	s_mul_i32 s8, s16, s12
	s_add_i32 s11, s3, s8
	s_mul_i32 s10, s25, s12
	s_mul_i32 s3, s11, s26
	s_mul_hi_u32 s8, s10, s26
	s_add_i32 s9, s8, s3
	s_mul_i32 s8, s10, s26
	s_lshl_b64 s[8:9], s[8:9], 2
	s_add_u32 s49, s6, s8
	s_addc_u32 s50, s7, s9
	s_andn2_b64 vcc, exec, s[14:15]
	s_mov_b64 s[8:9], -1
	s_cbranch_vccnz .LBB440_14
; %bb.5:
	s_cmp_gt_i32 s25, 0
	v_cmp_eq_u32_e32 vcc, 0, v0
	s_cselect_b64 s[8:9], -1, 0
	s_and_b64 s[12:13], vcc, s[8:9]
	s_and_saveexec_b64 s[8:9], s[12:13]
	s_cbranch_execz .LBB440_13
; %bb.6:
	s_cmp_gt_u32 s25, 1
	s_cselect_b64 s[12:13], -1, 0
	s_cmp_eq_u32 s26, 1
	s_cselect_b64 s[18:19], -1, 0
	s_mov_b32 s3, 0
	s_and_b64 s[12:13], s[12:13], s[18:19]
	s_mov_b64 s[14:15], -1
	s_andn2_b64 vcc, exec, s[12:13]
	s_mov_b32 s12, s3
	s_cbranch_vccnz .LBB440_10
; %bb.7:
	s_lshl_b64 s[12:13], s[2:3], 2
	s_add_u32 s14, s49, s12
	s_addc_u32 s15, s50, s13
	s_and_b32 s12, s25, 0x7ffffffe
	v_mov_b32_e32 v2, 0
	v_mov_b32_e32 v3, v2
	s_mov_b32 s13, s12
.LBB440_8:                              ; =>This Inner Loop Header: Depth=1
	global_store_dwordx2 v2, v[2:3], s[14:15]
	s_add_u32 s14, s14, 8
	s_addc_u32 s15, s15, 0
	s_add_i32 s13, s13, -2
	s_cmp_lg_u32 s13, 0
	s_cbranch_scc1 .LBB440_8
; %bb.9:
	s_cmp_lg_u32 s12, s25
	s_cselect_b64 s[14:15], -1, 0
.LBB440_10:
	s_and_b64 vcc, exec, s[14:15]
	s_cbranch_vccz .LBB440_13
; %bb.11:
	s_mov_b32 s13, 0
	s_sub_i32 s14, s25, s12
	s_lshl_b64 s[10:11], s[10:11], 2
	s_lshl_b64 s[12:13], s[12:13], 2
	s_add_u32 s10, s10, s12
	s_addc_u32 s11, s11, s13
	s_mul_i32 s11, s11, s26
	s_mul_hi_u32 s12, s10, s26
	s_add_i32 s12, s12, s11
	s_mul_i32 s13, s10, s26
	s_lshl_b64 s[10:11], s[2:3], 2
	s_add_u32 s3, s13, s10
	s_addc_u32 s10, s12, s11
	s_add_u32 s6, s6, s3
	s_addc_u32 s7, s7, s10
	s_lshl_b64 s[10:11], s[26:27], 2
	v_mov_b32_e32 v1, 0
.LBB440_12:                             ; =>This Inner Loop Header: Depth=1
	s_add_i32 s14, s14, -1
	global_store_dword v1, v1, s[6:7]
	s_add_u32 s6, s6, s10
	s_addc_u32 s7, s7, s11
	s_cmp_eq_u32 s14, 0
	s_cbranch_scc0 .LBB440_12
.LBB440_13:
	s_or_b64 exec, exec, s[8:9]
	s_mov_b64 s[8:9], 0
.LBB440_14:
	s_andn2_b64 vcc, exec, s[8:9]
	s_cbranch_vccnz .LBB440_88
; %bb.15:
	s_load_dword s28, s[0:1], 0x28
	s_load_dword s27, s[0:1], 0x48
	s_lshl_b32 s0, s2, 10
	v_lshl_or_b32 v2, v0, 2, s0
	s_lshr_b32 s0, s16, 30
	s_add_i32 s0, s25, s0
	s_and_b32 s3, s0, -4
	s_ashr_i32 s0, s24, 31
	s_lshr_b32 s0, s0, 30
	s_add_i32 s0, s24, s0
	s_and_b32 s0, s0, -4
	v_ashrrev_i32_e32 v3, 31, v2
	s_sub_i32 s48, s24, s0
	v_lshl_add_u64 v[6:7], v[2:3], 1, s[4:5]
	s_cmp_lt_i32 s3, 1
	v_add_u32_e32 v23, 4, v2
	v_add_u32_e32 v24, s48, v2
	v_and_b32_e32 v1, 63, v0
	v_cmp_gt_u32_e64 s[0:1], 64, v0
	v_mbcnt_lo_u32_b32 v22, -1, 0
	v_cmp_gt_u32_e64 s[4:5], 4, v0
	v_lshrrev_b32_e32 v9, 4, v0
	v_cmp_eq_u32_e64 s[6:7], 0, v0
	s_waitcnt lgkmcnt(0)
	v_mul_lo_u32 v8, v2, s27
	s_cbranch_scc1 .LBB440_63
; %bb.16:
	v_mbcnt_hi_u32_b32 v3, -1, v22
	v_and_b32_e32 v4, 63, v3
	v_cmp_gt_u32_e32 vcc, 32, v4
	v_mul_lo_u32 v10, v2, s27
	v_add_u32_e32 v2, s27, v10
	v_cndmask_b32_e64 v5, 0, 1, vcc
	v_lshlrev_b32_e32 v5, 5, v5
	v_cmp_gt_u32_e32 vcc, 48, v4
	v_add_lshl_u32 v25, v5, v3, 2
	s_mov_b32 s31, 0
	v_cndmask_b32_e64 v5, 0, 1, vcc
	v_lshlrev_b32_e32 v5, 4, v5
	v_cmp_gt_u32_e32 vcc, 56, v4
	v_add_lshl_u32 v26, v5, v3, 2
	s_cmp_gt_i32 s48, 0
	v_cndmask_b32_e64 v5, 0, 1, vcc
	v_lshlrev_b32_e32 v5, 3, v5
	v_cmp_gt_u32_e32 vcc, 60, v4
	v_add_lshl_u32 v27, v5, v3, 2
	s_cselect_b64 s[34:35], -1, 0
	v_cndmask_b32_e64 v5, 0, 1, vcc
	v_lshlrev_b32_e32 v5, 2, v5
	v_cmp_gt_u32_e32 vcc, 62, v4
	v_add_lshl_u32 v28, v5, v3, 2
	v_ashrrev_i32_e32 v11, 31, v10
	v_cndmask_b32_e64 v5, 0, 1, vcc
	v_lshlrev_b32_e32 v5, 1, v5
	v_cmp_ne_u32_e32 vcc, 63, v4
	v_add_lshl_u32 v29, v5, v3, 2
	s_mov_b32 s29, s31
	v_addc_co_u32_e32 v3, vcc, 0, v3, vcc
	v_lshlrev_b32_e32 v30, 2, v3
	v_ashrrev_i32_e32 v3, 31, v2
	v_lshl_add_u64 v[14:15], v[2:3], 1, s[22:23]
	v_add_u32_e32 v2, s27, v2
	v_ashrrev_i32_e32 v3, 31, v2
	v_lshl_add_u64 v[16:17], v[2:3], 1, s[22:23]
	v_add_u32_e32 v2, s27, v2
	v_ashrrev_i32_e32 v3, 31, v2
	s_lshl_b32 s30, s28, 1
	v_cmp_ge_i32_e64 s[8:9], s24, v23
	v_cmp_ge_i32_e64 s[10:11], s24, v24
	v_cmp_eq_u32_e64 s[12:13], 0, v1
	v_lshlrev_b32_e32 v31, 2, v1
	v_and_b32_e32 v32, 12, v9
	v_lshl_add_u64 v[12:13], v[10:11], 1, s[22:23]
	v_lshl_add_u64 v[18:19], v[2:3], 1, s[22:23]
	s_lshl_b32 s51, s28, 2
	s_mul_i32 s52, s28, 3
	s_mov_b32 s53, s31
	v_mov_b32_e32 v11, 0
	s_mov_b32 s36, s31
	s_mov_b64 s[38:39], s[30:31]
	s_mov_b64 s[40:41], s[28:29]
	s_mov_b32 s29, 0
                                        ; implicit-def: $vgpr2_vgpr3_vgpr4_vgpr5
	s_branch .LBB440_18
.LBB440_17:                             ;   in Loop: Header=BB440_18 Depth=1
	s_or_b64 exec, exec, s[14:15]
	s_add_i32 s29, s29, 4
	s_add_u32 s40, s40, s51
	s_addc_u32 s41, s41, 0
	s_add_u32 s38, s38, s51
	s_addc_u32 s39, s39, 0
	;; [unrolled: 2-line block ×3, first 2 shown]
	s_add_i32 s36, s36, s51
	s_cmp_ge_i32 s29, s3
	s_cbranch_scc1 .LBB440_64
.LBB440_18:                             ; =>This Loop Header: Depth=1
                                        ;     Child Loop BB440_49 Depth 2
                                        ;     Child Loop BB440_52 Depth 2
                                        ; implicit-def: $vgpr33
                                        ; implicit-def: $vgpr34
                                        ; implicit-def: $vgpr35
                                        ; implicit-def: $vgpr36
	s_and_saveexec_b64 s[14:15], s[8:9]
	s_xor_b64 s[14:15], exec, s[14:15]
	s_cbranch_execnz .LBB440_45
; %bb.19:                               ;   in Loop: Header=BB440_18 Depth=1
	s_andn2_saveexec_b64 s[42:43], s[14:15]
	s_cbranch_execnz .LBB440_46
.LBB440_20:                             ;   in Loop: Header=BB440_18 Depth=1
	s_or_b64 exec, exec, s[42:43]
	s_and_saveexec_b64 s[14:15], s[0:1]
	s_cbranch_execz .LBB440_22
.LBB440_21:                             ;   in Loop: Header=BB440_18 Depth=1
	ds_write_b32 v31, v11
.LBB440_22:                             ;   in Loop: Header=BB440_18 Depth=1
	s_or_b64 exec, exec, s[14:15]
	ds_bpermute_b32 v20, v25, v36
	s_waitcnt lgkmcnt(0)
	s_barrier
	v_add_f32_e32 v20, v36, v20
	ds_bpermute_b32 v21, v26, v20
	s_waitcnt lgkmcnt(0)
	v_add_f32_e32 v20, v20, v21
	ds_bpermute_b32 v21, v27, v20
	s_waitcnt lgkmcnt(0)
	;; [unrolled: 3-line block ×4, first 2 shown]
	v_add_f32_e32 v20, v20, v21
	ds_bpermute_b32 v21, v30, v20
	s_and_saveexec_b64 s[14:15], s[12:13]
	s_cbranch_execz .LBB440_24
; %bb.23:                               ;   in Loop: Header=BB440_18 Depth=1
	s_waitcnt lgkmcnt(0)
	v_add_f32_e32 v20, v20, v21
	ds_write_b32 v32, v20
.LBB440_24:                             ;   in Loop: Header=BB440_18 Depth=1
	s_or_b64 exec, exec, s[14:15]
	v_mov_b32_e32 v20, 0
	s_waitcnt lgkmcnt(0)
	s_barrier
	s_and_saveexec_b64 s[14:15], s[4:5]
	s_cbranch_execnz .LBB440_54
; %bb.25:                               ;   in Loop: Header=BB440_18 Depth=1
	s_or_b64 exec, exec, s[14:15]
	s_and_saveexec_b64 s[14:15], s[0:1]
	s_cbranch_execnz .LBB440_55
.LBB440_26:                             ;   in Loop: Header=BB440_18 Depth=1
	s_or_b64 exec, exec, s[14:15]
	s_and_saveexec_b64 s[14:15], s[0:1]
	s_cbranch_execz .LBB440_28
.LBB440_27:                             ;   in Loop: Header=BB440_18 Depth=1
	ds_write_b32 v31, v11
.LBB440_28:                             ;   in Loop: Header=BB440_18 Depth=1
	s_or_b64 exec, exec, s[14:15]
	ds_bpermute_b32 v21, v25, v35
	s_waitcnt lgkmcnt(0)
	s_barrier
	v_add_f32_e32 v21, v35, v21
	ds_bpermute_b32 v35, v26, v21
	s_waitcnt lgkmcnt(0)
	v_add_f32_e32 v21, v21, v35
	ds_bpermute_b32 v35, v27, v21
	s_waitcnt lgkmcnt(0)
	;; [unrolled: 3-line block ×4, first 2 shown]
	v_add_f32_e32 v21, v21, v35
	ds_bpermute_b32 v35, v30, v21
	s_and_saveexec_b64 s[14:15], s[12:13]
	s_cbranch_execz .LBB440_30
; %bb.29:                               ;   in Loop: Header=BB440_18 Depth=1
	s_waitcnt lgkmcnt(0)
	v_add_f32_e32 v21, v21, v35
	ds_write_b32 v32, v21
.LBB440_30:                             ;   in Loop: Header=BB440_18 Depth=1
	s_or_b64 exec, exec, s[14:15]
	v_mov_b32_e32 v21, 0
	s_waitcnt lgkmcnt(0)
	s_barrier
	s_and_saveexec_b64 s[14:15], s[4:5]
	s_cbranch_execnz .LBB440_56
; %bb.31:                               ;   in Loop: Header=BB440_18 Depth=1
	s_or_b64 exec, exec, s[14:15]
	s_and_saveexec_b64 s[14:15], s[0:1]
	s_cbranch_execnz .LBB440_57
.LBB440_32:                             ;   in Loop: Header=BB440_18 Depth=1
	s_or_b64 exec, exec, s[14:15]
	s_and_saveexec_b64 s[14:15], s[0:1]
	s_cbranch_execz .LBB440_34
.LBB440_33:                             ;   in Loop: Header=BB440_18 Depth=1
	ds_write_b32 v31, v11
.LBB440_34:                             ;   in Loop: Header=BB440_18 Depth=1
	s_or_b64 exec, exec, s[14:15]
	ds_bpermute_b32 v35, v25, v34
	s_waitcnt lgkmcnt(0)
	s_barrier
	v_add_f32_e32 v34, v34, v35
	ds_bpermute_b32 v35, v26, v34
	s_waitcnt lgkmcnt(0)
	v_add_f32_e32 v34, v34, v35
	ds_bpermute_b32 v35, v27, v34
	s_waitcnt lgkmcnt(0)
	;; [unrolled: 3-line block ×4, first 2 shown]
	v_add_f32_e32 v34, v34, v35
	ds_bpermute_b32 v35, v30, v34
	s_and_saveexec_b64 s[14:15], s[12:13]
	s_cbranch_execz .LBB440_36
; %bb.35:                               ;   in Loop: Header=BB440_18 Depth=1
	s_waitcnt lgkmcnt(0)
	v_add_f32_e32 v34, v34, v35
	ds_write_b32 v32, v34
.LBB440_36:                             ;   in Loop: Header=BB440_18 Depth=1
	s_or_b64 exec, exec, s[14:15]
	v_mov_b32_e32 v34, 0
	s_waitcnt lgkmcnt(0)
	s_barrier
	s_and_saveexec_b64 s[14:15], s[4:5]
	s_cbranch_execnz .LBB440_58
; %bb.37:                               ;   in Loop: Header=BB440_18 Depth=1
	s_or_b64 exec, exec, s[14:15]
	s_and_saveexec_b64 s[14:15], s[0:1]
	s_cbranch_execnz .LBB440_59
.LBB440_38:                             ;   in Loop: Header=BB440_18 Depth=1
	s_or_b64 exec, exec, s[14:15]
	s_and_saveexec_b64 s[14:15], s[0:1]
	s_cbranch_execz .LBB440_40
.LBB440_39:                             ;   in Loop: Header=BB440_18 Depth=1
	ds_write_b32 v31, v11
.LBB440_40:                             ;   in Loop: Header=BB440_18 Depth=1
	s_or_b64 exec, exec, s[14:15]
	ds_bpermute_b32 v35, v25, v33
	s_waitcnt lgkmcnt(0)
	s_barrier
	v_add_f32_e32 v33, v33, v35
	ds_bpermute_b32 v35, v26, v33
	s_waitcnt lgkmcnt(0)
	v_add_f32_e32 v33, v33, v35
	ds_bpermute_b32 v35, v27, v33
	s_waitcnt lgkmcnt(0)
	;; [unrolled: 3-line block ×4, first 2 shown]
	v_add_f32_e32 v33, v33, v35
	ds_bpermute_b32 v35, v30, v33
	s_and_saveexec_b64 s[14:15], s[12:13]
	s_cbranch_execz .LBB440_42
; %bb.41:                               ;   in Loop: Header=BB440_18 Depth=1
	s_waitcnt lgkmcnt(0)
	v_add_f32_e32 v33, v33, v35
	ds_write_b32 v32, v33
.LBB440_42:                             ;   in Loop: Header=BB440_18 Depth=1
	s_or_b64 exec, exec, s[14:15]
	v_mov_b32_e32 v33, 0
	s_waitcnt lgkmcnt(0)
	s_barrier
	s_and_saveexec_b64 s[14:15], s[4:5]
	s_cbranch_execnz .LBB440_60
; %bb.43:                               ;   in Loop: Header=BB440_18 Depth=1
	s_or_b64 exec, exec, s[14:15]
	s_and_saveexec_b64 s[14:15], s[0:1]
	s_cbranch_execnz .LBB440_61
.LBB440_44:                             ;   in Loop: Header=BB440_18 Depth=1
	s_or_b64 exec, exec, s[14:15]
	s_and_saveexec_b64 s[14:15], s[6:7]
	s_cbranch_execz .LBB440_17
	s_branch .LBB440_62
.LBB440_45:                             ;   in Loop: Header=BB440_18 Depth=1
	s_mul_i32 s16, s29, s28
	s_ashr_i32 s17, s16, 31
	v_lshl_add_u64 v[2:3], s[16:17], 1, v[6:7]
	s_add_i32 s16, s16, s28
	s_ashr_i32 s17, s16, 31
	v_lshl_add_u64 v[4:5], s[16:17], 1, v[6:7]
	s_add_i32 s16, s16, s28
	;; [unrolled: 3-line block ×3, first 2 shown]
	s_ashr_i32 s17, s16, 31
	s_waitcnt lgkmcnt(0)
	flat_load_ushort v33, v[12:13]
	flat_load_ushort v40, v[14:15]
	;; [unrolled: 1-line block ×4, first 2 shown]
	flat_load_dwordx2 v[34:35], v[2:3]
	flat_load_dwordx2 v[36:37], v[4:5]
	v_lshl_add_u64 v[2:3], s[16:17], 1, v[6:7]
	flat_load_dwordx2 v[20:21], v[20:21]
	s_waitcnt vmcnt(0) lgkmcnt(0)
	v_cvt_f32_f16_e32 v4, v41
	flat_load_dwordx2 v[38:39], v[2:3]
	v_fma_mix_f32 v43, v33, v34, 0 op_sel_hi:[1,1,0]
	v_cvt_f32_f16_e32 v2, v33
	v_cvt_f32_f16_e32 v3, v40
	;; [unrolled: 1-line block ×3, first 2 shown]
	v_fma_mix_f32 v44, v33, v36, 0 op_sel_hi:[1,1,0]
	v_fma_mix_f32 v34, v40, v34, v43 op_sel:[0,1,0] op_sel_hi:[1,1,0]
	v_fma_mix_f32 v43, v33, v20, 0 op_sel_hi:[1,1,0]
	v_fma_mix_f32 v36, v40, v36, v44 op_sel:[0,1,0] op_sel_hi:[1,1,0]
	v_fma_mix_f32 v20, v40, v20, v43 op_sel:[0,1,0] op_sel_hi:[1,1,0]
	v_fma_mix_f32 v34, v41, v35, v34 op_sel_hi:[1,1,0]
	v_fma_mix_f32 v43, v41, v37, v36 op_sel_hi:[1,1,0]
	;; [unrolled: 1-line block ×3, first 2 shown]
	v_fma_mix_f32 v36, v42, v35, v34 op_sel:[0,1,0] op_sel_hi:[1,1,0]
	v_fma_mix_f32 v35, v42, v37, v43 op_sel:[0,1,0] op_sel_hi:[1,1,0]
	;; [unrolled: 1-line block ×3, first 2 shown]
	s_waitcnt vmcnt(0) lgkmcnt(0)
	v_fma_mix_f32 v33, v33, v38, 0 op_sel_hi:[1,1,0]
	s_nop 0
	v_fma_mix_f32 v33, v40, v38, v33 op_sel:[0,1,0] op_sel_hi:[1,1,0]
	s_nop 0
	v_fma_mix_f32 v33, v41, v39, v33 op_sel_hi:[1,1,0]
	s_nop 0
	v_fma_mix_f32 v33, v42, v39, v33 op_sel:[0,1,0] op_sel_hi:[1,1,0]
	s_andn2_saveexec_b64 s[42:43], s[14:15]
	s_cbranch_execz .LBB440_20
.LBB440_46:                             ;   in Loop: Header=BB440_18 Depth=1
	s_waitcnt lgkmcnt(0)
	v_mov_b32_e32 v33, 0
	v_mov_b32_e32 v34, 0
	;; [unrolled: 1-line block ×4, first 2 shown]
	s_and_saveexec_b64 s[44:45], s[10:11]
	s_cbranch_execz .LBB440_53
; %bb.47:                               ;   in Loop: Header=BB440_18 Depth=1
	v_cndmask_b32_e64 v20, 0, 1, s[34:35]
	v_cmp_ne_u32_e64 s[14:15], 1, v20
	s_andn2_b64 vcc, exec, s[34:35]
	s_cbranch_vccnz .LBB440_50
; %bb.48:                               ;   in Loop: Header=BB440_18 Depth=1
	s_mov_b64 s[46:47], 0
	v_mov_b32_e32 v20, v10
.LBB440_49:                             ;   Parent Loop BB440_18 Depth=1
                                        ; =>  This Inner Loop Header: Depth=2
	v_ashrrev_i32_e32 v21, 31, v20
	v_lshl_add_u64 v[34:35], v[20:21], 1, s[22:23]
	flat_load_ushort v21, v[34:35]
	s_cmp_eq_u32 s46, 3
	s_cselect_b64 vcc, -1, 0
	s_cmp_eq_u32 s46, 2
	s_cselect_b64 s[16:17], -1, 0
	s_cmp_eq_u32 s46, 1
	s_cselect_b64 s[18:19], -1, 0
	;; [unrolled: 2-line block ×3, first 2 shown]
	s_add_u32 s46, s46, 1
	s_addc_u32 s47, s47, 0
	v_add_u32_e32 v20, s27, v20
	s_cmp_eq_u32 s48, s46
	s_waitcnt vmcnt(0) lgkmcnt(0)
	v_cvt_f32_f16_e32 v21, v21
	v_cndmask_b32_e32 v5, v5, v21, vcc
	v_cndmask_b32_e64 v4, v4, v21, s[16:17]
	v_cndmask_b32_e64 v3, v3, v21, s[18:19]
	;; [unrolled: 1-line block ×3, first 2 shown]
	s_cbranch_scc0 .LBB440_49
.LBB440_50:                             ;   in Loop: Header=BB440_18 Depth=1
	s_and_b64 vcc, exec, s[14:15]
	v_mov_b32_e32 v33, 0
	v_mov_b32_e32 v34, 0
	;; [unrolled: 1-line block ×4, first 2 shown]
	s_cbranch_vccnz .LBB440_53
; %bb.51:                               ;   in Loop: Header=BB440_18 Depth=1
	s_ashr_i32 s37, s36, 31
	v_lshl_add_u64 v[20:21], s[36:37], 1, v[6:7]
	s_mov_b64 s[14:15], 0
	v_mov_b32_e32 v36, 0
	v_mov_b32_e32 v35, 0
	;; [unrolled: 1-line block ×4, first 2 shown]
.LBB440_52:                             ;   Parent Loop BB440_18 Depth=1
                                        ; =>  This Inner Loop Header: Depth=2
	s_cmp_eq_u32 s14, 1
	s_cselect_b64 vcc, -1, 0
	s_cmp_eq_u32 s14, 2
	v_cndmask_b32_e32 v38, v2, v3, vcc
	s_cselect_b64 vcc, -1, 0
	s_cmp_eq_u32 s14, 3
	v_cndmask_b32_e32 v44, v38, v4, vcc
	s_cselect_b64 vcc, -1, 0
	s_add_i32 s16, s40, s14
	s_add_i32 s18, s38, s14
	;; [unrolled: 1-line block ×3, first 2 shown]
	s_ashr_i32 s17, s16, 31
	s_ashr_i32 s19, s18, 31
	s_ashr_i32 s21, s20, 31
	v_lshl_add_u64 v[38:39], s[16:17], 1, v[6:7]
	flat_load_ushort v37, v[20:21]
	v_lshl_add_u64 v[40:41], s[18:19], 1, v[6:7]
	v_lshl_add_u64 v[42:43], s[20:21], 1, v[6:7]
	flat_load_ushort v38, v[38:39]
	s_nop 0
	flat_load_ushort v39, v[40:41]
	flat_load_ushort v45, v[42:43]
	s_add_u32 s14, s14, 1
	v_cndmask_b32_e32 v40, v44, v5, vcc
	s_addc_u32 s15, s15, 0
	v_lshl_add_u64 v[20:21], v[20:21], 0, 2
	s_cmp_lg_u32 s48, s14
	s_waitcnt vmcnt(0) lgkmcnt(0)
	v_fma_mix_f32 v36, v40, v37, v36 op_sel_hi:[0,1,0]
	v_fma_mix_f32 v35, v40, v38, v35 op_sel_hi:[0,1,0]
	;; [unrolled: 1-line block ×4, first 2 shown]
	s_cbranch_scc1 .LBB440_52
.LBB440_53:                             ;   in Loop: Header=BB440_18 Depth=1
	s_or_b64 exec, exec, s[44:45]
	s_or_b64 exec, exec, s[42:43]
	s_and_saveexec_b64 s[14:15], s[0:1]
	s_cbranch_execnz .LBB440_21
	s_branch .LBB440_22
.LBB440_54:                             ;   in Loop: Header=BB440_18 Depth=1
	ds_read_b32 v20, v31
	s_or_b64 exec, exec, s[14:15]
	s_and_saveexec_b64 s[14:15], s[0:1]
	s_cbranch_execz .LBB440_26
.LBB440_55:                             ;   in Loop: Header=BB440_18 Depth=1
	s_waitcnt lgkmcnt(0)
	ds_bpermute_b32 v21, v29, v20
	s_waitcnt lgkmcnt(0)
	v_add_f32_e32 v20, v20, v21
	ds_bpermute_b32 v21, v30, v20
	s_waitcnt lgkmcnt(0)
	v_add_f32_e32 v20, v20, v21
	s_or_b64 exec, exec, s[14:15]
	s_and_saveexec_b64 s[14:15], s[0:1]
	s_cbranch_execnz .LBB440_27
	s_branch .LBB440_28
.LBB440_56:                             ;   in Loop: Header=BB440_18 Depth=1
	ds_read_b32 v21, v31
	s_or_b64 exec, exec, s[14:15]
	s_and_saveexec_b64 s[14:15], s[0:1]
	s_cbranch_execz .LBB440_32
.LBB440_57:                             ;   in Loop: Header=BB440_18 Depth=1
	s_waitcnt lgkmcnt(0)
	ds_bpermute_b32 v35, v29, v21
	s_waitcnt lgkmcnt(0)
	v_add_f32_e32 v21, v21, v35
	ds_bpermute_b32 v35, v30, v21
	s_waitcnt lgkmcnt(0)
	v_add_f32_e32 v21, v21, v35
	s_or_b64 exec, exec, s[14:15]
	s_and_saveexec_b64 s[14:15], s[0:1]
	s_cbranch_execnz .LBB440_33
	s_branch .LBB440_34
.LBB440_58:                             ;   in Loop: Header=BB440_18 Depth=1
	ds_read_b32 v34, v31
	s_or_b64 exec, exec, s[14:15]
	s_and_saveexec_b64 s[14:15], s[0:1]
	s_cbranch_execz .LBB440_38
.LBB440_59:                             ;   in Loop: Header=BB440_18 Depth=1
	s_waitcnt lgkmcnt(0)
	ds_bpermute_b32 v35, v29, v34
	s_waitcnt lgkmcnt(0)
	v_add_f32_e32 v34, v34, v35
	ds_bpermute_b32 v35, v30, v34
	s_waitcnt lgkmcnt(0)
	v_add_f32_e32 v34, v34, v35
	s_or_b64 exec, exec, s[14:15]
	s_and_saveexec_b64 s[14:15], s[0:1]
	s_cbranch_execnz .LBB440_39
	s_branch .LBB440_40
.LBB440_60:                             ;   in Loop: Header=BB440_18 Depth=1
	ds_read_b32 v33, v31
	s_or_b64 exec, exec, s[14:15]
	s_and_saveexec_b64 s[14:15], s[0:1]
	s_cbranch_execz .LBB440_44
.LBB440_61:                             ;   in Loop: Header=BB440_18 Depth=1
	s_waitcnt lgkmcnt(0)
	ds_bpermute_b32 v35, v29, v33
	s_waitcnt lgkmcnt(0)
	v_add_f32_e32 v33, v33, v35
	ds_bpermute_b32 v35, v30, v33
	s_waitcnt lgkmcnt(0)
	v_add_f32_e32 v33, v33, v35
	s_or_b64 exec, exec, s[14:15]
	s_and_saveexec_b64 s[14:15], s[6:7]
	s_cbranch_execz .LBB440_17
.LBB440_62:                             ;   in Loop: Header=BB440_18 Depth=1
	s_mul_i32 s16, s29, s26
	s_add_i32 s30, s16, s2
	s_lshl_b64 s[16:17], s[30:31], 2
	s_add_u32 s16, s49, s16
	v_mul_f32_e32 v20, s33, v20
	s_addc_u32 s17, s50, s17
	s_add_i32 s30, s30, s26
	global_store_dword v11, v20, s[16:17]
	s_lshl_b64 s[16:17], s[30:31], 2
	s_add_u32 s16, s49, s16
	v_mul_f32_e32 v20, s33, v21
	s_addc_u32 s17, s50, s17
	s_add_i32 s30, s30, s26
	global_store_dword v11, v20, s[16:17]
	;; [unrolled: 6-line block ×3, first 2 shown]
	s_lshl_b64 s[16:17], s[30:31], 2
	s_add_u32 s16, s49, s16
	s_waitcnt lgkmcnt(0)
	v_mul_f32_e32 v20, s33, v33
	s_addc_u32 s17, s50, s17
	global_store_dword v11, v20, s[16:17]
	s_branch .LBB440_17
.LBB440_63:
	s_mov_b32 s29, 0
                                        ; implicit-def: $vgpr2_vgpr3_vgpr4_vgpr5
.LBB440_64:
	s_cmp_ge_i32 s29, s25
	s_cbranch_scc1 .LBB440_88
; %bb.65:
	v_mbcnt_hi_u32_b32 v10, -1, v22
	v_and_b32_e32 v11, 63, v10
	v_cmp_gt_u32_e32 vcc, 32, v11
	v_cmp_ge_i32_e64 s[0:1], s24, v23
	v_add_u32_e32 v14, s27, v8
	v_cndmask_b32_e64 v12, 0, 1, vcc
	v_lshlrev_b32_e32 v12, 5, v12
	v_cmp_gt_u32_e32 vcc, 48, v11
	v_add_lshl_u32 v21, v12, v10, 2
	v_cmp_ge_i32_e64 s[4:5], s24, v24
	v_cndmask_b32_e64 v12, 0, 1, vcc
	v_lshlrev_b32_e32 v12, 4, v12
	v_cmp_gt_u32_e32 vcc, 56, v11
	v_add_lshl_u32 v22, v12, v10, 2
	v_add_u32_e32 v16, s27, v14
	v_cndmask_b32_e64 v12, 0, 1, vcc
	v_lshlrev_b32_e32 v12, 3, v12
	v_cmp_gt_u32_e32 vcc, 60, v11
	v_add_lshl_u32 v23, v12, v10, 2
	s_mov_b32 s3, 0
	v_cndmask_b32_e64 v12, 0, 1, vcc
	v_lshlrev_b32_e32 v12, 2, v12
	v_cmp_gt_u32_e32 vcc, 62, v11
	v_add_lshl_u32 v24, v12, v10, 2
	s_cmp_gt_i32 s48, 0
	v_cndmask_b32_e64 v12, 0, 1, vcc
	v_lshlrev_b32_e32 v12, 1, v12
	v_ashrrev_i32_e32 v15, 31, v14
	v_ashrrev_i32_e32 v17, 31, v16
	s_cselect_b64 s[30:31], -1, 0
	v_add_lshl_u32 v25, v12, v10, 2
	v_cmp_ne_u32_e32 vcc, 63, v11
	s_lshl_b64 s[14:15], s[2:3], 2
	v_lshl_add_u64 v[12:13], v[14:15], 1, s[22:23]
	v_lshl_add_u64 v[14:15], v[16:17], 1, s[22:23]
	v_add_u32_e32 v16, s27, v16
	v_lshlrev_b32_e32 v20, 2, v1
	v_addc_co_u32_e32 v10, vcc, 0, v10, vcc
	v_cmp_eq_u32_e64 s[8:9], 0, v1
	v_and_b32_e32 v1, 12, v9
	s_add_u32 s2, s49, s14
	v_ashrrev_i32_e32 v9, 31, v8
	v_ashrrev_i32_e32 v17, 31, v16
	v_cmp_gt_u32_e64 s[6:7], 64, v0
	v_lshlrev_b32_e32 v26, 2, v10
	v_cmp_gt_u32_e64 s[10:11], 4, v0
	v_cmp_eq_u32_e64 s[12:13], 0, v0
	s_addc_u32 s24, s50, s15
	v_lshl_add_u64 v[10:11], v[8:9], 1, s[22:23]
	v_lshl_add_u64 v[16:17], v[16:17], 1, s[22:23]
	s_mul_i32 s34, s29, s28
	v_mov_b32_e32 v9, 0
	s_branch .LBB440_67
.LBB440_66:                             ;   in Loop: Header=BB440_67 Depth=1
	s_or_b64 exec, exec, s[14:15]
	s_add_i32 s29, s29, 1
	s_add_i32 s34, s34, s28
	s_cmp_ge_i32 s29, s25
	s_cbranch_scc1 .LBB440_88
.LBB440_67:                             ; =>This Loop Header: Depth=1
                                        ;     Child Loop BB440_80 Depth 2
                                        ;     Child Loop BB440_83 Depth 2
	s_waitcnt lgkmcnt(0)
	v_mov_b32_e32 v0, s3
	s_and_saveexec_b64 s[14:15], s[0:1]
	s_xor_b64 s[14:15], exec, s[14:15]
	s_cbranch_execnz .LBB440_76
; %bb.68:                               ;   in Loop: Header=BB440_67 Depth=1
	s_andn2_saveexec_b64 s[36:37], s[14:15]
	s_cbranch_execnz .LBB440_77
.LBB440_69:                             ;   in Loop: Header=BB440_67 Depth=1
	s_or_b64 exec, exec, s[36:37]
	s_and_saveexec_b64 s[14:15], s[6:7]
	s_cbranch_execz .LBB440_71
.LBB440_70:                             ;   in Loop: Header=BB440_67 Depth=1
	ds_write_b32 v20, v9
.LBB440_71:                             ;   in Loop: Header=BB440_67 Depth=1
	s_or_b64 exec, exec, s[14:15]
	ds_bpermute_b32 v18, v21, v0
	s_waitcnt lgkmcnt(0)
	s_barrier
	v_add_f32_e32 v0, v0, v18
	ds_bpermute_b32 v18, v22, v0
	s_waitcnt lgkmcnt(0)
	v_add_f32_e32 v0, v0, v18
	ds_bpermute_b32 v18, v23, v0
	s_waitcnt lgkmcnt(0)
	v_add_f32_e32 v0, v0, v18
	ds_bpermute_b32 v18, v24, v0
	s_waitcnt lgkmcnt(0)
	v_add_f32_e32 v0, v0, v18
	ds_bpermute_b32 v18, v25, v0
	s_waitcnt lgkmcnt(0)
	v_add_f32_e32 v0, v0, v18
	ds_bpermute_b32 v18, v26, v0
	s_and_saveexec_b64 s[14:15], s[8:9]
	s_cbranch_execz .LBB440_73
; %bb.72:                               ;   in Loop: Header=BB440_67 Depth=1
	s_waitcnt lgkmcnt(0)
	v_add_f32_e32 v0, v0, v18
	ds_write_b32 v1, v0
.LBB440_73:                             ;   in Loop: Header=BB440_67 Depth=1
	s_or_b64 exec, exec, s[14:15]
	v_mov_b32_e32 v0, 0
	s_waitcnt lgkmcnt(0)
	s_barrier
	s_and_saveexec_b64 s[14:15], s[10:11]
	s_cbranch_execnz .LBB440_85
; %bb.74:                               ;   in Loop: Header=BB440_67 Depth=1
	s_or_b64 exec, exec, s[14:15]
	s_and_saveexec_b64 s[14:15], s[6:7]
	s_cbranch_execnz .LBB440_86
.LBB440_75:                             ;   in Loop: Header=BB440_67 Depth=1
	s_or_b64 exec, exec, s[14:15]
	s_and_saveexec_b64 s[14:15], s[12:13]
	s_cbranch_execz .LBB440_66
	s_branch .LBB440_87
.LBB440_76:                             ;   in Loop: Header=BB440_67 Depth=1
	s_mul_i32 s16, s29, s28
	s_ashr_i32 s17, s16, 31
	flat_load_ushort v0, v[16:17]
	flat_load_ushort v4, v[10:11]
	;; [unrolled: 1-line block ×3, first 2 shown]
	v_lshl_add_u64 v[2:3], s[16:17], 1, v[6:7]
	flat_load_dwordx2 v[18:19], v[2:3]
	flat_load_ushort v27, v[14:15]
	s_waitcnt vmcnt(0) lgkmcnt(0)
	v_cvt_f32_f16_e32 v2, v4
	v_cvt_f32_f16_e32 v3, v5
	;; [unrolled: 1-line block ×3, first 2 shown]
	v_cvt_f32_f16_sdwa v29, v18 dst_sel:DWORD dst_unused:UNUSED_PAD src0_sel:WORD_1
	v_cvt_f32_f16_e32 v5, v0
	v_cvt_f32_f16_e32 v4, v27
	;; [unrolled: 1-line block ×3, first 2 shown]
	v_cvt_f32_f16_sdwa v19, v19 dst_sel:DWORD dst_unused:UNUSED_PAD src0_sel:WORD_1
	v_pk_mul_f32 v[28:29], v[2:3], v[28:29]
	v_pk_mul_f32 v[18:19], v[4:5], v[18:19]
	v_add_f32_e32 v0, 0, v28
	v_add_f32_e32 v0, v0, v29
	;; [unrolled: 1-line block ×4, first 2 shown]
	s_andn2_saveexec_b64 s[36:37], s[14:15]
	s_cbranch_execz .LBB440_69
.LBB440_77:                             ;   in Loop: Header=BB440_67 Depth=1
	s_and_saveexec_b64 s[38:39], s[4:5]
	s_cbranch_execz .LBB440_84
; %bb.78:                               ;   in Loop: Header=BB440_67 Depth=1
	v_cndmask_b32_e64 v18, 0, 1, s[30:31]
	v_cmp_ne_u32_e64 s[14:15], 1, v18
	s_andn2_b64 vcc, exec, s[30:31]
	s_cbranch_vccnz .LBB440_81
; %bb.79:                               ;   in Loop: Header=BB440_67 Depth=1
	s_mov_b64 s[40:41], 0
	v_mov_b32_e32 v18, v8
.LBB440_80:                             ;   Parent Loop BB440_67 Depth=1
                                        ; =>  This Inner Loop Header: Depth=2
	v_ashrrev_i32_e32 v19, 31, v18
	v_lshl_add_u64 v[28:29], v[18:19], 1, s[22:23]
	flat_load_ushort v19, v[28:29]
	s_cmp_eq_u32 s40, 3
	s_cselect_b64 vcc, -1, 0
	s_cmp_eq_u32 s40, 2
	s_cselect_b64 s[16:17], -1, 0
	s_cmp_eq_u32 s40, 1
	s_cselect_b64 s[18:19], -1, 0
	;; [unrolled: 2-line block ×3, first 2 shown]
	s_add_u32 s40, s40, 1
	s_addc_u32 s41, s41, 0
	v_add_u32_e32 v18, s27, v18
	s_cmp_eq_u32 s48, s40
	s_waitcnt vmcnt(0) lgkmcnt(0)
	v_cvt_f32_f16_e32 v19, v19
	v_cndmask_b32_e32 v5, v5, v19, vcc
	v_cndmask_b32_e64 v4, v4, v19, s[16:17]
	v_cndmask_b32_e64 v3, v3, v19, s[18:19]
	v_cndmask_b32_e64 v2, v2, v19, s[20:21]
	s_cbranch_scc0 .LBB440_80
.LBB440_81:                             ;   in Loop: Header=BB440_67 Depth=1
	s_and_b64 vcc, exec, s[14:15]
	s_cbranch_vccnz .LBB440_84
; %bb.82:                               ;   in Loop: Header=BB440_67 Depth=1
	s_ashr_i32 s35, s34, 31
	v_lshl_add_u64 v[18:19], s[34:35], 1, v[6:7]
	s_mov_b64 s[14:15], 0
.LBB440_83:                             ;   Parent Loop BB440_67 Depth=1
                                        ; =>  This Inner Loop Header: Depth=2
	flat_load_ushort v27, v[18:19]
	s_cmp_eq_u32 s14, 1
	s_cselect_b64 vcc, -1, 0
	s_cmp_eq_u32 s14, 2
	v_cndmask_b32_e32 v28, v2, v3, vcc
	s_cselect_b64 vcc, -1, 0
	s_cmp_eq_u32 s14, 3
	v_cndmask_b32_e32 v28, v28, v4, vcc
	s_cselect_b64 vcc, -1, 0
	s_add_u32 s14, s14, 1
	v_cndmask_b32_e32 v28, v28, v5, vcc
	s_addc_u32 s15, s15, 0
	v_lshl_add_u64 v[18:19], v[18:19], 0, 2
	s_cmp_lg_u32 s48, s14
	s_waitcnt vmcnt(0) lgkmcnt(0)
	v_fma_mix_f32 v0, v28, v27, v0 op_sel_hi:[0,1,0]
	s_cbranch_scc1 .LBB440_83
.LBB440_84:                             ;   in Loop: Header=BB440_67 Depth=1
	s_or_b64 exec, exec, s[38:39]
	s_or_b64 exec, exec, s[36:37]
	s_and_saveexec_b64 s[14:15], s[6:7]
	s_cbranch_execnz .LBB440_70
	s_branch .LBB440_71
.LBB440_85:                             ;   in Loop: Header=BB440_67 Depth=1
	ds_read_b32 v0, v20
	s_or_b64 exec, exec, s[14:15]
	s_and_saveexec_b64 s[14:15], s[6:7]
	s_cbranch_execz .LBB440_75
.LBB440_86:                             ;   in Loop: Header=BB440_67 Depth=1
	s_waitcnt lgkmcnt(0)
	ds_bpermute_b32 v18, v25, v0
	s_waitcnt lgkmcnt(0)
	v_add_f32_e32 v0, v0, v18
	ds_bpermute_b32 v18, v26, v0
	s_waitcnt lgkmcnt(0)
	v_add_f32_e32 v0, v0, v18
	s_or_b64 exec, exec, s[14:15]
	s_and_saveexec_b64 s[14:15], s[12:13]
	s_cbranch_execz .LBB440_66
.LBB440_87:                             ;   in Loop: Header=BB440_67 Depth=1
	s_mul_hi_u32 s17, s29, s26
	s_mul_i32 s16, s29, s26
	s_lshl_b64 s[16:17], s[16:17], 2
	s_add_u32 s16, s2, s16
	s_waitcnt lgkmcnt(0)
	v_mul_f32_e32 v0, s33, v0
	s_addc_u32 s17, s24, s17
	global_store_dword v9, v0, s[16:17]
	s_branch .LBB440_66
.LBB440_88:
	s_endpgm
	.section	.rodata,"a",@progbits
	.p2align	6, 0x0
	.amdhsa_kernel _ZL23rocblas_gemvt_sn_kernelILb0ELi256ELi4EiPKDF16_PKffEviiT4_lPKT3_lilS7_lilPT5_i
		.amdhsa_group_segment_fixed_size 256
		.amdhsa_private_segment_fixed_size 0
		.amdhsa_kernarg_size 360
		.amdhsa_user_sgpr_count 2
		.amdhsa_user_sgpr_dispatch_ptr 0
		.amdhsa_user_sgpr_queue_ptr 0
		.amdhsa_user_sgpr_kernarg_segment_ptr 1
		.amdhsa_user_sgpr_dispatch_id 0
		.amdhsa_user_sgpr_kernarg_preload_length 0
		.amdhsa_user_sgpr_kernarg_preload_offset 0
		.amdhsa_user_sgpr_private_segment_size 0
		.amdhsa_uses_dynamic_stack 0
		.amdhsa_enable_private_segment 0
		.amdhsa_system_sgpr_workgroup_id_x 1
		.amdhsa_system_sgpr_workgroup_id_y 0
		.amdhsa_system_sgpr_workgroup_id_z 1
		.amdhsa_system_sgpr_workgroup_info 0
		.amdhsa_system_vgpr_workitem_id 0
		.amdhsa_next_free_vgpr 46
		.amdhsa_next_free_sgpr 54
		.amdhsa_accum_offset 48
		.amdhsa_reserve_vcc 1
		.amdhsa_float_round_mode_32 0
		.amdhsa_float_round_mode_16_64 0
		.amdhsa_float_denorm_mode_32 3
		.amdhsa_float_denorm_mode_16_64 3
		.amdhsa_dx10_clamp 1
		.amdhsa_ieee_mode 1
		.amdhsa_fp16_overflow 0
		.amdhsa_tg_split 0
		.amdhsa_exception_fp_ieee_invalid_op 0
		.amdhsa_exception_fp_denorm_src 0
		.amdhsa_exception_fp_ieee_div_zero 0
		.amdhsa_exception_fp_ieee_overflow 0
		.amdhsa_exception_fp_ieee_underflow 0
		.amdhsa_exception_fp_ieee_inexact 0
		.amdhsa_exception_int_div_zero 0
	.end_amdhsa_kernel
	.section	.text._ZL23rocblas_gemvt_sn_kernelILb0ELi256ELi4EiPKDF16_PKffEviiT4_lPKT3_lilS7_lilPT5_i,"axG",@progbits,_ZL23rocblas_gemvt_sn_kernelILb0ELi256ELi4EiPKDF16_PKffEviiT4_lPKT3_lilS7_lilPT5_i,comdat
.Lfunc_end440:
	.size	_ZL23rocblas_gemvt_sn_kernelILb0ELi256ELi4EiPKDF16_PKffEviiT4_lPKT3_lilS7_lilPT5_i, .Lfunc_end440-_ZL23rocblas_gemvt_sn_kernelILb0ELi256ELi4EiPKDF16_PKffEviiT4_lPKT3_lilS7_lilPT5_i
                                        ; -- End function
	.section	.AMDGPU.csdata,"",@progbits
; Kernel info:
; codeLenInByte = 3960
; NumSgprs: 60
; NumVgprs: 46
; NumAgprs: 0
; TotalNumVgprs: 46
; ScratchSize: 0
; MemoryBound: 0
; FloatMode: 240
; IeeeMode: 1
; LDSByteSize: 256 bytes/workgroup (compile time only)
; SGPRBlocks: 7
; VGPRBlocks: 5
; NumSGPRsForWavesPerEU: 60
; NumVGPRsForWavesPerEU: 46
; AccumOffset: 48
; Occupancy: 8
; WaveLimiterHint : 0
; COMPUTE_PGM_RSRC2:SCRATCH_EN: 0
; COMPUTE_PGM_RSRC2:USER_SGPR: 2
; COMPUTE_PGM_RSRC2:TRAP_HANDLER: 0
; COMPUTE_PGM_RSRC2:TGID_X_EN: 1
; COMPUTE_PGM_RSRC2:TGID_Y_EN: 0
; COMPUTE_PGM_RSRC2:TGID_Z_EN: 1
; COMPUTE_PGM_RSRC2:TIDIG_COMP_CNT: 0
; COMPUTE_PGM_RSRC3_GFX90A:ACCUM_OFFSET: 11
; COMPUTE_PGM_RSRC3_GFX90A:TG_SPLIT: 0
	.section	.text._ZL23rocblas_gemvt_sn_kernelILb0ELi256ELi4ElPKDF16_PKffEviiT4_lPKT3_lilS7_lilPT5_i,"axG",@progbits,_ZL23rocblas_gemvt_sn_kernelILb0ELi256ELi4ElPKDF16_PKffEviiT4_lPKT3_lilS7_lilPT5_i,comdat
	.globl	_ZL23rocblas_gemvt_sn_kernelILb0ELi256ELi4ElPKDF16_PKffEviiT4_lPKT3_lilS7_lilPT5_i ; -- Begin function _ZL23rocblas_gemvt_sn_kernelILb0ELi256ELi4ElPKDF16_PKffEviiT4_lPKT3_lilS7_lilPT5_i
	.p2align	8
	.type	_ZL23rocblas_gemvt_sn_kernelILb0ELi256ELi4ElPKDF16_PKffEviiT4_lPKT3_lilS7_lilPT5_i,@function
_ZL23rocblas_gemvt_sn_kernelILb0ELi256ELi4ElPKDF16_PKffEviiT4_lPKT3_lilS7_lilPT5_i: ; @_ZL23rocblas_gemvt_sn_kernelILb0ELi256ELi4ElPKDF16_PKffEviiT4_lPKT3_lilS7_lilPT5_i
; %bb.0:
	s_load_dwordx8 s[4:11], s[0:1], 0x8
	s_mov_b32 s12, s3
	s_mov_b32 s13, 0
	s_mov_b64 s[30:31], 0
	s_mov_b64 s[28:29], 0
	s_waitcnt lgkmcnt(0)
	s_mul_i32 s3, s3, s7
	s_mul_hi_u32 s7, s12, s6
	s_add_i32 s7, s7, s3
	s_mul_i32 s6, s12, s6
	s_lshl_b64 s[6:7], s[6:7], 2
	s_add_u32 s4, s4, s6
	s_addc_u32 s5, s5, s7
	s_load_dword s33, s[4:5], 0x0
	s_waitcnt lgkmcnt(0)
	v_cmp_eq_f32_e64 s[6:7], s33, 0
	v_cmp_neq_f32_e64 s[4:5], s33, 0
	s_and_b64 vcc, exec, s[6:7]
	s_cbranch_vccnz .LBB441_2
; %bb.1:
	s_lshl_b64 s[14:15], s[12:13], 3
	s_add_u32 s8, s8, s14
	s_addc_u32 s9, s9, s15
	s_load_dwordx2 s[8:9], s[8:9], 0x0
	s_lshl_b64 s[10:11], s[10:11], 1
	s_waitcnt lgkmcnt(0)
	s_add_u32 s28, s8, s10
	s_addc_u32 s29, s9, s11
.LBB441_2:
	s_andn2_b64 vcc, exec, s[4:5]
	s_cbranch_vccnz .LBB441_4
; %bb.3:
	s_load_dwordx4 s[8:11], s[0:1], 0x38
	s_lshl_b64 s[4:5], s[12:13], 3
	s_waitcnt lgkmcnt(0)
	s_add_u32 s4, s8, s4
	s_addc_u32 s5, s9, s5
	s_load_dwordx2 s[4:5], s[4:5], 0x0
	s_lshl_b64 s[8:9], s[10:11], 1
	s_waitcnt lgkmcnt(0)
	s_add_u32 s30, s4, s8
	s_addc_u32 s31, s5, s9
.LBB441_4:
	s_load_dwordx2 s[22:23], s[0:1], 0x0
	s_load_dwordx2 s[4:5], s[0:1], 0x58
	s_load_dword s24, s[0:1], 0x68
	s_mov_b32 s25, 0
	s_waitcnt lgkmcnt(0)
	s_ashr_i32 s14, s23, 31
	s_mul_hi_u32 s3, s23, s12
	s_mul_i32 s8, s14, s12
	s_add_i32 s9, s3, s8
	s_mul_i32 s8, s23, s12
	s_mul_i32 s3, s9, s24
	s_mul_hi_u32 s10, s8, s24
	s_add_i32 s11, s10, s3
	s_mul_i32 s10, s8, s24
	s_lshl_b64 s[10:11], s[10:11], 2
	s_add_u32 s54, s4, s10
	s_addc_u32 s55, s5, s11
	s_andn2_b64 vcc, exec, s[6:7]
	s_mov_b64 s[6:7], -1
	s_cbranch_vccnz .LBB441_14
; %bb.5:
	s_cmp_gt_i32 s23, 0
	v_cmp_eq_u32_e32 vcc, 0, v0
	s_cselect_b64 s[6:7], -1, 0
	s_and_b64 s[10:11], vcc, s[6:7]
	s_and_saveexec_b64 s[6:7], s[10:11]
	s_cbranch_execz .LBB441_13
; %bb.6:
	s_cmp_gt_u32 s23, 1
	s_cselect_b64 s[10:11], -1, 0
	s_cmp_eq_u32 s24, 1
	s_cselect_b64 s[16:17], -1, 0
	s_mov_b32 s3, 0
	s_and_b64 s[10:11], s[10:11], s[16:17]
	s_mov_b64 s[12:13], -1
	s_andn2_b64 vcc, exec, s[10:11]
	s_mov_b32 s10, s3
	s_cbranch_vccnz .LBB441_10
; %bb.7:
	s_lshl_b64 s[10:11], s[2:3], 2
	s_add_u32 s12, s54, s10
	s_addc_u32 s13, s55, s11
	s_and_b32 s10, s23, 0x7ffffffe
	v_mov_b32_e32 v2, 0
	v_mov_b32_e32 v3, v2
	s_mov_b32 s11, s10
.LBB441_8:                              ; =>This Inner Loop Header: Depth=1
	global_store_dwordx2 v2, v[2:3], s[12:13]
	s_add_u32 s12, s12, 8
	s_addc_u32 s13, s13, 0
	s_add_i32 s11, s11, -2
	s_cmp_lg_u32 s11, 0
	s_cbranch_scc1 .LBB441_8
; %bb.9:
	s_cmp_lg_u32 s10, s23
	s_cselect_b64 s[12:13], -1, 0
.LBB441_10:
	s_and_b64 vcc, exec, s[12:13]
	s_cbranch_vccz .LBB441_13
; %bb.11:
	s_mov_b32 s11, 0
	s_sub_i32 s12, s23, s10
	s_lshl_b64 s[8:9], s[8:9], 2
	s_lshl_b64 s[10:11], s[10:11], 2
	s_add_u32 s8, s8, s10
	s_addc_u32 s9, s9, s11
	s_mul_i32 s9, s9, s24
	s_mul_hi_u32 s10, s8, s24
	s_add_i32 s10, s10, s9
	s_mul_i32 s11, s8, s24
	s_lshl_b64 s[8:9], s[2:3], 2
	s_add_u32 s3, s11, s8
	s_addc_u32 s8, s10, s9
	s_add_u32 s4, s4, s3
	s_addc_u32 s5, s5, s8
	s_lshl_b64 s[8:9], s[24:25], 2
	v_mov_b32_e32 v1, 0
.LBB441_12:                             ; =>This Inner Loop Header: Depth=1
	s_add_i32 s12, s12, -1
	global_store_dword v1, v1, s[4:5]
	s_add_u32 s4, s4, s8
	s_addc_u32 s5, s5, s9
	s_cmp_eq_u32 s12, 0
	s_cbranch_scc0 .LBB441_12
.LBB441_13:
	s_or_b64 exec, exec, s[6:7]
	s_mov_b64 s[6:7], 0
.LBB441_14:
	s_andn2_b64 vcc, exec, s[6:7]
	s_cbranch_vccnz .LBB441_88
; %bb.15:
	s_load_dword s26, s[0:1], 0x28
	s_load_dword s34, s[0:1], 0x48
	s_lshl_b32 s0, s2, 10
	v_lshl_or_b32 v8, v0, 2, s0
	s_lshr_b32 s0, s14, 30
	s_add_i32 s0, s23, s0
	s_and_b32 s56, s0, -4
	s_ashr_i32 s0, s22, 31
	s_lshr_b32 s0, s0, 30
	s_add_i32 s0, s22, s0
	s_and_b32 s0, s0, -4
	s_waitcnt lgkmcnt(0)
	s_ashr_i32 s27, s26, 31
	s_ashr_i32 s35, s34, 31
	v_ashrrev_i32_e32 v9, 31, v8
	s_sub_i32 s25, s22, s0
	v_lshl_add_u64 v[6:7], v[8:9], 1, s[28:29]
	s_cmp_lt_i32 s56, 1
	v_add_u32_e32 v27, 4, v8
	v_add_u32_e32 v28, s25, v8
	v_and_b32_e32 v24, 63, v0
	v_cmp_gt_u32_e64 s[0:1], 64, v0
	v_mbcnt_lo_u32_b32 v26, -1, 0
	v_cmp_gt_u32_e64 s[4:5], 4, v0
	v_lshrrev_b32_e32 v25, 4, v0
	v_cmp_eq_u32_e64 s[6:7], 0, v0
	v_or_b32_e32 v23, 1, v8
	v_or_b32_e32 v22, 2, v8
	;; [unrolled: 1-line block ×3, first 2 shown]
	s_cbranch_scc1 .LBB441_63
; %bb.16:
	v_mbcnt_hi_u32_b32 v2, -1, v26
	v_and_b32_e32 v3, 63, v2
	v_cmp_gt_u32_e32 vcc, 32, v3
	s_mov_b32 s3, 0
	s_cmp_gt_i32 s25, 0
	v_cndmask_b32_e64 v4, 0, 1, vcc
	v_lshlrev_b32_e32 v4, 5, v4
	v_cmp_gt_u32_e32 vcc, 48, v3
	v_add_lshl_u32 v29, v4, v2, 2
	s_cselect_b64 s[36:37], -1, 0
	v_cndmask_b32_e64 v4, 0, 1, vcc
	v_lshlrev_b32_e32 v4, 4, v4
	v_cmp_gt_u32_e32 vcc, 56, v3
	v_add_lshl_u32 v30, v4, v2, 2
	s_lshl_b64 s[14:15], s[2:3], 2
	v_cndmask_b32_e64 v4, 0, 1, vcc
	v_lshlrev_b32_e32 v4, 3, v4
	v_cmp_gt_u32_e32 vcc, 60, v3
	v_add_lshl_u32 v31, v4, v2, 2
	s_add_u32 s57, s54, s14
	v_cndmask_b32_e64 v4, 0, 1, vcc
	v_lshlrev_b32_e32 v4, 2, v4
	v_cmp_gt_u32_e32 vcc, 62, v3
	v_add_lshl_u32 v32, v4, v2, 2
	s_addc_u32 s58, s55, s15
	v_cndmask_b32_e64 v4, 0, 1, vcc
	v_lshlrev_b32_e32 v4, 1, v4
	v_cmp_ne_u32_e32 vcc, 63, v3
	v_add_lshl_u32 v33, v4, v2, 2
	v_cmp_ge_i32_e64 s[8:9], s22, v27
	v_addc_co_u32_e32 v2, vcc, 0, v2, vcc
	v_lshlrev_b32_e32 v34, 2, v2
	v_mad_i64_i32 v[2:3], s[14:15], s34, v8, 0
	v_lshl_add_u64 v[10:11], v[2:3], 1, s[30:31]
	v_mad_i64_i32 v[2:3], s[14:15], s34, v23, 0
	v_lshl_add_u64 v[12:13], v[2:3], 1, s[30:31]
	;; [unrolled: 2-line block ×3, first 2 shown]
	v_mad_i64_i32 v[2:3], s[14:15], s34, v1, 0
	v_cmp_ge_i32_e64 s[10:11], s22, v28
	v_cmp_eq_u32_e64 s[12:13], 0, v24
	v_lshlrev_b32_e32 v35, 2, v24
	v_and_b32_e32 v36, 12, v25
	v_lshl_add_u64 v[16:17], v[2:3], 1, s[30:31]
	s_lshl_b64 s[38:39], s[34:35], 1
	s_mul_hi_i32 s41, s26, 6
	s_mul_i32 s40, s26, 6
	s_lshl_b64 s[42:43], s[26:27], 3
	s_lshl_b64 s[44:45], s[26:27], 2
	;; [unrolled: 1-line block ×3, first 2 shown]
	v_mov_b32_e32 v37, 0
	v_mov_b64_e32 v[18:19], v[6:7]
                                        ; implicit-def: $vgpr2_vgpr3_vgpr4_vgpr5
	s_branch .LBB441_18
.LBB441_17:                             ;   in Loop: Header=BB441_18 Depth=1
	s_or_b64 exec, exec, s[14:15]
	s_add_i32 s3, s3, 4
	s_cmp_ge_i32 s3, s56
	v_lshl_add_u64 v[18:19], v[18:19], 0, s[42:43]
	s_cbranch_scc1 .LBB441_64
.LBB441_18:                             ; =>This Loop Header: Depth=1
                                        ;     Child Loop BB441_49 Depth 2
                                        ;     Child Loop BB441_52 Depth 2
                                        ; implicit-def: $vgpr38
                                        ; implicit-def: $vgpr39
                                        ; implicit-def: $vgpr40
                                        ; implicit-def: $vgpr41
	s_and_saveexec_b64 s[14:15], s[8:9]
	s_xor_b64 s[14:15], exec, s[14:15]
	s_cbranch_execnz .LBB441_45
; %bb.19:                               ;   in Loop: Header=BB441_18 Depth=1
	s_andn2_saveexec_b64 s[48:49], s[14:15]
	s_cbranch_execnz .LBB441_46
.LBB441_20:                             ;   in Loop: Header=BB441_18 Depth=1
	s_or_b64 exec, exec, s[48:49]
	s_and_saveexec_b64 s[14:15], s[0:1]
	s_cbranch_execz .LBB441_22
.LBB441_21:                             ;   in Loop: Header=BB441_18 Depth=1
	ds_write_b32 v35, v37
.LBB441_22:                             ;   in Loop: Header=BB441_18 Depth=1
	s_or_b64 exec, exec, s[14:15]
	ds_bpermute_b32 v20, v29, v41
	s_waitcnt lgkmcnt(0)
	s_barrier
	v_add_f32_e32 v20, v41, v20
	ds_bpermute_b32 v21, v30, v20
	s_waitcnt lgkmcnt(0)
	v_add_f32_e32 v20, v20, v21
	ds_bpermute_b32 v21, v31, v20
	s_waitcnt lgkmcnt(0)
	;; [unrolled: 3-line block ×4, first 2 shown]
	v_add_f32_e32 v20, v20, v21
	ds_bpermute_b32 v21, v34, v20
	s_and_saveexec_b64 s[14:15], s[12:13]
	s_cbranch_execz .LBB441_24
; %bb.23:                               ;   in Loop: Header=BB441_18 Depth=1
	s_waitcnt lgkmcnt(0)
	v_add_f32_e32 v20, v20, v21
	ds_write_b32 v36, v20
.LBB441_24:                             ;   in Loop: Header=BB441_18 Depth=1
	s_or_b64 exec, exec, s[14:15]
	v_mov_b32_e32 v20, 0
	s_waitcnt lgkmcnt(0)
	s_barrier
	s_and_saveexec_b64 s[14:15], s[4:5]
	s_cbranch_execnz .LBB441_54
; %bb.25:                               ;   in Loop: Header=BB441_18 Depth=1
	s_or_b64 exec, exec, s[14:15]
	s_and_saveexec_b64 s[14:15], s[0:1]
	s_cbranch_execnz .LBB441_55
.LBB441_26:                             ;   in Loop: Header=BB441_18 Depth=1
	s_or_b64 exec, exec, s[14:15]
	s_and_saveexec_b64 s[14:15], s[0:1]
	s_cbranch_execz .LBB441_28
.LBB441_27:                             ;   in Loop: Header=BB441_18 Depth=1
	ds_write_b32 v35, v37
.LBB441_28:                             ;   in Loop: Header=BB441_18 Depth=1
	s_or_b64 exec, exec, s[14:15]
	ds_bpermute_b32 v21, v29, v40
	s_waitcnt lgkmcnt(0)
	s_barrier
	v_add_f32_e32 v21, v40, v21
	ds_bpermute_b32 v40, v30, v21
	s_waitcnt lgkmcnt(0)
	v_add_f32_e32 v21, v21, v40
	ds_bpermute_b32 v40, v31, v21
	s_waitcnt lgkmcnt(0)
	;; [unrolled: 3-line block ×4, first 2 shown]
	v_add_f32_e32 v21, v21, v40
	ds_bpermute_b32 v40, v34, v21
	s_and_saveexec_b64 s[14:15], s[12:13]
	s_cbranch_execz .LBB441_30
; %bb.29:                               ;   in Loop: Header=BB441_18 Depth=1
	s_waitcnt lgkmcnt(0)
	v_add_f32_e32 v21, v21, v40
	ds_write_b32 v36, v21
.LBB441_30:                             ;   in Loop: Header=BB441_18 Depth=1
	s_or_b64 exec, exec, s[14:15]
	v_mov_b32_e32 v21, 0
	s_waitcnt lgkmcnt(0)
	s_barrier
	s_and_saveexec_b64 s[14:15], s[4:5]
	s_cbranch_execnz .LBB441_56
; %bb.31:                               ;   in Loop: Header=BB441_18 Depth=1
	s_or_b64 exec, exec, s[14:15]
	s_and_saveexec_b64 s[14:15], s[0:1]
	s_cbranch_execnz .LBB441_57
.LBB441_32:                             ;   in Loop: Header=BB441_18 Depth=1
	s_or_b64 exec, exec, s[14:15]
	s_and_saveexec_b64 s[14:15], s[0:1]
	s_cbranch_execz .LBB441_34
.LBB441_33:                             ;   in Loop: Header=BB441_18 Depth=1
	ds_write_b32 v35, v37
.LBB441_34:                             ;   in Loop: Header=BB441_18 Depth=1
	s_or_b64 exec, exec, s[14:15]
	ds_bpermute_b32 v40, v29, v39
	s_waitcnt lgkmcnt(0)
	s_barrier
	v_add_f32_e32 v39, v39, v40
	ds_bpermute_b32 v40, v30, v39
	s_waitcnt lgkmcnt(0)
	v_add_f32_e32 v39, v39, v40
	ds_bpermute_b32 v40, v31, v39
	s_waitcnt lgkmcnt(0)
	;; [unrolled: 3-line block ×4, first 2 shown]
	v_add_f32_e32 v39, v39, v40
	ds_bpermute_b32 v40, v34, v39
	s_and_saveexec_b64 s[14:15], s[12:13]
	s_cbranch_execz .LBB441_36
; %bb.35:                               ;   in Loop: Header=BB441_18 Depth=1
	s_waitcnt lgkmcnt(0)
	v_add_f32_e32 v39, v39, v40
	ds_write_b32 v36, v39
.LBB441_36:                             ;   in Loop: Header=BB441_18 Depth=1
	s_or_b64 exec, exec, s[14:15]
	v_mov_b32_e32 v39, 0
	s_waitcnt lgkmcnt(0)
	s_barrier
	s_and_saveexec_b64 s[14:15], s[4:5]
	s_cbranch_execnz .LBB441_58
; %bb.37:                               ;   in Loop: Header=BB441_18 Depth=1
	s_or_b64 exec, exec, s[14:15]
	s_and_saveexec_b64 s[14:15], s[0:1]
	s_cbranch_execnz .LBB441_59
.LBB441_38:                             ;   in Loop: Header=BB441_18 Depth=1
	s_or_b64 exec, exec, s[14:15]
	s_and_saveexec_b64 s[14:15], s[0:1]
	s_cbranch_execz .LBB441_40
.LBB441_39:                             ;   in Loop: Header=BB441_18 Depth=1
	ds_write_b32 v35, v37
.LBB441_40:                             ;   in Loop: Header=BB441_18 Depth=1
	s_or_b64 exec, exec, s[14:15]
	ds_bpermute_b32 v40, v29, v38
	s_waitcnt lgkmcnt(0)
	s_barrier
	v_add_f32_e32 v38, v38, v40
	ds_bpermute_b32 v40, v30, v38
	s_waitcnt lgkmcnt(0)
	v_add_f32_e32 v38, v38, v40
	ds_bpermute_b32 v40, v31, v38
	s_waitcnt lgkmcnt(0)
	;; [unrolled: 3-line block ×4, first 2 shown]
	v_add_f32_e32 v38, v38, v40
	ds_bpermute_b32 v40, v34, v38
	s_and_saveexec_b64 s[14:15], s[12:13]
	s_cbranch_execz .LBB441_42
; %bb.41:                               ;   in Loop: Header=BB441_18 Depth=1
	s_waitcnt lgkmcnt(0)
	v_add_f32_e32 v38, v38, v40
	ds_write_b32 v36, v38
.LBB441_42:                             ;   in Loop: Header=BB441_18 Depth=1
	s_or_b64 exec, exec, s[14:15]
	v_mov_b32_e32 v38, 0
	s_waitcnt lgkmcnt(0)
	s_barrier
	s_and_saveexec_b64 s[14:15], s[4:5]
	s_cbranch_execnz .LBB441_60
; %bb.43:                               ;   in Loop: Header=BB441_18 Depth=1
	s_or_b64 exec, exec, s[14:15]
	s_and_saveexec_b64 s[14:15], s[0:1]
	s_cbranch_execnz .LBB441_61
.LBB441_44:                             ;   in Loop: Header=BB441_18 Depth=1
	s_or_b64 exec, exec, s[14:15]
	s_and_saveexec_b64 s[14:15], s[6:7]
	s_cbranch_execz .LBB441_17
	s_branch .LBB441_62
.LBB441_45:                             ;   in Loop: Header=BB441_18 Depth=1
	s_mul_i32 s16, s3, s27
	s_mul_hi_u32 s17, s3, s26
	s_add_i32 s17, s17, s16
	s_mul_i32 s16, s3, s26
	v_lshl_add_u64 v[2:3], s[16:17], 1, v[6:7]
	s_or_b32 s16, s3, 1
	s_mul_i32 s17, s16, s27
	s_mul_hi_u32 s18, s16, s26
	s_add_i32 s17, s18, s17
	s_mul_i32 s16, s16, s26
	v_lshl_add_u64 v[4:5], s[16:17], 1, v[6:7]
	s_or_b32 s16, s3, 2
	;; [unrolled: 6-line block ×3, first 2 shown]
	s_mul_i32 s17, s16, s27
	s_mul_hi_u32 s18, s16, s26
	s_add_i32 s17, s18, s17
	s_mul_i32 s16, s16, s26
	flat_load_ushort v48, v[12:13]
	flat_load_ushort v49, v[14:15]
	;; [unrolled: 1-line block ×4, first 2 shown]
	s_waitcnt lgkmcnt(0)
	v_lshl_add_u64 v[38:39], s[16:17], 1, v[6:7]
	flat_load_dwordx2 v[40:41], v[2:3]
	flat_load_dwordx2 v[42:43], v[4:5]
	;; [unrolled: 1-line block ×4, first 2 shown]
	s_waitcnt vmcnt(0) lgkmcnt(0)
	v_cvt_f32_f16_e32 v3, v48
	v_cvt_f32_f16_e32 v4, v49
	;; [unrolled: 1-line block ×4, first 2 shown]
	v_fma_mix_f32 v20, v50, v40, 0 op_sel_hi:[1,1,0]
	v_fma_mix_f32 v21, v50, v42, 0 op_sel_hi:[1,1,0]
	;; [unrolled: 1-line block ×4, first 2 shown]
	v_fma_mix_f32 v20, v48, v40, v20 op_sel:[0,1,0] op_sel_hi:[1,1,0]
	v_fma_mix_f32 v21, v48, v42, v21 op_sel:[0,1,0] op_sel_hi:[1,1,0]
	;; [unrolled: 1-line block ×4, first 2 shown]
	v_fma_mix_f32 v20, v49, v41, v20 op_sel_hi:[1,1,0]
	v_fma_mix_f32 v21, v49, v43, v21 op_sel_hi:[1,1,0]
	;; [unrolled: 1-line block ×4, first 2 shown]
	v_fma_mix_f32 v41, v51, v41, v20 op_sel:[0,1,0] op_sel_hi:[1,1,0]
	v_fma_mix_f32 v40, v51, v43, v21 op_sel:[0,1,0] op_sel_hi:[1,1,0]
	;; [unrolled: 1-line block ×4, first 2 shown]
	s_andn2_saveexec_b64 s[48:49], s[14:15]
	s_cbranch_execz .LBB441_20
.LBB441_46:                             ;   in Loop: Header=BB441_18 Depth=1
	s_waitcnt lgkmcnt(0)
	v_mov_b32_e32 v38, 0
	v_mov_b32_e32 v39, 0
	;; [unrolled: 1-line block ×4, first 2 shown]
	s_and_saveexec_b64 s[50:51], s[10:11]
	s_cbranch_execz .LBB441_53
; %bb.47:                               ;   in Loop: Header=BB441_18 Depth=1
	v_cndmask_b32_e64 v20, 0, 1, s[36:37]
	v_cmp_ne_u32_e64 s[14:15], 1, v20
	s_andn2_b64 vcc, exec, s[36:37]
	s_cbranch_vccnz .LBB441_50
; %bb.48:                               ;   in Loop: Header=BB441_18 Depth=1
	s_mov_b64 s[52:53], 0
	v_mov_b64_e32 v[20:21], v[10:11]
.LBB441_49:                             ;   Parent Loop BB441_18 Depth=1
                                        ; =>  This Inner Loop Header: Depth=2
	flat_load_ushort v38, v[20:21]
	s_cmp_eq_u32 s52, 3
	s_cselect_b64 vcc, -1, 0
	s_cmp_eq_u32 s52, 2
	s_cselect_b64 s[16:17], -1, 0
	s_cmp_eq_u32 s52, 1
	s_cselect_b64 s[18:19], -1, 0
	;; [unrolled: 2-line block ×3, first 2 shown]
	s_add_u32 s52, s52, 1
	s_addc_u32 s53, s53, 0
	v_lshl_add_u64 v[20:21], v[20:21], 0, s[38:39]
	s_cmp_eq_u32 s25, s52
	s_waitcnt vmcnt(0) lgkmcnt(0)
	v_cvt_f32_f16_e32 v38, v38
	v_cndmask_b32_e32 v5, v5, v38, vcc
	v_cndmask_b32_e64 v4, v4, v38, s[16:17]
	v_cndmask_b32_e64 v3, v3, v38, s[18:19]
	;; [unrolled: 1-line block ×3, first 2 shown]
	s_cbranch_scc0 .LBB441_49
.LBB441_50:                             ;   in Loop: Header=BB441_18 Depth=1
	s_and_b64 vcc, exec, s[14:15]
	v_mov_b32_e32 v38, 0
	v_mov_b32_e32 v39, 0
	;; [unrolled: 1-line block ×4, first 2 shown]
	s_cbranch_vccnz .LBB441_53
; %bb.51:                               ;   in Loop: Header=BB441_18 Depth=1
	s_mov_b64 s[14:15], 0
	v_mov_b32_e32 v41, 0
	v_mov_b64_e32 v[20:21], v[18:19]
	v_mov_b32_e32 v40, 0
	v_mov_b32_e32 v39, 0
	;; [unrolled: 1-line block ×3, first 2 shown]
.LBB441_52:                             ;   Parent Loop BB441_18 Depth=1
                                        ; =>  This Inner Loop Header: Depth=2
	v_lshl_add_u64 v[42:43], v[20:21], 0, s[46:47]
	v_lshl_add_u64 v[44:45], v[20:21], 0, s[44:45]
	flat_load_ushort v48, v[20:21]
	v_lshl_add_u64 v[46:47], v[20:21], 0, s[40:41]
	flat_load_ushort v42, v[42:43]
	s_nop 0
	flat_load_ushort v43, v[44:45]
	s_nop 0
	flat_load_ushort v44, v[46:47]
	s_cmp_eq_u32 s14, 1
	s_cselect_b64 vcc, -1, 0
	s_cmp_eq_u32 s14, 2
	v_cndmask_b32_e32 v45, v2, v3, vcc
	s_cselect_b64 vcc, -1, 0
	s_cmp_eq_u32 s14, 3
	v_cndmask_b32_e32 v45, v45, v4, vcc
	s_cselect_b64 vcc, -1, 0
	s_add_u32 s14, s14, 1
	v_cndmask_b32_e32 v45, v45, v5, vcc
	s_addc_u32 s15, s15, 0
	v_lshl_add_u64 v[20:21], v[20:21], 0, 2
	s_cmp_lg_u32 s25, s14
	s_waitcnt vmcnt(0) lgkmcnt(0)
	v_fma_mix_f32 v40, v45, v42, v40 op_sel_hi:[0,1,0]
	v_fma_mix_f32 v41, v45, v48, v41 op_sel_hi:[0,1,0]
	;; [unrolled: 1-line block ×4, first 2 shown]
	s_cbranch_scc1 .LBB441_52
.LBB441_53:                             ;   in Loop: Header=BB441_18 Depth=1
	s_or_b64 exec, exec, s[50:51]
	s_or_b64 exec, exec, s[48:49]
	s_and_saveexec_b64 s[14:15], s[0:1]
	s_cbranch_execnz .LBB441_21
	s_branch .LBB441_22
.LBB441_54:                             ;   in Loop: Header=BB441_18 Depth=1
	ds_read_b32 v20, v35
	s_or_b64 exec, exec, s[14:15]
	s_and_saveexec_b64 s[14:15], s[0:1]
	s_cbranch_execz .LBB441_26
.LBB441_55:                             ;   in Loop: Header=BB441_18 Depth=1
	s_waitcnt lgkmcnt(0)
	ds_bpermute_b32 v21, v33, v20
	s_waitcnt lgkmcnt(0)
	v_add_f32_e32 v20, v20, v21
	ds_bpermute_b32 v21, v34, v20
	s_waitcnt lgkmcnt(0)
	v_add_f32_e32 v20, v20, v21
	s_or_b64 exec, exec, s[14:15]
	s_and_saveexec_b64 s[14:15], s[0:1]
	s_cbranch_execnz .LBB441_27
	s_branch .LBB441_28
.LBB441_56:                             ;   in Loop: Header=BB441_18 Depth=1
	ds_read_b32 v21, v35
	s_or_b64 exec, exec, s[14:15]
	s_and_saveexec_b64 s[14:15], s[0:1]
	s_cbranch_execz .LBB441_32
.LBB441_57:                             ;   in Loop: Header=BB441_18 Depth=1
	s_waitcnt lgkmcnt(0)
	ds_bpermute_b32 v40, v33, v21
	s_waitcnt lgkmcnt(0)
	v_add_f32_e32 v21, v21, v40
	ds_bpermute_b32 v40, v34, v21
	s_waitcnt lgkmcnt(0)
	v_add_f32_e32 v21, v21, v40
	s_or_b64 exec, exec, s[14:15]
	s_and_saveexec_b64 s[14:15], s[0:1]
	s_cbranch_execnz .LBB441_33
	s_branch .LBB441_34
.LBB441_58:                             ;   in Loop: Header=BB441_18 Depth=1
	ds_read_b32 v39, v35
	s_or_b64 exec, exec, s[14:15]
	s_and_saveexec_b64 s[14:15], s[0:1]
	s_cbranch_execz .LBB441_38
.LBB441_59:                             ;   in Loop: Header=BB441_18 Depth=1
	s_waitcnt lgkmcnt(0)
	ds_bpermute_b32 v40, v33, v39
	s_waitcnt lgkmcnt(0)
	v_add_f32_e32 v39, v39, v40
	ds_bpermute_b32 v40, v34, v39
	s_waitcnt lgkmcnt(0)
	v_add_f32_e32 v39, v39, v40
	s_or_b64 exec, exec, s[14:15]
	s_and_saveexec_b64 s[14:15], s[0:1]
	s_cbranch_execnz .LBB441_39
	s_branch .LBB441_40
.LBB441_60:                             ;   in Loop: Header=BB441_18 Depth=1
	ds_read_b32 v38, v35
	s_or_b64 exec, exec, s[14:15]
	s_and_saveexec_b64 s[14:15], s[0:1]
	s_cbranch_execz .LBB441_44
.LBB441_61:                             ;   in Loop: Header=BB441_18 Depth=1
	s_waitcnt lgkmcnt(0)
	ds_bpermute_b32 v40, v33, v38
	s_waitcnt lgkmcnt(0)
	v_add_f32_e32 v38, v38, v40
	ds_bpermute_b32 v40, v34, v38
	s_waitcnt lgkmcnt(0)
	v_add_f32_e32 v38, v38, v40
	s_or_b64 exec, exec, s[14:15]
	s_and_saveexec_b64 s[14:15], s[6:7]
	s_cbranch_execz .LBB441_17
.LBB441_62:                             ;   in Loop: Header=BB441_18 Depth=1
	s_mul_hi_u32 s17, s3, s24
	s_mul_i32 s16, s3, s24
	s_lshl_b64 s[16:17], s[16:17], 2
	s_add_u32 s16, s57, s16
	v_mul_f32_e32 v20, s33, v20
	s_addc_u32 s17, s58, s17
	global_store_dword v37, v20, s[16:17]
	s_or_b32 s16, s3, 1
	s_mul_hi_u32 s17, s16, s24
	s_mul_i32 s16, s16, s24
	s_lshl_b64 s[16:17], s[16:17], 2
	s_add_u32 s16, s57, s16
	v_mul_f32_e32 v20, s33, v21
	s_addc_u32 s17, s58, s17
	global_store_dword v37, v20, s[16:17]
	s_or_b32 s16, s3, 2
	;; [unrolled: 8-line block ×3, first 2 shown]
	s_mul_hi_u32 s17, s16, s24
	s_mul_i32 s16, s16, s24
	s_lshl_b64 s[16:17], s[16:17], 2
	s_add_u32 s16, s57, s16
	s_waitcnt lgkmcnt(0)
	v_mul_f32_e32 v20, s33, v38
	s_addc_u32 s17, s58, s17
	global_store_dword v37, v20, s[16:17]
	s_branch .LBB441_17
.LBB441_63:
	s_mov_b32 s3, 0
                                        ; implicit-def: $vgpr2_vgpr3_vgpr4_vgpr5
.LBB441_64:
	s_cmp_ge_i32 s3, s23
	s_cbranch_scc1 .LBB441_88
; %bb.65:
	v_mbcnt_hi_u32_b32 v10, -1, v26
	v_and_b32_e32 v11, 63, v10
	v_cmp_gt_u32_e32 vcc, 32, v11
	v_cmp_ge_i32_e64 s[0:1], s22, v27
	v_cmp_ge_i32_e64 s[4:5], s22, v28
	v_cndmask_b32_e64 v12, 0, 1, vcc
	v_lshlrev_b32_e32 v12, 5, v12
	v_cmp_gt_u32_e32 vcc, 48, v11
	v_add_lshl_u32 v21, v12, v10, 2
	s_mov_b32 s37, 0
	v_cndmask_b32_e64 v12, 0, 1, vcc
	v_lshlrev_b32_e32 v12, 4, v12
	v_cmp_gt_u32_e32 vcc, 56, v11
	v_add_lshl_u32 v26, v12, v10, 2
	s_cmp_gt_i32 s25, 0
	v_cndmask_b32_e64 v12, 0, 1, vcc
	v_lshlrev_b32_e32 v12, 3, v12
	v_cmp_gt_u32_e32 vcc, 60, v11
	v_add_lshl_u32 v27, v12, v10, 2
	s_mov_b32 s36, s2
	v_cndmask_b32_e64 v12, 0, 1, vcc
	v_lshlrev_b32_e32 v12, 2, v12
	v_cmp_gt_u32_e32 vcc, 62, v11
	v_add_lshl_u32 v28, v12, v10, 2
	s_cselect_b64 s[38:39], -1, 0
	v_cndmask_b32_e64 v12, 0, 1, vcc
	v_lshlrev_b32_e32 v12, 1, v12
	v_cmp_ne_u32_e32 vcc, 63, v11
	s_lshl_b64 s[14:15], s[36:37], 2
	v_add_lshl_u32 v29, v12, v10, 2
	v_addc_co_u32_e32 v10, vcc, 0, v10, vcc
	s_add_u32 s2, s54, s14
	v_cmp_gt_u32_e64 s[6:7], 64, v0
	v_lshlrev_b32_e32 v30, 2, v10
	v_cmp_gt_u32_e64 s[10:11], 4, v0
	v_cmp_eq_u32_e64 s[12:13], 0, v0
	s_addc_u32 s22, s55, s15
	v_mad_i64_i32 v[10:11], s[14:15], s34, v8, 0
	v_mad_i64_i32 v[12:13], s[14:15], s34, v23, 0
	;; [unrolled: 1-line block ×4, first 2 shown]
	s_mul_i32 s14, s27, s3
	s_mul_hi_u32 s15, s26, s3
	s_add_i32 s15, s15, s14
	s_mul_i32 s14, s26, s3
	v_lshl_add_u64 v[10:11], v[10:11], 1, s[30:31]
	v_lshl_add_u64 v[12:13], v[12:13], 1, s[30:31]
	v_lshl_add_u64 v[14:15], v[14:15], 1, s[30:31]
	v_lshl_add_u64 v[16:17], v[0:1], 1, s[30:31]
	s_lshl_b64 s[30:31], s[34:35], 1
	s_lshl_b64 s[14:15], s[14:15], 1
	s_add_u32 s14, s28, s14
	s_addc_u32 s15, s29, s15
	v_lshlrev_b32_e32 v20, 2, v24
	v_cmp_eq_u32_e64 s[8:9], 0, v24
	v_and_b32_e32 v24, 12, v25
	v_lshl_add_u64 v[8:9], v[8:9], 1, s[14:15]
	s_lshl_b64 s[28:29], s[26:27], 1
	v_mov_b32_e32 v1, 0
	s_branch .LBB441_67
.LBB441_66:                             ;   in Loop: Header=BB441_67 Depth=1
	s_or_b64 exec, exec, s[14:15]
	s_add_i32 s3, s3, 1
	s_cmp_ge_i32 s3, s23
	v_lshl_add_u64 v[8:9], v[8:9], 0, s[28:29]
	s_cbranch_scc1 .LBB441_88
.LBB441_67:                             ; =>This Loop Header: Depth=1
                                        ;     Child Loop BB441_80 Depth 2
                                        ;     Child Loop BB441_83 Depth 2
	s_waitcnt lgkmcnt(0)
	v_mov_b32_e32 v0, s37
	s_and_saveexec_b64 s[14:15], s[0:1]
	s_xor_b64 s[14:15], exec, s[14:15]
	s_cbranch_execnz .LBB441_76
; %bb.68:                               ;   in Loop: Header=BB441_67 Depth=1
	s_andn2_saveexec_b64 s[34:35], s[14:15]
	s_cbranch_execnz .LBB441_77
.LBB441_69:                             ;   in Loop: Header=BB441_67 Depth=1
	s_or_b64 exec, exec, s[34:35]
	s_and_saveexec_b64 s[14:15], s[6:7]
	s_cbranch_execz .LBB441_71
.LBB441_70:                             ;   in Loop: Header=BB441_67 Depth=1
	ds_write_b32 v20, v1
.LBB441_71:                             ;   in Loop: Header=BB441_67 Depth=1
	s_or_b64 exec, exec, s[14:15]
	ds_bpermute_b32 v18, v21, v0
	s_waitcnt lgkmcnt(0)
	s_barrier
	v_add_f32_e32 v0, v0, v18
	ds_bpermute_b32 v18, v26, v0
	s_waitcnt lgkmcnt(0)
	v_add_f32_e32 v0, v0, v18
	ds_bpermute_b32 v18, v27, v0
	s_waitcnt lgkmcnt(0)
	;; [unrolled: 3-line block ×4, first 2 shown]
	v_add_f32_e32 v0, v0, v18
	ds_bpermute_b32 v18, v30, v0
	s_and_saveexec_b64 s[14:15], s[8:9]
	s_cbranch_execz .LBB441_73
; %bb.72:                               ;   in Loop: Header=BB441_67 Depth=1
	s_waitcnt lgkmcnt(0)
	v_add_f32_e32 v0, v0, v18
	ds_write_b32 v24, v0
.LBB441_73:                             ;   in Loop: Header=BB441_67 Depth=1
	s_or_b64 exec, exec, s[14:15]
	v_mov_b32_e32 v0, 0
	s_waitcnt lgkmcnt(0)
	s_barrier
	s_and_saveexec_b64 s[14:15], s[10:11]
	s_cbranch_execnz .LBB441_85
; %bb.74:                               ;   in Loop: Header=BB441_67 Depth=1
	s_or_b64 exec, exec, s[14:15]
	s_and_saveexec_b64 s[14:15], s[6:7]
	s_cbranch_execnz .LBB441_86
.LBB441_75:                             ;   in Loop: Header=BB441_67 Depth=1
	s_or_b64 exec, exec, s[14:15]
	s_and_saveexec_b64 s[14:15], s[12:13]
	s_cbranch_execz .LBB441_66
	s_branch .LBB441_87
.LBB441_76:                             ;   in Loop: Header=BB441_67 Depth=1
	s_mul_i32 s16, s3, s27
	s_mul_hi_u32 s17, s3, s26
	s_add_i32 s17, s17, s16
	s_mul_i32 s16, s3, s26
	v_lshl_add_u64 v[2:3], s[16:17], 1, v[6:7]
	flat_load_ushort v0, v[12:13]
	flat_load_ushort v22, v[14:15]
	;; [unrolled: 1-line block ×4, first 2 shown]
	flat_load_dwordx2 v[18:19], v[2:3]
	s_waitcnt vmcnt(0) lgkmcnt(0)
	v_cvt_f32_f16_e32 v3, v0
	v_cvt_f32_f16_e32 v4, v22
	;; [unrolled: 1-line block ×4, first 2 shown]
	v_fma_mix_f32 v23, v23, v18, 0 op_sel_hi:[1,1,0]
	s_nop 0
	v_fma_mix_f32 v0, v0, v18, v23 op_sel:[0,1,0] op_sel_hi:[1,1,0]
	s_nop 0
	v_fma_mix_f32 v0, v22, v19, v0 op_sel_hi:[1,1,0]
	s_nop 0
	v_fma_mix_f32 v0, v25, v19, v0 op_sel:[0,1,0] op_sel_hi:[1,1,0]
	s_andn2_saveexec_b64 s[34:35], s[14:15]
	s_cbranch_execz .LBB441_69
.LBB441_77:                             ;   in Loop: Header=BB441_67 Depth=1
	s_and_saveexec_b64 s[40:41], s[4:5]
	s_cbranch_execz .LBB441_84
; %bb.78:                               ;   in Loop: Header=BB441_67 Depth=1
	v_cndmask_b32_e64 v18, 0, 1, s[38:39]
	v_cmp_ne_u32_e64 s[14:15], 1, v18
	s_andn2_b64 vcc, exec, s[38:39]
	s_cbranch_vccnz .LBB441_81
; %bb.79:                               ;   in Loop: Header=BB441_67 Depth=1
	s_mov_b64 s[42:43], 0
	v_mov_b64_e32 v[18:19], v[10:11]
.LBB441_80:                             ;   Parent Loop BB441_67 Depth=1
                                        ; =>  This Inner Loop Header: Depth=2
	flat_load_ushort v22, v[18:19]
	s_cmp_eq_u32 s42, 3
	s_cselect_b64 vcc, -1, 0
	s_cmp_eq_u32 s42, 2
	s_cselect_b64 s[16:17], -1, 0
	s_cmp_eq_u32 s42, 1
	s_cselect_b64 s[18:19], -1, 0
	;; [unrolled: 2-line block ×3, first 2 shown]
	s_add_u32 s42, s42, 1
	s_addc_u32 s43, s43, 0
	v_lshl_add_u64 v[18:19], v[18:19], 0, s[30:31]
	s_cmp_eq_u32 s25, s42
	s_waitcnt vmcnt(0) lgkmcnt(0)
	v_cvt_f32_f16_e32 v22, v22
	v_cndmask_b32_e32 v5, v5, v22, vcc
	v_cndmask_b32_e64 v4, v4, v22, s[16:17]
	v_cndmask_b32_e64 v3, v3, v22, s[18:19]
	;; [unrolled: 1-line block ×3, first 2 shown]
	s_cbranch_scc0 .LBB441_80
.LBB441_81:                             ;   in Loop: Header=BB441_67 Depth=1
	s_and_b64 vcc, exec, s[14:15]
	s_cbranch_vccnz .LBB441_84
; %bb.82:                               ;   in Loop: Header=BB441_67 Depth=1
	s_mov_b64 s[14:15], 0
	v_mov_b64_e32 v[18:19], v[8:9]
.LBB441_83:                             ;   Parent Loop BB441_67 Depth=1
                                        ; =>  This Inner Loop Header: Depth=2
	flat_load_ushort v22, v[18:19]
	s_cmp_eq_u32 s14, 1
	s_cselect_b64 vcc, -1, 0
	s_cmp_eq_u32 s14, 2
	v_cndmask_b32_e32 v23, v2, v3, vcc
	s_cselect_b64 vcc, -1, 0
	s_cmp_eq_u32 s14, 3
	v_cndmask_b32_e32 v23, v23, v4, vcc
	s_cselect_b64 vcc, -1, 0
	s_add_u32 s14, s14, 1
	v_cndmask_b32_e32 v23, v23, v5, vcc
	s_addc_u32 s15, s15, 0
	v_lshl_add_u64 v[18:19], v[18:19], 0, 2
	s_cmp_lg_u32 s25, s14
	s_waitcnt vmcnt(0) lgkmcnt(0)
	v_fma_mix_f32 v0, v23, v22, v0 op_sel_hi:[0,1,0]
	s_cbranch_scc1 .LBB441_83
.LBB441_84:                             ;   in Loop: Header=BB441_67 Depth=1
	s_or_b64 exec, exec, s[40:41]
	s_or_b64 exec, exec, s[34:35]
	s_and_saveexec_b64 s[14:15], s[6:7]
	s_cbranch_execnz .LBB441_70
	s_branch .LBB441_71
.LBB441_85:                             ;   in Loop: Header=BB441_67 Depth=1
	ds_read_b32 v0, v20
	s_or_b64 exec, exec, s[14:15]
	s_and_saveexec_b64 s[14:15], s[6:7]
	s_cbranch_execz .LBB441_75
.LBB441_86:                             ;   in Loop: Header=BB441_67 Depth=1
	s_waitcnt lgkmcnt(0)
	ds_bpermute_b32 v18, v29, v0
	s_waitcnt lgkmcnt(0)
	v_add_f32_e32 v0, v0, v18
	ds_bpermute_b32 v18, v30, v0
	s_waitcnt lgkmcnt(0)
	v_add_f32_e32 v0, v0, v18
	s_or_b64 exec, exec, s[14:15]
	s_and_saveexec_b64 s[14:15], s[12:13]
	s_cbranch_execz .LBB441_66
.LBB441_87:                             ;   in Loop: Header=BB441_67 Depth=1
	s_mul_hi_u32 s17, s3, s24
	s_mul_i32 s16, s3, s24
	s_lshl_b64 s[16:17], s[16:17], 2
	s_add_u32 s16, s2, s16
	s_waitcnt lgkmcnt(0)
	v_mul_f32_e32 v0, s33, v0
	s_addc_u32 s17, s22, s17
	global_store_dword v1, v0, s[16:17]
	s_branch .LBB441_66
.LBB441_88:
	s_endpgm
	.section	.rodata,"a",@progbits
	.p2align	6, 0x0
	.amdhsa_kernel _ZL23rocblas_gemvt_sn_kernelILb0ELi256ELi4ElPKDF16_PKffEviiT4_lPKT3_lilS7_lilPT5_i
		.amdhsa_group_segment_fixed_size 256
		.amdhsa_private_segment_fixed_size 0
		.amdhsa_kernarg_size 360
		.amdhsa_user_sgpr_count 2
		.amdhsa_user_sgpr_dispatch_ptr 0
		.amdhsa_user_sgpr_queue_ptr 0
		.amdhsa_user_sgpr_kernarg_segment_ptr 1
		.amdhsa_user_sgpr_dispatch_id 0
		.amdhsa_user_sgpr_kernarg_preload_length 0
		.amdhsa_user_sgpr_kernarg_preload_offset 0
		.amdhsa_user_sgpr_private_segment_size 0
		.amdhsa_uses_dynamic_stack 0
		.amdhsa_enable_private_segment 0
		.amdhsa_system_sgpr_workgroup_id_x 1
		.amdhsa_system_sgpr_workgroup_id_y 0
		.amdhsa_system_sgpr_workgroup_id_z 1
		.amdhsa_system_sgpr_workgroup_info 0
		.amdhsa_system_vgpr_workitem_id 0
		.amdhsa_next_free_vgpr 52
		.amdhsa_next_free_sgpr 59
		.amdhsa_accum_offset 52
		.amdhsa_reserve_vcc 1
		.amdhsa_float_round_mode_32 0
		.amdhsa_float_round_mode_16_64 0
		.amdhsa_float_denorm_mode_32 3
		.amdhsa_float_denorm_mode_16_64 3
		.amdhsa_dx10_clamp 1
		.amdhsa_ieee_mode 1
		.amdhsa_fp16_overflow 0
		.amdhsa_tg_split 0
		.amdhsa_exception_fp_ieee_invalid_op 0
		.amdhsa_exception_fp_denorm_src 0
		.amdhsa_exception_fp_ieee_div_zero 0
		.amdhsa_exception_fp_ieee_overflow 0
		.amdhsa_exception_fp_ieee_underflow 0
		.amdhsa_exception_fp_ieee_inexact 0
		.amdhsa_exception_int_div_zero 0
	.end_amdhsa_kernel
	.section	.text._ZL23rocblas_gemvt_sn_kernelILb0ELi256ELi4ElPKDF16_PKffEviiT4_lPKT3_lilS7_lilPT5_i,"axG",@progbits,_ZL23rocblas_gemvt_sn_kernelILb0ELi256ELi4ElPKDF16_PKffEviiT4_lPKT3_lilS7_lilPT5_i,comdat
.Lfunc_end441:
	.size	_ZL23rocblas_gemvt_sn_kernelILb0ELi256ELi4ElPKDF16_PKffEviiT4_lPKT3_lilS7_lilPT5_i, .Lfunc_end441-_ZL23rocblas_gemvt_sn_kernelILb0ELi256ELi4ElPKDF16_PKffEviiT4_lPKT3_lilS7_lilPT5_i
                                        ; -- End function
	.section	.AMDGPU.csdata,"",@progbits
; Kernel info:
; codeLenInByte = 4000
; NumSgprs: 65
; NumVgprs: 52
; NumAgprs: 0
; TotalNumVgprs: 52
; ScratchSize: 0
; MemoryBound: 0
; FloatMode: 240
; IeeeMode: 1
; LDSByteSize: 256 bytes/workgroup (compile time only)
; SGPRBlocks: 8
; VGPRBlocks: 6
; NumSGPRsForWavesPerEU: 65
; NumVGPRsForWavesPerEU: 52
; AccumOffset: 52
; Occupancy: 8
; WaveLimiterHint : 0
; COMPUTE_PGM_RSRC2:SCRATCH_EN: 0
; COMPUTE_PGM_RSRC2:USER_SGPR: 2
; COMPUTE_PGM_RSRC2:TRAP_HANDLER: 0
; COMPUTE_PGM_RSRC2:TGID_X_EN: 1
; COMPUTE_PGM_RSRC2:TGID_Y_EN: 0
; COMPUTE_PGM_RSRC2:TGID_Z_EN: 1
; COMPUTE_PGM_RSRC2:TIDIG_COMP_CNT: 0
; COMPUTE_PGM_RSRC3_GFX90A:ACCUM_OFFSET: 12
; COMPUTE_PGM_RSRC3_GFX90A:TG_SPLIT: 0
	.section	.text._ZL23rocblas_gemvt_sn_reduceILi256ELi8EfPKfKPDF16_EviT2_lPT3_lilPT1_i,"axG",@progbits,_ZL23rocblas_gemvt_sn_reduceILi256ELi8EfPKfKPDF16_EviT2_lPT3_lilPT1_i,comdat
	.globl	_ZL23rocblas_gemvt_sn_reduceILi256ELi8EfPKfKPDF16_EviT2_lPT3_lilPT1_i ; -- Begin function _ZL23rocblas_gemvt_sn_reduceILi256ELi8EfPKfKPDF16_EviT2_lPT3_lilPT1_i
	.p2align	8
	.type	_ZL23rocblas_gemvt_sn_reduceILi256ELi8EfPKfKPDF16_EviT2_lPT3_lilPT1_i,@function
_ZL23rocblas_gemvt_sn_reduceILi256ELi8EfPKfKPDF16_EviT2_lPT3_lilPT1_i: ; @_ZL23rocblas_gemvt_sn_reduceILi256ELi8EfPKfKPDF16_EviT2_lPT3_lilPT1_i
; %bb.0:
	s_load_dword s18, s[0:1], 0x0
	s_load_dwordx8 s[8:15], s[0:1], 0x8
	s_mov_b32 s5, 0
	s_lshl_b64 s[6:7], s[4:5], 3
	v_lshlrev_b32_e32 v1, 3, v0
	s_waitcnt lgkmcnt(0)
	s_ashr_i32 s19, s18, 31
	s_add_u32 s6, s12, s6
	s_mul_i32 s2, s4, s11
	s_mul_hi_u32 s11, s4, s10
	s_addc_u32 s7, s13, s7
	s_add_i32 s11, s11, s2
	s_mul_i32 s10, s4, s10
	s_lshl_b64 s[12:13], s[10:11], 2
	s_load_dwordx2 s[6:7], s[6:7], 0x0
	s_add_u32 s8, s8, s12
	s_load_dwordx2 s[10:11], s[0:1], 0x38
	s_load_dword s12, s[0:1], 0x4c
	s_addc_u32 s9, s9, s13
	s_add_u32 s16, s0, 0x48
	s_addc_u32 s17, s1, 0
	s_load_dword s2, s[8:9], 0x0
	s_waitcnt lgkmcnt(0)
	s_mul_i32 s4, s12, s4
	s_add_i32 s4, s4, s3
	s_mul_i32 s8, s4, s19
	s_mul_hi_u32 s9, s4, s18
	s_add_i32 s9, s9, s8
	s_mul_i32 s8, s4, s18
	s_lshr_b32 s4, s19, 29
	s_add_i32 s4, s18, s4
	s_and_b32 s19, s4, -8
	v_cmp_gt_i32_e32 vcc, s19, v1
	v_mov_b32_e32 v3, 0
	s_and_saveexec_b64 s[12:13], vcc
	s_cbranch_execz .LBB442_4
; %bb.1:
	s_load_dword s4, s[16:17], 0xc
	s_lshl_b64 s[16:17], s[8:9], 2
	v_lshlrev_b32_e32 v2, 5, v0
	v_mov_b32_e32 v3, 0
	s_waitcnt lgkmcnt(0)
	s_and_b32 s4, s4, 0xffff
	s_lshl_b32 s20, s4, 3
	s_add_u32 s16, s10, s16
	s_addc_u32 s17, s11, s17
	v_lshl_add_u64 v[4:5], s[16:17], 0, v[2:3]
	s_lshl_b32 s4, s4, 5
	v_lshl_add_u64 v[4:5], v[4:5], 0, 28
	s_mov_b64 s[16:17], 0
.LBB442_2:                              ; =>This Inner Loop Header: Depth=1
	global_load_dwordx4 v[6:9], v[4:5], off offset:-28
	global_load_dwordx4 v[10:13], v[4:5], off offset:-12
	v_add_u32_e32 v1, s20, v1
	v_cmp_le_i32_e32 vcc, s19, v1
	v_lshl_add_u64 v[4:5], v[4:5], 0, s[4:5]
	s_or_b64 s[16:17], vcc, s[16:17]
	s_waitcnt vmcnt(1)
	v_add_f32_e32 v2, v3, v6
	v_add_f32_e32 v2, v2, v7
	;; [unrolled: 1-line block ×4, first 2 shown]
	s_waitcnt vmcnt(0)
	v_add_f32_e32 v2, v2, v10
	v_add_f32_e32 v2, v2, v11
	;; [unrolled: 1-line block ×4, first 2 shown]
	s_andn2_b64 exec, exec, s[16:17]
	s_cbranch_execnz .LBB442_2
; %bb.3:
	s_or_b64 exec, exec, s[16:17]
.LBB442_4:
	s_or_b64 exec, exec, s[12:13]
	s_sub_i32 s4, s18, s19
	v_cmp_gt_u32_e32 vcc, s4, v0
	s_and_saveexec_b64 s[4:5], vcc
	s_cbranch_execz .LBB442_6
; %bb.5:
	s_lshl_b64 s[8:9], s[8:9], 2
	s_add_u32 s8, s10, s8
	s_addc_u32 s9, s11, s9
	v_xad_u32 v4, v0, -1, s18
	v_mov_b32_e32 v5, 0
	v_lshl_add_u64 v[4:5], v[4:5], 2, s[8:9]
	global_load_dword v1, v[4:5], off
	s_waitcnt vmcnt(0)
	v_add_f32_e32 v3, v3, v1
.LBB442_6:
	s_or_b64 exec, exec, s[4:5]
	v_and_b32_e32 v2, 63, v0
	v_cmp_gt_u32_e32 vcc, 64, v0
	v_lshlrev_b32_e32 v1, 2, v2
	s_and_saveexec_b64 s[4:5], vcc
	s_cbranch_execz .LBB442_8
; %bb.7:
	v_mov_b32_e32 v4, 0
	ds_write_b32 v1, v4
.LBB442_8:
	s_or_b64 exec, exec, s[4:5]
	v_mbcnt_lo_u32_b32 v4, -1, 0
	v_mbcnt_hi_u32_b32 v4, -1, v4
	v_and_b32_e32 v5, 63, v4
	v_cmp_gt_u32_e64 s[4:5], 32, v5
	s_waitcnt lgkmcnt(0)
	s_barrier
	v_cndmask_b32_e64 v6, 0, 1, s[4:5]
	v_lshlrev_b32_e32 v6, 5, v6
	v_add_lshl_u32 v6, v6, v4, 2
	ds_bpermute_b32 v6, v6, v3
	v_cmp_gt_u32_e64 s[4:5], 48, v5
	s_waitcnt lgkmcnt(0)
	v_add_f32_e32 v3, v3, v6
	v_cndmask_b32_e64 v7, 0, 1, s[4:5]
	v_lshlrev_b32_e32 v7, 4, v7
	v_add_lshl_u32 v6, v7, v4, 2
	ds_bpermute_b32 v6, v6, v3
	v_cmp_gt_u32_e64 s[4:5], 56, v5
	s_waitcnt lgkmcnt(0)
	v_add_f32_e32 v3, v3, v6
	v_cndmask_b32_e64 v7, 0, 1, s[4:5]
	v_lshlrev_b32_e32 v7, 3, v7
	v_add_lshl_u32 v6, v7, v4, 2
	ds_bpermute_b32 v6, v6, v3
	v_cmp_gt_u32_e64 s[4:5], 60, v5
	s_waitcnt lgkmcnt(0)
	v_add_f32_e32 v3, v3, v6
	v_cndmask_b32_e64 v7, 0, 1, s[4:5]
	v_lshlrev_b32_e32 v7, 2, v7
	v_add_lshl_u32 v6, v7, v4, 2
	ds_bpermute_b32 v6, v6, v3
	v_cmp_gt_u32_e64 s[4:5], 62, v5
	s_waitcnt lgkmcnt(0)
	v_add_f32_e32 v6, v3, v6
	v_cndmask_b32_e64 v7, 0, 1, s[4:5]
	v_lshlrev_b32_e32 v7, 1, v7
	v_add_lshl_u32 v3, v7, v4, 2
	ds_bpermute_b32 v7, v3, v6
	v_cmp_ne_u32_e64 s[4:5], 63, v5
	s_waitcnt lgkmcnt(0)
	v_add_f32_e32 v5, v6, v7
	v_addc_co_u32_e64 v4, s[4:5], 0, v4, s[4:5]
	v_lshlrev_b32_e32 v4, 2, v4
	ds_bpermute_b32 v6, v4, v5
	v_cmp_eq_u32_e64 s[4:5], 0, v2
	s_and_saveexec_b64 s[8:9], s[4:5]
	s_cbranch_execz .LBB442_10
; %bb.9:
	v_lshrrev_b32_e32 v2, 4, v0
	v_and_b32_e32 v2, 12, v2
	s_waitcnt lgkmcnt(0)
	v_add_f32_e32 v5, v5, v6
	ds_write_b32 v2, v5
.LBB442_10:
	s_or_b64 exec, exec, s[8:9]
	v_cmp_gt_u32_e64 s[4:5], 4, v0
	v_mov_b32_e32 v2, 0
	s_waitcnt lgkmcnt(0)
	s_barrier
	s_and_saveexec_b64 s[8:9], s[4:5]
	s_cbranch_execnz .LBB442_14
; %bb.11:
	s_or_b64 exec, exec, s[8:9]
	s_and_saveexec_b64 s[4:5], vcc
	s_cbranch_execnz .LBB442_15
.LBB442_12:
	s_or_b64 exec, exec, s[4:5]
	v_cmp_eq_u32_e32 vcc, 0, v0
	s_and_saveexec_b64 s[4:5], vcc
	s_cbranch_execnz .LBB442_16
.LBB442_13:
	s_endpgm
.LBB442_14:
	ds_read_b32 v2, v1
	s_or_b64 exec, exec, s[8:9]
	s_and_saveexec_b64 s[4:5], vcc
	s_cbranch_execz .LBB442_12
.LBB442_15:
	s_waitcnt lgkmcnt(0)
	ds_bpermute_b32 v1, v3, v2
	s_waitcnt lgkmcnt(0)
	v_add_f32_e32 v1, v2, v1
	ds_bpermute_b32 v2, v4, v1
	s_waitcnt lgkmcnt(0)
	v_add_f32_e32 v2, v1, v2
	s_or_b64 exec, exec, s[4:5]
	v_cmp_eq_u32_e32 vcc, 0, v0
	s_and_saveexec_b64 s[4:5], vcc
	s_cbranch_execz .LBB442_13
.LBB442_16:
	s_load_dword s10, s[0:1], 0x28
	s_lshl_b64 s[0:1], s[14:15], 1
	v_cmp_eq_f32_e64 s[8:9], s2, 0
	s_waitcnt lgkmcnt(0)
	s_ashr_i32 s5, s10, 31
	s_mul_hi_u32 s11, s10, s3
	s_add_u32 s4, s6, s0
	s_mul_i32 s0, s5, s3
	s_addc_u32 s5, s7, s1
	s_add_i32 s1, s11, s0
	s_mul_i32 s0, s10, s3
	s_and_b64 vcc, exec, s[8:9]
	s_cbranch_vccnz .LBB442_18
; %bb.17:
	s_lshl_b64 s[6:7], s[0:1], 1
	s_add_u32 s6, s4, s6
	s_addc_u32 s7, s5, s7
	v_mov_b32_e32 v0, 0
	global_load_ushort v0, v0, s[6:7]
	s_waitcnt vmcnt(0)
	v_fma_mix_f32 v2, s2, v0, v2 op_sel_hi:[0,1,0]
.LBB442_18:
	v_cvt_f16_f32_e32 v0, v2
	s_lshl_b64 s[0:1], s[0:1], 1
	s_add_u32 s0, s4, s0
	s_addc_u32 s1, s5, s1
	v_mov_b32_e32 v1, 0
	global_store_short v1, v0, s[0:1]
	s_endpgm
	.section	.rodata,"a",@progbits
	.p2align	6, 0x0
	.amdhsa_kernel _ZL23rocblas_gemvt_sn_reduceILi256ELi8EfPKfKPDF16_EviT2_lPT3_lilPT1_i
		.amdhsa_group_segment_fixed_size 256
		.amdhsa_private_segment_fixed_size 0
		.amdhsa_kernarg_size 328
		.amdhsa_user_sgpr_count 2
		.amdhsa_user_sgpr_dispatch_ptr 0
		.amdhsa_user_sgpr_queue_ptr 0
		.amdhsa_user_sgpr_kernarg_segment_ptr 1
		.amdhsa_user_sgpr_dispatch_id 0
		.amdhsa_user_sgpr_kernarg_preload_length 0
		.amdhsa_user_sgpr_kernarg_preload_offset 0
		.amdhsa_user_sgpr_private_segment_size 0
		.amdhsa_uses_dynamic_stack 0
		.amdhsa_enable_private_segment 0
		.amdhsa_system_sgpr_workgroup_id_x 1
		.amdhsa_system_sgpr_workgroup_id_y 1
		.amdhsa_system_sgpr_workgroup_id_z 1
		.amdhsa_system_sgpr_workgroup_info 0
		.amdhsa_system_vgpr_workitem_id 0
		.amdhsa_next_free_vgpr 14
		.amdhsa_next_free_sgpr 21
		.amdhsa_accum_offset 16
		.amdhsa_reserve_vcc 1
		.amdhsa_float_round_mode_32 0
		.amdhsa_float_round_mode_16_64 0
		.amdhsa_float_denorm_mode_32 3
		.amdhsa_float_denorm_mode_16_64 3
		.amdhsa_dx10_clamp 1
		.amdhsa_ieee_mode 1
		.amdhsa_fp16_overflow 0
		.amdhsa_tg_split 0
		.amdhsa_exception_fp_ieee_invalid_op 0
		.amdhsa_exception_fp_denorm_src 0
		.amdhsa_exception_fp_ieee_div_zero 0
		.amdhsa_exception_fp_ieee_overflow 0
		.amdhsa_exception_fp_ieee_underflow 0
		.amdhsa_exception_fp_ieee_inexact 0
		.amdhsa_exception_int_div_zero 0
	.end_amdhsa_kernel
	.section	.text._ZL23rocblas_gemvt_sn_reduceILi256ELi8EfPKfKPDF16_EviT2_lPT3_lilPT1_i,"axG",@progbits,_ZL23rocblas_gemvt_sn_reduceILi256ELi8EfPKfKPDF16_EviT2_lPT3_lilPT1_i,comdat
.Lfunc_end442:
	.size	_ZL23rocblas_gemvt_sn_reduceILi256ELi8EfPKfKPDF16_EviT2_lPT3_lilPT1_i, .Lfunc_end442-_ZL23rocblas_gemvt_sn_reduceILi256ELi8EfPKfKPDF16_EviT2_lPT3_lilPT1_i
                                        ; -- End function
	.section	.AMDGPU.csdata,"",@progbits
; Kernel info:
; codeLenInByte = 1016
; NumSgprs: 27
; NumVgprs: 14
; NumAgprs: 0
; TotalNumVgprs: 14
; ScratchSize: 0
; MemoryBound: 0
; FloatMode: 240
; IeeeMode: 1
; LDSByteSize: 256 bytes/workgroup (compile time only)
; SGPRBlocks: 3
; VGPRBlocks: 1
; NumSGPRsForWavesPerEU: 27
; NumVGPRsForWavesPerEU: 14
; AccumOffset: 16
; Occupancy: 8
; WaveLimiterHint : 1
; COMPUTE_PGM_RSRC2:SCRATCH_EN: 0
; COMPUTE_PGM_RSRC2:USER_SGPR: 2
; COMPUTE_PGM_RSRC2:TRAP_HANDLER: 0
; COMPUTE_PGM_RSRC2:TGID_X_EN: 1
; COMPUTE_PGM_RSRC2:TGID_Y_EN: 1
; COMPUTE_PGM_RSRC2:TGID_Z_EN: 1
; COMPUTE_PGM_RSRC2:TIDIG_COMP_CNT: 0
; COMPUTE_PGM_RSRC3_GFX90A:ACCUM_OFFSET: 3
; COMPUTE_PGM_RSRC3_GFX90A:TG_SPLIT: 0
	.section	.text._ZL23rocblas_gemvt_sn_kernelILb0ELi256ELi4EiPKDF16_ffEviiT4_lPKT3_lilS5_lilPT5_i,"axG",@progbits,_ZL23rocblas_gemvt_sn_kernelILb0ELi256ELi4EiPKDF16_ffEviiT4_lPKT3_lilS5_lilPT5_i,comdat
	.globl	_ZL23rocblas_gemvt_sn_kernelILb0ELi256ELi4EiPKDF16_ffEviiT4_lPKT3_lilS5_lilPT5_i ; -- Begin function _ZL23rocblas_gemvt_sn_kernelILb0ELi256ELi4EiPKDF16_ffEviiT4_lPKT3_lilS5_lilPT5_i
	.p2align	8
	.type	_ZL23rocblas_gemvt_sn_kernelILb0ELi256ELi4EiPKDF16_ffEviiT4_lPKT3_lilS5_lilPT5_i,@function
_ZL23rocblas_gemvt_sn_kernelILb0ELi256ELi4EiPKDF16_ffEviiT4_lPKT3_lilS5_lilPT5_i: ; @_ZL23rocblas_gemvt_sn_kernelILb0ELi256ELi4EiPKDF16_ffEviiT4_lPKT3_lilS5_lilPT5_i
; %bb.0:
	s_load_dwordx4 s[24:27], s[0:1], 0x0
	s_mov_b32 s10, s3
	s_mov_b32 s11, 0
	s_waitcnt lgkmcnt(0)
	v_cmp_neq_f32_e64 s[6:7], s26, 0
	v_cmp_eq_f32_e64 s[8:9], s26, 0
	s_and_b64 vcc, exec, s[6:7]
	s_cbranch_vccnz .LBB443_2
; %bb.1:
	s_mov_b64 s[4:5], 0
	s_cbranch_execz .LBB443_3
	s_branch .LBB443_4
.LBB443_2:
                                        ; implicit-def: $sgpr4_sgpr5
.LBB443_3:
	s_load_dwordx4 s[12:15], s[0:1], 0x18
	s_lshl_b64 s[4:5], s[10:11], 3
	s_waitcnt lgkmcnt(0)
	s_add_u32 s4, s12, s4
	s_addc_u32 s5, s13, s5
	s_load_dwordx2 s[4:5], s[4:5], 0x0
	s_lshl_b64 s[12:13], s[14:15], 1
	s_waitcnt lgkmcnt(0)
	s_add_u32 s4, s4, s12
	s_addc_u32 s5, s5, s13
.LBB443_4:
	s_andn2_b64 vcc, exec, s[6:7]
	s_cbranch_vccnz .LBB443_6
; %bb.5:
	s_load_dwordx4 s[12:15], s[0:1], 0x38
	s_lshl_b64 s[6:7], s[10:11], 3
	s_waitcnt lgkmcnt(0)
	s_add_u32 s6, s12, s6
	s_addc_u32 s7, s13, s7
	s_load_dwordx2 s[6:7], s[6:7], 0x0
	s_lshl_b64 s[12:13], s[14:15], 1
	s_waitcnt lgkmcnt(0)
	s_add_u32 s22, s6, s12
	s_addc_u32 s23, s7, s13
	s_branch .LBB443_7
.LBB443_6:
	s_mov_b64 s[22:23], 0
.LBB443_7:
	s_load_dwordx2 s[6:7], s[0:1], 0x58
	s_load_dword s28, s[0:1], 0x68
	s_ashr_i32 s16, s25, 31
	s_mul_hi_u32 s3, s10, s25
	s_mul_i32 s12, s10, s16
	s_add_i32 s3, s3, s12
	s_mul_i32 s11, s11, s25
	s_add_i32 s11, s3, s11
	s_mul_i32 s10, s10, s25
	s_waitcnt lgkmcnt(0)
	s_mul_i32 s3, s11, s28
	s_mul_hi_u32 s12, s10, s28
	s_add_i32 s13, s12, s3
	s_mul_i32 s12, s10, s28
	s_lshl_b64 s[12:13], s[12:13], 2
	s_add_u32 s33, s6, s12
	s_mov_b32 s29, 0
	s_addc_u32 s50, s7, s13
	s_andn2_b64 vcc, exec, s[8:9]
	s_mov_b64 s[8:9], -1
	s_cbranch_vccnz .LBB443_17
; %bb.8:
	s_cmp_gt_i32 s25, 0
	v_cmp_eq_u32_e32 vcc, 0, v0
	s_cselect_b64 s[8:9], -1, 0
	s_and_b64 s[12:13], vcc, s[8:9]
	s_and_saveexec_b64 s[8:9], s[12:13]
	s_cbranch_execz .LBB443_16
; %bb.9:
	s_cmp_gt_u32 s25, 1
	s_cselect_b64 s[12:13], -1, 0
	s_cmp_eq_u32 s28, 1
	s_cselect_b64 s[18:19], -1, 0
	s_mov_b32 s3, 0
	s_and_b64 s[12:13], s[12:13], s[18:19]
	s_mov_b64 s[14:15], -1
	s_andn2_b64 vcc, exec, s[12:13]
	s_mov_b32 s12, s3
	s_cbranch_vccnz .LBB443_13
; %bb.10:
	s_lshl_b64 s[12:13], s[2:3], 2
	s_add_u32 s14, s33, s12
	s_addc_u32 s15, s50, s13
	s_and_b32 s12, s25, 0x7ffffffe
	v_mov_b32_e32 v2, 0
	v_mov_b32_e32 v3, v2
	s_mov_b32 s13, s12
.LBB443_11:                             ; =>This Inner Loop Header: Depth=1
	global_store_dwordx2 v2, v[2:3], s[14:15]
	s_add_u32 s14, s14, 8
	s_addc_u32 s15, s15, 0
	s_add_i32 s13, s13, -2
	s_cmp_lg_u32 s13, 0
	s_cbranch_scc1 .LBB443_11
; %bb.12:
	s_cmp_lg_u32 s12, s25
	s_cselect_b64 s[14:15], -1, 0
.LBB443_13:
	s_and_b64 vcc, exec, s[14:15]
	s_cbranch_vccz .LBB443_16
; %bb.14:
	s_mov_b32 s13, 0
	s_sub_i32 s14, s25, s12
	s_lshl_b64 s[10:11], s[10:11], 2
	s_lshl_b64 s[12:13], s[12:13], 2
	s_add_u32 s10, s10, s12
	s_addc_u32 s11, s11, s13
	s_mul_i32 s11, s11, s28
	s_mul_hi_u32 s12, s10, s28
	s_add_i32 s12, s12, s11
	s_mul_i32 s13, s10, s28
	s_lshl_b64 s[10:11], s[2:3], 2
	s_add_u32 s3, s13, s10
	s_addc_u32 s10, s12, s11
	s_add_u32 s6, s6, s3
	s_addc_u32 s7, s7, s10
	s_lshl_b64 s[10:11], s[28:29], 2
	v_mov_b32_e32 v1, 0
.LBB443_15:                             ; =>This Inner Loop Header: Depth=1
	s_add_i32 s14, s14, -1
	global_store_dword v1, v1, s[6:7]
	s_add_u32 s6, s6, s10
	s_addc_u32 s7, s7, s11
	s_cmp_eq_u32 s14, 0
	s_cbranch_scc0 .LBB443_15
.LBB443_16:
	s_or_b64 exec, exec, s[8:9]
	s_mov_b64 s[8:9], 0
.LBB443_17:
	s_andn2_b64 vcc, exec, s[8:9]
	s_cbranch_vccnz .LBB443_91
; %bb.18:
	s_load_dword s30, s[0:1], 0x28
	s_load_dword s27, s[0:1], 0x48
	s_lshl_b32 s0, s2, 10
	v_lshl_or_b32 v2, v0, 2, s0
	s_lshr_b32 s0, s16, 30
	s_add_i32 s0, s25, s0
	s_and_b32 s3, s0, -4
	s_ashr_i32 s0, s24, 31
	s_lshr_b32 s0, s0, 30
	s_add_i32 s0, s24, s0
	s_and_b32 s0, s0, -4
	v_ashrrev_i32_e32 v3, 31, v2
	s_sub_i32 s29, s24, s0
	v_lshl_add_u64 v[6:7], v[2:3], 1, s[4:5]
	s_cmp_lt_i32 s3, 1
	v_add_u32_e32 v23, 4, v2
	v_add_u32_e32 v24, s29, v2
	v_and_b32_e32 v1, 63, v0
	v_cmp_gt_u32_e64 s[0:1], 64, v0
	v_mbcnt_lo_u32_b32 v22, -1, 0
	v_cmp_gt_u32_e64 s[4:5], 4, v0
	v_lshrrev_b32_e32 v9, 4, v0
	v_cmp_eq_u32_e64 s[6:7], 0, v0
	s_waitcnt lgkmcnt(0)
	v_mul_lo_u32 v8, v2, s27
	s_cbranch_scc1 .LBB443_66
; %bb.19:
	v_mbcnt_hi_u32_b32 v3, -1, v22
	v_and_b32_e32 v4, 63, v3
	v_cmp_gt_u32_e32 vcc, 32, v4
	v_mul_lo_u32 v10, v2, s27
	v_add_u32_e32 v2, s27, v10
	v_cndmask_b32_e64 v5, 0, 1, vcc
	v_lshlrev_b32_e32 v5, 5, v5
	v_cmp_gt_u32_e32 vcc, 48, v4
	v_add_lshl_u32 v25, v5, v3, 2
	s_mov_b32 s35, 0
	v_cndmask_b32_e64 v5, 0, 1, vcc
	v_lshlrev_b32_e32 v5, 4, v5
	v_cmp_gt_u32_e32 vcc, 56, v4
	v_add_lshl_u32 v26, v5, v3, 2
	s_cmp_gt_i32 s29, 0
	v_cndmask_b32_e64 v5, 0, 1, vcc
	v_lshlrev_b32_e32 v5, 3, v5
	v_cmp_gt_u32_e32 vcc, 60, v4
	v_add_lshl_u32 v27, v5, v3, 2
	s_cselect_b64 s[36:37], -1, 0
	v_cndmask_b32_e64 v5, 0, 1, vcc
	v_lshlrev_b32_e32 v5, 2, v5
	v_cmp_gt_u32_e32 vcc, 62, v4
	v_add_lshl_u32 v28, v5, v3, 2
	v_ashrrev_i32_e32 v11, 31, v10
	v_cndmask_b32_e64 v5, 0, 1, vcc
	v_lshlrev_b32_e32 v5, 1, v5
	v_cmp_ne_u32_e32 vcc, 63, v4
	v_add_lshl_u32 v29, v5, v3, 2
	s_mov_b32 s31, s35
	v_addc_co_u32_e32 v3, vcc, 0, v3, vcc
	v_lshlrev_b32_e32 v30, 2, v3
	v_ashrrev_i32_e32 v3, 31, v2
	v_lshl_add_u64 v[14:15], v[2:3], 1, s[22:23]
	v_add_u32_e32 v2, s27, v2
	v_ashrrev_i32_e32 v3, 31, v2
	v_lshl_add_u64 v[16:17], v[2:3], 1, s[22:23]
	v_add_u32_e32 v2, s27, v2
	v_ashrrev_i32_e32 v3, 31, v2
	s_lshl_b32 s34, s30, 1
	v_cmp_ge_i32_e64 s[8:9], s24, v23
	v_cmp_ge_i32_e64 s[10:11], s24, v24
	v_cmp_eq_u32_e64 s[12:13], 0, v1
	v_lshlrev_b32_e32 v31, 2, v1
	v_and_b32_e32 v32, 12, v9
	v_lshl_add_u64 v[12:13], v[10:11], 1, s[22:23]
	v_lshl_add_u64 v[18:19], v[2:3], 1, s[22:23]
	s_lshl_b32 s51, s30, 2
	s_mul_i32 s52, s30, 3
	s_mov_b32 s53, s35
	v_mov_b32_e32 v11, 0
	s_mov_b32 s38, s35
	s_mov_b64 s[40:41], s[34:35]
	s_mov_b64 s[42:43], s[30:31]
	s_mov_b32 s31, 0
                                        ; implicit-def: $vgpr2_vgpr3_vgpr4_vgpr5
	s_branch .LBB443_21
.LBB443_20:                             ;   in Loop: Header=BB443_21 Depth=1
	s_or_b64 exec, exec, s[14:15]
	s_add_i32 s31, s31, 4
	s_add_u32 s42, s42, s51
	s_addc_u32 s43, s43, 0
	s_add_u32 s40, s40, s51
	s_addc_u32 s41, s41, 0
	;; [unrolled: 2-line block ×3, first 2 shown]
	s_add_i32 s38, s38, s51
	s_cmp_ge_i32 s31, s3
	s_cbranch_scc1 .LBB443_67
.LBB443_21:                             ; =>This Loop Header: Depth=1
                                        ;     Child Loop BB443_52 Depth 2
                                        ;     Child Loop BB443_55 Depth 2
                                        ; implicit-def: $vgpr33
                                        ; implicit-def: $vgpr34
                                        ; implicit-def: $vgpr35
                                        ; implicit-def: $vgpr36
	s_and_saveexec_b64 s[14:15], s[8:9]
	s_xor_b64 s[14:15], exec, s[14:15]
	s_cbranch_execnz .LBB443_48
; %bb.22:                               ;   in Loop: Header=BB443_21 Depth=1
	s_andn2_saveexec_b64 s[44:45], s[14:15]
	s_cbranch_execnz .LBB443_49
.LBB443_23:                             ;   in Loop: Header=BB443_21 Depth=1
	s_or_b64 exec, exec, s[44:45]
	s_and_saveexec_b64 s[14:15], s[0:1]
	s_cbranch_execz .LBB443_25
.LBB443_24:                             ;   in Loop: Header=BB443_21 Depth=1
	ds_write_b32 v31, v11
.LBB443_25:                             ;   in Loop: Header=BB443_21 Depth=1
	s_or_b64 exec, exec, s[14:15]
	ds_bpermute_b32 v20, v25, v36
	s_waitcnt lgkmcnt(0)
	s_barrier
	v_add_f32_e32 v20, v36, v20
	ds_bpermute_b32 v21, v26, v20
	s_waitcnt lgkmcnt(0)
	v_add_f32_e32 v20, v20, v21
	ds_bpermute_b32 v21, v27, v20
	s_waitcnt lgkmcnt(0)
	;; [unrolled: 3-line block ×4, first 2 shown]
	v_add_f32_e32 v20, v20, v21
	ds_bpermute_b32 v21, v30, v20
	s_and_saveexec_b64 s[14:15], s[12:13]
	s_cbranch_execz .LBB443_27
; %bb.26:                               ;   in Loop: Header=BB443_21 Depth=1
	s_waitcnt lgkmcnt(0)
	v_add_f32_e32 v20, v20, v21
	ds_write_b32 v32, v20
.LBB443_27:                             ;   in Loop: Header=BB443_21 Depth=1
	s_or_b64 exec, exec, s[14:15]
	v_mov_b32_e32 v20, 0
	s_waitcnt lgkmcnt(0)
	s_barrier
	s_and_saveexec_b64 s[14:15], s[4:5]
	s_cbranch_execnz .LBB443_57
; %bb.28:                               ;   in Loop: Header=BB443_21 Depth=1
	s_or_b64 exec, exec, s[14:15]
	s_and_saveexec_b64 s[14:15], s[0:1]
	s_cbranch_execnz .LBB443_58
.LBB443_29:                             ;   in Loop: Header=BB443_21 Depth=1
	s_or_b64 exec, exec, s[14:15]
	s_and_saveexec_b64 s[14:15], s[0:1]
	s_cbranch_execz .LBB443_31
.LBB443_30:                             ;   in Loop: Header=BB443_21 Depth=1
	ds_write_b32 v31, v11
.LBB443_31:                             ;   in Loop: Header=BB443_21 Depth=1
	s_or_b64 exec, exec, s[14:15]
	ds_bpermute_b32 v21, v25, v35
	s_waitcnt lgkmcnt(0)
	s_barrier
	v_add_f32_e32 v21, v35, v21
	ds_bpermute_b32 v35, v26, v21
	s_waitcnt lgkmcnt(0)
	v_add_f32_e32 v21, v21, v35
	ds_bpermute_b32 v35, v27, v21
	s_waitcnt lgkmcnt(0)
	;; [unrolled: 3-line block ×4, first 2 shown]
	v_add_f32_e32 v21, v21, v35
	ds_bpermute_b32 v35, v30, v21
	s_and_saveexec_b64 s[14:15], s[12:13]
	s_cbranch_execz .LBB443_33
; %bb.32:                               ;   in Loop: Header=BB443_21 Depth=1
	s_waitcnt lgkmcnt(0)
	v_add_f32_e32 v21, v21, v35
	ds_write_b32 v32, v21
.LBB443_33:                             ;   in Loop: Header=BB443_21 Depth=1
	s_or_b64 exec, exec, s[14:15]
	v_mov_b32_e32 v21, 0
	s_waitcnt lgkmcnt(0)
	s_barrier
	s_and_saveexec_b64 s[14:15], s[4:5]
	s_cbranch_execnz .LBB443_59
; %bb.34:                               ;   in Loop: Header=BB443_21 Depth=1
	s_or_b64 exec, exec, s[14:15]
	s_and_saveexec_b64 s[14:15], s[0:1]
	s_cbranch_execnz .LBB443_60
.LBB443_35:                             ;   in Loop: Header=BB443_21 Depth=1
	s_or_b64 exec, exec, s[14:15]
	s_and_saveexec_b64 s[14:15], s[0:1]
	s_cbranch_execz .LBB443_37
.LBB443_36:                             ;   in Loop: Header=BB443_21 Depth=1
	ds_write_b32 v31, v11
.LBB443_37:                             ;   in Loop: Header=BB443_21 Depth=1
	s_or_b64 exec, exec, s[14:15]
	ds_bpermute_b32 v35, v25, v34
	s_waitcnt lgkmcnt(0)
	s_barrier
	v_add_f32_e32 v34, v34, v35
	ds_bpermute_b32 v35, v26, v34
	s_waitcnt lgkmcnt(0)
	v_add_f32_e32 v34, v34, v35
	ds_bpermute_b32 v35, v27, v34
	s_waitcnt lgkmcnt(0)
	;; [unrolled: 3-line block ×4, first 2 shown]
	v_add_f32_e32 v34, v34, v35
	ds_bpermute_b32 v35, v30, v34
	s_and_saveexec_b64 s[14:15], s[12:13]
	s_cbranch_execz .LBB443_39
; %bb.38:                               ;   in Loop: Header=BB443_21 Depth=1
	s_waitcnt lgkmcnt(0)
	v_add_f32_e32 v34, v34, v35
	ds_write_b32 v32, v34
.LBB443_39:                             ;   in Loop: Header=BB443_21 Depth=1
	s_or_b64 exec, exec, s[14:15]
	v_mov_b32_e32 v34, 0
	s_waitcnt lgkmcnt(0)
	s_barrier
	s_and_saveexec_b64 s[14:15], s[4:5]
	s_cbranch_execnz .LBB443_61
; %bb.40:                               ;   in Loop: Header=BB443_21 Depth=1
	s_or_b64 exec, exec, s[14:15]
	s_and_saveexec_b64 s[14:15], s[0:1]
	s_cbranch_execnz .LBB443_62
.LBB443_41:                             ;   in Loop: Header=BB443_21 Depth=1
	s_or_b64 exec, exec, s[14:15]
	s_and_saveexec_b64 s[14:15], s[0:1]
	s_cbranch_execz .LBB443_43
.LBB443_42:                             ;   in Loop: Header=BB443_21 Depth=1
	ds_write_b32 v31, v11
.LBB443_43:                             ;   in Loop: Header=BB443_21 Depth=1
	s_or_b64 exec, exec, s[14:15]
	ds_bpermute_b32 v35, v25, v33
	s_waitcnt lgkmcnt(0)
	s_barrier
	v_add_f32_e32 v33, v33, v35
	ds_bpermute_b32 v35, v26, v33
	s_waitcnt lgkmcnt(0)
	v_add_f32_e32 v33, v33, v35
	ds_bpermute_b32 v35, v27, v33
	s_waitcnt lgkmcnt(0)
	;; [unrolled: 3-line block ×4, first 2 shown]
	v_add_f32_e32 v33, v33, v35
	ds_bpermute_b32 v35, v30, v33
	s_and_saveexec_b64 s[14:15], s[12:13]
	s_cbranch_execz .LBB443_45
; %bb.44:                               ;   in Loop: Header=BB443_21 Depth=1
	s_waitcnt lgkmcnt(0)
	v_add_f32_e32 v33, v33, v35
	ds_write_b32 v32, v33
.LBB443_45:                             ;   in Loop: Header=BB443_21 Depth=1
	s_or_b64 exec, exec, s[14:15]
	v_mov_b32_e32 v33, 0
	s_waitcnt lgkmcnt(0)
	s_barrier
	s_and_saveexec_b64 s[14:15], s[4:5]
	s_cbranch_execnz .LBB443_63
; %bb.46:                               ;   in Loop: Header=BB443_21 Depth=1
	s_or_b64 exec, exec, s[14:15]
	s_and_saveexec_b64 s[14:15], s[0:1]
	s_cbranch_execnz .LBB443_64
.LBB443_47:                             ;   in Loop: Header=BB443_21 Depth=1
	s_or_b64 exec, exec, s[14:15]
	s_and_saveexec_b64 s[14:15], s[6:7]
	s_cbranch_execz .LBB443_20
	s_branch .LBB443_65
.LBB443_48:                             ;   in Loop: Header=BB443_21 Depth=1
	s_mul_i32 s16, s31, s30
	s_ashr_i32 s17, s16, 31
	v_lshl_add_u64 v[2:3], s[16:17], 1, v[6:7]
	s_add_i32 s16, s16, s30
	s_ashr_i32 s17, s16, 31
	v_lshl_add_u64 v[4:5], s[16:17], 1, v[6:7]
	s_add_i32 s16, s16, s30
	;; [unrolled: 3-line block ×3, first 2 shown]
	s_ashr_i32 s17, s16, 31
	s_waitcnt lgkmcnt(0)
	flat_load_ushort v33, v[12:13]
	flat_load_ushort v40, v[14:15]
	;; [unrolled: 1-line block ×4, first 2 shown]
	flat_load_dwordx2 v[34:35], v[2:3]
	flat_load_dwordx2 v[36:37], v[4:5]
	v_lshl_add_u64 v[2:3], s[16:17], 1, v[6:7]
	flat_load_dwordx2 v[20:21], v[20:21]
	s_waitcnt vmcnt(0) lgkmcnt(0)
	v_cvt_f32_f16_e32 v4, v41
	flat_load_dwordx2 v[38:39], v[2:3]
	v_fma_mix_f32 v43, v33, v34, 0 op_sel_hi:[1,1,0]
	v_cvt_f32_f16_e32 v2, v33
	v_cvt_f32_f16_e32 v3, v40
	;; [unrolled: 1-line block ×3, first 2 shown]
	v_fma_mix_f32 v44, v33, v36, 0 op_sel_hi:[1,1,0]
	v_fma_mix_f32 v34, v40, v34, v43 op_sel:[0,1,0] op_sel_hi:[1,1,0]
	v_fma_mix_f32 v43, v33, v20, 0 op_sel_hi:[1,1,0]
	v_fma_mix_f32 v36, v40, v36, v44 op_sel:[0,1,0] op_sel_hi:[1,1,0]
	v_fma_mix_f32 v20, v40, v20, v43 op_sel:[0,1,0] op_sel_hi:[1,1,0]
	v_fma_mix_f32 v34, v41, v35, v34 op_sel_hi:[1,1,0]
	v_fma_mix_f32 v43, v41, v37, v36 op_sel_hi:[1,1,0]
	;; [unrolled: 1-line block ×3, first 2 shown]
	v_fma_mix_f32 v36, v42, v35, v34 op_sel:[0,1,0] op_sel_hi:[1,1,0]
	v_fma_mix_f32 v35, v42, v37, v43 op_sel:[0,1,0] op_sel_hi:[1,1,0]
	;; [unrolled: 1-line block ×3, first 2 shown]
	s_waitcnt vmcnt(0) lgkmcnt(0)
	v_fma_mix_f32 v33, v33, v38, 0 op_sel_hi:[1,1,0]
	s_nop 0
	v_fma_mix_f32 v33, v40, v38, v33 op_sel:[0,1,0] op_sel_hi:[1,1,0]
	s_nop 0
	v_fma_mix_f32 v33, v41, v39, v33 op_sel_hi:[1,1,0]
	s_nop 0
	v_fma_mix_f32 v33, v42, v39, v33 op_sel:[0,1,0] op_sel_hi:[1,1,0]
	s_andn2_saveexec_b64 s[44:45], s[14:15]
	s_cbranch_execz .LBB443_23
.LBB443_49:                             ;   in Loop: Header=BB443_21 Depth=1
	s_waitcnt lgkmcnt(0)
	v_mov_b32_e32 v33, 0
	v_mov_b32_e32 v34, 0
	;; [unrolled: 1-line block ×4, first 2 shown]
	s_and_saveexec_b64 s[46:47], s[10:11]
	s_cbranch_execz .LBB443_56
; %bb.50:                               ;   in Loop: Header=BB443_21 Depth=1
	v_cndmask_b32_e64 v20, 0, 1, s[36:37]
	v_cmp_ne_u32_e64 s[14:15], 1, v20
	s_andn2_b64 vcc, exec, s[36:37]
	s_cbranch_vccnz .LBB443_53
; %bb.51:                               ;   in Loop: Header=BB443_21 Depth=1
	s_mov_b64 s[48:49], 0
	v_mov_b32_e32 v20, v10
.LBB443_52:                             ;   Parent Loop BB443_21 Depth=1
                                        ; =>  This Inner Loop Header: Depth=2
	v_ashrrev_i32_e32 v21, 31, v20
	v_lshl_add_u64 v[34:35], v[20:21], 1, s[22:23]
	flat_load_ushort v21, v[34:35]
	s_cmp_eq_u32 s48, 3
	s_cselect_b64 vcc, -1, 0
	s_cmp_eq_u32 s48, 2
	s_cselect_b64 s[16:17], -1, 0
	s_cmp_eq_u32 s48, 1
	s_cselect_b64 s[18:19], -1, 0
	;; [unrolled: 2-line block ×3, first 2 shown]
	s_add_u32 s48, s48, 1
	s_addc_u32 s49, s49, 0
	v_add_u32_e32 v20, s27, v20
	s_cmp_eq_u32 s29, s48
	s_waitcnt vmcnt(0) lgkmcnt(0)
	v_cvt_f32_f16_e32 v21, v21
	v_cndmask_b32_e32 v5, v5, v21, vcc
	v_cndmask_b32_e64 v4, v4, v21, s[16:17]
	v_cndmask_b32_e64 v3, v3, v21, s[18:19]
	;; [unrolled: 1-line block ×3, first 2 shown]
	s_cbranch_scc0 .LBB443_52
.LBB443_53:                             ;   in Loop: Header=BB443_21 Depth=1
	s_and_b64 vcc, exec, s[14:15]
	v_mov_b32_e32 v33, 0
	v_mov_b32_e32 v34, 0
	;; [unrolled: 1-line block ×4, first 2 shown]
	s_cbranch_vccnz .LBB443_56
; %bb.54:                               ;   in Loop: Header=BB443_21 Depth=1
	s_ashr_i32 s39, s38, 31
	v_lshl_add_u64 v[20:21], s[38:39], 1, v[6:7]
	s_mov_b64 s[14:15], 0
	v_mov_b32_e32 v36, 0
	v_mov_b32_e32 v35, 0
	;; [unrolled: 1-line block ×4, first 2 shown]
.LBB443_55:                             ;   Parent Loop BB443_21 Depth=1
                                        ; =>  This Inner Loop Header: Depth=2
	s_cmp_eq_u32 s14, 1
	s_cselect_b64 vcc, -1, 0
	s_cmp_eq_u32 s14, 2
	v_cndmask_b32_e32 v38, v2, v3, vcc
	s_cselect_b64 vcc, -1, 0
	s_cmp_eq_u32 s14, 3
	v_cndmask_b32_e32 v44, v38, v4, vcc
	s_cselect_b64 vcc, -1, 0
	s_add_i32 s16, s42, s14
	s_add_i32 s18, s40, s14
	;; [unrolled: 1-line block ×3, first 2 shown]
	s_ashr_i32 s17, s16, 31
	s_ashr_i32 s19, s18, 31
	;; [unrolled: 1-line block ×3, first 2 shown]
	v_lshl_add_u64 v[38:39], s[16:17], 1, v[6:7]
	flat_load_ushort v37, v[20:21]
	v_lshl_add_u64 v[40:41], s[18:19], 1, v[6:7]
	v_lshl_add_u64 v[42:43], s[20:21], 1, v[6:7]
	flat_load_ushort v38, v[38:39]
	s_nop 0
	flat_load_ushort v39, v[40:41]
	flat_load_ushort v45, v[42:43]
	s_add_u32 s14, s14, 1
	v_cndmask_b32_e32 v40, v44, v5, vcc
	s_addc_u32 s15, s15, 0
	v_lshl_add_u64 v[20:21], v[20:21], 0, 2
	s_cmp_lg_u32 s29, s14
	s_waitcnt vmcnt(0) lgkmcnt(0)
	v_fma_mix_f32 v36, v40, v37, v36 op_sel_hi:[0,1,0]
	v_fma_mix_f32 v35, v40, v38, v35 op_sel_hi:[0,1,0]
	;; [unrolled: 1-line block ×4, first 2 shown]
	s_cbranch_scc1 .LBB443_55
.LBB443_56:                             ;   in Loop: Header=BB443_21 Depth=1
	s_or_b64 exec, exec, s[46:47]
	s_or_b64 exec, exec, s[44:45]
	s_and_saveexec_b64 s[14:15], s[0:1]
	s_cbranch_execnz .LBB443_24
	s_branch .LBB443_25
.LBB443_57:                             ;   in Loop: Header=BB443_21 Depth=1
	ds_read_b32 v20, v31
	s_or_b64 exec, exec, s[14:15]
	s_and_saveexec_b64 s[14:15], s[0:1]
	s_cbranch_execz .LBB443_29
.LBB443_58:                             ;   in Loop: Header=BB443_21 Depth=1
	s_waitcnt lgkmcnt(0)
	ds_bpermute_b32 v21, v29, v20
	s_waitcnt lgkmcnt(0)
	v_add_f32_e32 v20, v20, v21
	ds_bpermute_b32 v21, v30, v20
	s_waitcnt lgkmcnt(0)
	v_add_f32_e32 v20, v20, v21
	s_or_b64 exec, exec, s[14:15]
	s_and_saveexec_b64 s[14:15], s[0:1]
	s_cbranch_execnz .LBB443_30
	s_branch .LBB443_31
.LBB443_59:                             ;   in Loop: Header=BB443_21 Depth=1
	ds_read_b32 v21, v31
	s_or_b64 exec, exec, s[14:15]
	s_and_saveexec_b64 s[14:15], s[0:1]
	s_cbranch_execz .LBB443_35
.LBB443_60:                             ;   in Loop: Header=BB443_21 Depth=1
	s_waitcnt lgkmcnt(0)
	ds_bpermute_b32 v35, v29, v21
	s_waitcnt lgkmcnt(0)
	v_add_f32_e32 v21, v21, v35
	ds_bpermute_b32 v35, v30, v21
	s_waitcnt lgkmcnt(0)
	v_add_f32_e32 v21, v21, v35
	s_or_b64 exec, exec, s[14:15]
	s_and_saveexec_b64 s[14:15], s[0:1]
	s_cbranch_execnz .LBB443_36
	s_branch .LBB443_37
.LBB443_61:                             ;   in Loop: Header=BB443_21 Depth=1
	ds_read_b32 v34, v31
	s_or_b64 exec, exec, s[14:15]
	s_and_saveexec_b64 s[14:15], s[0:1]
	s_cbranch_execz .LBB443_41
.LBB443_62:                             ;   in Loop: Header=BB443_21 Depth=1
	s_waitcnt lgkmcnt(0)
	ds_bpermute_b32 v35, v29, v34
	s_waitcnt lgkmcnt(0)
	v_add_f32_e32 v34, v34, v35
	ds_bpermute_b32 v35, v30, v34
	s_waitcnt lgkmcnt(0)
	v_add_f32_e32 v34, v34, v35
	s_or_b64 exec, exec, s[14:15]
	s_and_saveexec_b64 s[14:15], s[0:1]
	s_cbranch_execnz .LBB443_42
	s_branch .LBB443_43
.LBB443_63:                             ;   in Loop: Header=BB443_21 Depth=1
	ds_read_b32 v33, v31
	s_or_b64 exec, exec, s[14:15]
	s_and_saveexec_b64 s[14:15], s[0:1]
	s_cbranch_execz .LBB443_47
.LBB443_64:                             ;   in Loop: Header=BB443_21 Depth=1
	s_waitcnt lgkmcnt(0)
	ds_bpermute_b32 v35, v29, v33
	s_waitcnt lgkmcnt(0)
	v_add_f32_e32 v33, v33, v35
	ds_bpermute_b32 v35, v30, v33
	s_waitcnt lgkmcnt(0)
	v_add_f32_e32 v33, v33, v35
	s_or_b64 exec, exec, s[14:15]
	s_and_saveexec_b64 s[14:15], s[6:7]
	s_cbranch_execz .LBB443_20
.LBB443_65:                             ;   in Loop: Header=BB443_21 Depth=1
	s_mul_i32 s16, s31, s28
	s_add_i32 s34, s16, s2
	s_lshl_b64 s[16:17], s[34:35], 2
	s_add_u32 s16, s33, s16
	v_mul_f32_e32 v20, s26, v20
	s_addc_u32 s17, s50, s17
	s_add_i32 s34, s34, s28
	global_store_dword v11, v20, s[16:17]
	s_lshl_b64 s[16:17], s[34:35], 2
	s_add_u32 s16, s33, s16
	v_mul_f32_e32 v20, s26, v21
	s_addc_u32 s17, s50, s17
	s_add_i32 s34, s34, s28
	global_store_dword v11, v20, s[16:17]
	;; [unrolled: 6-line block ×3, first 2 shown]
	s_lshl_b64 s[16:17], s[34:35], 2
	s_add_u32 s16, s33, s16
	s_waitcnt lgkmcnt(0)
	v_mul_f32_e32 v20, s26, v33
	s_addc_u32 s17, s50, s17
	global_store_dword v11, v20, s[16:17]
	s_branch .LBB443_20
.LBB443_66:
	s_mov_b32 s31, 0
                                        ; implicit-def: $vgpr2_vgpr3_vgpr4_vgpr5
.LBB443_67:
	s_cmp_ge_i32 s31, s25
	s_cbranch_scc1 .LBB443_91
; %bb.68:
	v_mbcnt_hi_u32_b32 v10, -1, v22
	v_and_b32_e32 v11, 63, v10
	v_cmp_gt_u32_e32 vcc, 32, v11
	v_cmp_ge_i32_e64 s[0:1], s24, v23
	v_add_u32_e32 v14, s27, v8
	v_cndmask_b32_e64 v12, 0, 1, vcc
	v_lshlrev_b32_e32 v12, 5, v12
	v_cmp_gt_u32_e32 vcc, 48, v11
	v_add_lshl_u32 v21, v12, v10, 2
	v_cmp_ge_i32_e64 s[4:5], s24, v24
	v_cndmask_b32_e64 v12, 0, 1, vcc
	v_lshlrev_b32_e32 v12, 4, v12
	v_cmp_gt_u32_e32 vcc, 56, v11
	v_add_lshl_u32 v22, v12, v10, 2
	v_add_u32_e32 v16, s27, v14
	v_cndmask_b32_e64 v12, 0, 1, vcc
	v_lshlrev_b32_e32 v12, 3, v12
	v_cmp_gt_u32_e32 vcc, 60, v11
	v_add_lshl_u32 v23, v12, v10, 2
	s_mov_b32 s3, 0
	v_cndmask_b32_e64 v12, 0, 1, vcc
	v_lshlrev_b32_e32 v12, 2, v12
	v_cmp_gt_u32_e32 vcc, 62, v11
	v_add_lshl_u32 v24, v12, v10, 2
	s_cmp_gt_i32 s29, 0
	v_cndmask_b32_e64 v12, 0, 1, vcc
	v_lshlrev_b32_e32 v12, 1, v12
	v_ashrrev_i32_e32 v15, 31, v14
	v_ashrrev_i32_e32 v17, 31, v16
	s_cselect_b64 s[34:35], -1, 0
	v_add_lshl_u32 v25, v12, v10, 2
	v_cmp_ne_u32_e32 vcc, 63, v11
	s_lshl_b64 s[14:15], s[2:3], 2
	v_lshl_add_u64 v[12:13], v[14:15], 1, s[22:23]
	v_lshl_add_u64 v[14:15], v[16:17], 1, s[22:23]
	v_add_u32_e32 v16, s27, v16
	v_lshlrev_b32_e32 v20, 2, v1
	v_addc_co_u32_e32 v10, vcc, 0, v10, vcc
	v_cmp_eq_u32_e64 s[8:9], 0, v1
	v_and_b32_e32 v1, 12, v9
	s_add_u32 s2, s33, s14
	v_ashrrev_i32_e32 v9, 31, v8
	v_ashrrev_i32_e32 v17, 31, v16
	v_cmp_gt_u32_e64 s[6:7], 64, v0
	v_lshlrev_b32_e32 v26, 2, v10
	v_cmp_gt_u32_e64 s[10:11], 4, v0
	v_cmp_eq_u32_e64 s[12:13], 0, v0
	s_addc_u32 s24, s50, s15
	v_lshl_add_u64 v[10:11], v[8:9], 1, s[22:23]
	v_lshl_add_u64 v[16:17], v[16:17], 1, s[22:23]
	s_mul_i32 s36, s31, s30
	v_mov_b32_e32 v9, 0
	s_branch .LBB443_70
.LBB443_69:                             ;   in Loop: Header=BB443_70 Depth=1
	s_or_b64 exec, exec, s[14:15]
	s_add_i32 s31, s31, 1
	s_add_i32 s36, s36, s30
	s_cmp_ge_i32 s31, s25
	s_cbranch_scc1 .LBB443_91
.LBB443_70:                             ; =>This Loop Header: Depth=1
                                        ;     Child Loop BB443_83 Depth 2
                                        ;     Child Loop BB443_86 Depth 2
	s_waitcnt lgkmcnt(0)
	v_mov_b32_e32 v0, s3
	s_and_saveexec_b64 s[14:15], s[0:1]
	s_xor_b64 s[14:15], exec, s[14:15]
	s_cbranch_execnz .LBB443_79
; %bb.71:                               ;   in Loop: Header=BB443_70 Depth=1
	s_andn2_saveexec_b64 s[38:39], s[14:15]
	s_cbranch_execnz .LBB443_80
.LBB443_72:                             ;   in Loop: Header=BB443_70 Depth=1
	s_or_b64 exec, exec, s[38:39]
	s_and_saveexec_b64 s[14:15], s[6:7]
	s_cbranch_execz .LBB443_74
.LBB443_73:                             ;   in Loop: Header=BB443_70 Depth=1
	ds_write_b32 v20, v9
.LBB443_74:                             ;   in Loop: Header=BB443_70 Depth=1
	s_or_b64 exec, exec, s[14:15]
	ds_bpermute_b32 v18, v21, v0
	s_waitcnt lgkmcnt(0)
	s_barrier
	v_add_f32_e32 v0, v0, v18
	ds_bpermute_b32 v18, v22, v0
	s_waitcnt lgkmcnt(0)
	v_add_f32_e32 v0, v0, v18
	ds_bpermute_b32 v18, v23, v0
	s_waitcnt lgkmcnt(0)
	;; [unrolled: 3-line block ×4, first 2 shown]
	v_add_f32_e32 v0, v0, v18
	ds_bpermute_b32 v18, v26, v0
	s_and_saveexec_b64 s[14:15], s[8:9]
	s_cbranch_execz .LBB443_76
; %bb.75:                               ;   in Loop: Header=BB443_70 Depth=1
	s_waitcnt lgkmcnt(0)
	v_add_f32_e32 v0, v0, v18
	ds_write_b32 v1, v0
.LBB443_76:                             ;   in Loop: Header=BB443_70 Depth=1
	s_or_b64 exec, exec, s[14:15]
	v_mov_b32_e32 v0, 0
	s_waitcnt lgkmcnt(0)
	s_barrier
	s_and_saveexec_b64 s[14:15], s[10:11]
	s_cbranch_execnz .LBB443_88
; %bb.77:                               ;   in Loop: Header=BB443_70 Depth=1
	s_or_b64 exec, exec, s[14:15]
	s_and_saveexec_b64 s[14:15], s[6:7]
	s_cbranch_execnz .LBB443_89
.LBB443_78:                             ;   in Loop: Header=BB443_70 Depth=1
	s_or_b64 exec, exec, s[14:15]
	s_and_saveexec_b64 s[14:15], s[12:13]
	s_cbranch_execz .LBB443_69
	s_branch .LBB443_90
.LBB443_79:                             ;   in Loop: Header=BB443_70 Depth=1
	s_mul_i32 s16, s31, s30
	s_ashr_i32 s17, s16, 31
	flat_load_ushort v0, v[16:17]
	flat_load_ushort v4, v[10:11]
	;; [unrolled: 1-line block ×3, first 2 shown]
	v_lshl_add_u64 v[2:3], s[16:17], 1, v[6:7]
	flat_load_dwordx2 v[18:19], v[2:3]
	flat_load_ushort v27, v[14:15]
	s_waitcnt vmcnt(0) lgkmcnt(0)
	v_cvt_f32_f16_e32 v2, v4
	v_cvt_f32_f16_e32 v3, v5
	;; [unrolled: 1-line block ×3, first 2 shown]
	v_cvt_f32_f16_sdwa v29, v18 dst_sel:DWORD dst_unused:UNUSED_PAD src0_sel:WORD_1
	v_cvt_f32_f16_e32 v5, v0
	v_cvt_f32_f16_e32 v4, v27
	;; [unrolled: 1-line block ×3, first 2 shown]
	v_cvt_f32_f16_sdwa v19, v19 dst_sel:DWORD dst_unused:UNUSED_PAD src0_sel:WORD_1
	v_pk_mul_f32 v[28:29], v[2:3], v[28:29]
	v_pk_mul_f32 v[18:19], v[4:5], v[18:19]
	v_add_f32_e32 v0, 0, v28
	v_add_f32_e32 v0, v0, v29
	;; [unrolled: 1-line block ×4, first 2 shown]
	s_andn2_saveexec_b64 s[38:39], s[14:15]
	s_cbranch_execz .LBB443_72
.LBB443_80:                             ;   in Loop: Header=BB443_70 Depth=1
	s_and_saveexec_b64 s[40:41], s[4:5]
	s_cbranch_execz .LBB443_87
; %bb.81:                               ;   in Loop: Header=BB443_70 Depth=1
	v_cndmask_b32_e64 v18, 0, 1, s[34:35]
	v_cmp_ne_u32_e64 s[14:15], 1, v18
	s_andn2_b64 vcc, exec, s[34:35]
	s_cbranch_vccnz .LBB443_84
; %bb.82:                               ;   in Loop: Header=BB443_70 Depth=1
	s_mov_b64 s[42:43], 0
	v_mov_b32_e32 v18, v8
.LBB443_83:                             ;   Parent Loop BB443_70 Depth=1
                                        ; =>  This Inner Loop Header: Depth=2
	v_ashrrev_i32_e32 v19, 31, v18
	v_lshl_add_u64 v[28:29], v[18:19], 1, s[22:23]
	flat_load_ushort v19, v[28:29]
	s_cmp_eq_u32 s42, 3
	s_cselect_b64 vcc, -1, 0
	s_cmp_eq_u32 s42, 2
	s_cselect_b64 s[16:17], -1, 0
	s_cmp_eq_u32 s42, 1
	s_cselect_b64 s[18:19], -1, 0
	;; [unrolled: 2-line block ×3, first 2 shown]
	s_add_u32 s42, s42, 1
	s_addc_u32 s43, s43, 0
	v_add_u32_e32 v18, s27, v18
	s_cmp_eq_u32 s29, s42
	s_waitcnt vmcnt(0) lgkmcnt(0)
	v_cvt_f32_f16_e32 v19, v19
	v_cndmask_b32_e32 v5, v5, v19, vcc
	v_cndmask_b32_e64 v4, v4, v19, s[16:17]
	v_cndmask_b32_e64 v3, v3, v19, s[18:19]
	;; [unrolled: 1-line block ×3, first 2 shown]
	s_cbranch_scc0 .LBB443_83
.LBB443_84:                             ;   in Loop: Header=BB443_70 Depth=1
	s_and_b64 vcc, exec, s[14:15]
	s_cbranch_vccnz .LBB443_87
; %bb.85:                               ;   in Loop: Header=BB443_70 Depth=1
	s_ashr_i32 s37, s36, 31
	v_lshl_add_u64 v[18:19], s[36:37], 1, v[6:7]
	s_mov_b64 s[14:15], 0
.LBB443_86:                             ;   Parent Loop BB443_70 Depth=1
                                        ; =>  This Inner Loop Header: Depth=2
	flat_load_ushort v27, v[18:19]
	s_cmp_eq_u32 s14, 1
	s_cselect_b64 vcc, -1, 0
	s_cmp_eq_u32 s14, 2
	v_cndmask_b32_e32 v28, v2, v3, vcc
	s_cselect_b64 vcc, -1, 0
	s_cmp_eq_u32 s14, 3
	v_cndmask_b32_e32 v28, v28, v4, vcc
	s_cselect_b64 vcc, -1, 0
	s_add_u32 s14, s14, 1
	v_cndmask_b32_e32 v28, v28, v5, vcc
	s_addc_u32 s15, s15, 0
	v_lshl_add_u64 v[18:19], v[18:19], 0, 2
	s_cmp_lg_u32 s29, s14
	s_waitcnt vmcnt(0) lgkmcnt(0)
	v_fma_mix_f32 v0, v28, v27, v0 op_sel_hi:[0,1,0]
	s_cbranch_scc1 .LBB443_86
.LBB443_87:                             ;   in Loop: Header=BB443_70 Depth=1
	s_or_b64 exec, exec, s[40:41]
	s_or_b64 exec, exec, s[38:39]
	s_and_saveexec_b64 s[14:15], s[6:7]
	s_cbranch_execnz .LBB443_73
	s_branch .LBB443_74
.LBB443_88:                             ;   in Loop: Header=BB443_70 Depth=1
	ds_read_b32 v0, v20
	s_or_b64 exec, exec, s[14:15]
	s_and_saveexec_b64 s[14:15], s[6:7]
	s_cbranch_execz .LBB443_78
.LBB443_89:                             ;   in Loop: Header=BB443_70 Depth=1
	s_waitcnt lgkmcnt(0)
	ds_bpermute_b32 v18, v25, v0
	s_waitcnt lgkmcnt(0)
	v_add_f32_e32 v0, v0, v18
	ds_bpermute_b32 v18, v26, v0
	s_waitcnt lgkmcnt(0)
	v_add_f32_e32 v0, v0, v18
	s_or_b64 exec, exec, s[14:15]
	s_and_saveexec_b64 s[14:15], s[12:13]
	s_cbranch_execz .LBB443_69
.LBB443_90:                             ;   in Loop: Header=BB443_70 Depth=1
	s_mul_hi_u32 s17, s31, s28
	s_mul_i32 s16, s31, s28
	s_lshl_b64 s[16:17], s[16:17], 2
	s_add_u32 s16, s2, s16
	s_waitcnt lgkmcnt(0)
	v_mul_f32_e32 v0, s26, v0
	s_addc_u32 s17, s24, s17
	global_store_dword v9, v0, s[16:17]
	s_branch .LBB443_69
.LBB443_91:
	s_endpgm
	.section	.rodata,"a",@progbits
	.p2align	6, 0x0
	.amdhsa_kernel _ZL23rocblas_gemvt_sn_kernelILb0ELi256ELi4EiPKDF16_ffEviiT4_lPKT3_lilS5_lilPT5_i
		.amdhsa_group_segment_fixed_size 256
		.amdhsa_private_segment_fixed_size 0
		.amdhsa_kernarg_size 360
		.amdhsa_user_sgpr_count 2
		.amdhsa_user_sgpr_dispatch_ptr 0
		.amdhsa_user_sgpr_queue_ptr 0
		.amdhsa_user_sgpr_kernarg_segment_ptr 1
		.amdhsa_user_sgpr_dispatch_id 0
		.amdhsa_user_sgpr_kernarg_preload_length 0
		.amdhsa_user_sgpr_kernarg_preload_offset 0
		.amdhsa_user_sgpr_private_segment_size 0
		.amdhsa_uses_dynamic_stack 0
		.amdhsa_enable_private_segment 0
		.amdhsa_system_sgpr_workgroup_id_x 1
		.amdhsa_system_sgpr_workgroup_id_y 0
		.amdhsa_system_sgpr_workgroup_id_z 1
		.amdhsa_system_sgpr_workgroup_info 0
		.amdhsa_system_vgpr_workitem_id 0
		.amdhsa_next_free_vgpr 46
		.amdhsa_next_free_sgpr 54
		.amdhsa_accum_offset 48
		.amdhsa_reserve_vcc 1
		.amdhsa_float_round_mode_32 0
		.amdhsa_float_round_mode_16_64 0
		.amdhsa_float_denorm_mode_32 3
		.amdhsa_float_denorm_mode_16_64 3
		.amdhsa_dx10_clamp 1
		.amdhsa_ieee_mode 1
		.amdhsa_fp16_overflow 0
		.amdhsa_tg_split 0
		.amdhsa_exception_fp_ieee_invalid_op 0
		.amdhsa_exception_fp_denorm_src 0
		.amdhsa_exception_fp_ieee_div_zero 0
		.amdhsa_exception_fp_ieee_overflow 0
		.amdhsa_exception_fp_ieee_underflow 0
		.amdhsa_exception_fp_ieee_inexact 0
		.amdhsa_exception_int_div_zero 0
	.end_amdhsa_kernel
	.section	.text._ZL23rocblas_gemvt_sn_kernelILb0ELi256ELi4EiPKDF16_ffEviiT4_lPKT3_lilS5_lilPT5_i,"axG",@progbits,_ZL23rocblas_gemvt_sn_kernelILb0ELi256ELi4EiPKDF16_ffEviiT4_lPKT3_lilS5_lilPT5_i,comdat
.Lfunc_end443:
	.size	_ZL23rocblas_gemvt_sn_kernelILb0ELi256ELi4EiPKDF16_ffEviiT4_lPKT3_lilS5_lilPT5_i, .Lfunc_end443-_ZL23rocblas_gemvt_sn_kernelILb0ELi256ELi4EiPKDF16_ffEviiT4_lPKT3_lilS5_lilPT5_i
                                        ; -- End function
	.section	.AMDGPU.csdata,"",@progbits
; Kernel info:
; codeLenInByte = 3944
; NumSgprs: 60
; NumVgprs: 46
; NumAgprs: 0
; TotalNumVgprs: 46
; ScratchSize: 0
; MemoryBound: 0
; FloatMode: 240
; IeeeMode: 1
; LDSByteSize: 256 bytes/workgroup (compile time only)
; SGPRBlocks: 7
; VGPRBlocks: 5
; NumSGPRsForWavesPerEU: 60
; NumVGPRsForWavesPerEU: 46
; AccumOffset: 48
; Occupancy: 8
; WaveLimiterHint : 0
; COMPUTE_PGM_RSRC2:SCRATCH_EN: 0
; COMPUTE_PGM_RSRC2:USER_SGPR: 2
; COMPUTE_PGM_RSRC2:TRAP_HANDLER: 0
; COMPUTE_PGM_RSRC2:TGID_X_EN: 1
; COMPUTE_PGM_RSRC2:TGID_Y_EN: 0
; COMPUTE_PGM_RSRC2:TGID_Z_EN: 1
; COMPUTE_PGM_RSRC2:TIDIG_COMP_CNT: 0
; COMPUTE_PGM_RSRC3_GFX90A:ACCUM_OFFSET: 11
; COMPUTE_PGM_RSRC3_GFX90A:TG_SPLIT: 0
	.section	.text._ZL23rocblas_gemvt_sn_kernelILb0ELi256ELi4ElPKDF16_ffEviiT4_lPKT3_lilS5_lilPT5_i,"axG",@progbits,_ZL23rocblas_gemvt_sn_kernelILb0ELi256ELi4ElPKDF16_ffEviiT4_lPKT3_lilS5_lilPT5_i,comdat
	.globl	_ZL23rocblas_gemvt_sn_kernelILb0ELi256ELi4ElPKDF16_ffEviiT4_lPKT3_lilS5_lilPT5_i ; -- Begin function _ZL23rocblas_gemvt_sn_kernelILb0ELi256ELi4ElPKDF16_ffEviiT4_lPKT3_lilS5_lilPT5_i
	.p2align	8
	.type	_ZL23rocblas_gemvt_sn_kernelILb0ELi256ELi4ElPKDF16_ffEviiT4_lPKT3_lilS5_lilPT5_i,@function
_ZL23rocblas_gemvt_sn_kernelILb0ELi256ELi4ElPKDF16_ffEviiT4_lPKT3_lilS5_lilPT5_i: ; @_ZL23rocblas_gemvt_sn_kernelILb0ELi256ELi4ElPKDF16_ffEviiT4_lPKT3_lilS5_lilPT5_i
; %bb.0:
	s_load_dwordx4 s[24:27], s[0:1], 0x0
	s_mov_b32 s8, s3
	s_mov_b32 s9, 0
	s_waitcnt lgkmcnt(0)
	v_cmp_neq_f32_e64 s[4:5], s26, 0
	v_cmp_eq_f32_e64 s[6:7], s26, 0
	s_and_b64 vcc, exec, s[4:5]
	s_cbranch_vccnz .LBB444_2
; %bb.1:
	s_mov_b64 s[30:31], 0
	s_cbranch_execz .LBB444_3
	s_branch .LBB444_4
.LBB444_2:
                                        ; implicit-def: $sgpr30_sgpr31
.LBB444_3:
	s_load_dwordx4 s[12:15], s[0:1], 0x18
	s_lshl_b64 s[10:11], s[8:9], 3
	s_waitcnt lgkmcnt(0)
	s_add_u32 s10, s12, s10
	s_addc_u32 s11, s13, s11
	s_load_dwordx2 s[10:11], s[10:11], 0x0
	s_lshl_b64 s[12:13], s[14:15], 1
	s_waitcnt lgkmcnt(0)
	s_add_u32 s30, s10, s12
	s_addc_u32 s31, s11, s13
.LBB444_4:
	s_andn2_b64 vcc, exec, s[4:5]
	s_cbranch_vccnz .LBB444_6
; %bb.5:
	s_load_dwordx4 s[12:15], s[0:1], 0x38
	s_lshl_b64 s[4:5], s[8:9], 3
	s_waitcnt lgkmcnt(0)
	s_add_u32 s4, s12, s4
	s_addc_u32 s5, s13, s5
	s_load_dwordx2 s[4:5], s[4:5], 0x0
	s_lshl_b64 s[10:11], s[14:15], 1
	s_waitcnt lgkmcnt(0)
	s_add_u32 s34, s4, s10
	s_addc_u32 s35, s5, s11
	s_branch .LBB444_7
.LBB444_6:
	s_mov_b64 s[34:35], 0
.LBB444_7:
	s_load_dwordx2 s[4:5], s[0:1], 0x58
	s_load_dword s22, s[0:1], 0x68
	s_ashr_i32 s14, s25, 31
	s_mul_hi_u32 s3, s8, s25
	s_mul_i32 s10, s8, s14
	s_add_i32 s3, s3, s10
	s_mul_i32 s9, s9, s25
	s_add_i32 s9, s3, s9
	s_mul_i32 s8, s8, s25
	s_waitcnt lgkmcnt(0)
	s_mul_i32 s3, s9, s22
	s_mul_hi_u32 s10, s8, s22
	s_add_i32 s11, s10, s3
	s_mul_i32 s10, s8, s22
	s_lshl_b64 s[10:11], s[10:11], 2
	s_add_u32 s27, s4, s10
	s_mov_b32 s23, 0
	s_addc_u32 s33, s5, s11
	s_andn2_b64 vcc, exec, s[6:7]
	s_mov_b64 s[6:7], -1
	s_cbranch_vccnz .LBB444_17
; %bb.8:
	s_cmp_gt_i32 s25, 0
	v_cmp_eq_u32_e32 vcc, 0, v0
	s_cselect_b64 s[6:7], -1, 0
	s_and_b64 s[10:11], vcc, s[6:7]
	s_and_saveexec_b64 s[6:7], s[10:11]
	s_cbranch_execz .LBB444_16
; %bb.9:
	s_cmp_gt_u32 s25, 1
	s_cselect_b64 s[10:11], -1, 0
	s_cmp_eq_u32 s22, 1
	s_cselect_b64 s[16:17], -1, 0
	s_mov_b32 s3, 0
	s_and_b64 s[10:11], s[10:11], s[16:17]
	s_mov_b64 s[12:13], -1
	s_andn2_b64 vcc, exec, s[10:11]
	s_mov_b32 s10, s3
	s_cbranch_vccnz .LBB444_13
; %bb.10:
	s_lshl_b64 s[10:11], s[2:3], 2
	s_add_u32 s12, s27, s10
	s_addc_u32 s13, s33, s11
	s_and_b32 s10, s25, 0x7ffffffe
	v_mov_b32_e32 v2, 0
	v_mov_b32_e32 v3, v2
	s_mov_b32 s11, s10
.LBB444_11:                             ; =>This Inner Loop Header: Depth=1
	global_store_dwordx2 v2, v[2:3], s[12:13]
	s_add_u32 s12, s12, 8
	s_addc_u32 s13, s13, 0
	s_add_i32 s11, s11, -2
	s_cmp_lg_u32 s11, 0
	s_cbranch_scc1 .LBB444_11
; %bb.12:
	s_cmp_lg_u32 s10, s25
	s_cselect_b64 s[12:13], -1, 0
.LBB444_13:
	s_and_b64 vcc, exec, s[12:13]
	s_cbranch_vccz .LBB444_16
; %bb.14:
	s_mov_b32 s11, 0
	s_sub_i32 s12, s25, s10
	s_lshl_b64 s[8:9], s[8:9], 2
	s_lshl_b64 s[10:11], s[10:11], 2
	s_add_u32 s8, s8, s10
	s_addc_u32 s9, s9, s11
	s_mul_i32 s9, s9, s22
	s_mul_hi_u32 s10, s8, s22
	s_add_i32 s10, s10, s9
	s_mul_i32 s11, s8, s22
	s_lshl_b64 s[8:9], s[2:3], 2
	s_add_u32 s3, s11, s8
	s_addc_u32 s8, s10, s9
	s_add_u32 s4, s4, s3
	s_addc_u32 s5, s5, s8
	s_lshl_b64 s[8:9], s[22:23], 2
	v_mov_b32_e32 v1, 0
.LBB444_15:                             ; =>This Inner Loop Header: Depth=1
	s_add_i32 s12, s12, -1
	global_store_dword v1, v1, s[4:5]
	s_add_u32 s4, s4, s8
	s_addc_u32 s5, s5, s9
	s_cmp_eq_u32 s12, 0
	s_cbranch_scc0 .LBB444_15
.LBB444_16:
	s_or_b64 exec, exec, s[6:7]
	s_mov_b64 s[6:7], 0
.LBB444_17:
	s_andn2_b64 vcc, exec, s[6:7]
	s_cbranch_vccnz .LBB444_91
; %bb.18:
	s_load_dword s28, s[0:1], 0x28
	s_load_dword s36, s[0:1], 0x48
	s_lshl_b32 s0, s2, 10
	v_lshl_or_b32 v8, v0, 2, s0
	s_lshr_b32 s0, s14, 30
	s_add_i32 s0, s25, s0
	s_and_b32 s56, s0, -4
	s_ashr_i32 s0, s24, 31
	s_lshr_b32 s0, s0, 30
	s_add_i32 s0, s24, s0
	s_and_b32 s0, s0, -4
	s_waitcnt lgkmcnt(0)
	s_ashr_i32 s29, s28, 31
	s_ashr_i32 s37, s36, 31
	v_ashrrev_i32_e32 v9, 31, v8
	s_sub_i32 s23, s24, s0
	v_lshl_add_u64 v[6:7], v[8:9], 1, s[30:31]
	s_cmp_lt_i32 s56, 1
	v_add_u32_e32 v27, 4, v8
	v_add_u32_e32 v28, s23, v8
	v_and_b32_e32 v24, 63, v0
	v_cmp_gt_u32_e64 s[0:1], 64, v0
	v_mbcnt_lo_u32_b32 v26, -1, 0
	v_cmp_gt_u32_e64 s[4:5], 4, v0
	v_lshrrev_b32_e32 v25, 4, v0
	v_cmp_eq_u32_e64 s[6:7], 0, v0
	v_or_b32_e32 v23, 1, v8
	v_or_b32_e32 v22, 2, v8
	;; [unrolled: 1-line block ×3, first 2 shown]
	s_cbranch_scc1 .LBB444_66
; %bb.19:
	v_mbcnt_hi_u32_b32 v2, -1, v26
	v_and_b32_e32 v3, 63, v2
	v_cmp_gt_u32_e32 vcc, 32, v3
	s_mov_b32 s3, 0
	s_cmp_gt_i32 s23, 0
	v_cndmask_b32_e64 v4, 0, 1, vcc
	v_lshlrev_b32_e32 v4, 5, v4
	v_cmp_gt_u32_e32 vcc, 48, v3
	v_add_lshl_u32 v29, v4, v2, 2
	s_cselect_b64 s[38:39], -1, 0
	v_cndmask_b32_e64 v4, 0, 1, vcc
	v_lshlrev_b32_e32 v4, 4, v4
	v_cmp_gt_u32_e32 vcc, 56, v3
	v_add_lshl_u32 v30, v4, v2, 2
	s_lshl_b64 s[14:15], s[2:3], 2
	v_cndmask_b32_e64 v4, 0, 1, vcc
	v_lshlrev_b32_e32 v4, 3, v4
	v_cmp_gt_u32_e32 vcc, 60, v3
	v_add_lshl_u32 v31, v4, v2, 2
	s_add_u32 s57, s27, s14
	v_cndmask_b32_e64 v4, 0, 1, vcc
	v_lshlrev_b32_e32 v4, 2, v4
	v_cmp_gt_u32_e32 vcc, 62, v3
	v_add_lshl_u32 v32, v4, v2, 2
	s_addc_u32 s58, s33, s15
	v_cndmask_b32_e64 v4, 0, 1, vcc
	v_lshlrev_b32_e32 v4, 1, v4
	v_cmp_ne_u32_e32 vcc, 63, v3
	v_add_lshl_u32 v33, v4, v2, 2
	v_cmp_ge_i32_e64 s[8:9], s24, v27
	v_addc_co_u32_e32 v2, vcc, 0, v2, vcc
	v_lshlrev_b32_e32 v34, 2, v2
	v_mad_i64_i32 v[2:3], s[14:15], s36, v8, 0
	v_lshl_add_u64 v[10:11], v[2:3], 1, s[34:35]
	v_mad_i64_i32 v[2:3], s[14:15], s36, v23, 0
	v_lshl_add_u64 v[12:13], v[2:3], 1, s[34:35]
	;; [unrolled: 2-line block ×3, first 2 shown]
	v_mad_i64_i32 v[2:3], s[14:15], s36, v1, 0
	v_cmp_ge_i32_e64 s[10:11], s24, v28
	v_cmp_eq_u32_e64 s[12:13], 0, v24
	v_lshlrev_b32_e32 v35, 2, v24
	v_and_b32_e32 v36, 12, v25
	v_lshl_add_u64 v[16:17], v[2:3], 1, s[34:35]
	s_lshl_b64 s[40:41], s[36:37], 1
	s_mul_hi_i32 s43, s28, 6
	s_mul_i32 s42, s28, 6
	s_lshl_b64 s[44:45], s[28:29], 3
	s_lshl_b64 s[46:47], s[28:29], 2
	;; [unrolled: 1-line block ×3, first 2 shown]
	v_mov_b32_e32 v37, 0
	v_mov_b64_e32 v[18:19], v[6:7]
                                        ; implicit-def: $vgpr2_vgpr3_vgpr4_vgpr5
	s_branch .LBB444_21
.LBB444_20:                             ;   in Loop: Header=BB444_21 Depth=1
	s_or_b64 exec, exec, s[14:15]
	s_add_i32 s3, s3, 4
	s_cmp_ge_i32 s3, s56
	v_lshl_add_u64 v[18:19], v[18:19], 0, s[44:45]
	s_cbranch_scc1 .LBB444_67
.LBB444_21:                             ; =>This Loop Header: Depth=1
                                        ;     Child Loop BB444_52 Depth 2
                                        ;     Child Loop BB444_55 Depth 2
                                        ; implicit-def: $vgpr38
                                        ; implicit-def: $vgpr39
                                        ; implicit-def: $vgpr40
                                        ; implicit-def: $vgpr41
	s_and_saveexec_b64 s[14:15], s[8:9]
	s_xor_b64 s[14:15], exec, s[14:15]
	s_cbranch_execnz .LBB444_48
; %bb.22:                               ;   in Loop: Header=BB444_21 Depth=1
	s_andn2_saveexec_b64 s[50:51], s[14:15]
	s_cbranch_execnz .LBB444_49
.LBB444_23:                             ;   in Loop: Header=BB444_21 Depth=1
	s_or_b64 exec, exec, s[50:51]
	s_and_saveexec_b64 s[14:15], s[0:1]
	s_cbranch_execz .LBB444_25
.LBB444_24:                             ;   in Loop: Header=BB444_21 Depth=1
	ds_write_b32 v35, v37
.LBB444_25:                             ;   in Loop: Header=BB444_21 Depth=1
	s_or_b64 exec, exec, s[14:15]
	ds_bpermute_b32 v20, v29, v41
	s_waitcnt lgkmcnt(0)
	s_barrier
	v_add_f32_e32 v20, v41, v20
	ds_bpermute_b32 v21, v30, v20
	s_waitcnt lgkmcnt(0)
	v_add_f32_e32 v20, v20, v21
	ds_bpermute_b32 v21, v31, v20
	s_waitcnt lgkmcnt(0)
	;; [unrolled: 3-line block ×4, first 2 shown]
	v_add_f32_e32 v20, v20, v21
	ds_bpermute_b32 v21, v34, v20
	s_and_saveexec_b64 s[14:15], s[12:13]
	s_cbranch_execz .LBB444_27
; %bb.26:                               ;   in Loop: Header=BB444_21 Depth=1
	s_waitcnt lgkmcnt(0)
	v_add_f32_e32 v20, v20, v21
	ds_write_b32 v36, v20
.LBB444_27:                             ;   in Loop: Header=BB444_21 Depth=1
	s_or_b64 exec, exec, s[14:15]
	v_mov_b32_e32 v20, 0
	s_waitcnt lgkmcnt(0)
	s_barrier
	s_and_saveexec_b64 s[14:15], s[4:5]
	s_cbranch_execnz .LBB444_57
; %bb.28:                               ;   in Loop: Header=BB444_21 Depth=1
	s_or_b64 exec, exec, s[14:15]
	s_and_saveexec_b64 s[14:15], s[0:1]
	s_cbranch_execnz .LBB444_58
.LBB444_29:                             ;   in Loop: Header=BB444_21 Depth=1
	s_or_b64 exec, exec, s[14:15]
	s_and_saveexec_b64 s[14:15], s[0:1]
	s_cbranch_execz .LBB444_31
.LBB444_30:                             ;   in Loop: Header=BB444_21 Depth=1
	ds_write_b32 v35, v37
.LBB444_31:                             ;   in Loop: Header=BB444_21 Depth=1
	s_or_b64 exec, exec, s[14:15]
	ds_bpermute_b32 v21, v29, v40
	s_waitcnt lgkmcnt(0)
	s_barrier
	v_add_f32_e32 v21, v40, v21
	ds_bpermute_b32 v40, v30, v21
	s_waitcnt lgkmcnt(0)
	v_add_f32_e32 v21, v21, v40
	ds_bpermute_b32 v40, v31, v21
	s_waitcnt lgkmcnt(0)
	;; [unrolled: 3-line block ×4, first 2 shown]
	v_add_f32_e32 v21, v21, v40
	ds_bpermute_b32 v40, v34, v21
	s_and_saveexec_b64 s[14:15], s[12:13]
	s_cbranch_execz .LBB444_33
; %bb.32:                               ;   in Loop: Header=BB444_21 Depth=1
	s_waitcnt lgkmcnt(0)
	v_add_f32_e32 v21, v21, v40
	ds_write_b32 v36, v21
.LBB444_33:                             ;   in Loop: Header=BB444_21 Depth=1
	s_or_b64 exec, exec, s[14:15]
	v_mov_b32_e32 v21, 0
	s_waitcnt lgkmcnt(0)
	s_barrier
	s_and_saveexec_b64 s[14:15], s[4:5]
	s_cbranch_execnz .LBB444_59
; %bb.34:                               ;   in Loop: Header=BB444_21 Depth=1
	s_or_b64 exec, exec, s[14:15]
	s_and_saveexec_b64 s[14:15], s[0:1]
	s_cbranch_execnz .LBB444_60
.LBB444_35:                             ;   in Loop: Header=BB444_21 Depth=1
	s_or_b64 exec, exec, s[14:15]
	s_and_saveexec_b64 s[14:15], s[0:1]
	s_cbranch_execz .LBB444_37
.LBB444_36:                             ;   in Loop: Header=BB444_21 Depth=1
	ds_write_b32 v35, v37
.LBB444_37:                             ;   in Loop: Header=BB444_21 Depth=1
	s_or_b64 exec, exec, s[14:15]
	ds_bpermute_b32 v40, v29, v39
	s_waitcnt lgkmcnt(0)
	s_barrier
	v_add_f32_e32 v39, v39, v40
	ds_bpermute_b32 v40, v30, v39
	s_waitcnt lgkmcnt(0)
	v_add_f32_e32 v39, v39, v40
	ds_bpermute_b32 v40, v31, v39
	s_waitcnt lgkmcnt(0)
	;; [unrolled: 3-line block ×4, first 2 shown]
	v_add_f32_e32 v39, v39, v40
	ds_bpermute_b32 v40, v34, v39
	s_and_saveexec_b64 s[14:15], s[12:13]
	s_cbranch_execz .LBB444_39
; %bb.38:                               ;   in Loop: Header=BB444_21 Depth=1
	s_waitcnt lgkmcnt(0)
	v_add_f32_e32 v39, v39, v40
	ds_write_b32 v36, v39
.LBB444_39:                             ;   in Loop: Header=BB444_21 Depth=1
	s_or_b64 exec, exec, s[14:15]
	v_mov_b32_e32 v39, 0
	s_waitcnt lgkmcnt(0)
	s_barrier
	s_and_saveexec_b64 s[14:15], s[4:5]
	s_cbranch_execnz .LBB444_61
; %bb.40:                               ;   in Loop: Header=BB444_21 Depth=1
	s_or_b64 exec, exec, s[14:15]
	s_and_saveexec_b64 s[14:15], s[0:1]
	s_cbranch_execnz .LBB444_62
.LBB444_41:                             ;   in Loop: Header=BB444_21 Depth=1
	s_or_b64 exec, exec, s[14:15]
	s_and_saveexec_b64 s[14:15], s[0:1]
	s_cbranch_execz .LBB444_43
.LBB444_42:                             ;   in Loop: Header=BB444_21 Depth=1
	ds_write_b32 v35, v37
.LBB444_43:                             ;   in Loop: Header=BB444_21 Depth=1
	s_or_b64 exec, exec, s[14:15]
	ds_bpermute_b32 v40, v29, v38
	s_waitcnt lgkmcnt(0)
	s_barrier
	v_add_f32_e32 v38, v38, v40
	ds_bpermute_b32 v40, v30, v38
	s_waitcnt lgkmcnt(0)
	v_add_f32_e32 v38, v38, v40
	ds_bpermute_b32 v40, v31, v38
	s_waitcnt lgkmcnt(0)
	;; [unrolled: 3-line block ×4, first 2 shown]
	v_add_f32_e32 v38, v38, v40
	ds_bpermute_b32 v40, v34, v38
	s_and_saveexec_b64 s[14:15], s[12:13]
	s_cbranch_execz .LBB444_45
; %bb.44:                               ;   in Loop: Header=BB444_21 Depth=1
	s_waitcnt lgkmcnt(0)
	v_add_f32_e32 v38, v38, v40
	ds_write_b32 v36, v38
.LBB444_45:                             ;   in Loop: Header=BB444_21 Depth=1
	s_or_b64 exec, exec, s[14:15]
	v_mov_b32_e32 v38, 0
	s_waitcnt lgkmcnt(0)
	s_barrier
	s_and_saveexec_b64 s[14:15], s[4:5]
	s_cbranch_execnz .LBB444_63
; %bb.46:                               ;   in Loop: Header=BB444_21 Depth=1
	s_or_b64 exec, exec, s[14:15]
	s_and_saveexec_b64 s[14:15], s[0:1]
	s_cbranch_execnz .LBB444_64
.LBB444_47:                             ;   in Loop: Header=BB444_21 Depth=1
	s_or_b64 exec, exec, s[14:15]
	s_and_saveexec_b64 s[14:15], s[6:7]
	s_cbranch_execz .LBB444_20
	s_branch .LBB444_65
.LBB444_48:                             ;   in Loop: Header=BB444_21 Depth=1
	s_mul_i32 s16, s3, s29
	s_mul_hi_u32 s17, s3, s28
	s_add_i32 s17, s17, s16
	s_mul_i32 s16, s3, s28
	v_lshl_add_u64 v[2:3], s[16:17], 1, v[6:7]
	s_or_b32 s16, s3, 1
	s_mul_i32 s17, s16, s29
	s_mul_hi_u32 s18, s16, s28
	s_add_i32 s17, s18, s17
	s_mul_i32 s16, s16, s28
	v_lshl_add_u64 v[4:5], s[16:17], 1, v[6:7]
	s_or_b32 s16, s3, 2
	;; [unrolled: 6-line block ×3, first 2 shown]
	s_mul_i32 s17, s16, s29
	s_mul_hi_u32 s18, s16, s28
	s_add_i32 s17, s18, s17
	s_mul_i32 s16, s16, s28
	flat_load_ushort v48, v[12:13]
	flat_load_ushort v49, v[14:15]
	;; [unrolled: 1-line block ×4, first 2 shown]
	s_waitcnt lgkmcnt(0)
	v_lshl_add_u64 v[38:39], s[16:17], 1, v[6:7]
	flat_load_dwordx2 v[40:41], v[2:3]
	flat_load_dwordx2 v[42:43], v[4:5]
	flat_load_dwordx2 v[44:45], v[20:21]
	flat_load_dwordx2 v[46:47], v[38:39]
	s_waitcnt vmcnt(0) lgkmcnt(0)
	v_cvt_f32_f16_e32 v3, v48
	v_cvt_f32_f16_e32 v4, v49
	;; [unrolled: 1-line block ×4, first 2 shown]
	v_fma_mix_f32 v20, v50, v40, 0 op_sel_hi:[1,1,0]
	v_fma_mix_f32 v21, v50, v42, 0 op_sel_hi:[1,1,0]
	v_fma_mix_f32 v38, v50, v44, 0 op_sel_hi:[1,1,0]
	v_fma_mix_f32 v39, v50, v46, 0 op_sel_hi:[1,1,0]
	v_fma_mix_f32 v20, v48, v40, v20 op_sel:[0,1,0] op_sel_hi:[1,1,0]
	v_fma_mix_f32 v21, v48, v42, v21 op_sel:[0,1,0] op_sel_hi:[1,1,0]
	v_fma_mix_f32 v38, v48, v44, v38 op_sel:[0,1,0] op_sel_hi:[1,1,0]
	v_fma_mix_f32 v39, v48, v46, v39 op_sel:[0,1,0] op_sel_hi:[1,1,0]
	v_fma_mix_f32 v20, v49, v41, v20 op_sel_hi:[1,1,0]
	v_fma_mix_f32 v21, v49, v43, v21 op_sel_hi:[1,1,0]
	;; [unrolled: 1-line block ×4, first 2 shown]
	v_fma_mix_f32 v41, v51, v41, v20 op_sel:[0,1,0] op_sel_hi:[1,1,0]
	v_fma_mix_f32 v40, v51, v43, v21 op_sel:[0,1,0] op_sel_hi:[1,1,0]
	;; [unrolled: 1-line block ×4, first 2 shown]
	s_andn2_saveexec_b64 s[50:51], s[14:15]
	s_cbranch_execz .LBB444_23
.LBB444_49:                             ;   in Loop: Header=BB444_21 Depth=1
	s_waitcnt lgkmcnt(0)
	v_mov_b32_e32 v38, 0
	v_mov_b32_e32 v39, 0
	;; [unrolled: 1-line block ×4, first 2 shown]
	s_and_saveexec_b64 s[52:53], s[10:11]
	s_cbranch_execz .LBB444_56
; %bb.50:                               ;   in Loop: Header=BB444_21 Depth=1
	v_cndmask_b32_e64 v20, 0, 1, s[38:39]
	v_cmp_ne_u32_e64 s[14:15], 1, v20
	s_andn2_b64 vcc, exec, s[38:39]
	s_cbranch_vccnz .LBB444_53
; %bb.51:                               ;   in Loop: Header=BB444_21 Depth=1
	s_mov_b64 s[54:55], 0
	v_mov_b64_e32 v[20:21], v[10:11]
.LBB444_52:                             ;   Parent Loop BB444_21 Depth=1
                                        ; =>  This Inner Loop Header: Depth=2
	flat_load_ushort v38, v[20:21]
	s_cmp_eq_u32 s54, 3
	s_cselect_b64 vcc, -1, 0
	s_cmp_eq_u32 s54, 2
	s_cselect_b64 s[16:17], -1, 0
	s_cmp_eq_u32 s54, 1
	s_cselect_b64 s[18:19], -1, 0
	;; [unrolled: 2-line block ×3, first 2 shown]
	s_add_u32 s54, s54, 1
	s_addc_u32 s55, s55, 0
	v_lshl_add_u64 v[20:21], v[20:21], 0, s[40:41]
	s_cmp_eq_u32 s23, s54
	s_waitcnt vmcnt(0) lgkmcnt(0)
	v_cvt_f32_f16_e32 v38, v38
	v_cndmask_b32_e32 v5, v5, v38, vcc
	v_cndmask_b32_e64 v4, v4, v38, s[16:17]
	v_cndmask_b32_e64 v3, v3, v38, s[18:19]
	;; [unrolled: 1-line block ×3, first 2 shown]
	s_cbranch_scc0 .LBB444_52
.LBB444_53:                             ;   in Loop: Header=BB444_21 Depth=1
	s_and_b64 vcc, exec, s[14:15]
	v_mov_b32_e32 v38, 0
	v_mov_b32_e32 v39, 0
	;; [unrolled: 1-line block ×4, first 2 shown]
	s_cbranch_vccnz .LBB444_56
; %bb.54:                               ;   in Loop: Header=BB444_21 Depth=1
	s_mov_b64 s[14:15], 0
	v_mov_b32_e32 v41, 0
	v_mov_b64_e32 v[20:21], v[18:19]
	v_mov_b32_e32 v40, 0
	v_mov_b32_e32 v39, 0
	;; [unrolled: 1-line block ×3, first 2 shown]
.LBB444_55:                             ;   Parent Loop BB444_21 Depth=1
                                        ; =>  This Inner Loop Header: Depth=2
	v_lshl_add_u64 v[42:43], v[20:21], 0, s[48:49]
	v_lshl_add_u64 v[44:45], v[20:21], 0, s[46:47]
	flat_load_ushort v48, v[20:21]
	v_lshl_add_u64 v[46:47], v[20:21], 0, s[42:43]
	flat_load_ushort v42, v[42:43]
	s_nop 0
	flat_load_ushort v43, v[44:45]
	s_nop 0
	flat_load_ushort v44, v[46:47]
	s_cmp_eq_u32 s14, 1
	s_cselect_b64 vcc, -1, 0
	s_cmp_eq_u32 s14, 2
	v_cndmask_b32_e32 v45, v2, v3, vcc
	s_cselect_b64 vcc, -1, 0
	s_cmp_eq_u32 s14, 3
	v_cndmask_b32_e32 v45, v45, v4, vcc
	s_cselect_b64 vcc, -1, 0
	s_add_u32 s14, s14, 1
	v_cndmask_b32_e32 v45, v45, v5, vcc
	s_addc_u32 s15, s15, 0
	v_lshl_add_u64 v[20:21], v[20:21], 0, 2
	s_cmp_lg_u32 s23, s14
	s_waitcnt vmcnt(0) lgkmcnt(0)
	v_fma_mix_f32 v40, v45, v42, v40 op_sel_hi:[0,1,0]
	v_fma_mix_f32 v41, v45, v48, v41 op_sel_hi:[0,1,0]
	;; [unrolled: 1-line block ×4, first 2 shown]
	s_cbranch_scc1 .LBB444_55
.LBB444_56:                             ;   in Loop: Header=BB444_21 Depth=1
	s_or_b64 exec, exec, s[52:53]
	s_or_b64 exec, exec, s[50:51]
	s_and_saveexec_b64 s[14:15], s[0:1]
	s_cbranch_execnz .LBB444_24
	s_branch .LBB444_25
.LBB444_57:                             ;   in Loop: Header=BB444_21 Depth=1
	ds_read_b32 v20, v35
	s_or_b64 exec, exec, s[14:15]
	s_and_saveexec_b64 s[14:15], s[0:1]
	s_cbranch_execz .LBB444_29
.LBB444_58:                             ;   in Loop: Header=BB444_21 Depth=1
	s_waitcnt lgkmcnt(0)
	ds_bpermute_b32 v21, v33, v20
	s_waitcnt lgkmcnt(0)
	v_add_f32_e32 v20, v20, v21
	ds_bpermute_b32 v21, v34, v20
	s_waitcnt lgkmcnt(0)
	v_add_f32_e32 v20, v20, v21
	s_or_b64 exec, exec, s[14:15]
	s_and_saveexec_b64 s[14:15], s[0:1]
	s_cbranch_execnz .LBB444_30
	s_branch .LBB444_31
.LBB444_59:                             ;   in Loop: Header=BB444_21 Depth=1
	ds_read_b32 v21, v35
	s_or_b64 exec, exec, s[14:15]
	s_and_saveexec_b64 s[14:15], s[0:1]
	s_cbranch_execz .LBB444_35
.LBB444_60:                             ;   in Loop: Header=BB444_21 Depth=1
	s_waitcnt lgkmcnt(0)
	ds_bpermute_b32 v40, v33, v21
	s_waitcnt lgkmcnt(0)
	v_add_f32_e32 v21, v21, v40
	ds_bpermute_b32 v40, v34, v21
	s_waitcnt lgkmcnt(0)
	v_add_f32_e32 v21, v21, v40
	s_or_b64 exec, exec, s[14:15]
	s_and_saveexec_b64 s[14:15], s[0:1]
	s_cbranch_execnz .LBB444_36
	s_branch .LBB444_37
.LBB444_61:                             ;   in Loop: Header=BB444_21 Depth=1
	ds_read_b32 v39, v35
	s_or_b64 exec, exec, s[14:15]
	s_and_saveexec_b64 s[14:15], s[0:1]
	s_cbranch_execz .LBB444_41
.LBB444_62:                             ;   in Loop: Header=BB444_21 Depth=1
	s_waitcnt lgkmcnt(0)
	ds_bpermute_b32 v40, v33, v39
	s_waitcnt lgkmcnt(0)
	v_add_f32_e32 v39, v39, v40
	ds_bpermute_b32 v40, v34, v39
	s_waitcnt lgkmcnt(0)
	v_add_f32_e32 v39, v39, v40
	s_or_b64 exec, exec, s[14:15]
	s_and_saveexec_b64 s[14:15], s[0:1]
	s_cbranch_execnz .LBB444_42
	s_branch .LBB444_43
.LBB444_63:                             ;   in Loop: Header=BB444_21 Depth=1
	ds_read_b32 v38, v35
	s_or_b64 exec, exec, s[14:15]
	s_and_saveexec_b64 s[14:15], s[0:1]
	s_cbranch_execz .LBB444_47
.LBB444_64:                             ;   in Loop: Header=BB444_21 Depth=1
	s_waitcnt lgkmcnt(0)
	ds_bpermute_b32 v40, v33, v38
	s_waitcnt lgkmcnt(0)
	v_add_f32_e32 v38, v38, v40
	ds_bpermute_b32 v40, v34, v38
	s_waitcnt lgkmcnt(0)
	v_add_f32_e32 v38, v38, v40
	s_or_b64 exec, exec, s[14:15]
	s_and_saveexec_b64 s[14:15], s[6:7]
	s_cbranch_execz .LBB444_20
.LBB444_65:                             ;   in Loop: Header=BB444_21 Depth=1
	s_mul_hi_u32 s17, s3, s22
	s_mul_i32 s16, s3, s22
	s_lshl_b64 s[16:17], s[16:17], 2
	s_add_u32 s16, s57, s16
	v_mul_f32_e32 v20, s26, v20
	s_addc_u32 s17, s58, s17
	global_store_dword v37, v20, s[16:17]
	s_or_b32 s16, s3, 1
	s_mul_hi_u32 s17, s16, s22
	s_mul_i32 s16, s16, s22
	s_lshl_b64 s[16:17], s[16:17], 2
	s_add_u32 s16, s57, s16
	v_mul_f32_e32 v20, s26, v21
	s_addc_u32 s17, s58, s17
	global_store_dword v37, v20, s[16:17]
	s_or_b32 s16, s3, 2
	;; [unrolled: 8-line block ×3, first 2 shown]
	s_mul_hi_u32 s17, s16, s22
	s_mul_i32 s16, s16, s22
	s_lshl_b64 s[16:17], s[16:17], 2
	s_add_u32 s16, s57, s16
	s_waitcnt lgkmcnt(0)
	v_mul_f32_e32 v20, s26, v38
	s_addc_u32 s17, s58, s17
	global_store_dword v37, v20, s[16:17]
	s_branch .LBB444_20
.LBB444_66:
	s_mov_b32 s3, 0
                                        ; implicit-def: $vgpr2_vgpr3_vgpr4_vgpr5
.LBB444_67:
	s_cmp_ge_i32 s3, s25
	s_cbranch_scc1 .LBB444_91
; %bb.68:
	v_mbcnt_hi_u32_b32 v10, -1, v26
	v_and_b32_e32 v11, 63, v10
	v_cmp_gt_u32_e32 vcc, 32, v11
	v_cmp_ge_i32_e64 s[0:1], s24, v27
	v_cmp_ge_i32_e64 s[4:5], s24, v28
	v_cndmask_b32_e64 v12, 0, 1, vcc
	v_lshlrev_b32_e32 v12, 5, v12
	v_cmp_gt_u32_e32 vcc, 48, v11
	v_add_lshl_u32 v21, v12, v10, 2
	s_mov_b32 s39, 0
	v_cndmask_b32_e64 v12, 0, 1, vcc
	v_lshlrev_b32_e32 v12, 4, v12
	v_cmp_gt_u32_e32 vcc, 56, v11
	v_add_lshl_u32 v26, v12, v10, 2
	s_cmp_gt_i32 s23, 0
	v_cndmask_b32_e64 v12, 0, 1, vcc
	v_lshlrev_b32_e32 v12, 3, v12
	v_cmp_gt_u32_e32 vcc, 60, v11
	v_add_lshl_u32 v27, v12, v10, 2
	s_mov_b32 s38, s2
	v_cndmask_b32_e64 v12, 0, 1, vcc
	v_lshlrev_b32_e32 v12, 2, v12
	v_cmp_gt_u32_e32 vcc, 62, v11
	v_add_lshl_u32 v28, v12, v10, 2
	s_cselect_b64 s[40:41], -1, 0
	v_cndmask_b32_e64 v12, 0, 1, vcc
	v_lshlrev_b32_e32 v12, 1, v12
	v_cmp_ne_u32_e32 vcc, 63, v11
	s_lshl_b64 s[14:15], s[38:39], 2
	v_add_lshl_u32 v29, v12, v10, 2
	v_addc_co_u32_e32 v10, vcc, 0, v10, vcc
	s_add_u32 s2, s27, s14
	v_cmp_gt_u32_e64 s[6:7], 64, v0
	v_lshlrev_b32_e32 v30, 2, v10
	v_cmp_gt_u32_e64 s[10:11], 4, v0
	v_cmp_eq_u32_e64 s[12:13], 0, v0
	s_addc_u32 s24, s33, s15
	v_mad_i64_i32 v[10:11], s[14:15], s36, v8, 0
	v_mad_i64_i32 v[12:13], s[14:15], s36, v23, 0
	;; [unrolled: 1-line block ×4, first 2 shown]
	s_mul_i32 s14, s29, s3
	s_mul_hi_u32 s15, s28, s3
	s_add_i32 s15, s15, s14
	s_mul_i32 s14, s28, s3
	v_lshl_add_u64 v[10:11], v[10:11], 1, s[34:35]
	v_lshl_add_u64 v[12:13], v[12:13], 1, s[34:35]
	;; [unrolled: 1-line block ×4, first 2 shown]
	s_lshl_b64 s[34:35], s[36:37], 1
	s_lshl_b64 s[14:15], s[14:15], 1
	s_add_u32 s14, s30, s14
	s_addc_u32 s15, s31, s15
	v_lshlrev_b32_e32 v20, 2, v24
	v_cmp_eq_u32_e64 s[8:9], 0, v24
	v_and_b32_e32 v24, 12, v25
	v_lshl_add_u64 v[8:9], v[8:9], 1, s[14:15]
	s_lshl_b64 s[30:31], s[28:29], 1
	v_mov_b32_e32 v1, 0
	s_branch .LBB444_70
.LBB444_69:                             ;   in Loop: Header=BB444_70 Depth=1
	s_or_b64 exec, exec, s[14:15]
	s_add_i32 s3, s3, 1
	s_cmp_ge_i32 s3, s25
	v_lshl_add_u64 v[8:9], v[8:9], 0, s[30:31]
	s_cbranch_scc1 .LBB444_91
.LBB444_70:                             ; =>This Loop Header: Depth=1
                                        ;     Child Loop BB444_83 Depth 2
                                        ;     Child Loop BB444_86 Depth 2
	s_waitcnt lgkmcnt(0)
	v_mov_b32_e32 v0, s39
	s_and_saveexec_b64 s[14:15], s[0:1]
	s_xor_b64 s[14:15], exec, s[14:15]
	s_cbranch_execnz .LBB444_79
; %bb.71:                               ;   in Loop: Header=BB444_70 Depth=1
	s_andn2_saveexec_b64 s[36:37], s[14:15]
	s_cbranch_execnz .LBB444_80
.LBB444_72:                             ;   in Loop: Header=BB444_70 Depth=1
	s_or_b64 exec, exec, s[36:37]
	s_and_saveexec_b64 s[14:15], s[6:7]
	s_cbranch_execz .LBB444_74
.LBB444_73:                             ;   in Loop: Header=BB444_70 Depth=1
	ds_write_b32 v20, v1
.LBB444_74:                             ;   in Loop: Header=BB444_70 Depth=1
	s_or_b64 exec, exec, s[14:15]
	ds_bpermute_b32 v18, v21, v0
	s_waitcnt lgkmcnt(0)
	s_barrier
	v_add_f32_e32 v0, v0, v18
	ds_bpermute_b32 v18, v26, v0
	s_waitcnt lgkmcnt(0)
	v_add_f32_e32 v0, v0, v18
	ds_bpermute_b32 v18, v27, v0
	s_waitcnt lgkmcnt(0)
	;; [unrolled: 3-line block ×4, first 2 shown]
	v_add_f32_e32 v0, v0, v18
	ds_bpermute_b32 v18, v30, v0
	s_and_saveexec_b64 s[14:15], s[8:9]
	s_cbranch_execz .LBB444_76
; %bb.75:                               ;   in Loop: Header=BB444_70 Depth=1
	s_waitcnt lgkmcnt(0)
	v_add_f32_e32 v0, v0, v18
	ds_write_b32 v24, v0
.LBB444_76:                             ;   in Loop: Header=BB444_70 Depth=1
	s_or_b64 exec, exec, s[14:15]
	v_mov_b32_e32 v0, 0
	s_waitcnt lgkmcnt(0)
	s_barrier
	s_and_saveexec_b64 s[14:15], s[10:11]
	s_cbranch_execnz .LBB444_88
; %bb.77:                               ;   in Loop: Header=BB444_70 Depth=1
	s_or_b64 exec, exec, s[14:15]
	s_and_saveexec_b64 s[14:15], s[6:7]
	s_cbranch_execnz .LBB444_89
.LBB444_78:                             ;   in Loop: Header=BB444_70 Depth=1
	s_or_b64 exec, exec, s[14:15]
	s_and_saveexec_b64 s[14:15], s[12:13]
	s_cbranch_execz .LBB444_69
	s_branch .LBB444_90
.LBB444_79:                             ;   in Loop: Header=BB444_70 Depth=1
	s_mul_i32 s16, s3, s29
	s_mul_hi_u32 s17, s3, s28
	s_add_i32 s17, s17, s16
	s_mul_i32 s16, s3, s28
	v_lshl_add_u64 v[2:3], s[16:17], 1, v[6:7]
	flat_load_ushort v0, v[12:13]
	flat_load_ushort v22, v[14:15]
	;; [unrolled: 1-line block ×4, first 2 shown]
	flat_load_dwordx2 v[18:19], v[2:3]
	s_waitcnt vmcnt(0) lgkmcnt(0)
	v_cvt_f32_f16_e32 v3, v0
	v_cvt_f32_f16_e32 v4, v22
	;; [unrolled: 1-line block ×4, first 2 shown]
	v_fma_mix_f32 v23, v23, v18, 0 op_sel_hi:[1,1,0]
	s_nop 0
	v_fma_mix_f32 v0, v0, v18, v23 op_sel:[0,1,0] op_sel_hi:[1,1,0]
	s_nop 0
	v_fma_mix_f32 v0, v22, v19, v0 op_sel_hi:[1,1,0]
	s_nop 0
	v_fma_mix_f32 v0, v25, v19, v0 op_sel:[0,1,0] op_sel_hi:[1,1,0]
	s_andn2_saveexec_b64 s[36:37], s[14:15]
	s_cbranch_execz .LBB444_72
.LBB444_80:                             ;   in Loop: Header=BB444_70 Depth=1
	s_and_saveexec_b64 s[42:43], s[4:5]
	s_cbranch_execz .LBB444_87
; %bb.81:                               ;   in Loop: Header=BB444_70 Depth=1
	v_cndmask_b32_e64 v18, 0, 1, s[40:41]
	v_cmp_ne_u32_e64 s[14:15], 1, v18
	s_andn2_b64 vcc, exec, s[40:41]
	s_cbranch_vccnz .LBB444_84
; %bb.82:                               ;   in Loop: Header=BB444_70 Depth=1
	s_mov_b64 s[44:45], 0
	v_mov_b64_e32 v[18:19], v[10:11]
.LBB444_83:                             ;   Parent Loop BB444_70 Depth=1
                                        ; =>  This Inner Loop Header: Depth=2
	flat_load_ushort v22, v[18:19]
	s_cmp_eq_u32 s44, 3
	s_cselect_b64 vcc, -1, 0
	s_cmp_eq_u32 s44, 2
	s_cselect_b64 s[16:17], -1, 0
	s_cmp_eq_u32 s44, 1
	s_cselect_b64 s[18:19], -1, 0
	;; [unrolled: 2-line block ×3, first 2 shown]
	s_add_u32 s44, s44, 1
	s_addc_u32 s45, s45, 0
	v_lshl_add_u64 v[18:19], v[18:19], 0, s[34:35]
	s_cmp_eq_u32 s23, s44
	s_waitcnt vmcnt(0) lgkmcnt(0)
	v_cvt_f32_f16_e32 v22, v22
	v_cndmask_b32_e32 v5, v5, v22, vcc
	v_cndmask_b32_e64 v4, v4, v22, s[16:17]
	v_cndmask_b32_e64 v3, v3, v22, s[18:19]
	;; [unrolled: 1-line block ×3, first 2 shown]
	s_cbranch_scc0 .LBB444_83
.LBB444_84:                             ;   in Loop: Header=BB444_70 Depth=1
	s_and_b64 vcc, exec, s[14:15]
	s_cbranch_vccnz .LBB444_87
; %bb.85:                               ;   in Loop: Header=BB444_70 Depth=1
	s_mov_b64 s[14:15], 0
	v_mov_b64_e32 v[18:19], v[8:9]
.LBB444_86:                             ;   Parent Loop BB444_70 Depth=1
                                        ; =>  This Inner Loop Header: Depth=2
	flat_load_ushort v22, v[18:19]
	s_cmp_eq_u32 s14, 1
	s_cselect_b64 vcc, -1, 0
	s_cmp_eq_u32 s14, 2
	v_cndmask_b32_e32 v23, v2, v3, vcc
	s_cselect_b64 vcc, -1, 0
	s_cmp_eq_u32 s14, 3
	v_cndmask_b32_e32 v23, v23, v4, vcc
	s_cselect_b64 vcc, -1, 0
	s_add_u32 s14, s14, 1
	v_cndmask_b32_e32 v23, v23, v5, vcc
	s_addc_u32 s15, s15, 0
	v_lshl_add_u64 v[18:19], v[18:19], 0, 2
	s_cmp_lg_u32 s23, s14
	s_waitcnt vmcnt(0) lgkmcnt(0)
	v_fma_mix_f32 v0, v23, v22, v0 op_sel_hi:[0,1,0]
	s_cbranch_scc1 .LBB444_86
.LBB444_87:                             ;   in Loop: Header=BB444_70 Depth=1
	s_or_b64 exec, exec, s[42:43]
	s_or_b64 exec, exec, s[36:37]
	s_and_saveexec_b64 s[14:15], s[6:7]
	s_cbranch_execnz .LBB444_73
	s_branch .LBB444_74
.LBB444_88:                             ;   in Loop: Header=BB444_70 Depth=1
	ds_read_b32 v0, v20
	s_or_b64 exec, exec, s[14:15]
	s_and_saveexec_b64 s[14:15], s[6:7]
	s_cbranch_execz .LBB444_78
.LBB444_89:                             ;   in Loop: Header=BB444_70 Depth=1
	s_waitcnt lgkmcnt(0)
	ds_bpermute_b32 v18, v29, v0
	s_waitcnt lgkmcnt(0)
	v_add_f32_e32 v0, v0, v18
	ds_bpermute_b32 v18, v30, v0
	s_waitcnt lgkmcnt(0)
	v_add_f32_e32 v0, v0, v18
	s_or_b64 exec, exec, s[14:15]
	s_and_saveexec_b64 s[14:15], s[12:13]
	s_cbranch_execz .LBB444_69
.LBB444_90:                             ;   in Loop: Header=BB444_70 Depth=1
	s_mul_hi_u32 s17, s3, s22
	s_mul_i32 s16, s3, s22
	s_lshl_b64 s[16:17], s[16:17], 2
	s_add_u32 s16, s2, s16
	s_waitcnt lgkmcnt(0)
	v_mul_f32_e32 v0, s26, v0
	s_addc_u32 s17, s24, s17
	global_store_dword v1, v0, s[16:17]
	s_branch .LBB444_69
.LBB444_91:
	s_endpgm
	.section	.rodata,"a",@progbits
	.p2align	6, 0x0
	.amdhsa_kernel _ZL23rocblas_gemvt_sn_kernelILb0ELi256ELi4ElPKDF16_ffEviiT4_lPKT3_lilS5_lilPT5_i
		.amdhsa_group_segment_fixed_size 256
		.amdhsa_private_segment_fixed_size 0
		.amdhsa_kernarg_size 360
		.amdhsa_user_sgpr_count 2
		.amdhsa_user_sgpr_dispatch_ptr 0
		.amdhsa_user_sgpr_queue_ptr 0
		.amdhsa_user_sgpr_kernarg_segment_ptr 1
		.amdhsa_user_sgpr_dispatch_id 0
		.amdhsa_user_sgpr_kernarg_preload_length 0
		.amdhsa_user_sgpr_kernarg_preload_offset 0
		.amdhsa_user_sgpr_private_segment_size 0
		.amdhsa_uses_dynamic_stack 0
		.amdhsa_enable_private_segment 0
		.amdhsa_system_sgpr_workgroup_id_x 1
		.amdhsa_system_sgpr_workgroup_id_y 0
		.amdhsa_system_sgpr_workgroup_id_z 1
		.amdhsa_system_sgpr_workgroup_info 0
		.amdhsa_system_vgpr_workitem_id 0
		.amdhsa_next_free_vgpr 52
		.amdhsa_next_free_sgpr 59
		.amdhsa_accum_offset 52
		.amdhsa_reserve_vcc 1
		.amdhsa_float_round_mode_32 0
		.amdhsa_float_round_mode_16_64 0
		.amdhsa_float_denorm_mode_32 3
		.amdhsa_float_denorm_mode_16_64 3
		.amdhsa_dx10_clamp 1
		.amdhsa_ieee_mode 1
		.amdhsa_fp16_overflow 0
		.amdhsa_tg_split 0
		.amdhsa_exception_fp_ieee_invalid_op 0
		.amdhsa_exception_fp_denorm_src 0
		.amdhsa_exception_fp_ieee_div_zero 0
		.amdhsa_exception_fp_ieee_overflow 0
		.amdhsa_exception_fp_ieee_underflow 0
		.amdhsa_exception_fp_ieee_inexact 0
		.amdhsa_exception_int_div_zero 0
	.end_amdhsa_kernel
	.section	.text._ZL23rocblas_gemvt_sn_kernelILb0ELi256ELi4ElPKDF16_ffEviiT4_lPKT3_lilS5_lilPT5_i,"axG",@progbits,_ZL23rocblas_gemvt_sn_kernelILb0ELi256ELi4ElPKDF16_ffEviiT4_lPKT3_lilS5_lilPT5_i,comdat
.Lfunc_end444:
	.size	_ZL23rocblas_gemvt_sn_kernelILb0ELi256ELi4ElPKDF16_ffEviiT4_lPKT3_lilS5_lilPT5_i, .Lfunc_end444-_ZL23rocblas_gemvt_sn_kernelILb0ELi256ELi4ElPKDF16_ffEviiT4_lPKT3_lilS5_lilPT5_i
                                        ; -- End function
	.section	.AMDGPU.csdata,"",@progbits
; Kernel info:
; codeLenInByte = 3984
; NumSgprs: 65
; NumVgprs: 52
; NumAgprs: 0
; TotalNumVgprs: 52
; ScratchSize: 0
; MemoryBound: 0
; FloatMode: 240
; IeeeMode: 1
; LDSByteSize: 256 bytes/workgroup (compile time only)
; SGPRBlocks: 8
; VGPRBlocks: 6
; NumSGPRsForWavesPerEU: 65
; NumVGPRsForWavesPerEU: 52
; AccumOffset: 52
; Occupancy: 8
; WaveLimiterHint : 0
; COMPUTE_PGM_RSRC2:SCRATCH_EN: 0
; COMPUTE_PGM_RSRC2:USER_SGPR: 2
; COMPUTE_PGM_RSRC2:TRAP_HANDLER: 0
; COMPUTE_PGM_RSRC2:TGID_X_EN: 1
; COMPUTE_PGM_RSRC2:TGID_Y_EN: 0
; COMPUTE_PGM_RSRC2:TGID_Z_EN: 1
; COMPUTE_PGM_RSRC2:TIDIG_COMP_CNT: 0
; COMPUTE_PGM_RSRC3_GFX90A:ACCUM_OFFSET: 12
; COMPUTE_PGM_RSRC3_GFX90A:TG_SPLIT: 0
	.section	.text._ZL23rocblas_gemvt_sn_reduceILi256ELi8EffKPDF16_EviT2_lPT3_lilPT1_i,"axG",@progbits,_ZL23rocblas_gemvt_sn_reduceILi256ELi8EffKPDF16_EviT2_lPT3_lilPT1_i,comdat
	.globl	_ZL23rocblas_gemvt_sn_reduceILi256ELi8EffKPDF16_EviT2_lPT3_lilPT1_i ; -- Begin function _ZL23rocblas_gemvt_sn_reduceILi256ELi8EffKPDF16_EviT2_lPT3_lilPT1_i
	.p2align	8
	.type	_ZL23rocblas_gemvt_sn_reduceILi256ELi8EffKPDF16_EviT2_lPT3_lilPT1_i,@function
_ZL23rocblas_gemvt_sn_reduceILi256ELi8EffKPDF16_EviT2_lPT3_lilPT1_i: ; @_ZL23rocblas_gemvt_sn_reduceILi256ELi8EffKPDF16_EviT2_lPT3_lilPT1_i
; %bb.0:
	s_load_dwordx4 s[8:11], s[0:1], 0x10
	s_load_dwordx2 s[6:7], s[0:1], 0x0
	s_mov_b32 s5, 0
	s_lshl_b64 s[12:13], s[4:5], 3
	v_lshlrev_b32_e32 v1, 3, v0
	s_waitcnt lgkmcnt(0)
	s_add_u32 s14, s8, s12
	s_addc_u32 s15, s9, s13
	s_load_dwordx2 s[12:13], s[0:1], 0x30
	s_load_dword s2, s[0:1], 0x44
	s_load_dwordx2 s[8:9], s[14:15], 0x0
	s_ashr_i32 s16, s6, 31
	s_add_u32 s18, s0, 64
	s_addc_u32 s19, s1, 0
	s_waitcnt lgkmcnt(0)
	s_mul_i32 s2, s2, s4
	s_add_i32 s2, s2, s3
	s_mul_i32 s4, s2, s16
	s_mul_hi_u32 s14, s2, s6
	s_add_i32 s15, s14, s4
	s_mul_i32 s14, s2, s6
	s_lshr_b32 s2, s16, 29
	s_add_i32 s2, s6, s2
	s_and_b32 s2, s2, -8
	v_cmp_gt_i32_e32 vcc, s2, v1
	v_mov_b32_e32 v3, 0
	s_and_saveexec_b64 s[16:17], vcc
	s_cbranch_execz .LBB445_4
; %bb.1:
	s_load_dword s4, s[18:19], 0xc
	s_lshl_b64 s[18:19], s[14:15], 2
	v_lshlrev_b32_e32 v2, 5, v0
	v_mov_b32_e32 v3, 0
	s_waitcnt lgkmcnt(0)
	s_and_b32 s4, s4, 0xffff
	s_lshl_b32 s20, s4, 3
	s_add_u32 s18, s12, s18
	s_addc_u32 s19, s13, s19
	v_lshl_add_u64 v[4:5], s[18:19], 0, v[2:3]
	s_lshl_b32 s4, s4, 5
	v_lshl_add_u64 v[4:5], v[4:5], 0, 28
	s_mov_b64 s[18:19], 0
.LBB445_2:                              ; =>This Inner Loop Header: Depth=1
	global_load_dwordx4 v[6:9], v[4:5], off offset:-28
	global_load_dwordx4 v[10:13], v[4:5], off offset:-12
	v_add_u32_e32 v1, s20, v1
	v_cmp_le_i32_e32 vcc, s2, v1
	v_lshl_add_u64 v[4:5], v[4:5], 0, s[4:5]
	s_or_b64 s[18:19], vcc, s[18:19]
	s_waitcnt vmcnt(1)
	v_add_f32_e32 v2, v3, v6
	v_add_f32_e32 v2, v2, v7
	;; [unrolled: 1-line block ×4, first 2 shown]
	s_waitcnt vmcnt(0)
	v_add_f32_e32 v2, v2, v10
	v_add_f32_e32 v2, v2, v11
	;; [unrolled: 1-line block ×4, first 2 shown]
	s_andn2_b64 exec, exec, s[18:19]
	s_cbranch_execnz .LBB445_2
; %bb.3:
	s_or_b64 exec, exec, s[18:19]
.LBB445_4:
	s_or_b64 exec, exec, s[16:17]
	s_sub_i32 s2, s6, s2
	v_cmp_gt_u32_e32 vcc, s2, v0
	s_and_saveexec_b64 s[4:5], vcc
	s_cbranch_execz .LBB445_6
; %bb.5:
	s_lshl_b64 s[14:15], s[14:15], 2
	s_add_u32 s12, s12, s14
	s_addc_u32 s13, s13, s15
	v_xad_u32 v4, v0, -1, s6
	v_mov_b32_e32 v5, 0
	v_lshl_add_u64 v[4:5], v[4:5], 2, s[12:13]
	global_load_dword v1, v[4:5], off
	s_waitcnt vmcnt(0)
	v_add_f32_e32 v3, v3, v1
.LBB445_6:
	s_or_b64 exec, exec, s[4:5]
	v_and_b32_e32 v2, 63, v0
	v_cmp_gt_u32_e32 vcc, 64, v0
	v_lshlrev_b32_e32 v1, 2, v2
	s_and_saveexec_b64 s[4:5], vcc
	s_cbranch_execz .LBB445_8
; %bb.7:
	v_mov_b32_e32 v4, 0
	ds_write_b32 v1, v4
.LBB445_8:
	s_or_b64 exec, exec, s[4:5]
	v_mbcnt_lo_u32_b32 v4, -1, 0
	v_mbcnt_hi_u32_b32 v4, -1, v4
	v_and_b32_e32 v5, 63, v4
	v_cmp_gt_u32_e64 s[4:5], 32, v5
	s_waitcnt lgkmcnt(0)
	s_barrier
	v_cndmask_b32_e64 v6, 0, 1, s[4:5]
	v_lshlrev_b32_e32 v6, 5, v6
	v_add_lshl_u32 v6, v6, v4, 2
	ds_bpermute_b32 v6, v6, v3
	v_cmp_gt_u32_e64 s[4:5], 48, v5
	s_waitcnt lgkmcnt(0)
	v_add_f32_e32 v3, v3, v6
	v_cndmask_b32_e64 v7, 0, 1, s[4:5]
	v_lshlrev_b32_e32 v7, 4, v7
	v_add_lshl_u32 v6, v7, v4, 2
	ds_bpermute_b32 v6, v6, v3
	v_cmp_gt_u32_e64 s[4:5], 56, v5
	s_waitcnt lgkmcnt(0)
	v_add_f32_e32 v3, v3, v6
	;; [unrolled: 7-line block ×4, first 2 shown]
	v_cndmask_b32_e64 v7, 0, 1, s[4:5]
	v_lshlrev_b32_e32 v7, 1, v7
	v_add_lshl_u32 v3, v7, v4, 2
	ds_bpermute_b32 v7, v3, v6
	v_cmp_ne_u32_e64 s[4:5], 63, v5
	s_waitcnt lgkmcnt(0)
	v_add_f32_e32 v5, v6, v7
	v_addc_co_u32_e64 v4, s[4:5], 0, v4, s[4:5]
	v_lshlrev_b32_e32 v4, 2, v4
	ds_bpermute_b32 v6, v4, v5
	v_cmp_eq_u32_e64 s[4:5], 0, v2
	s_and_saveexec_b64 s[12:13], s[4:5]
	s_cbranch_execz .LBB445_10
; %bb.9:
	v_lshrrev_b32_e32 v2, 4, v0
	v_and_b32_e32 v2, 12, v2
	s_waitcnt lgkmcnt(0)
	v_add_f32_e32 v5, v5, v6
	ds_write_b32 v2, v5
.LBB445_10:
	s_or_b64 exec, exec, s[12:13]
	v_cmp_gt_u32_e64 s[4:5], 4, v0
	v_mov_b32_e32 v2, 0
	s_waitcnt lgkmcnt(0)
	s_barrier
	s_and_saveexec_b64 s[12:13], s[4:5]
	s_cbranch_execnz .LBB445_14
; %bb.11:
	s_or_b64 exec, exec, s[12:13]
	s_and_saveexec_b64 s[4:5], vcc
	s_cbranch_execnz .LBB445_15
.LBB445_12:
	s_or_b64 exec, exec, s[4:5]
	v_cmp_eq_u32_e32 vcc, 0, v0
	s_and_saveexec_b64 s[4:5], vcc
	s_cbranch_execnz .LBB445_16
.LBB445_13:
	s_endpgm
.LBB445_14:
	ds_read_b32 v2, v1
	s_or_b64 exec, exec, s[12:13]
	s_and_saveexec_b64 s[4:5], vcc
	s_cbranch_execz .LBB445_12
.LBB445_15:
	s_waitcnt lgkmcnt(0)
	ds_bpermute_b32 v1, v3, v2
	s_waitcnt lgkmcnt(0)
	v_add_f32_e32 v1, v2, v1
	ds_bpermute_b32 v2, v4, v1
	s_waitcnt lgkmcnt(0)
	v_add_f32_e32 v2, v1, v2
	s_or_b64 exec, exec, s[4:5]
	v_cmp_eq_u32_e32 vcc, 0, v0
	s_and_saveexec_b64 s[4:5], vcc
	s_cbranch_execz .LBB445_13
.LBB445_16:
	s_load_dword s5, s[0:1], 0x20
	s_lshl_b64 s[0:1], s[10:11], 1
	v_cmp_eq_f32_e64 s[10:11], s7, 0
	s_waitcnt lgkmcnt(0)
	s_ashr_i32 s4, s5, 31
	s_mul_hi_u32 s6, s5, s3
	s_add_u32 s2, s8, s0
	s_mul_i32 s0, s4, s3
	s_addc_u32 s4, s9, s1
	s_add_i32 s1, s6, s0
	s_mul_i32 s0, s5, s3
	s_and_b64 vcc, exec, s[10:11]
	s_cbranch_vccnz .LBB445_18
; %bb.17:
	s_lshl_b64 s[8:9], s[0:1], 1
	s_add_u32 s8, s2, s8
	s_addc_u32 s9, s4, s9
	v_mov_b32_e32 v0, 0
	global_load_ushort v0, v0, s[8:9]
	s_waitcnt vmcnt(0)
	v_fma_mix_f32 v2, v0, s7, v2 op_sel_hi:[1,0,0]
.LBB445_18:
	s_nop 0
	v_cvt_f16_f32_e32 v0, v2
	s_lshl_b64 s[0:1], s[0:1], 1
	s_add_u32 s0, s2, s0
	s_addc_u32 s1, s4, s1
	v_mov_b32_e32 v1, 0
	global_store_short v1, v0, s[0:1]
	s_endpgm
	.section	.rodata,"a",@progbits
	.p2align	6, 0x0
	.amdhsa_kernel _ZL23rocblas_gemvt_sn_reduceILi256ELi8EffKPDF16_EviT2_lPT3_lilPT1_i
		.amdhsa_group_segment_fixed_size 256
		.amdhsa_private_segment_fixed_size 0
		.amdhsa_kernarg_size 320
		.amdhsa_user_sgpr_count 2
		.amdhsa_user_sgpr_dispatch_ptr 0
		.amdhsa_user_sgpr_queue_ptr 0
		.amdhsa_user_sgpr_kernarg_segment_ptr 1
		.amdhsa_user_sgpr_dispatch_id 0
		.amdhsa_user_sgpr_kernarg_preload_length 0
		.amdhsa_user_sgpr_kernarg_preload_offset 0
		.amdhsa_user_sgpr_private_segment_size 0
		.amdhsa_uses_dynamic_stack 0
		.amdhsa_enable_private_segment 0
		.amdhsa_system_sgpr_workgroup_id_x 1
		.amdhsa_system_sgpr_workgroup_id_y 1
		.amdhsa_system_sgpr_workgroup_id_z 1
		.amdhsa_system_sgpr_workgroup_info 0
		.amdhsa_system_vgpr_workitem_id 0
		.amdhsa_next_free_vgpr 14
		.amdhsa_next_free_sgpr 21
		.amdhsa_accum_offset 16
		.amdhsa_reserve_vcc 1
		.amdhsa_float_round_mode_32 0
		.amdhsa_float_round_mode_16_64 0
		.amdhsa_float_denorm_mode_32 3
		.amdhsa_float_denorm_mode_16_64 3
		.amdhsa_dx10_clamp 1
		.amdhsa_ieee_mode 1
		.amdhsa_fp16_overflow 0
		.amdhsa_tg_split 0
		.amdhsa_exception_fp_ieee_invalid_op 0
		.amdhsa_exception_fp_denorm_src 0
		.amdhsa_exception_fp_ieee_div_zero 0
		.amdhsa_exception_fp_ieee_overflow 0
		.amdhsa_exception_fp_ieee_underflow 0
		.amdhsa_exception_fp_ieee_inexact 0
		.amdhsa_exception_int_div_zero 0
	.end_amdhsa_kernel
	.section	.text._ZL23rocblas_gemvt_sn_reduceILi256ELi8EffKPDF16_EviT2_lPT3_lilPT1_i,"axG",@progbits,_ZL23rocblas_gemvt_sn_reduceILi256ELi8EffKPDF16_EviT2_lPT3_lilPT1_i,comdat
.Lfunc_end445:
	.size	_ZL23rocblas_gemvt_sn_reduceILi256ELi8EffKPDF16_EviT2_lPT3_lilPT1_i, .Lfunc_end445-_ZL23rocblas_gemvt_sn_reduceILi256ELi8EffKPDF16_EviT2_lPT3_lilPT1_i
                                        ; -- End function
	.section	.AMDGPU.csdata,"",@progbits
; Kernel info:
; codeLenInByte = 980
; NumSgprs: 27
; NumVgprs: 14
; NumAgprs: 0
; TotalNumVgprs: 14
; ScratchSize: 0
; MemoryBound: 0
; FloatMode: 240
; IeeeMode: 1
; LDSByteSize: 256 bytes/workgroup (compile time only)
; SGPRBlocks: 3
; VGPRBlocks: 1
; NumSGPRsForWavesPerEU: 27
; NumVGPRsForWavesPerEU: 14
; AccumOffset: 16
; Occupancy: 8
; WaveLimiterHint : 1
; COMPUTE_PGM_RSRC2:SCRATCH_EN: 0
; COMPUTE_PGM_RSRC2:USER_SGPR: 2
; COMPUTE_PGM_RSRC2:TRAP_HANDLER: 0
; COMPUTE_PGM_RSRC2:TGID_X_EN: 1
; COMPUTE_PGM_RSRC2:TGID_Y_EN: 1
; COMPUTE_PGM_RSRC2:TGID_Z_EN: 1
; COMPUTE_PGM_RSRC2:TIDIG_COMP_CNT: 0
; COMPUTE_PGM_RSRC3_GFX90A:ACCUM_OFFSET: 3
; COMPUTE_PGM_RSRC3_GFX90A:TG_SPLIT: 0
	.section	.text._ZL32rocblas_gemvt_warp_reduce_kernelILb0ELi256EiPKDF16_PKfKPDF16_EviiT3_lPKT2_lT1_lS9_lSA_lS6_lPT4_lSA_li,"axG",@progbits,_ZL32rocblas_gemvt_warp_reduce_kernelILb0ELi256EiPKDF16_PKfKPDF16_EviiT3_lPKT2_lT1_lS9_lSA_lS6_lPT4_lSA_li,comdat
	.globl	_ZL32rocblas_gemvt_warp_reduce_kernelILb0ELi256EiPKDF16_PKfKPDF16_EviiT3_lPKT2_lT1_lS9_lSA_lS6_lPT4_lSA_li ; -- Begin function _ZL32rocblas_gemvt_warp_reduce_kernelILb0ELi256EiPKDF16_PKfKPDF16_EviiT3_lPKT2_lT1_lS9_lSA_lS6_lPT4_lSA_li
	.p2align	8
	.type	_ZL32rocblas_gemvt_warp_reduce_kernelILb0ELi256EiPKDF16_PKfKPDF16_EviiT3_lPKT2_lT1_lS9_lSA_lS6_lPT4_lSA_li,@function
_ZL32rocblas_gemvt_warp_reduce_kernelILb0ELi256EiPKDF16_PKfKPDF16_EviiT3_lPKT2_lT1_lS9_lSA_lS6_lPT4_lSA_li: ; @_ZL32rocblas_gemvt_warp_reduce_kernelILb0ELi256EiPKDF16_PKfKPDF16_EviiT3_lPKT2_lT1_lS9_lSA_lS6_lPT4_lSA_li
; %bb.0:
	s_load_dwordx8 s[12:19], s[0:1], 0x8
	s_load_dwordx8 s[4:11], s[0:1], 0x58
	s_mov_b32 s20, s3
	s_waitcnt lgkmcnt(0)
	s_mul_i32 s3, s3, s15
	s_mul_hi_u32 s15, s20, s14
	s_add_i32 s15, s15, s3
	s_mul_i32 s14, s20, s14
	s_lshl_b64 s[14:15], s[14:15], 2
	s_add_u32 s12, s12, s14
	s_mul_i32 s3, s20, s7
	s_mul_hi_u32 s7, s20, s6
	s_addc_u32 s13, s13, s15
	s_add_i32 s7, s7, s3
	s_mul_i32 s6, s20, s6
	s_lshl_b64 s[6:7], s[6:7], 2
	s_add_u32 s4, s4, s6
	s_addc_u32 s5, s5, s7
	s_load_dword s22, s[12:13], 0x0
	s_load_dword s3, s[4:5], 0x0
	s_waitcnt lgkmcnt(0)
	v_cmp_eq_f32_e64 s[4:5], s22, 0
	v_cmp_eq_f32_e64 s[6:7], s3, 1.0
	s_and_b64 s[6:7], s[4:5], s[6:7]
	s_and_b64 vcc, exec, s[6:7]
	s_cbranch_vccnz .LBB446_33
; %bb.1:
	s_mov_b32 s21, 0
	v_cmp_neq_f32_e64 s[6:7], s22, 0
	s_mov_b64 s[12:13], 0
	s_and_b64 vcc, exec, s[4:5]
	s_mov_b64 s[14:15], 0
	s_cbranch_vccnz .LBB446_3
; %bb.2:
	s_lshl_b64 s[14:15], s[20:21], 3
	s_add_u32 s14, s16, s14
	s_addc_u32 s15, s17, s15
	s_load_dwordx2 s[14:15], s[14:15], 0x0
	s_lshl_b64 s[16:17], s[18:19], 1
	s_waitcnt lgkmcnt(0)
	s_add_u32 s14, s14, s16
	s_addc_u32 s15, s15, s17
.LBB446_3:
	s_andn2_b64 vcc, exec, s[6:7]
	s_cbranch_vccnz .LBB446_5
; %bb.4:
	s_load_dwordx4 s[16:19], s[0:1], 0x38
	s_lshl_b64 s[6:7], s[20:21], 3
	s_waitcnt lgkmcnt(0)
	s_add_u32 s6, s16, s6
	s_addc_u32 s7, s17, s7
	s_load_dwordx2 s[6:7], s[6:7], 0x0
	s_lshl_b64 s[12:13], s[18:19], 1
	s_waitcnt lgkmcnt(0)
	s_add_u32 s12, s6, s12
	s_addc_u32 s13, s7, s13
.LBB446_5:
	s_lshl_b64 s[6:7], s[20:21], 3
	s_add_u32 s6, s8, s6
	s_addc_u32 s7, s9, s7
	s_load_dwordx2 s[8:9], s[6:7], 0x0
	s_load_dword s20, s[0:1], 0x78
	s_lshl_b64 s[6:7], s[10:11], 1
	s_waitcnt lgkmcnt(0)
	s_add_u32 s18, s8, s6
	s_addc_u32 s19, s9, s7
	s_andn2_b64 vcc, exec, s[4:5]
	v_cmp_eq_u32_e64 s[4:5], 0, v0
	s_cbranch_vccnz .LBB446_9
; %bb.6:
	s_mov_b64 s[10:11], 0
	s_mov_b64 s[6:7], 0
                                        ; implicit-def: $vgpr1
                                        ; implicit-def: $sgpr8_sgpr9
	s_and_saveexec_b64 s[16:17], s[4:5]
	s_cbranch_execz .LBB446_10
; %bb.7:
	v_cmp_eq_f32_e64 s[4:5], s3, 0
	s_mul_i32 s8, s2, s20
	s_ashr_i32 s9, s8, 31
	s_and_b64 vcc, exec, s[4:5]
	s_cbranch_vccnz .LBB446_11
; %bb.8:
	s_lshl_b64 s[4:5], s[8:9], 1
	s_add_u32 s4, s18, s4
	s_addc_u32 s5, s19, s5
	v_mov_b32_e32 v1, 0
	global_load_ushort v1, v1, s[4:5]
	s_waitcnt vmcnt(0)
	v_fma_mixlo_f16 v1, s3, v1, 0 op_sel_hi:[0,1,0]
	s_mov_b64 s[6:7], exec
	s_or_b64 exec, exec, s[16:17]
	s_and_b64 vcc, exec, s[10:11]
	s_cbranch_vccz .LBB446_31
	s_branch .LBB446_12
.LBB446_9:
	s_mov_b64 s[6:7], 0
                                        ; implicit-def: $vgpr1
                                        ; implicit-def: $sgpr8_sgpr9
	s_cbranch_execnz .LBB446_12
	s_branch .LBB446_31
.LBB446_10:
	s_or_b64 exec, exec, s[16:17]
	s_and_b64 vcc, exec, s[10:11]
	s_cbranch_vccnz .LBB446_12
	s_branch .LBB446_31
.LBB446_11:
	v_mov_b32_e32 v1, 0
	s_mov_b64 s[6:7], exec
	s_or_b64 exec, exec, s[16:17]
	s_and_b64 vcc, exec, s[10:11]
	s_cbranch_vccz .LBB446_31
.LBB446_12:
	s_load_dword s17, s[0:1], 0x0
	s_load_dword s4, s[0:1], 0x28
	;; [unrolled: 1-line block ×3, first 2 shown]
	v_mov_b32_e32 v3, 0
	s_waitcnt lgkmcnt(0)
	v_cmp_gt_i32_e32 vcc, s17, v0
	s_mul_i32 s0, s2, s4
	s_ashr_i32 s1, s0, 31
	s_lshl_b64 s[0:1], s[0:1], 1
	v_cndmask_b32_e32 v1, 0, v0, vcc
	s_add_u32 s0, s0, s14
	v_lshlrev_b32_e32 v2, 1, v1
	s_addc_u32 s1, s1, s15
	v_lshl_add_u64 v[4:5], s[0:1], 0, v[2:3]
	s_ashr_i32 s0, s17, 31
	s_lshr_b32 s0, s0, 24
	s_add_i32 s0, s17, s0
	s_and_b32 s0, s0, 0xffffff00
	v_cmp_gt_i32_e32 vcc, s0, v0
	s_and_saveexec_b64 s[4:5], vcc
	s_cbranch_execz .LBB446_16
; %bb.13:
	v_mul_lo_u32 v6, v0, s16
	s_lshl_b32 s1, s16, 8
	s_mov_b64 s[8:9], 0
	v_mov_b32_e32 v3, 0
	s_mov_b64 s[10:11], 0x200
	v_mov_b64_e32 v[8:9], v[4:5]
	v_mov_b32_e32 v1, v0
.LBB446_14:                             ; =>This Inner Loop Header: Depth=1
	v_ashrrev_i32_e32 v7, 31, v6
	v_lshl_add_u64 v[10:11], v[6:7], 1, s[12:13]
	flat_load_ushort v2, v[8:9]
	flat_load_ushort v7, v[10:11]
	v_add_u32_e32 v1, 0x100, v1
	v_cmp_le_i32_e32 vcc, s0, v1
	v_lshl_add_u64 v[8:9], v[8:9], 0, s[10:11]
	v_add_u32_e32 v6, s1, v6
	s_or_b64 s[8:9], vcc, s[8:9]
	s_waitcnt vmcnt(0) lgkmcnt(0)
	v_mul_f16_e32 v2, v2, v7
	v_cvt_f32_f16_e32 v2, v2
	v_add_f32_e32 v3, v3, v2
	s_andn2_b64 exec, exec, s[8:9]
	s_cbranch_execnz .LBB446_14
; %bb.15:
	s_or_b64 exec, exec, s[8:9]
.LBB446_16:
	s_or_b64 exec, exec, s[4:5]
	v_add_u32_e32 v1, s0, v0
	v_cmp_gt_i32_e32 vcc, s17, v1
	s_and_saveexec_b64 s[4:5], vcc
	s_cbranch_execz .LBB446_18
; %bb.17:
	s_ashr_i32 s1, s0, 31
	v_lshl_add_u64 v[4:5], s[0:1], 1, v[4:5]
	flat_load_ushort v2, v[4:5]
	v_mul_lo_u32 v4, v1, s16
	v_ashrrev_i32_e32 v5, 31, v4
	v_lshl_add_u64 v[4:5], v[4:5], 1, s[12:13]
	flat_load_ushort v1, v[4:5]
	s_waitcnt vmcnt(0) lgkmcnt(0)
	v_mul_f16_e32 v1, v2, v1
	v_cvt_f32_f16_e32 v1, v1
	v_add_f32_e32 v3, v3, v1
.LBB446_18:
	s_or_b64 exec, exec, s[4:5]
	v_and_b32_e32 v2, 63, v0
	v_cmp_gt_u32_e32 vcc, 64, v0
	v_lshlrev_b32_e32 v1, 2, v2
	s_and_saveexec_b64 s[0:1], vcc
	s_cbranch_execz .LBB446_20
; %bb.19:
	v_mov_b32_e32 v4, 0
	ds_write_b32 v1, v4
.LBB446_20:
	s_or_b64 exec, exec, s[0:1]
	v_mbcnt_lo_u32_b32 v4, -1, 0
	v_mbcnt_hi_u32_b32 v4, -1, v4
	v_and_b32_e32 v5, 63, v4
	v_cmp_gt_u32_e64 s[0:1], 32, v5
	s_waitcnt lgkmcnt(0)
	s_barrier
	v_cndmask_b32_e64 v6, 0, 1, s[0:1]
	v_lshlrev_b32_e32 v6, 5, v6
	v_add_lshl_u32 v6, v6, v4, 2
	ds_bpermute_b32 v6, v6, v3
	v_cmp_gt_u32_e64 s[0:1], 48, v5
	s_waitcnt lgkmcnt(0)
	v_add_f32_e32 v3, v3, v6
	v_cndmask_b32_e64 v7, 0, 1, s[0:1]
	v_lshlrev_b32_e32 v7, 4, v7
	v_add_lshl_u32 v6, v7, v4, 2
	ds_bpermute_b32 v6, v6, v3
	v_cmp_gt_u32_e64 s[0:1], 56, v5
	s_waitcnt lgkmcnt(0)
	v_add_f32_e32 v3, v3, v6
	;; [unrolled: 7-line block ×4, first 2 shown]
	v_cndmask_b32_e64 v7, 0, 1, s[0:1]
	v_lshlrev_b32_e32 v7, 1, v7
	v_add_lshl_u32 v3, v7, v4, 2
	ds_bpermute_b32 v7, v3, v6
	v_cmp_ne_u32_e64 s[0:1], 63, v5
	s_waitcnt lgkmcnt(0)
	v_add_f32_e32 v5, v6, v7
	v_addc_co_u32_e64 v4, s[0:1], 0, v4, s[0:1]
	v_lshlrev_b32_e32 v4, 2, v4
	ds_bpermute_b32 v6, v4, v5
	v_cmp_eq_u32_e64 s[0:1], 0, v2
	s_and_saveexec_b64 s[4:5], s[0:1]
	s_cbranch_execz .LBB446_22
; %bb.21:
	v_lshrrev_b32_e32 v2, 4, v0
	v_and_b32_e32 v2, 12, v2
	s_waitcnt lgkmcnt(0)
	v_add_f32_e32 v5, v5, v6
	ds_write_b32 v2, v5
.LBB446_22:
	s_or_b64 exec, exec, s[4:5]
	v_cmp_gt_u32_e64 s[0:1], 4, v0
	v_mov_b32_e32 v2, 0
	s_waitcnt lgkmcnt(0)
	s_barrier
	s_and_saveexec_b64 s[4:5], s[0:1]
	s_cbranch_execz .LBB446_24
; %bb.23:
	ds_read_b32 v2, v1
	s_or_b64 exec, exec, s[4:5]
	s_and_saveexec_b64 s[0:1], vcc
	s_cbranch_execz .LBB446_26
	s_branch .LBB446_25
.LBB446_24:
	s_or_b64 exec, exec, s[4:5]
	s_and_saveexec_b64 s[0:1], vcc
	s_cbranch_execz .LBB446_26
.LBB446_25:
	s_waitcnt lgkmcnt(0)
	ds_bpermute_b32 v1, v3, v2
	s_waitcnt lgkmcnt(0)
	v_add_f32_e32 v1, v2, v1
	ds_bpermute_b32 v2, v4, v1
	s_waitcnt lgkmcnt(0)
	v_add_f32_e32 v2, v1, v2
.LBB446_26:
	s_or_b64 exec, exec, s[0:1]
	v_cmp_eq_u32_e32 vcc, 0, v0
                                        ; implicit-def: $vgpr1
                                        ; implicit-def: $sgpr8_sgpr9
	s_and_saveexec_b64 s[0:1], vcc
	s_cbranch_execz .LBB446_30
; %bb.27:
	v_cmp_eq_f32_e64 s[4:5], s3, 0
	s_mul_i32 s8, s2, s20
	s_waitcnt lgkmcnt(0)
	v_mul_f32_e32 v0, s22, v2
	s_ashr_i32 s9, s8, 31
	s_and_b64 vcc, exec, s[4:5]
	s_cbranch_vccnz .LBB446_29
; %bb.28:
	s_lshl_b64 s[4:5], s[8:9], 1
	s_add_u32 s4, s18, s4
	s_addc_u32 s5, s19, s5
	v_mov_b32_e32 v1, 0
	global_load_ushort v1, v1, s[4:5]
	s_waitcnt vmcnt(0)
	v_fma_mix_f32 v0, s3, v1, v0 op_sel_hi:[0,1,0]
.LBB446_29:
	v_cvt_f16_f32_e32 v1, v0
	s_or_b64 s[6:7], s[6:7], exec
.LBB446_30:
	s_or_b64 exec, exec, s[0:1]
.LBB446_31:
	s_and_saveexec_b64 s[0:1], s[6:7]
	s_cbranch_execz .LBB446_33
; %bb.32:
	s_lshl_b64 s[0:1], s[8:9], 1
	s_add_u32 s0, s18, s0
	s_addc_u32 s1, s19, s1
	v_mov_b32_e32 v0, 0
	global_store_short v0, v1, s[0:1]
.LBB446_33:
	s_endpgm
	.section	.rodata,"a",@progbits
	.p2align	6, 0x0
	.amdhsa_kernel _ZL32rocblas_gemvt_warp_reduce_kernelILb0ELi256EiPKDF16_PKfKPDF16_EviiT3_lPKT2_lT1_lS9_lSA_lS6_lPT4_lSA_li
		.amdhsa_group_segment_fixed_size 256
		.amdhsa_private_segment_fixed_size 0
		.amdhsa_kernarg_size 140
		.amdhsa_user_sgpr_count 2
		.amdhsa_user_sgpr_dispatch_ptr 0
		.amdhsa_user_sgpr_queue_ptr 0
		.amdhsa_user_sgpr_kernarg_segment_ptr 1
		.amdhsa_user_sgpr_dispatch_id 0
		.amdhsa_user_sgpr_kernarg_preload_length 0
		.amdhsa_user_sgpr_kernarg_preload_offset 0
		.amdhsa_user_sgpr_private_segment_size 0
		.amdhsa_uses_dynamic_stack 0
		.amdhsa_enable_private_segment 0
		.amdhsa_system_sgpr_workgroup_id_x 1
		.amdhsa_system_sgpr_workgroup_id_y 0
		.amdhsa_system_sgpr_workgroup_id_z 1
		.amdhsa_system_sgpr_workgroup_info 0
		.amdhsa_system_vgpr_workitem_id 0
		.amdhsa_next_free_vgpr 12
		.amdhsa_next_free_sgpr 23
		.amdhsa_accum_offset 12
		.amdhsa_reserve_vcc 1
		.amdhsa_float_round_mode_32 0
		.amdhsa_float_round_mode_16_64 0
		.amdhsa_float_denorm_mode_32 3
		.amdhsa_float_denorm_mode_16_64 3
		.amdhsa_dx10_clamp 1
		.amdhsa_ieee_mode 1
		.amdhsa_fp16_overflow 0
		.amdhsa_tg_split 0
		.amdhsa_exception_fp_ieee_invalid_op 0
		.amdhsa_exception_fp_denorm_src 0
		.amdhsa_exception_fp_ieee_div_zero 0
		.amdhsa_exception_fp_ieee_overflow 0
		.amdhsa_exception_fp_ieee_underflow 0
		.amdhsa_exception_fp_ieee_inexact 0
		.amdhsa_exception_int_div_zero 0
	.end_amdhsa_kernel
	.section	.text._ZL32rocblas_gemvt_warp_reduce_kernelILb0ELi256EiPKDF16_PKfKPDF16_EviiT3_lPKT2_lT1_lS9_lSA_lS6_lPT4_lSA_li,"axG",@progbits,_ZL32rocblas_gemvt_warp_reduce_kernelILb0ELi256EiPKDF16_PKfKPDF16_EviiT3_lPKT2_lT1_lS9_lSA_lS6_lPT4_lSA_li,comdat
.Lfunc_end446:
	.size	_ZL32rocblas_gemvt_warp_reduce_kernelILb0ELi256EiPKDF16_PKfKPDF16_EviiT3_lPKT2_lT1_lS9_lSA_lS6_lPT4_lSA_li, .Lfunc_end446-_ZL32rocblas_gemvt_warp_reduce_kernelILb0ELi256EiPKDF16_PKfKPDF16_EviiT3_lPKT2_lT1_lS9_lSA_lS6_lPT4_lSA_li
                                        ; -- End function
	.section	.AMDGPU.csdata,"",@progbits
; Kernel info:
; codeLenInByte = 1352
; NumSgprs: 29
; NumVgprs: 12
; NumAgprs: 0
; TotalNumVgprs: 12
; ScratchSize: 0
; MemoryBound: 0
; FloatMode: 240
; IeeeMode: 1
; LDSByteSize: 256 bytes/workgroup (compile time only)
; SGPRBlocks: 3
; VGPRBlocks: 1
; NumSGPRsForWavesPerEU: 29
; NumVGPRsForWavesPerEU: 12
; AccumOffset: 12
; Occupancy: 8
; WaveLimiterHint : 1
; COMPUTE_PGM_RSRC2:SCRATCH_EN: 0
; COMPUTE_PGM_RSRC2:USER_SGPR: 2
; COMPUTE_PGM_RSRC2:TRAP_HANDLER: 0
; COMPUTE_PGM_RSRC2:TGID_X_EN: 1
; COMPUTE_PGM_RSRC2:TGID_Y_EN: 0
; COMPUTE_PGM_RSRC2:TGID_Z_EN: 1
; COMPUTE_PGM_RSRC2:TIDIG_COMP_CNT: 0
; COMPUTE_PGM_RSRC3_GFX90A:ACCUM_OFFSET: 2
; COMPUTE_PGM_RSRC3_GFX90A:TG_SPLIT: 0
	.section	.text._ZL32rocblas_gemvt_warp_reduce_kernelILb0ELi256ElPKDF16_PKfKPDF16_EviiT3_lPKT2_lT1_lS9_lSA_lS6_lPT4_lSA_li,"axG",@progbits,_ZL32rocblas_gemvt_warp_reduce_kernelILb0ELi256ElPKDF16_PKfKPDF16_EviiT3_lPKT2_lT1_lS9_lSA_lS6_lPT4_lSA_li,comdat
	.globl	_ZL32rocblas_gemvt_warp_reduce_kernelILb0ELi256ElPKDF16_PKfKPDF16_EviiT3_lPKT2_lT1_lS9_lSA_lS6_lPT4_lSA_li ; -- Begin function _ZL32rocblas_gemvt_warp_reduce_kernelILb0ELi256ElPKDF16_PKfKPDF16_EviiT3_lPKT2_lT1_lS9_lSA_lS6_lPT4_lSA_li
	.p2align	8
	.type	_ZL32rocblas_gemvt_warp_reduce_kernelILb0ELi256ElPKDF16_PKfKPDF16_EviiT3_lPKT2_lT1_lS9_lSA_lS6_lPT4_lSA_li,@function
_ZL32rocblas_gemvt_warp_reduce_kernelILb0ELi256ElPKDF16_PKfKPDF16_EviiT3_lPKT2_lT1_lS9_lSA_lS6_lPT4_lSA_li: ; @_ZL32rocblas_gemvt_warp_reduce_kernelILb0ELi256ElPKDF16_PKfKPDF16_EviiT3_lPKT2_lT1_lS9_lSA_lS6_lPT4_lSA_li
; %bb.0:
	s_load_dwordx8 s[12:19], s[0:1], 0x8
	s_load_dwordx8 s[4:11], s[0:1], 0x58
	s_mov_b32 s24, s3
	s_waitcnt lgkmcnt(0)
	s_mul_i32 s3, s3, s15
	s_mul_hi_u32 s15, s24, s14
	s_add_i32 s15, s15, s3
	s_mul_i32 s14, s24, s14
	s_lshl_b64 s[14:15], s[14:15], 2
	s_add_u32 s12, s12, s14
	s_mul_i32 s3, s24, s7
	s_mul_hi_u32 s7, s24, s6
	s_addc_u32 s13, s13, s15
	s_add_i32 s7, s7, s3
	s_mul_i32 s6, s24, s6
	s_lshl_b64 s[6:7], s[6:7], 2
	s_add_u32 s4, s4, s6
	s_addc_u32 s5, s5, s7
	s_load_dword s30, s[12:13], 0x0
	s_load_dword s3, s[4:5], 0x0
	s_waitcnt lgkmcnt(0)
	v_cmp_eq_f32_e64 s[26:27], s30, 0
	v_cmp_eq_f32_e64 s[4:5], s3, 1.0
	s_and_b64 s[4:5], s[26:27], s[4:5]
	s_and_b64 vcc, exec, s[4:5]
	s_cbranch_vccnz .LBB447_33
; %bb.1:
	s_load_dwordx2 s[20:21], s[0:1], 0x28
	s_load_dwordx2 s[12:13], s[0:1], 0x78
	s_mov_b32 s25, 0
	v_cmp_neq_f32_e64 s[28:29], s30, 0
	s_mov_b64 s[14:15], 0
	s_and_b64 vcc, exec, s[26:27]
	s_mov_b64 s[22:23], 0
	s_cbranch_vccnz .LBB447_3
; %bb.2:
	s_lshl_b64 s[4:5], s[24:25], 3
	s_add_u32 s4, s16, s4
	s_addc_u32 s5, s17, s5
	s_load_dwordx2 s[4:5], s[4:5], 0x0
	s_lshl_b64 s[6:7], s[18:19], 1
	s_waitcnt lgkmcnt(0)
	s_add_u32 s22, s4, s6
	s_addc_u32 s23, s5, s7
.LBB447_3:
	s_load_dwordx4 s[4:7], s[0:1], 0x38
	s_load_dwordx2 s[16:17], s[0:1], 0x48
	s_andn2_b64 vcc, exec, s[28:29]
	s_cbranch_vccnz .LBB447_5
; %bb.4:
	s_lshl_b64 s[14:15], s[24:25], 3
	s_waitcnt lgkmcnt(0)
	s_add_u32 s4, s4, s14
	s_addc_u32 s5, s5, s15
	s_load_dwordx2 s[4:5], s[4:5], 0x0
	s_lshl_b64 s[6:7], s[6:7], 1
	s_waitcnt lgkmcnt(0)
	s_add_u32 s14, s4, s6
	s_addc_u32 s15, s5, s7
.LBB447_5:
	s_waitcnt lgkmcnt(0)
	s_lshl_b64 s[4:5], s[24:25], 3
	s_add_u32 s4, s8, s4
	s_addc_u32 s5, s9, s5
	s_load_dwordx2 s[4:5], s[4:5], 0x0
	s_lshl_b64 s[6:7], s[10:11], 1
	s_waitcnt lgkmcnt(0)
	s_add_u32 s24, s4, s6
	s_addc_u32 s25, s5, s7
	s_andn2_b64 vcc, exec, s[26:27]
	v_cmp_eq_u32_e64 s[4:5], 0, v0
	s_cbranch_vccnz .LBB447_9
; %bb.6:
	s_mov_b64 s[10:11], 0
	s_mov_b64 s[6:7], 0
                                        ; implicit-def: $vgpr1
                                        ; implicit-def: $sgpr8_sgpr9
	s_and_saveexec_b64 s[18:19], s[4:5]
	s_cbranch_execz .LBB447_10
; %bb.7:
	s_ashr_i32 s6, s2, 31
	s_mul_i32 s7, s2, s13
	s_mul_hi_u32 s8, s2, s12
	v_cmp_eq_f32_e64 s[4:5], s3, 0
	s_add_i32 s7, s8, s7
	s_mul_i32 s6, s6, s12
	s_add_i32 s9, s7, s6
	s_mul_i32 s8, s2, s12
	s_and_b64 vcc, exec, s[4:5]
	s_cbranch_vccnz .LBB447_11
; %bb.8:
	s_lshl_b64 s[4:5], s[8:9], 1
	s_add_u32 s4, s24, s4
	s_addc_u32 s5, s25, s5
	v_mov_b32_e32 v1, 0
	global_load_ushort v1, v1, s[4:5]
	s_waitcnt vmcnt(0)
	v_fma_mixlo_f16 v1, s3, v1, 0 op_sel_hi:[0,1,0]
	s_mov_b64 s[6:7], exec
	s_or_b64 exec, exec, s[18:19]
	s_and_b64 vcc, exec, s[10:11]
	s_cbranch_vccz .LBB447_31
	s_branch .LBB447_12
.LBB447_9:
	s_mov_b64 s[6:7], 0
                                        ; implicit-def: $vgpr1
                                        ; implicit-def: $sgpr8_sgpr9
	s_cbranch_execnz .LBB447_12
	s_branch .LBB447_31
.LBB447_10:
	s_or_b64 exec, exec, s[18:19]
	s_and_b64 vcc, exec, s[10:11]
	s_cbranch_vccnz .LBB447_12
	s_branch .LBB447_31
.LBB447_11:
	v_mov_b32_e32 v1, 0
	s_mov_b64 s[6:7], exec
	s_or_b64 exec, exec, s[18:19]
	s_and_b64 vcc, exec, s[10:11]
	s_cbranch_vccz .LBB447_31
.LBB447_12:
	s_load_dword s1, s[0:1], 0x0
	s_ashr_i32 s26, s2, 31
	s_mul_i32 s0, s2, s21
	s_mul_hi_u32 s4, s2, s20
	s_add_i32 s0, s4, s0
	s_mul_i32 s4, s26, s20
	s_add_i32 s5, s0, s4
	s_mul_i32 s4, s2, s20
	s_lshl_b64 s[4:5], s[4:5], 1
	s_add_u32 s4, s4, s22
	s_addc_u32 s5, s5, s23
	s_waitcnt lgkmcnt(0)
	s_ashr_i32 s0, s1, 31
	v_cmp_gt_i32_e32 vcc, s1, v0
	s_lshr_b32 s0, s0, 24
	s_add_i32 s0, s1, s0
	v_cndmask_b32_e32 v1, 0, v0, vcc
	v_mov_b32_e32 v3, 0
	v_lshlrev_b32_e32 v2, 1, v1
	s_and_b32 s0, s0, 0xffffff00
	v_lshl_add_u64 v[4:5], s[4:5], 0, v[2:3]
	v_cmp_gt_i32_e32 vcc, s0, v0
	s_and_saveexec_b64 s[4:5], vcc
	s_cbranch_execz .LBB447_16
; %bb.13:
	v_mad_u64_u32 v[2:3], s[8:9], s16, v0, 0
	v_mov_b32_e32 v6, v3
	v_mad_u64_u32 v[6:7], s[8:9], s17, v0, v[6:7]
	v_mov_b32_e32 v3, v6
	v_lshl_add_u64 v[6:7], v[2:3], 1, s[14:15]
	s_lshl_b64 s[10:11], s[16:17], 9
	s_mov_b64 s[8:9], 0
	v_mov_b32_e32 v3, 0
	s_mov_b64 s[18:19], 0x200
	v_mov_b64_e32 v[8:9], v[4:5]
	v_mov_b32_e32 v1, v0
.LBB447_14:                             ; =>This Inner Loop Header: Depth=1
	flat_load_ushort v2, v[8:9]
	flat_load_ushort v10, v[6:7]
	v_add_u32_e32 v1, 0x100, v1
	v_cmp_le_i32_e32 vcc, s0, v1
	v_lshl_add_u64 v[8:9], v[8:9], 0, s[18:19]
	v_lshl_add_u64 v[6:7], v[6:7], 0, s[10:11]
	s_or_b64 s[8:9], vcc, s[8:9]
	s_waitcnt vmcnt(0) lgkmcnt(0)
	v_mul_f16_e32 v2, v2, v10
	v_cvt_f32_f16_e32 v2, v2
	v_add_f32_e32 v3, v3, v2
	s_andn2_b64 exec, exec, s[8:9]
	s_cbranch_execnz .LBB447_14
; %bb.15:
	s_or_b64 exec, exec, s[8:9]
.LBB447_16:
	s_or_b64 exec, exec, s[4:5]
	v_add_u32_e32 v1, s0, v0
	v_cmp_gt_i32_e32 vcc, s1, v1
	s_and_saveexec_b64 s[4:5], vcc
	s_cbranch_execz .LBB447_18
; %bb.17:
	s_ashr_i32 s1, s0, 31
	v_lshl_add_u64 v[4:5], s[0:1], 1, v[4:5]
	flat_load_ushort v2, v[4:5]
	v_ashrrev_i32_e32 v4, 31, v1
	v_mul_lo_u32 v6, v1, s17
	v_mul_lo_u32 v7, v4, s16
	v_mad_u64_u32 v[4:5], s[0:1], v1, s16, 0
	v_add3_u32 v5, v5, v6, v7
	v_lshl_add_u64 v[4:5], v[4:5], 1, s[14:15]
	flat_load_ushort v1, v[4:5]
	s_waitcnt vmcnt(0) lgkmcnt(0)
	v_mul_f16_e32 v1, v2, v1
	v_cvt_f32_f16_e32 v1, v1
	v_add_f32_e32 v3, v3, v1
.LBB447_18:
	s_or_b64 exec, exec, s[4:5]
	v_and_b32_e32 v2, 63, v0
	v_cmp_gt_u32_e32 vcc, 64, v0
	v_lshlrev_b32_e32 v1, 2, v2
	s_and_saveexec_b64 s[0:1], vcc
	s_cbranch_execz .LBB447_20
; %bb.19:
	v_mov_b32_e32 v4, 0
	ds_write_b32 v1, v4
.LBB447_20:
	s_or_b64 exec, exec, s[0:1]
	v_mbcnt_lo_u32_b32 v4, -1, 0
	v_mbcnt_hi_u32_b32 v4, -1, v4
	v_and_b32_e32 v5, 63, v4
	v_cmp_gt_u32_e64 s[0:1], 32, v5
	s_waitcnt lgkmcnt(0)
	s_barrier
	v_cndmask_b32_e64 v6, 0, 1, s[0:1]
	v_lshlrev_b32_e32 v6, 5, v6
	v_add_lshl_u32 v6, v6, v4, 2
	ds_bpermute_b32 v6, v6, v3
	v_cmp_gt_u32_e64 s[0:1], 48, v5
	s_waitcnt lgkmcnt(0)
	v_add_f32_e32 v3, v3, v6
	v_cndmask_b32_e64 v7, 0, 1, s[0:1]
	v_lshlrev_b32_e32 v7, 4, v7
	v_add_lshl_u32 v6, v7, v4, 2
	ds_bpermute_b32 v6, v6, v3
	v_cmp_gt_u32_e64 s[0:1], 56, v5
	s_waitcnt lgkmcnt(0)
	v_add_f32_e32 v3, v3, v6
	v_cndmask_b32_e64 v7, 0, 1, s[0:1]
	v_lshlrev_b32_e32 v7, 3, v7
	v_add_lshl_u32 v6, v7, v4, 2
	ds_bpermute_b32 v6, v6, v3
	v_cmp_gt_u32_e64 s[0:1], 60, v5
	s_waitcnt lgkmcnt(0)
	v_add_f32_e32 v3, v3, v6
	v_cndmask_b32_e64 v7, 0, 1, s[0:1]
	v_lshlrev_b32_e32 v7, 2, v7
	v_add_lshl_u32 v6, v7, v4, 2
	ds_bpermute_b32 v6, v6, v3
	v_cmp_gt_u32_e64 s[0:1], 62, v5
	s_waitcnt lgkmcnt(0)
	v_add_f32_e32 v6, v3, v6
	v_cndmask_b32_e64 v7, 0, 1, s[0:1]
	v_lshlrev_b32_e32 v7, 1, v7
	v_add_lshl_u32 v3, v7, v4, 2
	ds_bpermute_b32 v7, v3, v6
	v_cmp_ne_u32_e64 s[0:1], 63, v5
	s_waitcnt lgkmcnt(0)
	v_add_f32_e32 v5, v6, v7
	v_addc_co_u32_e64 v4, s[0:1], 0, v4, s[0:1]
	v_lshlrev_b32_e32 v4, 2, v4
	ds_bpermute_b32 v6, v4, v5
	v_cmp_eq_u32_e64 s[0:1], 0, v2
	s_and_saveexec_b64 s[4:5], s[0:1]
	s_cbranch_execz .LBB447_22
; %bb.21:
	v_lshrrev_b32_e32 v2, 4, v0
	v_and_b32_e32 v2, 12, v2
	s_waitcnt lgkmcnt(0)
	v_add_f32_e32 v5, v5, v6
	ds_write_b32 v2, v5
.LBB447_22:
	s_or_b64 exec, exec, s[4:5]
	v_cmp_gt_u32_e64 s[0:1], 4, v0
	v_mov_b32_e32 v2, 0
	s_waitcnt lgkmcnt(0)
	s_barrier
	s_and_saveexec_b64 s[4:5], s[0:1]
	s_cbranch_execz .LBB447_24
; %bb.23:
	ds_read_b32 v2, v1
	s_or_b64 exec, exec, s[4:5]
	s_and_saveexec_b64 s[0:1], vcc
	s_cbranch_execz .LBB447_26
	s_branch .LBB447_25
.LBB447_24:
	s_or_b64 exec, exec, s[4:5]
	s_and_saveexec_b64 s[0:1], vcc
	s_cbranch_execz .LBB447_26
.LBB447_25:
	s_waitcnt lgkmcnt(0)
	ds_bpermute_b32 v1, v3, v2
	s_waitcnt lgkmcnt(0)
	v_add_f32_e32 v1, v2, v1
	ds_bpermute_b32 v2, v4, v1
	s_waitcnt lgkmcnt(0)
	v_add_f32_e32 v2, v1, v2
.LBB447_26:
	s_or_b64 exec, exec, s[0:1]
	v_cmp_eq_u32_e32 vcc, 0, v0
                                        ; implicit-def: $vgpr1
                                        ; implicit-def: $sgpr8_sgpr9
	s_and_saveexec_b64 s[0:1], vcc
	s_cbranch_execz .LBB447_30
; %bb.27:
	s_mul_i32 s8, s2, s13
	s_mul_hi_u32 s9, s2, s12
	v_cmp_eq_f32_e64 s[4:5], s3, 0
	s_add_i32 s8, s9, s8
	s_mul_i32 s9, s26, s12
	s_waitcnt lgkmcnt(0)
	v_mul_f32_e32 v0, s30, v2
	s_add_i32 s9, s8, s9
	s_mul_i32 s8, s2, s12
	s_and_b64 vcc, exec, s[4:5]
	s_cbranch_vccnz .LBB447_29
; %bb.28:
	s_lshl_b64 s[4:5], s[8:9], 1
	s_add_u32 s4, s24, s4
	s_addc_u32 s5, s25, s5
	v_mov_b32_e32 v1, 0
	global_load_ushort v1, v1, s[4:5]
	s_waitcnt vmcnt(0)
	v_fma_mix_f32 v0, s3, v1, v0 op_sel_hi:[0,1,0]
.LBB447_29:
	v_cvt_f16_f32_e32 v1, v0
	s_or_b64 s[6:7], s[6:7], exec
.LBB447_30:
	s_or_b64 exec, exec, s[0:1]
.LBB447_31:
	s_and_saveexec_b64 s[0:1], s[6:7]
	s_cbranch_execz .LBB447_33
; %bb.32:
	s_lshl_b64 s[0:1], s[8:9], 1
	s_add_u32 s0, s24, s0
	s_addc_u32 s1, s25, s1
	v_mov_b32_e32 v0, 0
	global_store_short v0, v1, s[0:1]
.LBB447_33:
	s_endpgm
	.section	.rodata,"a",@progbits
	.p2align	6, 0x0
	.amdhsa_kernel _ZL32rocblas_gemvt_warp_reduce_kernelILb0ELi256ElPKDF16_PKfKPDF16_EviiT3_lPKT2_lT1_lS9_lSA_lS6_lPT4_lSA_li
		.amdhsa_group_segment_fixed_size 256
		.amdhsa_private_segment_fixed_size 0
		.amdhsa_kernarg_size 140
		.amdhsa_user_sgpr_count 2
		.amdhsa_user_sgpr_dispatch_ptr 0
		.amdhsa_user_sgpr_queue_ptr 0
		.amdhsa_user_sgpr_kernarg_segment_ptr 1
		.amdhsa_user_sgpr_dispatch_id 0
		.amdhsa_user_sgpr_kernarg_preload_length 0
		.amdhsa_user_sgpr_kernarg_preload_offset 0
		.amdhsa_user_sgpr_private_segment_size 0
		.amdhsa_uses_dynamic_stack 0
		.amdhsa_enable_private_segment 0
		.amdhsa_system_sgpr_workgroup_id_x 1
		.amdhsa_system_sgpr_workgroup_id_y 0
		.amdhsa_system_sgpr_workgroup_id_z 1
		.amdhsa_system_sgpr_workgroup_info 0
		.amdhsa_system_vgpr_workitem_id 0
		.amdhsa_next_free_vgpr 11
		.amdhsa_next_free_sgpr 31
		.amdhsa_accum_offset 12
		.amdhsa_reserve_vcc 1
		.amdhsa_float_round_mode_32 0
		.amdhsa_float_round_mode_16_64 0
		.amdhsa_float_denorm_mode_32 3
		.amdhsa_float_denorm_mode_16_64 3
		.amdhsa_dx10_clamp 1
		.amdhsa_ieee_mode 1
		.amdhsa_fp16_overflow 0
		.amdhsa_tg_split 0
		.amdhsa_exception_fp_ieee_invalid_op 0
		.amdhsa_exception_fp_denorm_src 0
		.amdhsa_exception_fp_ieee_div_zero 0
		.amdhsa_exception_fp_ieee_overflow 0
		.amdhsa_exception_fp_ieee_underflow 0
		.amdhsa_exception_fp_ieee_inexact 0
		.amdhsa_exception_int_div_zero 0
	.end_amdhsa_kernel
	.section	.text._ZL32rocblas_gemvt_warp_reduce_kernelILb0ELi256ElPKDF16_PKfKPDF16_EviiT3_lPKT2_lT1_lS9_lSA_lS6_lPT4_lSA_li,"axG",@progbits,_ZL32rocblas_gemvt_warp_reduce_kernelILb0ELi256ElPKDF16_PKfKPDF16_EviiT3_lPKT2_lT1_lS9_lSA_lS6_lPT4_lSA_li,comdat
.Lfunc_end447:
	.size	_ZL32rocblas_gemvt_warp_reduce_kernelILb0ELi256ElPKDF16_PKfKPDF16_EviiT3_lPKT2_lT1_lS9_lSA_lS6_lPT4_lSA_li, .Lfunc_end447-_ZL32rocblas_gemvt_warp_reduce_kernelILb0ELi256ElPKDF16_PKfKPDF16_EviiT3_lPKT2_lT1_lS9_lSA_lS6_lPT4_lSA_li
                                        ; -- End function
	.section	.AMDGPU.csdata,"",@progbits
; Kernel info:
; codeLenInByte = 1452
; NumSgprs: 37
; NumVgprs: 11
; NumAgprs: 0
; TotalNumVgprs: 11
; ScratchSize: 0
; MemoryBound: 0
; FloatMode: 240
; IeeeMode: 1
; LDSByteSize: 256 bytes/workgroup (compile time only)
; SGPRBlocks: 4
; VGPRBlocks: 1
; NumSGPRsForWavesPerEU: 37
; NumVGPRsForWavesPerEU: 11
; AccumOffset: 12
; Occupancy: 8
; WaveLimiterHint : 1
; COMPUTE_PGM_RSRC2:SCRATCH_EN: 0
; COMPUTE_PGM_RSRC2:USER_SGPR: 2
; COMPUTE_PGM_RSRC2:TRAP_HANDLER: 0
; COMPUTE_PGM_RSRC2:TGID_X_EN: 1
; COMPUTE_PGM_RSRC2:TGID_Y_EN: 0
; COMPUTE_PGM_RSRC2:TGID_Z_EN: 1
; COMPUTE_PGM_RSRC2:TIDIG_COMP_CNT: 0
; COMPUTE_PGM_RSRC3_GFX90A:ACCUM_OFFSET: 2
; COMPUTE_PGM_RSRC3_GFX90A:TG_SPLIT: 0
	.section	.text._ZL32rocblas_gemvt_warp_reduce_kernelILb0ELi256EiPKDF16_fKPDF16_EviiT3_lPKT2_lT1_lS7_lS8_lS4_lPT4_lS8_li,"axG",@progbits,_ZL32rocblas_gemvt_warp_reduce_kernelILb0ELi256EiPKDF16_fKPDF16_EviiT3_lPKT2_lT1_lS7_lS8_lS4_lPT4_lS8_li,comdat
	.globl	_ZL32rocblas_gemvt_warp_reduce_kernelILb0ELi256EiPKDF16_fKPDF16_EviiT3_lPKT2_lT1_lS7_lS8_lS4_lPT4_lS8_li ; -- Begin function _ZL32rocblas_gemvt_warp_reduce_kernelILb0ELi256EiPKDF16_fKPDF16_EviiT3_lPKT2_lT1_lS7_lS8_lS4_lPT4_lS8_li
	.p2align	8
	.type	_ZL32rocblas_gemvt_warp_reduce_kernelILb0ELi256EiPKDF16_fKPDF16_EviiT3_lPKT2_lT1_lS7_lS8_lS4_lPT4_lS8_li,@function
_ZL32rocblas_gemvt_warp_reduce_kernelILb0ELi256EiPKDF16_fKPDF16_EviiT3_lPKT2_lT1_lS7_lS8_lS4_lPT4_lS8_li: ; @_ZL32rocblas_gemvt_warp_reduce_kernelILb0ELi256EiPKDF16_fKPDF16_EviiT3_lPKT2_lT1_lS7_lS8_lS4_lPT4_lS8_li
; %bb.0:
	s_mov_b32 s12, s3
	s_load_dword s18, s[0:1], 0x8
	s_load_dword s3, s[0:1], 0x58
	s_waitcnt lgkmcnt(0)
	v_cmp_eq_f32_e64 s[4:5], s18, 0
	v_cmp_eq_f32_e64 s[6:7], s3, 1.0
	s_and_b64 s[6:7], s[4:5], s[6:7]
	s_and_b64 vcc, exec, s[6:7]
	s_cbranch_vccnz .LBB448_35
; %bb.1:
	v_cmp_neq_f32_e64 s[8:9], s18, 0
	s_mov_b32 s13, 0
	s_and_b64 vcc, exec, s[8:9]
	s_cbranch_vccnz .LBB448_3
; %bb.2:
	s_mov_b64 s[10:11], 0
	s_cbranch_execz .LBB448_4
	s_branch .LBB448_5
.LBB448_3:
                                        ; implicit-def: $sgpr10_sgpr11
.LBB448_4:
	s_load_dwordx4 s[20:23], s[0:1], 0x18
	s_lshl_b64 s[6:7], s[12:13], 3
	s_waitcnt lgkmcnt(0)
	s_add_u32 s6, s20, s6
	s_addc_u32 s7, s21, s7
	s_load_dwordx2 s[6:7], s[6:7], 0x0
	s_lshl_b64 s[10:11], s[22:23], 1
	s_waitcnt lgkmcnt(0)
	s_add_u32 s10, s6, s10
	s_addc_u32 s11, s7, s11
.LBB448_5:
	s_mov_b64 s[6:7], 0
	s_andn2_b64 vcc, exec, s[8:9]
	s_mov_b64 s[8:9], 0
	s_cbranch_vccnz .LBB448_7
; %bb.6:
	s_load_dwordx4 s[20:23], s[0:1], 0x38
	s_lshl_b64 s[8:9], s[12:13], 3
	s_waitcnt lgkmcnt(0)
	s_add_u32 s8, s20, s8
	s_addc_u32 s9, s21, s9
	s_load_dwordx2 s[8:9], s[8:9], 0x0
	s_lshl_b64 s[14:15], s[22:23], 1
	s_waitcnt lgkmcnt(0)
	s_add_u32 s8, s8, s14
	s_addc_u32 s9, s9, s15
.LBB448_7:
	s_load_dwordx4 s[24:27], s[0:1], 0x68
	s_load_dword s21, s[0:1], 0x78
	s_lshl_b64 s[12:13], s[12:13], 3
	s_waitcnt lgkmcnt(0)
	s_add_u32 s12, s24, s12
	s_addc_u32 s13, s25, s13
	s_load_dwordx2 s[12:13], s[12:13], 0x0
	s_lshl_b64 s[14:15], s[26:27], 1
	s_waitcnt lgkmcnt(0)
	s_add_u32 s19, s12, s14
	s_addc_u32 s20, s13, s15
	s_andn2_b64 vcc, exec, s[4:5]
	v_cmp_eq_u32_e64 s[4:5], 0, v0
	s_cbranch_vccnz .LBB448_11
; %bb.8:
	s_mov_b64 s[14:15], 0
                                        ; implicit-def: $vgpr1
                                        ; implicit-def: $sgpr12_sgpr13
	s_and_saveexec_b64 s[16:17], s[4:5]
	s_cbranch_execz .LBB448_12
; %bb.9:
	v_cmp_eq_f32_e64 s[4:5], s3, 0
	s_mul_i32 s12, s2, s21
	s_ashr_i32 s13, s12, 31
	s_and_b64 vcc, exec, s[4:5]
	s_cbranch_vccnz .LBB448_13
; %bb.10:
	s_lshl_b64 s[4:5], s[12:13], 1
	s_add_u32 s4, s19, s4
	s_addc_u32 s5, s20, s5
	v_mov_b32_e32 v1, 0
	global_load_ushort v1, v1, s[4:5]
	s_waitcnt vmcnt(0)
	v_fma_mixlo_f16 v1, v1, s3, 0 op_sel_hi:[1,0,0]
	s_mov_b64 s[6:7], exec
	s_or_b64 exec, exec, s[16:17]
	s_and_b64 vcc, exec, s[14:15]
	s_cbranch_vccz .LBB448_33
	s_branch .LBB448_14
.LBB448_11:
                                        ; implicit-def: $vgpr1
                                        ; implicit-def: $sgpr12_sgpr13
	s_cbranch_execnz .LBB448_14
	s_branch .LBB448_33
.LBB448_12:
	s_or_b64 exec, exec, s[16:17]
	s_and_b64 vcc, exec, s[14:15]
	s_cbranch_vccnz .LBB448_14
	s_branch .LBB448_33
.LBB448_13:
	v_mov_b32_e32 v1, 0
	s_mov_b64 s[6:7], exec
	s_or_b64 exec, exec, s[16:17]
	s_and_b64 vcc, exec, s[14:15]
	s_cbranch_vccz .LBB448_33
.LBB448_14:
	s_load_dword s15, s[0:1], 0x0
	s_load_dword s4, s[0:1], 0x28
	;; [unrolled: 1-line block ×3, first 2 shown]
	v_mov_b32_e32 v3, 0
	s_waitcnt lgkmcnt(0)
	v_cmp_gt_i32_e32 vcc, s15, v0
	s_mul_i32 s0, s2, s4
	s_ashr_i32 s1, s0, 31
	s_lshl_b64 s[0:1], s[0:1], 1
	v_cndmask_b32_e32 v1, 0, v0, vcc
	s_add_u32 s0, s0, s10
	v_lshlrev_b32_e32 v2, 1, v1
	s_addc_u32 s1, s1, s11
	v_lshl_add_u64 v[4:5], s[0:1], 0, v[2:3]
	s_ashr_i32 s0, s15, 31
	s_lshr_b32 s0, s0, 24
	s_add_i32 s0, s15, s0
	s_and_b32 s0, s0, 0xffffff00
	v_cmp_gt_i32_e32 vcc, s0, v0
	s_and_saveexec_b64 s[4:5], vcc
	s_cbranch_execz .LBB448_18
; %bb.15:
	v_mul_lo_u32 v6, v0, s14
	s_lshl_b32 s1, s14, 8
	s_mov_b64 s[10:11], 0
	v_mov_b32_e32 v3, 0
	s_mov_b64 s[12:13], 0x200
	v_mov_b64_e32 v[8:9], v[4:5]
	v_mov_b32_e32 v1, v0
.LBB448_16:                             ; =>This Inner Loop Header: Depth=1
	v_ashrrev_i32_e32 v7, 31, v6
	v_lshl_add_u64 v[10:11], v[6:7], 1, s[8:9]
	flat_load_ushort v2, v[8:9]
	flat_load_ushort v7, v[10:11]
	v_add_u32_e32 v1, 0x100, v1
	v_cmp_le_i32_e32 vcc, s0, v1
	v_lshl_add_u64 v[8:9], v[8:9], 0, s[12:13]
	v_add_u32_e32 v6, s1, v6
	s_or_b64 s[10:11], vcc, s[10:11]
	s_waitcnt vmcnt(0) lgkmcnt(0)
	v_mul_f16_e32 v2, v2, v7
	v_cvt_f32_f16_e32 v2, v2
	v_add_f32_e32 v3, v3, v2
	s_andn2_b64 exec, exec, s[10:11]
	s_cbranch_execnz .LBB448_16
; %bb.17:
	s_or_b64 exec, exec, s[10:11]
.LBB448_18:
	s_or_b64 exec, exec, s[4:5]
	v_add_u32_e32 v1, s0, v0
	v_cmp_gt_i32_e32 vcc, s15, v1
	s_and_saveexec_b64 s[4:5], vcc
	s_cbranch_execz .LBB448_20
; %bb.19:
	s_ashr_i32 s1, s0, 31
	v_lshl_add_u64 v[4:5], s[0:1], 1, v[4:5]
	flat_load_ushort v2, v[4:5]
	v_mul_lo_u32 v4, v1, s14
	v_ashrrev_i32_e32 v5, 31, v4
	v_lshl_add_u64 v[4:5], v[4:5], 1, s[8:9]
	flat_load_ushort v1, v[4:5]
	s_waitcnt vmcnt(0) lgkmcnt(0)
	v_mul_f16_e32 v1, v2, v1
	v_cvt_f32_f16_e32 v1, v1
	v_add_f32_e32 v3, v3, v1
.LBB448_20:
	s_or_b64 exec, exec, s[4:5]
	v_and_b32_e32 v2, 63, v0
	v_cmp_gt_u32_e32 vcc, 64, v0
	v_lshlrev_b32_e32 v1, 2, v2
	s_and_saveexec_b64 s[0:1], vcc
	s_cbranch_execz .LBB448_22
; %bb.21:
	v_mov_b32_e32 v4, 0
	ds_write_b32 v1, v4
.LBB448_22:
	s_or_b64 exec, exec, s[0:1]
	v_mbcnt_lo_u32_b32 v4, -1, 0
	v_mbcnt_hi_u32_b32 v4, -1, v4
	v_and_b32_e32 v5, 63, v4
	v_cmp_gt_u32_e64 s[0:1], 32, v5
	s_waitcnt lgkmcnt(0)
	s_barrier
	v_cndmask_b32_e64 v6, 0, 1, s[0:1]
	v_lshlrev_b32_e32 v6, 5, v6
	v_add_lshl_u32 v6, v6, v4, 2
	ds_bpermute_b32 v6, v6, v3
	v_cmp_gt_u32_e64 s[0:1], 48, v5
	s_waitcnt lgkmcnt(0)
	v_add_f32_e32 v3, v3, v6
	v_cndmask_b32_e64 v7, 0, 1, s[0:1]
	v_lshlrev_b32_e32 v7, 4, v7
	v_add_lshl_u32 v6, v7, v4, 2
	ds_bpermute_b32 v6, v6, v3
	v_cmp_gt_u32_e64 s[0:1], 56, v5
	s_waitcnt lgkmcnt(0)
	v_add_f32_e32 v3, v3, v6
	;; [unrolled: 7-line block ×4, first 2 shown]
	v_cndmask_b32_e64 v7, 0, 1, s[0:1]
	v_lshlrev_b32_e32 v7, 1, v7
	v_add_lshl_u32 v3, v7, v4, 2
	ds_bpermute_b32 v7, v3, v6
	v_cmp_ne_u32_e64 s[0:1], 63, v5
	s_waitcnt lgkmcnt(0)
	v_add_f32_e32 v5, v6, v7
	v_addc_co_u32_e64 v4, s[0:1], 0, v4, s[0:1]
	v_lshlrev_b32_e32 v4, 2, v4
	ds_bpermute_b32 v6, v4, v5
	v_cmp_eq_u32_e64 s[0:1], 0, v2
	s_and_saveexec_b64 s[4:5], s[0:1]
	s_cbranch_execz .LBB448_24
; %bb.23:
	v_lshrrev_b32_e32 v2, 4, v0
	v_and_b32_e32 v2, 12, v2
	s_waitcnt lgkmcnt(0)
	v_add_f32_e32 v5, v5, v6
	ds_write_b32 v2, v5
.LBB448_24:
	s_or_b64 exec, exec, s[4:5]
	v_cmp_gt_u32_e64 s[0:1], 4, v0
	v_mov_b32_e32 v2, 0
	s_waitcnt lgkmcnt(0)
	s_barrier
	s_and_saveexec_b64 s[4:5], s[0:1]
	s_cbranch_execz .LBB448_26
; %bb.25:
	ds_read_b32 v2, v1
	s_or_b64 exec, exec, s[4:5]
	s_and_saveexec_b64 s[0:1], vcc
	s_cbranch_execz .LBB448_28
	s_branch .LBB448_27
.LBB448_26:
	s_or_b64 exec, exec, s[4:5]
	s_and_saveexec_b64 s[0:1], vcc
	s_cbranch_execz .LBB448_28
.LBB448_27:
	s_waitcnt lgkmcnt(0)
	ds_bpermute_b32 v1, v3, v2
	s_waitcnt lgkmcnt(0)
	v_add_f32_e32 v1, v2, v1
	ds_bpermute_b32 v2, v4, v1
	s_waitcnt lgkmcnt(0)
	v_add_f32_e32 v2, v1, v2
.LBB448_28:
	s_or_b64 exec, exec, s[0:1]
	v_cmp_eq_u32_e32 vcc, 0, v0
                                        ; implicit-def: $vgpr1
                                        ; implicit-def: $sgpr12_sgpr13
	s_and_saveexec_b64 s[0:1], vcc
	s_cbranch_execz .LBB448_32
; %bb.29:
	v_cmp_eq_f32_e64 s[4:5], s3, 0
	s_mul_i32 s12, s2, s21
	s_waitcnt lgkmcnt(0)
	v_mul_f32_e32 v0, s18, v2
	s_ashr_i32 s13, s12, 31
	s_and_b64 vcc, exec, s[4:5]
	s_cbranch_vccnz .LBB448_31
; %bb.30:
	s_lshl_b64 s[4:5], s[12:13], 1
	s_add_u32 s4, s19, s4
	s_addc_u32 s5, s20, s5
	v_mov_b32_e32 v1, 0
	global_load_ushort v1, v1, s[4:5]
	s_waitcnt vmcnt(0)
	v_fma_mix_f32 v0, v1, s3, v0 op_sel_hi:[1,0,0]
.LBB448_31:
	s_nop 0
	v_cvt_f16_f32_e32 v1, v0
	s_or_b64 s[6:7], s[6:7], exec
.LBB448_32:
	s_or_b64 exec, exec, s[0:1]
.LBB448_33:
	s_and_saveexec_b64 s[0:1], s[6:7]
	s_cbranch_execz .LBB448_35
; %bb.34:
	s_lshl_b64 s[0:1], s[12:13], 1
	s_add_u32 s0, s19, s0
	s_addc_u32 s1, s20, s1
	v_mov_b32_e32 v0, 0
	global_store_short v0, v1, s[0:1]
.LBB448_35:
	s_endpgm
	.section	.rodata,"a",@progbits
	.p2align	6, 0x0
	.amdhsa_kernel _ZL32rocblas_gemvt_warp_reduce_kernelILb0ELi256EiPKDF16_fKPDF16_EviiT3_lPKT2_lT1_lS7_lS8_lS4_lPT4_lS8_li
		.amdhsa_group_segment_fixed_size 256
		.amdhsa_private_segment_fixed_size 0
		.amdhsa_kernarg_size 140
		.amdhsa_user_sgpr_count 2
		.amdhsa_user_sgpr_dispatch_ptr 0
		.amdhsa_user_sgpr_queue_ptr 0
		.amdhsa_user_sgpr_kernarg_segment_ptr 1
		.amdhsa_user_sgpr_dispatch_id 0
		.amdhsa_user_sgpr_kernarg_preload_length 0
		.amdhsa_user_sgpr_kernarg_preload_offset 0
		.amdhsa_user_sgpr_private_segment_size 0
		.amdhsa_uses_dynamic_stack 0
		.amdhsa_enable_private_segment 0
		.amdhsa_system_sgpr_workgroup_id_x 1
		.amdhsa_system_sgpr_workgroup_id_y 0
		.amdhsa_system_sgpr_workgroup_id_z 1
		.amdhsa_system_sgpr_workgroup_info 0
		.amdhsa_system_vgpr_workitem_id 0
		.amdhsa_next_free_vgpr 12
		.amdhsa_next_free_sgpr 28
		.amdhsa_accum_offset 12
		.amdhsa_reserve_vcc 1
		.amdhsa_float_round_mode_32 0
		.amdhsa_float_round_mode_16_64 0
		.amdhsa_float_denorm_mode_32 3
		.amdhsa_float_denorm_mode_16_64 3
		.amdhsa_dx10_clamp 1
		.amdhsa_ieee_mode 1
		.amdhsa_fp16_overflow 0
		.amdhsa_tg_split 0
		.amdhsa_exception_fp_ieee_invalid_op 0
		.amdhsa_exception_fp_denorm_src 0
		.amdhsa_exception_fp_ieee_div_zero 0
		.amdhsa_exception_fp_ieee_overflow 0
		.amdhsa_exception_fp_ieee_underflow 0
		.amdhsa_exception_fp_ieee_inexact 0
		.amdhsa_exception_int_div_zero 0
	.end_amdhsa_kernel
	.section	.text._ZL32rocblas_gemvt_warp_reduce_kernelILb0ELi256EiPKDF16_fKPDF16_EviiT3_lPKT2_lT1_lS7_lS8_lS4_lPT4_lS8_li,"axG",@progbits,_ZL32rocblas_gemvt_warp_reduce_kernelILb0ELi256EiPKDF16_fKPDF16_EviiT3_lPKT2_lT1_lS7_lS8_lS4_lPT4_lS8_li,comdat
.Lfunc_end448:
	.size	_ZL32rocblas_gemvt_warp_reduce_kernelILb0ELi256EiPKDF16_fKPDF16_EviiT3_lPKT2_lT1_lS7_lS8_lS4_lPT4_lS8_li, .Lfunc_end448-_ZL32rocblas_gemvt_warp_reduce_kernelILb0ELi256EiPKDF16_fKPDF16_EviiT3_lPKT2_lT1_lS7_lS8_lS4_lPT4_lS8_li
                                        ; -- End function
	.section	.AMDGPU.csdata,"",@progbits
; Kernel info:
; codeLenInByte = 1308
; NumSgprs: 34
; NumVgprs: 12
; NumAgprs: 0
; TotalNumVgprs: 12
; ScratchSize: 0
; MemoryBound: 0
; FloatMode: 240
; IeeeMode: 1
; LDSByteSize: 256 bytes/workgroup (compile time only)
; SGPRBlocks: 4
; VGPRBlocks: 1
; NumSGPRsForWavesPerEU: 34
; NumVGPRsForWavesPerEU: 12
; AccumOffset: 12
; Occupancy: 8
; WaveLimiterHint : 1
; COMPUTE_PGM_RSRC2:SCRATCH_EN: 0
; COMPUTE_PGM_RSRC2:USER_SGPR: 2
; COMPUTE_PGM_RSRC2:TRAP_HANDLER: 0
; COMPUTE_PGM_RSRC2:TGID_X_EN: 1
; COMPUTE_PGM_RSRC2:TGID_Y_EN: 0
; COMPUTE_PGM_RSRC2:TGID_Z_EN: 1
; COMPUTE_PGM_RSRC2:TIDIG_COMP_CNT: 0
; COMPUTE_PGM_RSRC3_GFX90A:ACCUM_OFFSET: 2
; COMPUTE_PGM_RSRC3_GFX90A:TG_SPLIT: 0
	.section	.text._ZL32rocblas_gemvt_warp_reduce_kernelILb0ELi256ElPKDF16_fKPDF16_EviiT3_lPKT2_lT1_lS7_lS8_lS4_lPT4_lS8_li,"axG",@progbits,_ZL32rocblas_gemvt_warp_reduce_kernelILb0ELi256ElPKDF16_fKPDF16_EviiT3_lPKT2_lT1_lS7_lS8_lS4_lPT4_lS8_li,comdat
	.globl	_ZL32rocblas_gemvt_warp_reduce_kernelILb0ELi256ElPKDF16_fKPDF16_EviiT3_lPKT2_lT1_lS7_lS8_lS4_lPT4_lS8_li ; -- Begin function _ZL32rocblas_gemvt_warp_reduce_kernelILb0ELi256ElPKDF16_fKPDF16_EviiT3_lPKT2_lT1_lS7_lS8_lS4_lPT4_lS8_li
	.p2align	8
	.type	_ZL32rocblas_gemvt_warp_reduce_kernelILb0ELi256ElPKDF16_fKPDF16_EviiT3_lPKT2_lT1_lS7_lS8_lS4_lPT4_lS8_li,@function
_ZL32rocblas_gemvt_warp_reduce_kernelILb0ELi256ElPKDF16_fKPDF16_EviiT3_lPKT2_lT1_lS7_lS8_lS4_lPT4_lS8_li: ; @_ZL32rocblas_gemvt_warp_reduce_kernelILb0ELi256ElPKDF16_fKPDF16_EviiT3_lPKT2_lT1_lS7_lS8_lS4_lPT4_lS8_li
; %bb.0:
	s_mov_b32 s20, s3
	s_load_dword s24, s[0:1], 0x8
	s_load_dword s3, s[0:1], 0x58
	s_waitcnt lgkmcnt(0)
	v_cmp_eq_f32_e64 s[18:19], s24, 0
	v_cmp_eq_f32_e64 s[4:5], s3, 1.0
	s_and_b64 s[4:5], s[18:19], s[4:5]
	s_and_b64 vcc, exec, s[4:5]
	s_cbranch_vccnz .LBB449_35
; %bb.1:
	s_load_dwordx4 s[4:7], s[0:1], 0x18
	s_load_dwordx2 s[14:15], s[0:1], 0x28
	v_cmp_neq_f32_e64 s[12:13], s24, 0
	s_mov_b32 s21, 0
	s_and_b64 vcc, exec, s[12:13]
	s_cbranch_vccnz .LBB449_3
; %bb.2:
	s_mov_b64 s[16:17], 0
	s_cbranch_execz .LBB449_4
	s_branch .LBB449_5
.LBB449_3:
                                        ; implicit-def: $sgpr16_sgpr17
.LBB449_4:
	s_lshl_b64 s[8:9], s[20:21], 3
	s_waitcnt lgkmcnt(0)
	s_add_u32 s4, s4, s8
	s_addc_u32 s5, s5, s9
	s_load_dwordx2 s[4:5], s[4:5], 0x0
	s_lshl_b64 s[6:7], s[6:7], 1
	s_waitcnt lgkmcnt(0)
	s_add_u32 s16, s4, s6
	s_addc_u32 s17, s5, s7
.LBB449_5:
	s_waitcnt lgkmcnt(0)
	s_load_dwordx4 s[4:7], s[0:1], 0x38
	s_load_dwordx2 s[10:11], s[0:1], 0x48
	s_mov_b64 s[8:9], 0
	s_andn2_b64 vcc, exec, s[12:13]
	s_mov_b64 s[12:13], 0
	s_cbranch_vccnz .LBB449_7
; %bb.6:
	s_lshl_b64 s[12:13], s[20:21], 3
	s_waitcnt lgkmcnt(0)
	s_add_u32 s4, s4, s12
	s_addc_u32 s5, s5, s13
	s_load_dwordx2 s[4:5], s[4:5], 0x0
	s_lshl_b64 s[6:7], s[6:7], 1
	s_waitcnt lgkmcnt(0)
	s_add_u32 s12, s4, s6
	s_addc_u32 s13, s5, s7
.LBB449_7:
	s_load_dwordx4 s[28:31], s[0:1], 0x68
	s_waitcnt lgkmcnt(0)
	s_load_dwordx2 s[6:7], s[0:1], 0x78
	s_lshl_b64 s[4:5], s[20:21], 3
	s_add_u32 s4, s28, s4
	s_addc_u32 s5, s29, s5
	s_load_dwordx2 s[4:5], s[4:5], 0x0
	s_lshl_b64 s[20:21], s[30:31], 1
	s_waitcnt lgkmcnt(0)
	s_add_u32 s25, s4, s20
	s_addc_u32 s26, s5, s21
	s_andn2_b64 vcc, exec, s[18:19]
	v_cmp_eq_u32_e64 s[4:5], 0, v0
	s_cbranch_vccnz .LBB449_11
; %bb.8:
	s_mov_b64 s[20:21], 0
                                        ; implicit-def: $vgpr1
                                        ; implicit-def: $sgpr18_sgpr19
	s_and_saveexec_b64 s[22:23], s[4:5]
	s_cbranch_execz .LBB449_12
; %bb.9:
	s_ashr_i32 s8, s2, 31
	s_mul_i32 s9, s2, s7
	s_mul_hi_u32 s18, s2, s6
	v_cmp_eq_f32_e64 s[4:5], s3, 0
	s_add_i32 s9, s18, s9
	s_mul_i32 s8, s8, s6
	s_add_i32 s19, s9, s8
	s_mul_i32 s18, s2, s6
	s_and_b64 vcc, exec, s[4:5]
	s_cbranch_vccnz .LBB449_13
; %bb.10:
	s_lshl_b64 s[4:5], s[18:19], 1
	s_add_u32 s4, s25, s4
	s_addc_u32 s5, s26, s5
	v_mov_b32_e32 v1, 0
	global_load_ushort v1, v1, s[4:5]
	s_waitcnt vmcnt(0)
	v_fma_mixlo_f16 v1, v1, s3, 0 op_sel_hi:[1,0,0]
	s_mov_b64 s[8:9], exec
	s_or_b64 exec, exec, s[22:23]
	s_and_b64 vcc, exec, s[20:21]
	s_cbranch_vccz .LBB449_33
	s_branch .LBB449_14
.LBB449_11:
                                        ; implicit-def: $vgpr1
                                        ; implicit-def: $sgpr18_sgpr19
	s_cbranch_execnz .LBB449_14
	s_branch .LBB449_33
.LBB449_12:
	s_or_b64 exec, exec, s[22:23]
	s_and_b64 vcc, exec, s[20:21]
	s_cbranch_vccnz .LBB449_14
	s_branch .LBB449_33
.LBB449_13:
	v_mov_b32_e32 v1, 0
	s_mov_b64 s[8:9], exec
	s_or_b64 exec, exec, s[22:23]
	s_and_b64 vcc, exec, s[20:21]
	s_cbranch_vccz .LBB449_33
.LBB449_14:
	s_load_dword s1, s[0:1], 0x0
	s_ashr_i32 s20, s2, 31
	s_mul_i32 s0, s2, s15
	s_mul_hi_u32 s4, s2, s14
	s_add_i32 s0, s4, s0
	s_mul_i32 s4, s20, s14
	s_add_i32 s5, s0, s4
	s_mul_i32 s4, s2, s14
	s_lshl_b64 s[4:5], s[4:5], 1
	s_add_u32 s4, s4, s16
	s_addc_u32 s5, s5, s17
	s_waitcnt lgkmcnt(0)
	s_ashr_i32 s0, s1, 31
	v_cmp_gt_i32_e32 vcc, s1, v0
	s_lshr_b32 s0, s0, 24
	s_add_i32 s0, s1, s0
	v_cndmask_b32_e32 v1, 0, v0, vcc
	v_mov_b32_e32 v3, 0
	v_lshlrev_b32_e32 v2, 1, v1
	s_and_b32 s0, s0, 0xffffff00
	v_lshl_add_u64 v[4:5], s[4:5], 0, v[2:3]
	v_cmp_gt_i32_e32 vcc, s0, v0
	s_and_saveexec_b64 s[4:5], vcc
	s_cbranch_execz .LBB449_18
; %bb.15:
	v_mad_u64_u32 v[2:3], s[14:15], s10, v0, 0
	v_mov_b32_e32 v6, v3
	v_mad_u64_u32 v[6:7], s[14:15], s11, v0, v[6:7]
	v_mov_b32_e32 v3, v6
	v_lshl_add_u64 v[6:7], v[2:3], 1, s[12:13]
	s_lshl_b64 s[16:17], s[10:11], 9
	s_mov_b64 s[14:15], 0
	v_mov_b32_e32 v3, 0
	s_mov_b64 s[18:19], 0x200
	v_mov_b64_e32 v[8:9], v[4:5]
	v_mov_b32_e32 v1, v0
.LBB449_16:                             ; =>This Inner Loop Header: Depth=1
	flat_load_ushort v2, v[8:9]
	flat_load_ushort v10, v[6:7]
	v_add_u32_e32 v1, 0x100, v1
	v_cmp_le_i32_e32 vcc, s0, v1
	v_lshl_add_u64 v[8:9], v[8:9], 0, s[18:19]
	v_lshl_add_u64 v[6:7], v[6:7], 0, s[16:17]
	s_or_b64 s[14:15], vcc, s[14:15]
	s_waitcnt vmcnt(0) lgkmcnt(0)
	v_mul_f16_e32 v2, v2, v10
	v_cvt_f32_f16_e32 v2, v2
	v_add_f32_e32 v3, v3, v2
	s_andn2_b64 exec, exec, s[14:15]
	s_cbranch_execnz .LBB449_16
; %bb.17:
	s_or_b64 exec, exec, s[14:15]
.LBB449_18:
	s_or_b64 exec, exec, s[4:5]
	v_add_u32_e32 v1, s0, v0
	v_cmp_gt_i32_e32 vcc, s1, v1
	s_and_saveexec_b64 s[4:5], vcc
	s_cbranch_execz .LBB449_20
; %bb.19:
	s_ashr_i32 s1, s0, 31
	v_lshl_add_u64 v[4:5], s[0:1], 1, v[4:5]
	flat_load_ushort v2, v[4:5]
	v_ashrrev_i32_e32 v4, 31, v1
	v_mul_lo_u32 v6, v1, s11
	v_mul_lo_u32 v7, v4, s10
	v_mad_u64_u32 v[4:5], s[0:1], v1, s10, 0
	v_add3_u32 v5, v5, v6, v7
	v_lshl_add_u64 v[4:5], v[4:5], 1, s[12:13]
	flat_load_ushort v1, v[4:5]
	s_waitcnt vmcnt(0) lgkmcnt(0)
	v_mul_f16_e32 v1, v2, v1
	v_cvt_f32_f16_e32 v1, v1
	v_add_f32_e32 v3, v3, v1
.LBB449_20:
	s_or_b64 exec, exec, s[4:5]
	v_and_b32_e32 v2, 63, v0
	v_cmp_gt_u32_e32 vcc, 64, v0
	v_lshlrev_b32_e32 v1, 2, v2
	s_and_saveexec_b64 s[0:1], vcc
	s_cbranch_execz .LBB449_22
; %bb.21:
	v_mov_b32_e32 v4, 0
	ds_write_b32 v1, v4
.LBB449_22:
	s_or_b64 exec, exec, s[0:1]
	v_mbcnt_lo_u32_b32 v4, -1, 0
	v_mbcnt_hi_u32_b32 v4, -1, v4
	v_and_b32_e32 v5, 63, v4
	v_cmp_gt_u32_e64 s[0:1], 32, v5
	s_waitcnt lgkmcnt(0)
	s_barrier
	v_cndmask_b32_e64 v6, 0, 1, s[0:1]
	v_lshlrev_b32_e32 v6, 5, v6
	v_add_lshl_u32 v6, v6, v4, 2
	ds_bpermute_b32 v6, v6, v3
	v_cmp_gt_u32_e64 s[0:1], 48, v5
	s_waitcnt lgkmcnt(0)
	v_add_f32_e32 v3, v3, v6
	v_cndmask_b32_e64 v7, 0, 1, s[0:1]
	v_lshlrev_b32_e32 v7, 4, v7
	v_add_lshl_u32 v6, v7, v4, 2
	ds_bpermute_b32 v6, v6, v3
	v_cmp_gt_u32_e64 s[0:1], 56, v5
	s_waitcnt lgkmcnt(0)
	v_add_f32_e32 v3, v3, v6
	;; [unrolled: 7-line block ×4, first 2 shown]
	v_cndmask_b32_e64 v7, 0, 1, s[0:1]
	v_lshlrev_b32_e32 v7, 1, v7
	v_add_lshl_u32 v3, v7, v4, 2
	ds_bpermute_b32 v7, v3, v6
	v_cmp_ne_u32_e64 s[0:1], 63, v5
	s_waitcnt lgkmcnt(0)
	v_add_f32_e32 v5, v6, v7
	v_addc_co_u32_e64 v4, s[0:1], 0, v4, s[0:1]
	v_lshlrev_b32_e32 v4, 2, v4
	ds_bpermute_b32 v6, v4, v5
	v_cmp_eq_u32_e64 s[0:1], 0, v2
	s_and_saveexec_b64 s[4:5], s[0:1]
	s_cbranch_execz .LBB449_24
; %bb.23:
	v_lshrrev_b32_e32 v2, 4, v0
	v_and_b32_e32 v2, 12, v2
	s_waitcnt lgkmcnt(0)
	v_add_f32_e32 v5, v5, v6
	ds_write_b32 v2, v5
.LBB449_24:
	s_or_b64 exec, exec, s[4:5]
	v_cmp_gt_u32_e64 s[0:1], 4, v0
	v_mov_b32_e32 v2, 0
	s_waitcnt lgkmcnt(0)
	s_barrier
	s_and_saveexec_b64 s[4:5], s[0:1]
	s_cbranch_execz .LBB449_26
; %bb.25:
	ds_read_b32 v2, v1
	s_or_b64 exec, exec, s[4:5]
	s_and_saveexec_b64 s[0:1], vcc
	s_cbranch_execz .LBB449_28
	s_branch .LBB449_27
.LBB449_26:
	s_or_b64 exec, exec, s[4:5]
	s_and_saveexec_b64 s[0:1], vcc
	s_cbranch_execz .LBB449_28
.LBB449_27:
	s_waitcnt lgkmcnt(0)
	ds_bpermute_b32 v1, v3, v2
	s_waitcnt lgkmcnt(0)
	v_add_f32_e32 v1, v2, v1
	ds_bpermute_b32 v2, v4, v1
	s_waitcnt lgkmcnt(0)
	v_add_f32_e32 v2, v1, v2
.LBB449_28:
	s_or_b64 exec, exec, s[0:1]
	v_cmp_eq_u32_e32 vcc, 0, v0
                                        ; implicit-def: $vgpr1
                                        ; implicit-def: $sgpr18_sgpr19
	s_and_saveexec_b64 s[0:1], vcc
	s_cbranch_execz .LBB449_32
; %bb.29:
	s_mul_i32 s7, s2, s7
	s_mul_hi_u32 s10, s2, s6
	v_cmp_eq_f32_e64 s[4:5], s3, 0
	s_add_i32 s7, s10, s7
	s_mul_i32 s10, s20, s6
	s_waitcnt lgkmcnt(0)
	v_mul_f32_e32 v0, s24, v2
	s_add_i32 s19, s7, s10
	s_mul_i32 s18, s2, s6
	s_and_b64 vcc, exec, s[4:5]
	s_cbranch_vccnz .LBB449_31
; %bb.30:
	s_lshl_b64 s[4:5], s[18:19], 1
	s_add_u32 s4, s25, s4
	s_addc_u32 s5, s26, s5
	v_mov_b32_e32 v1, 0
	global_load_ushort v1, v1, s[4:5]
	s_waitcnt vmcnt(0)
	v_fma_mix_f32 v0, v1, s3, v0 op_sel_hi:[1,0,0]
.LBB449_31:
	s_nop 0
	v_cvt_f16_f32_e32 v1, v0
	s_or_b64 s[8:9], s[8:9], exec
.LBB449_32:
	s_or_b64 exec, exec, s[0:1]
.LBB449_33:
	s_and_saveexec_b64 s[0:1], s[8:9]
	s_cbranch_execz .LBB449_35
; %bb.34:
	s_lshl_b64 s[0:1], s[18:19], 1
	s_add_u32 s0, s25, s0
	s_addc_u32 s1, s26, s1
	v_mov_b32_e32 v0, 0
	global_store_short v0, v1, s[0:1]
.LBB449_35:
	s_endpgm
	.section	.rodata,"a",@progbits
	.p2align	6, 0x0
	.amdhsa_kernel _ZL32rocblas_gemvt_warp_reduce_kernelILb0ELi256ElPKDF16_fKPDF16_EviiT3_lPKT2_lT1_lS7_lS8_lS4_lPT4_lS8_li
		.amdhsa_group_segment_fixed_size 256
		.amdhsa_private_segment_fixed_size 0
		.amdhsa_kernarg_size 140
		.amdhsa_user_sgpr_count 2
		.amdhsa_user_sgpr_dispatch_ptr 0
		.amdhsa_user_sgpr_queue_ptr 0
		.amdhsa_user_sgpr_kernarg_segment_ptr 1
		.amdhsa_user_sgpr_dispatch_id 0
		.amdhsa_user_sgpr_kernarg_preload_length 0
		.amdhsa_user_sgpr_kernarg_preload_offset 0
		.amdhsa_user_sgpr_private_segment_size 0
		.amdhsa_uses_dynamic_stack 0
		.amdhsa_enable_private_segment 0
		.amdhsa_system_sgpr_workgroup_id_x 1
		.amdhsa_system_sgpr_workgroup_id_y 0
		.amdhsa_system_sgpr_workgroup_id_z 1
		.amdhsa_system_sgpr_workgroup_info 0
		.amdhsa_system_vgpr_workitem_id 0
		.amdhsa_next_free_vgpr 11
		.amdhsa_next_free_sgpr 32
		.amdhsa_accum_offset 12
		.amdhsa_reserve_vcc 1
		.amdhsa_float_round_mode_32 0
		.amdhsa_float_round_mode_16_64 0
		.amdhsa_float_denorm_mode_32 3
		.amdhsa_float_denorm_mode_16_64 3
		.amdhsa_dx10_clamp 1
		.amdhsa_ieee_mode 1
		.amdhsa_fp16_overflow 0
		.amdhsa_tg_split 0
		.amdhsa_exception_fp_ieee_invalid_op 0
		.amdhsa_exception_fp_denorm_src 0
		.amdhsa_exception_fp_ieee_div_zero 0
		.amdhsa_exception_fp_ieee_overflow 0
		.amdhsa_exception_fp_ieee_underflow 0
		.amdhsa_exception_fp_ieee_inexact 0
		.amdhsa_exception_int_div_zero 0
	.end_amdhsa_kernel
	.section	.text._ZL32rocblas_gemvt_warp_reduce_kernelILb0ELi256ElPKDF16_fKPDF16_EviiT3_lPKT2_lT1_lS7_lS8_lS4_lPT4_lS8_li,"axG",@progbits,_ZL32rocblas_gemvt_warp_reduce_kernelILb0ELi256ElPKDF16_fKPDF16_EviiT3_lPKT2_lT1_lS7_lS8_lS4_lPT4_lS8_li,comdat
.Lfunc_end449:
	.size	_ZL32rocblas_gemvt_warp_reduce_kernelILb0ELi256ElPKDF16_fKPDF16_EviiT3_lPKT2_lT1_lS7_lS8_lS4_lPT4_lS8_li, .Lfunc_end449-_ZL32rocblas_gemvt_warp_reduce_kernelILb0ELi256ElPKDF16_fKPDF16_EviiT3_lPKT2_lT1_lS7_lS8_lS4_lPT4_lS8_li
                                        ; -- End function
	.section	.AMDGPU.csdata,"",@progbits
; Kernel info:
; codeLenInByte = 1408
; NumSgprs: 38
; NumVgprs: 11
; NumAgprs: 0
; TotalNumVgprs: 11
; ScratchSize: 0
; MemoryBound: 0
; FloatMode: 240
; IeeeMode: 1
; LDSByteSize: 256 bytes/workgroup (compile time only)
; SGPRBlocks: 4
; VGPRBlocks: 1
; NumSGPRsForWavesPerEU: 38
; NumVGPRsForWavesPerEU: 11
; AccumOffset: 12
; Occupancy: 8
; WaveLimiterHint : 1
; COMPUTE_PGM_RSRC2:SCRATCH_EN: 0
; COMPUTE_PGM_RSRC2:USER_SGPR: 2
; COMPUTE_PGM_RSRC2:TRAP_HANDLER: 0
; COMPUTE_PGM_RSRC2:TGID_X_EN: 1
; COMPUTE_PGM_RSRC2:TGID_Y_EN: 0
; COMPUTE_PGM_RSRC2:TGID_Z_EN: 1
; COMPUTE_PGM_RSRC2:TIDIG_COMP_CNT: 0
; COMPUTE_PGM_RSRC3_GFX90A:ACCUM_OFFSET: 2
; COMPUTE_PGM_RSRC3_GFX90A:TG_SPLIT: 0
	.section	.text._ZL20rocblas_gemvt_kernelILb0ELi256EPKDF16_PKfKPDF16_EviiT2_lPKT1_lilS9_lilS6_lPT3_lili,"axG",@progbits,_ZL20rocblas_gemvt_kernelILb0ELi256EPKDF16_PKfKPDF16_EviiT2_lPKT1_lilS9_lilS6_lPT3_lili,comdat
	.globl	_ZL20rocblas_gemvt_kernelILb0ELi256EPKDF16_PKfKPDF16_EviiT2_lPKT1_lilS9_lilS6_lPT3_lili ; -- Begin function _ZL20rocblas_gemvt_kernelILb0ELi256EPKDF16_PKfKPDF16_EviiT2_lPKT1_lilS9_lilS6_lPT3_lili
	.p2align	8
	.type	_ZL20rocblas_gemvt_kernelILb0ELi256EPKDF16_PKfKPDF16_EviiT2_lPKT1_lilS9_lilS6_lPT3_lili,@function
_ZL20rocblas_gemvt_kernelILb0ELi256EPKDF16_PKfKPDF16_EviiT2_lPKT1_lilS9_lilS6_lPT3_lili: ; @_ZL20rocblas_gemvt_kernelILb0ELi256EPKDF16_PKfKPDF16_EviiT2_lPKT1_lilS9_lilS6_lPT3_lili
; %bb.0:
	s_load_dwordx8 s[12:19], s[0:1], 0x8
	s_load_dwordx8 s[4:11], s[0:1], 0x58
	s_mov_b32 s20, s3
	s_waitcnt lgkmcnt(0)
	s_mul_i32 s3, s3, s15
	s_mul_hi_u32 s15, s20, s14
	s_add_i32 s15, s15, s3
	s_mul_i32 s14, s20, s14
	s_lshl_b64 s[14:15], s[14:15], 2
	s_add_u32 s12, s12, s14
	s_addc_u32 s13, s13, s15
	s_load_dword s3, s[12:13], 0x0
	s_mul_i32 s7, s20, s7
	s_mul_hi_u32 s12, s20, s6
	s_add_i32 s7, s12, s7
	s_mul_i32 s6, s20, s6
	s_lshl_b64 s[6:7], s[6:7], 2
	s_add_u32 s4, s4, s6
	s_addc_u32 s5, s5, s7
	s_load_dword s22, s[4:5], 0x0
	s_waitcnt lgkmcnt(0)
	v_cmp_eq_f32_e64 s[4:5], s3, 0
	v_cmp_eq_f32_e64 s[6:7], s22, 1.0
	s_and_b64 s[6:7], s[4:5], s[6:7]
	s_and_b64 vcc, exec, s[6:7]
	s_cbranch_vccnz .LBB450_41
; %bb.1:
	s_mov_b32 s21, 0
	v_cmp_neq_f32_e64 s[6:7], s3, 0
	s_mov_b64 s[12:13], 0
	s_and_b64 vcc, exec, s[4:5]
	s_mov_b64 s[14:15], 0
	s_cbranch_vccnz .LBB450_3
; %bb.2:
	s_lshl_b64 s[14:15], s[20:21], 3
	s_add_u32 s14, s16, s14
	s_addc_u32 s15, s17, s15
	s_load_dwordx2 s[14:15], s[14:15], 0x0
	s_lshl_b64 s[16:17], s[18:19], 1
	s_waitcnt lgkmcnt(0)
	s_add_u32 s14, s14, s16
	s_addc_u32 s15, s15, s17
.LBB450_3:
	s_andn2_b64 vcc, exec, s[6:7]
	s_cbranch_vccnz .LBB450_5
; %bb.4:
	s_load_dwordx4 s[16:19], s[0:1], 0x38
	s_lshl_b64 s[6:7], s[20:21], 3
	s_waitcnt lgkmcnt(0)
	s_add_u32 s6, s16, s6
	s_addc_u32 s7, s17, s7
	s_load_dwordx2 s[6:7], s[6:7], 0x0
	s_lshl_b64 s[12:13], s[18:19], 1
	s_waitcnt lgkmcnt(0)
	s_add_u32 s12, s6, s12
	s_addc_u32 s13, s7, s13
.LBB450_5:
	s_lshl_b64 s[6:7], s[20:21], 3
	s_add_u32 s6, s8, s6
	s_addc_u32 s7, s9, s7
	s_load_dwordx2 s[8:9], s[6:7], 0x0
	s_load_dword s20, s[0:1], 0x78
	s_lshl_b64 s[6:7], s[10:11], 1
	s_waitcnt lgkmcnt(0)
	s_add_u32 s18, s8, s6
	s_addc_u32 s19, s9, s7
	s_andn2_b64 vcc, exec, s[4:5]
	v_cmp_eq_u32_e64 s[4:5], 0, v0
	s_cbranch_vccnz .LBB450_9
; %bb.6:
	s_mov_b64 s[10:11], 0
	s_mov_b64 s[6:7], 0
                                        ; implicit-def: $vgpr1
                                        ; implicit-def: $sgpr8_sgpr9
	s_and_saveexec_b64 s[16:17], s[4:5]
	s_cbranch_execz .LBB450_10
; %bb.7:
	v_cmp_eq_f32_e64 s[4:5], s22, 0
	s_mul_hi_i32 s9, s20, s2
	s_mul_i32 s8, s20, s2
	s_and_b64 vcc, exec, s[4:5]
	s_cbranch_vccnz .LBB450_11
; %bb.8:
	s_lshl_b64 s[4:5], s[8:9], 1
	s_add_u32 s4, s18, s4
	s_addc_u32 s5, s19, s5
	v_mov_b32_e32 v1, 0
	global_load_ushort v1, v1, s[4:5]
	s_waitcnt vmcnt(0)
	v_fma_mixlo_f16 v1, s22, v1, 0 op_sel_hi:[0,1,0]
	s_branch .LBB450_12
.LBB450_9:
	s_mov_b64 s[6:7], 0
                                        ; implicit-def: $vgpr1
                                        ; implicit-def: $sgpr8_sgpr9
	s_cbranch_execnz .LBB450_13
	s_branch .LBB450_39
.LBB450_10:
	s_or_b64 exec, exec, s[16:17]
	s_and_b64 vcc, exec, s[10:11]
	s_cbranch_vccnz .LBB450_13
	s_branch .LBB450_39
.LBB450_11:
	v_mov_b32_e32 v1, 0
.LBB450_12:
	s_mov_b64 s[6:7], exec
	s_or_b64 exec, exec, s[16:17]
	s_and_b64 vcc, exec, s[10:11]
	s_cbranch_vccz .LBB450_39
.LBB450_13:
	s_load_dword s16, s[0:1], 0x0
	s_load_dword s5, s[0:1], 0x28
	s_load_dword s4, s[0:1], 0x48
	v_mov_b32_e32 v3, 0
	s_mov_b32 s1, 0
	s_waitcnt lgkmcnt(0)
	v_cmp_gt_i32_e32 vcc, s16, v0
	s_mul_hi_i32 s9, s5, s2
	s_mul_i32 s8, s5, s2
	s_lshl_b64 s[8:9], s[8:9], 1
	s_add_u32 s8, s8, s14
	s_addc_u32 s9, s9, s15
	s_ashr_i32 s0, s16, 31
	s_lshr_b32 s0, s0, 24
	v_cndmask_b32_e32 v1, 0, v0, vcc
	s_add_i32 s0, s16, s0
	v_lshlrev_b32_e32 v2, 1, v1
	s_and_b32 s0, s0, 0xffffff00
	s_cmpk_lt_i32 s16, 0x100
	v_lshl_add_u64 v[4:5], s[8:9], 0, v[2:3]
	s_cbranch_scc1 .LBB450_16
; %bb.14:
	s_ashr_i32 s5, s4, 31
	v_mad_i64_i32 v[2:3], s[8:9], s4, v0, 0
	v_lshl_add_u64 v[6:7], v[2:3], 1, s[12:13]
	s_lshl_b64 s[8:9], s[4:5], 9
	v_mov_b32_e32 v3, 0
	s_mov_b64 s[10:11], 0x200
	v_mov_b64_e32 v[8:9], v[4:5]
.LBB450_15:                             ; =>This Inner Loop Header: Depth=1
	flat_load_ushort v1, v[8:9]
	flat_load_ushort v2, v[6:7]
	s_addk_i32 s1, 0x100
	v_lshl_add_u64 v[6:7], v[6:7], 0, s[8:9]
	v_lshl_add_u64 v[8:9], v[8:9], 0, s[10:11]
	s_cmp_ge_i32 s1, s0
	s_waitcnt vmcnt(0) lgkmcnt(0)
	v_mul_f16_e32 v1, v1, v2
	v_cvt_f32_f16_e32 v1, v1
	v_add_f32_e32 v3, v3, v1
	s_cbranch_scc0 .LBB450_15
.LBB450_16:
	v_add_u32_e32 v1, s0, v0
	v_cmp_gt_i32_e32 vcc, s16, v1
	s_and_saveexec_b64 s[8:9], vcc
	s_cbranch_execz .LBB450_18
; %bb.17:
	s_ashr_i32 s1, s0, 31
	v_lshl_add_u64 v[4:5], s[0:1], 1, v[4:5]
	flat_load_ushort v2, v[4:5]
	v_mad_i64_i32 v[4:5], s[0:1], s4, v1, 0
	v_lshl_add_u64 v[4:5], v[4:5], 1, s[12:13]
	flat_load_ushort v1, v[4:5]
	s_waitcnt vmcnt(0) lgkmcnt(0)
	v_mul_f16_e32 v1, v2, v1
	v_cvt_f32_f16_e32 v1, v1
	v_add_f32_e32 v3, v3, v1
.LBB450_18:
	s_or_b64 exec, exec, s[8:9]
	s_movk_i32 s0, 0x80
	v_lshlrev_b32_e32 v1, 2, v0
	v_cmp_gt_u32_e32 vcc, s0, v0
	ds_write_b32 v1, v3
	s_waitcnt lgkmcnt(0)
	s_barrier
	s_and_saveexec_b64 s[0:1], vcc
	s_cbranch_execz .LBB450_20
; %bb.19:
	ds_read2st64_b32 v[2:3], v1 offset1:2
	s_waitcnt lgkmcnt(0)
	v_add_f32_e32 v2, v3, v2
	ds_write_b32 v1, v2
.LBB450_20:
	s_or_b64 exec, exec, s[0:1]
	v_cmp_gt_u32_e32 vcc, 64, v0
	s_waitcnt lgkmcnt(0)
	s_barrier
	s_and_saveexec_b64 s[0:1], vcc
	s_cbranch_execz .LBB450_22
; %bb.21:
	ds_read2st64_b32 v[2:3], v1 offset1:1
	s_waitcnt lgkmcnt(0)
	v_add_f32_e32 v2, v3, v2
	ds_write_b32 v1, v2
.LBB450_22:
	s_or_b64 exec, exec, s[0:1]
	v_cmp_gt_u32_e32 vcc, 32, v0
	s_waitcnt lgkmcnt(0)
	s_barrier
	s_and_saveexec_b64 s[0:1], vcc
	s_cbranch_execz .LBB450_24
; %bb.23:
	ds_read2_b32 v[2:3], v1 offset1:32
	s_waitcnt lgkmcnt(0)
	v_add_f32_e32 v2, v3, v2
	ds_write_b32 v1, v2
.LBB450_24:
	s_or_b64 exec, exec, s[0:1]
	v_cmp_gt_u32_e32 vcc, 16, v0
	s_waitcnt lgkmcnt(0)
	s_barrier
	s_and_saveexec_b64 s[0:1], vcc
	s_cbranch_execz .LBB450_26
; %bb.25:
	ds_read2_b32 v[2:3], v1 offset1:16
	s_waitcnt lgkmcnt(0)
	v_add_f32_e32 v2, v3, v2
	ds_write_b32 v1, v2
.LBB450_26:
	s_or_b64 exec, exec, s[0:1]
	v_cmp_gt_u32_e32 vcc, 8, v0
	s_waitcnt lgkmcnt(0)
	s_barrier
	s_and_saveexec_b64 s[0:1], vcc
	s_cbranch_execz .LBB450_28
; %bb.27:
	ds_read2_b32 v[2:3], v1 offset1:8
	s_waitcnt lgkmcnt(0)
	v_add_f32_e32 v2, v3, v2
	ds_write_b32 v1, v2
.LBB450_28:
	s_or_b64 exec, exec, s[0:1]
	v_cmp_gt_u32_e32 vcc, 4, v0
	s_waitcnt lgkmcnt(0)
	s_barrier
	s_and_saveexec_b64 s[0:1], vcc
	s_cbranch_execz .LBB450_30
; %bb.29:
	ds_read2_b32 v[2:3], v1 offset1:4
	s_waitcnt lgkmcnt(0)
	v_add_f32_e32 v2, v3, v2
	ds_write_b32 v1, v2
.LBB450_30:
	s_or_b64 exec, exec, s[0:1]
	v_cmp_gt_u32_e32 vcc, 2, v0
	s_waitcnt lgkmcnt(0)
	s_barrier
	s_and_saveexec_b64 s[0:1], vcc
	s_cbranch_execz .LBB450_32
; %bb.31:
	ds_read2_b32 v[2:3], v1 offset1:2
	s_waitcnt lgkmcnt(0)
	v_add_f32_e32 v2, v3, v2
	ds_write_b32 v1, v2
.LBB450_32:
	s_or_b64 exec, exec, s[0:1]
	v_cmp_eq_u32_e32 vcc, 0, v0
	s_waitcnt lgkmcnt(0)
	s_barrier
	s_and_saveexec_b64 s[0:1], vcc
	s_cbranch_execz .LBB450_34
; %bb.33:
	v_mov_b32_e32 v2, 0
	ds_read_b64 v[0:1], v2
	s_waitcnt lgkmcnt(0)
	v_add_f32_e32 v0, v1, v0
	ds_write_b32 v2, v0
.LBB450_34:
	s_or_b64 exec, exec, s[0:1]
	s_waitcnt lgkmcnt(0)
	s_barrier
	s_waitcnt lgkmcnt(0)
                                        ; implicit-def: $vgpr1
                                        ; implicit-def: $sgpr8_sgpr9
	s_and_saveexec_b64 s[0:1], vcc
	s_cbranch_execz .LBB450_38
; %bb.35:
	v_mov_b32_e32 v1, 0
	ds_read_b32 v0, v1
	v_cmp_eq_f32_e64 s[4:5], s22, 0
	s_mul_hi_i32 s9, s20, s2
	s_mul_i32 s8, s20, s2
	s_and_b64 vcc, exec, s[4:5]
	s_waitcnt lgkmcnt(0)
	v_mul_f32_e32 v0, s3, v0
	s_cbranch_vccnz .LBB450_37
; %bb.36:
	s_lshl_b64 s[2:3], s[8:9], 1
	s_add_u32 s2, s18, s2
	s_addc_u32 s3, s19, s3
	global_load_ushort v1, v1, s[2:3]
	s_waitcnt vmcnt(0)
	v_fma_mix_f32 v0, s22, v1, v0 op_sel_hi:[0,1,0]
.LBB450_37:
	v_cvt_f16_f32_e32 v1, v0
	s_or_b64 s[6:7], s[6:7], exec
.LBB450_38:
	s_or_b64 exec, exec, s[0:1]
.LBB450_39:
	s_and_saveexec_b64 s[0:1], s[6:7]
	s_cbranch_execz .LBB450_41
; %bb.40:
	s_lshl_b64 s[0:1], s[8:9], 1
	s_add_u32 s0, s18, s0
	s_addc_u32 s1, s19, s1
	v_mov_b32_e32 v0, 0
	global_store_short v0, v1, s[0:1]
.LBB450_41:
	s_endpgm
	.section	.rodata,"a",@progbits
	.p2align	6, 0x0
	.amdhsa_kernel _ZL20rocblas_gemvt_kernelILb0ELi256EPKDF16_PKfKPDF16_EviiT2_lPKT1_lilS9_lilS6_lPT3_lili
		.amdhsa_group_segment_fixed_size 1024
		.amdhsa_private_segment_fixed_size 0
		.amdhsa_kernarg_size 140
		.amdhsa_user_sgpr_count 2
		.amdhsa_user_sgpr_dispatch_ptr 0
		.amdhsa_user_sgpr_queue_ptr 0
		.amdhsa_user_sgpr_kernarg_segment_ptr 1
		.amdhsa_user_sgpr_dispatch_id 0
		.amdhsa_user_sgpr_kernarg_preload_length 0
		.amdhsa_user_sgpr_kernarg_preload_offset 0
		.amdhsa_user_sgpr_private_segment_size 0
		.amdhsa_uses_dynamic_stack 0
		.amdhsa_enable_private_segment 0
		.amdhsa_system_sgpr_workgroup_id_x 1
		.amdhsa_system_sgpr_workgroup_id_y 0
		.amdhsa_system_sgpr_workgroup_id_z 1
		.amdhsa_system_sgpr_workgroup_info 0
		.amdhsa_system_vgpr_workitem_id 0
		.amdhsa_next_free_vgpr 10
		.amdhsa_next_free_sgpr 23
		.amdhsa_accum_offset 12
		.amdhsa_reserve_vcc 1
		.amdhsa_float_round_mode_32 0
		.amdhsa_float_round_mode_16_64 0
		.amdhsa_float_denorm_mode_32 3
		.amdhsa_float_denorm_mode_16_64 3
		.amdhsa_dx10_clamp 1
		.amdhsa_ieee_mode 1
		.amdhsa_fp16_overflow 0
		.amdhsa_tg_split 0
		.amdhsa_exception_fp_ieee_invalid_op 0
		.amdhsa_exception_fp_denorm_src 0
		.amdhsa_exception_fp_ieee_div_zero 0
		.amdhsa_exception_fp_ieee_overflow 0
		.amdhsa_exception_fp_ieee_underflow 0
		.amdhsa_exception_fp_ieee_inexact 0
		.amdhsa_exception_int_div_zero 0
	.end_amdhsa_kernel
	.section	.text._ZL20rocblas_gemvt_kernelILb0ELi256EPKDF16_PKfKPDF16_EviiT2_lPKT1_lilS9_lilS6_lPT3_lili,"axG",@progbits,_ZL20rocblas_gemvt_kernelILb0ELi256EPKDF16_PKfKPDF16_EviiT2_lPKT1_lilS9_lilS6_lPT3_lili,comdat
.Lfunc_end450:
	.size	_ZL20rocblas_gemvt_kernelILb0ELi256EPKDF16_PKfKPDF16_EviiT2_lPKT1_lilS9_lilS6_lPT3_lili, .Lfunc_end450-_ZL20rocblas_gemvt_kernelILb0ELi256EPKDF16_PKfKPDF16_EviiT2_lPKT1_lilS9_lilS6_lPT3_lili
                                        ; -- End function
	.section	.AMDGPU.csdata,"",@progbits
; Kernel info:
; codeLenInByte = 1268
; NumSgprs: 29
; NumVgprs: 10
; NumAgprs: 0
; TotalNumVgprs: 10
; ScratchSize: 0
; MemoryBound: 0
; FloatMode: 240
; IeeeMode: 1
; LDSByteSize: 1024 bytes/workgroup (compile time only)
; SGPRBlocks: 3
; VGPRBlocks: 1
; NumSGPRsForWavesPerEU: 29
; NumVGPRsForWavesPerEU: 10
; AccumOffset: 12
; Occupancy: 8
; WaveLimiterHint : 1
; COMPUTE_PGM_RSRC2:SCRATCH_EN: 0
; COMPUTE_PGM_RSRC2:USER_SGPR: 2
; COMPUTE_PGM_RSRC2:TRAP_HANDLER: 0
; COMPUTE_PGM_RSRC2:TGID_X_EN: 1
; COMPUTE_PGM_RSRC2:TGID_Y_EN: 0
; COMPUTE_PGM_RSRC2:TGID_Z_EN: 1
; COMPUTE_PGM_RSRC2:TIDIG_COMP_CNT: 0
; COMPUTE_PGM_RSRC3_GFX90A:ACCUM_OFFSET: 2
; COMPUTE_PGM_RSRC3_GFX90A:TG_SPLIT: 0
	.section	.text._ZL20rocblas_gemvt_kernelILb0ELi256EPKDF16_fKPDF16_EviiT2_lPKT1_lilS7_lilS4_lPT3_lili,"axG",@progbits,_ZL20rocblas_gemvt_kernelILb0ELi256EPKDF16_fKPDF16_EviiT2_lPKT1_lilS7_lilS4_lPT3_lili,comdat
	.globl	_ZL20rocblas_gemvt_kernelILb0ELi256EPKDF16_fKPDF16_EviiT2_lPKT1_lilS7_lilS4_lPT3_lili ; -- Begin function _ZL20rocblas_gemvt_kernelILb0ELi256EPKDF16_fKPDF16_EviiT2_lPKT1_lilS7_lilS4_lPT3_lili
	.p2align	8
	.type	_ZL20rocblas_gemvt_kernelILb0ELi256EPKDF16_fKPDF16_EviiT2_lPKT1_lilS7_lilS4_lPT3_lili,@function
_ZL20rocblas_gemvt_kernelILb0ELi256EPKDF16_fKPDF16_EviiT2_lPKT1_lilS7_lilS4_lPT3_lili: ; @_ZL20rocblas_gemvt_kernelILb0ELi256EPKDF16_fKPDF16_EviiT2_lPKT1_lilS7_lilS4_lPT3_lili
; %bb.0:
	s_mov_b32 s12, s3
	s_load_dword s18, s[0:1], 0x8
	s_load_dword s3, s[0:1], 0x58
	s_waitcnt lgkmcnt(0)
	v_cmp_eq_f32_e64 s[4:5], s18, 0
	v_cmp_eq_f32_e64 s[6:7], s3, 1.0
	s_and_b64 s[6:7], s[4:5], s[6:7]
	s_and_b64 vcc, exec, s[6:7]
	s_cbranch_vccnz .LBB451_43
; %bb.1:
	v_cmp_neq_f32_e64 s[8:9], s18, 0
	s_mov_b32 s13, 0
	s_and_b64 vcc, exec, s[8:9]
	s_cbranch_vccnz .LBB451_3
; %bb.2:
	s_mov_b64 s[10:11], 0
	s_cbranch_execz .LBB451_4
	s_branch .LBB451_5
.LBB451_3:
                                        ; implicit-def: $sgpr10_sgpr11
.LBB451_4:
	s_load_dwordx4 s[20:23], s[0:1], 0x18
	s_lshl_b64 s[6:7], s[12:13], 3
	s_waitcnt lgkmcnt(0)
	s_add_u32 s6, s20, s6
	s_addc_u32 s7, s21, s7
	s_load_dwordx2 s[6:7], s[6:7], 0x0
	s_lshl_b64 s[10:11], s[22:23], 1
	s_waitcnt lgkmcnt(0)
	s_add_u32 s10, s6, s10
	s_addc_u32 s11, s7, s11
.LBB451_5:
	s_mov_b64 s[6:7], 0
	s_andn2_b64 vcc, exec, s[8:9]
	s_mov_b64 s[8:9], 0
	s_cbranch_vccnz .LBB451_7
; %bb.6:
	s_load_dwordx4 s[20:23], s[0:1], 0x38
	s_lshl_b64 s[8:9], s[12:13], 3
	s_waitcnt lgkmcnt(0)
	s_add_u32 s8, s20, s8
	s_addc_u32 s9, s21, s9
	s_load_dwordx2 s[8:9], s[8:9], 0x0
	s_lshl_b64 s[14:15], s[22:23], 1
	s_waitcnt lgkmcnt(0)
	s_add_u32 s8, s8, s14
	s_addc_u32 s9, s9, s15
.LBB451_7:
	s_load_dwordx4 s[24:27], s[0:1], 0x68
	s_load_dword s21, s[0:1], 0x78
	s_lshl_b64 s[12:13], s[12:13], 3
	s_waitcnt lgkmcnt(0)
	s_add_u32 s12, s24, s12
	s_addc_u32 s13, s25, s13
	s_load_dwordx2 s[12:13], s[12:13], 0x0
	s_lshl_b64 s[14:15], s[26:27], 1
	s_waitcnt lgkmcnt(0)
	s_add_u32 s19, s12, s14
	s_addc_u32 s20, s13, s15
	s_andn2_b64 vcc, exec, s[4:5]
	v_cmp_eq_u32_e64 s[4:5], 0, v0
	s_cbranch_vccnz .LBB451_11
; %bb.8:
	s_mov_b64 s[14:15], 0
                                        ; implicit-def: $vgpr1
                                        ; implicit-def: $sgpr12_sgpr13
	s_and_saveexec_b64 s[16:17], s[4:5]
	s_cbranch_execz .LBB451_12
; %bb.9:
	v_cmp_eq_f32_e64 s[4:5], s3, 0
	s_mul_hi_i32 s13, s21, s2
	s_mul_i32 s12, s21, s2
	s_and_b64 vcc, exec, s[4:5]
	s_cbranch_vccnz .LBB451_13
; %bb.10:
	s_lshl_b64 s[4:5], s[12:13], 1
	s_add_u32 s4, s19, s4
	s_addc_u32 s5, s20, s5
	v_mov_b32_e32 v1, 0
	global_load_ushort v1, v1, s[4:5]
	s_waitcnt vmcnt(0)
	v_fma_mixlo_f16 v1, v1, s3, 0 op_sel_hi:[1,0,0]
	s_branch .LBB451_14
.LBB451_11:
                                        ; implicit-def: $vgpr1
                                        ; implicit-def: $sgpr12_sgpr13
	s_cbranch_execnz .LBB451_15
	s_branch .LBB451_41
.LBB451_12:
	s_or_b64 exec, exec, s[16:17]
	s_and_b64 vcc, exec, s[14:15]
	s_cbranch_vccnz .LBB451_15
	s_branch .LBB451_41
.LBB451_13:
	v_mov_b32_e32 v1, 0
.LBB451_14:
	s_mov_b64 s[6:7], exec
	s_or_b64 exec, exec, s[16:17]
	s_and_b64 vcc, exec, s[14:15]
	s_cbranch_vccz .LBB451_41
.LBB451_15:
	s_load_dword s14, s[0:1], 0x0
	s_load_dword s5, s[0:1], 0x28
	;; [unrolled: 1-line block ×3, first 2 shown]
	v_mov_b32_e32 v3, 0
	s_mov_b32 s1, 0
	s_waitcnt lgkmcnt(0)
	v_cmp_gt_i32_e32 vcc, s14, v0
	s_mul_hi_i32 s13, s5, s2
	s_mul_i32 s12, s5, s2
	s_lshl_b64 s[12:13], s[12:13], 1
	s_add_u32 s10, s12, s10
	s_addc_u32 s11, s13, s11
	s_ashr_i32 s0, s14, 31
	s_lshr_b32 s0, s0, 24
	v_cndmask_b32_e32 v1, 0, v0, vcc
	s_add_i32 s0, s14, s0
	v_lshlrev_b32_e32 v2, 1, v1
	s_and_b32 s0, s0, 0xffffff00
	s_cmpk_lt_i32 s14, 0x100
	v_lshl_add_u64 v[4:5], s[10:11], 0, v[2:3]
	s_cbranch_scc1 .LBB451_18
; %bb.16:
	s_ashr_i32 s5, s4, 31
	v_mad_i64_i32 v[2:3], s[10:11], s4, v0, 0
	v_lshl_add_u64 v[6:7], v[2:3], 1, s[8:9]
	s_lshl_b64 s[10:11], s[4:5], 9
	v_mov_b32_e32 v3, 0
	s_mov_b64 s[12:13], 0x200
	v_mov_b64_e32 v[8:9], v[4:5]
.LBB451_17:                             ; =>This Inner Loop Header: Depth=1
	flat_load_ushort v1, v[8:9]
	flat_load_ushort v2, v[6:7]
	s_addk_i32 s1, 0x100
	v_lshl_add_u64 v[6:7], v[6:7], 0, s[10:11]
	v_lshl_add_u64 v[8:9], v[8:9], 0, s[12:13]
	s_cmp_ge_i32 s1, s0
	s_waitcnt vmcnt(0) lgkmcnt(0)
	v_mul_f16_e32 v1, v1, v2
	v_cvt_f32_f16_e32 v1, v1
	v_add_f32_e32 v3, v3, v1
	s_cbranch_scc0 .LBB451_17
.LBB451_18:
	v_add_u32_e32 v1, s0, v0
	v_cmp_gt_i32_e32 vcc, s14, v1
	s_and_saveexec_b64 s[10:11], vcc
	s_cbranch_execz .LBB451_20
; %bb.19:
	s_ashr_i32 s1, s0, 31
	v_lshl_add_u64 v[4:5], s[0:1], 1, v[4:5]
	flat_load_ushort v2, v[4:5]
	v_mad_i64_i32 v[4:5], s[0:1], s4, v1, 0
	v_lshl_add_u64 v[4:5], v[4:5], 1, s[8:9]
	flat_load_ushort v1, v[4:5]
	s_waitcnt vmcnt(0) lgkmcnt(0)
	v_mul_f16_e32 v1, v2, v1
	v_cvt_f32_f16_e32 v1, v1
	v_add_f32_e32 v3, v3, v1
.LBB451_20:
	s_or_b64 exec, exec, s[10:11]
	s_movk_i32 s0, 0x80
	v_lshlrev_b32_e32 v1, 2, v0
	v_cmp_gt_u32_e32 vcc, s0, v0
	ds_write_b32 v1, v3
	s_waitcnt lgkmcnt(0)
	s_barrier
	s_and_saveexec_b64 s[0:1], vcc
	s_cbranch_execz .LBB451_22
; %bb.21:
	ds_read2st64_b32 v[2:3], v1 offset1:2
	s_waitcnt lgkmcnt(0)
	v_add_f32_e32 v2, v3, v2
	ds_write_b32 v1, v2
.LBB451_22:
	s_or_b64 exec, exec, s[0:1]
	v_cmp_gt_u32_e32 vcc, 64, v0
	s_waitcnt lgkmcnt(0)
	s_barrier
	s_and_saveexec_b64 s[0:1], vcc
	s_cbranch_execz .LBB451_24
; %bb.23:
	ds_read2st64_b32 v[2:3], v1 offset1:1
	s_waitcnt lgkmcnt(0)
	v_add_f32_e32 v2, v3, v2
	ds_write_b32 v1, v2
.LBB451_24:
	s_or_b64 exec, exec, s[0:1]
	v_cmp_gt_u32_e32 vcc, 32, v0
	s_waitcnt lgkmcnt(0)
	s_barrier
	s_and_saveexec_b64 s[0:1], vcc
	s_cbranch_execz .LBB451_26
; %bb.25:
	ds_read2_b32 v[2:3], v1 offset1:32
	s_waitcnt lgkmcnt(0)
	v_add_f32_e32 v2, v3, v2
	ds_write_b32 v1, v2
.LBB451_26:
	s_or_b64 exec, exec, s[0:1]
	v_cmp_gt_u32_e32 vcc, 16, v0
	s_waitcnt lgkmcnt(0)
	s_barrier
	s_and_saveexec_b64 s[0:1], vcc
	s_cbranch_execz .LBB451_28
; %bb.27:
	ds_read2_b32 v[2:3], v1 offset1:16
	s_waitcnt lgkmcnt(0)
	v_add_f32_e32 v2, v3, v2
	ds_write_b32 v1, v2
.LBB451_28:
	;; [unrolled: 12-line block ×5, first 2 shown]
	s_or_b64 exec, exec, s[0:1]
	v_cmp_eq_u32_e32 vcc, 0, v0
	s_waitcnt lgkmcnt(0)
	s_barrier
	s_and_saveexec_b64 s[0:1], vcc
	s_cbranch_execz .LBB451_36
; %bb.35:
	v_mov_b32_e32 v2, 0
	ds_read_b64 v[0:1], v2
	s_waitcnt lgkmcnt(0)
	v_add_f32_e32 v0, v1, v0
	ds_write_b32 v2, v0
.LBB451_36:
	s_or_b64 exec, exec, s[0:1]
	s_waitcnt lgkmcnt(0)
	s_barrier
	s_waitcnt lgkmcnt(0)
                                        ; implicit-def: $vgpr1
                                        ; implicit-def: $sgpr12_sgpr13
	s_and_saveexec_b64 s[0:1], vcc
	s_cbranch_execz .LBB451_40
; %bb.37:
	v_mov_b32_e32 v1, 0
	ds_read_b32 v0, v1
	v_cmp_eq_f32_e64 s[4:5], s3, 0
	s_mul_hi_i32 s13, s21, s2
	s_mul_i32 s12, s21, s2
	s_and_b64 vcc, exec, s[4:5]
	s_waitcnt lgkmcnt(0)
	v_mul_f32_e32 v0, s18, v0
	s_cbranch_vccnz .LBB451_39
; %bb.38:
	s_lshl_b64 s[4:5], s[12:13], 1
	s_add_u32 s4, s19, s4
	s_addc_u32 s5, s20, s5
	global_load_ushort v1, v1, s[4:5]
	s_waitcnt vmcnt(0)
	v_fma_mix_f32 v0, v1, s3, v0 op_sel_hi:[1,0,0]
.LBB451_39:
	s_nop 0
	v_cvt_f16_f32_e32 v1, v0
	s_or_b64 s[6:7], s[6:7], exec
.LBB451_40:
	s_or_b64 exec, exec, s[0:1]
.LBB451_41:
	s_and_saveexec_b64 s[0:1], s[6:7]
	s_cbranch_execz .LBB451_43
; %bb.42:
	s_lshl_b64 s[0:1], s[12:13], 1
	s_add_u32 s0, s19, s0
	s_addc_u32 s1, s20, s1
	v_mov_b32_e32 v0, 0
	global_store_short v0, v1, s[0:1]
.LBB451_43:
	s_endpgm
	.section	.rodata,"a",@progbits
	.p2align	6, 0x0
	.amdhsa_kernel _ZL20rocblas_gemvt_kernelILb0ELi256EPKDF16_fKPDF16_EviiT2_lPKT1_lilS7_lilS4_lPT3_lili
		.amdhsa_group_segment_fixed_size 1024
		.amdhsa_private_segment_fixed_size 0
		.amdhsa_kernarg_size 140
		.amdhsa_user_sgpr_count 2
		.amdhsa_user_sgpr_dispatch_ptr 0
		.amdhsa_user_sgpr_queue_ptr 0
		.amdhsa_user_sgpr_kernarg_segment_ptr 1
		.amdhsa_user_sgpr_dispatch_id 0
		.amdhsa_user_sgpr_kernarg_preload_length 0
		.amdhsa_user_sgpr_kernarg_preload_offset 0
		.amdhsa_user_sgpr_private_segment_size 0
		.amdhsa_uses_dynamic_stack 0
		.amdhsa_enable_private_segment 0
		.amdhsa_system_sgpr_workgroup_id_x 1
		.amdhsa_system_sgpr_workgroup_id_y 0
		.amdhsa_system_sgpr_workgroup_id_z 1
		.amdhsa_system_sgpr_workgroup_info 0
		.amdhsa_system_vgpr_workitem_id 0
		.amdhsa_next_free_vgpr 10
		.amdhsa_next_free_sgpr 28
		.amdhsa_accum_offset 12
		.amdhsa_reserve_vcc 1
		.amdhsa_float_round_mode_32 0
		.amdhsa_float_round_mode_16_64 0
		.amdhsa_float_denorm_mode_32 3
		.amdhsa_float_denorm_mode_16_64 3
		.amdhsa_dx10_clamp 1
		.amdhsa_ieee_mode 1
		.amdhsa_fp16_overflow 0
		.amdhsa_tg_split 0
		.amdhsa_exception_fp_ieee_invalid_op 0
		.amdhsa_exception_fp_denorm_src 0
		.amdhsa_exception_fp_ieee_div_zero 0
		.amdhsa_exception_fp_ieee_overflow 0
		.amdhsa_exception_fp_ieee_underflow 0
		.amdhsa_exception_fp_ieee_inexact 0
		.amdhsa_exception_int_div_zero 0
	.end_amdhsa_kernel
	.section	.text._ZL20rocblas_gemvt_kernelILb0ELi256EPKDF16_fKPDF16_EviiT2_lPKT1_lilS7_lilS4_lPT3_lili,"axG",@progbits,_ZL20rocblas_gemvt_kernelILb0ELi256EPKDF16_fKPDF16_EviiT2_lPKT1_lilS7_lilS4_lPT3_lili,comdat
.Lfunc_end451:
	.size	_ZL20rocblas_gemvt_kernelILb0ELi256EPKDF16_fKPDF16_EviiT2_lPKT1_lilS7_lilS4_lPT3_lili, .Lfunc_end451-_ZL20rocblas_gemvt_kernelILb0ELi256EPKDF16_fKPDF16_EviiT2_lPKT1_lilS7_lilS4_lPT3_lili
                                        ; -- End function
	.section	.AMDGPU.csdata,"",@progbits
; Kernel info:
; codeLenInByte = 1224
; NumSgprs: 34
; NumVgprs: 10
; NumAgprs: 0
; TotalNumVgprs: 10
; ScratchSize: 0
; MemoryBound: 0
; FloatMode: 240
; IeeeMode: 1
; LDSByteSize: 1024 bytes/workgroup (compile time only)
; SGPRBlocks: 4
; VGPRBlocks: 1
; NumSGPRsForWavesPerEU: 34
; NumVGPRsForWavesPerEU: 10
; AccumOffset: 12
; Occupancy: 8
; WaveLimiterHint : 1
; COMPUTE_PGM_RSRC2:SCRATCH_EN: 0
; COMPUTE_PGM_RSRC2:USER_SGPR: 2
; COMPUTE_PGM_RSRC2:TRAP_HANDLER: 0
; COMPUTE_PGM_RSRC2:TGID_X_EN: 1
; COMPUTE_PGM_RSRC2:TGID_Y_EN: 0
; COMPUTE_PGM_RSRC2:TGID_Z_EN: 1
; COMPUTE_PGM_RSRC2:TIDIG_COMP_CNT: 0
; COMPUTE_PGM_RSRC3_GFX90A:ACCUM_OFFSET: 2
; COMPUTE_PGM_RSRC3_GFX90A:TG_SPLIT: 0
	.section	.text._ZL32rocblas_gemvt_warp_reduce_kernelILb0ELi1024EiPKDF16_PKfKPDF16_EviiT3_lPKT2_lT1_lS9_lSA_lS6_lPT4_lSA_li,"axG",@progbits,_ZL32rocblas_gemvt_warp_reduce_kernelILb0ELi1024EiPKDF16_PKfKPDF16_EviiT3_lPKT2_lT1_lS9_lSA_lS6_lPT4_lSA_li,comdat
	.globl	_ZL32rocblas_gemvt_warp_reduce_kernelILb0ELi1024EiPKDF16_PKfKPDF16_EviiT3_lPKT2_lT1_lS9_lSA_lS6_lPT4_lSA_li ; -- Begin function _ZL32rocblas_gemvt_warp_reduce_kernelILb0ELi1024EiPKDF16_PKfKPDF16_EviiT3_lPKT2_lT1_lS9_lSA_lS6_lPT4_lSA_li
	.p2align	8
	.type	_ZL32rocblas_gemvt_warp_reduce_kernelILb0ELi1024EiPKDF16_PKfKPDF16_EviiT3_lPKT2_lT1_lS9_lSA_lS6_lPT4_lSA_li,@function
_ZL32rocblas_gemvt_warp_reduce_kernelILb0ELi1024EiPKDF16_PKfKPDF16_EviiT3_lPKT2_lT1_lS9_lSA_lS6_lPT4_lSA_li: ; @_ZL32rocblas_gemvt_warp_reduce_kernelILb0ELi1024EiPKDF16_PKfKPDF16_EviiT3_lPKT2_lT1_lS9_lSA_lS6_lPT4_lSA_li
; %bb.0:
	s_load_dwordx8 s[12:19], s[0:1], 0x8
	s_load_dwordx8 s[4:11], s[0:1], 0x58
	s_mov_b32 s20, s3
	s_waitcnt lgkmcnt(0)
	s_mul_i32 s3, s3, s15
	s_mul_hi_u32 s15, s20, s14
	s_add_i32 s15, s15, s3
	s_mul_i32 s14, s20, s14
	s_lshl_b64 s[14:15], s[14:15], 2
	s_add_u32 s12, s12, s14
	s_mul_i32 s3, s20, s7
	s_mul_hi_u32 s7, s20, s6
	s_addc_u32 s13, s13, s15
	s_add_i32 s7, s7, s3
	s_mul_i32 s6, s20, s6
	s_lshl_b64 s[6:7], s[6:7], 2
	s_add_u32 s4, s4, s6
	s_addc_u32 s5, s5, s7
	s_load_dword s22, s[12:13], 0x0
	s_load_dword s3, s[4:5], 0x0
	s_waitcnt lgkmcnt(0)
	v_cmp_eq_f32_e64 s[4:5], s22, 0
	v_cmp_eq_f32_e64 s[6:7], s3, 1.0
	s_and_b64 s[6:7], s[4:5], s[6:7]
	s_and_b64 vcc, exec, s[6:7]
	s_cbranch_vccnz .LBB452_33
; %bb.1:
	s_mov_b32 s21, 0
	v_cmp_neq_f32_e64 s[6:7], s22, 0
	s_mov_b64 s[12:13], 0
	s_and_b64 vcc, exec, s[4:5]
	s_mov_b64 s[14:15], 0
	s_cbranch_vccnz .LBB452_3
; %bb.2:
	s_lshl_b64 s[14:15], s[20:21], 3
	s_add_u32 s14, s16, s14
	s_addc_u32 s15, s17, s15
	s_load_dwordx2 s[14:15], s[14:15], 0x0
	s_lshl_b64 s[16:17], s[18:19], 1
	s_waitcnt lgkmcnt(0)
	s_add_u32 s14, s14, s16
	s_addc_u32 s15, s15, s17
.LBB452_3:
	s_andn2_b64 vcc, exec, s[6:7]
	s_cbranch_vccnz .LBB452_5
; %bb.4:
	s_load_dwordx4 s[16:19], s[0:1], 0x38
	s_lshl_b64 s[6:7], s[20:21], 3
	s_waitcnt lgkmcnt(0)
	s_add_u32 s6, s16, s6
	s_addc_u32 s7, s17, s7
	s_load_dwordx2 s[6:7], s[6:7], 0x0
	s_lshl_b64 s[12:13], s[18:19], 1
	s_waitcnt lgkmcnt(0)
	s_add_u32 s12, s6, s12
	s_addc_u32 s13, s7, s13
.LBB452_5:
	s_lshl_b64 s[6:7], s[20:21], 3
	s_add_u32 s6, s8, s6
	s_addc_u32 s7, s9, s7
	s_load_dwordx2 s[8:9], s[6:7], 0x0
	s_load_dword s20, s[0:1], 0x78
	s_lshl_b64 s[6:7], s[10:11], 1
	s_waitcnt lgkmcnt(0)
	s_add_u32 s18, s8, s6
	s_addc_u32 s19, s9, s7
	s_andn2_b64 vcc, exec, s[4:5]
	v_cmp_eq_u32_e64 s[4:5], 0, v0
	s_cbranch_vccnz .LBB452_9
; %bb.6:
	s_mov_b64 s[10:11], 0
	s_mov_b64 s[6:7], 0
                                        ; implicit-def: $vgpr1
                                        ; implicit-def: $sgpr8_sgpr9
	s_and_saveexec_b64 s[16:17], s[4:5]
	s_cbranch_execz .LBB452_10
; %bb.7:
	v_cmp_eq_f32_e64 s[4:5], s3, 0
	s_mul_i32 s8, s2, s20
	s_ashr_i32 s9, s8, 31
	s_and_b64 vcc, exec, s[4:5]
	s_cbranch_vccnz .LBB452_11
; %bb.8:
	s_lshl_b64 s[4:5], s[8:9], 1
	s_add_u32 s4, s18, s4
	s_addc_u32 s5, s19, s5
	v_mov_b32_e32 v1, 0
	global_load_ushort v1, v1, s[4:5]
	s_waitcnt vmcnt(0)
	v_fma_mixlo_f16 v1, s3, v1, 0 op_sel_hi:[0,1,0]
	s_mov_b64 s[6:7], exec
	s_or_b64 exec, exec, s[16:17]
	s_and_b64 vcc, exec, s[10:11]
	s_cbranch_vccz .LBB452_31
	s_branch .LBB452_12
.LBB452_9:
	s_mov_b64 s[6:7], 0
                                        ; implicit-def: $vgpr1
                                        ; implicit-def: $sgpr8_sgpr9
	s_cbranch_execnz .LBB452_12
	s_branch .LBB452_31
.LBB452_10:
	s_or_b64 exec, exec, s[16:17]
	s_and_b64 vcc, exec, s[10:11]
	s_cbranch_vccnz .LBB452_12
	s_branch .LBB452_31
.LBB452_11:
	v_mov_b32_e32 v1, 0
	s_mov_b64 s[6:7], exec
	s_or_b64 exec, exec, s[16:17]
	s_and_b64 vcc, exec, s[10:11]
	s_cbranch_vccz .LBB452_31
.LBB452_12:
	s_load_dword s17, s[0:1], 0x0
	s_load_dword s4, s[0:1], 0x28
	;; [unrolled: 1-line block ×3, first 2 shown]
	v_mov_b32_e32 v3, 0
	s_waitcnt lgkmcnt(0)
	v_cmp_gt_i32_e32 vcc, s17, v0
	s_mul_i32 s0, s2, s4
	s_ashr_i32 s1, s0, 31
	s_lshl_b64 s[0:1], s[0:1], 1
	v_cndmask_b32_e32 v1, 0, v0, vcc
	s_add_u32 s0, s0, s14
	v_lshlrev_b32_e32 v2, 1, v1
	s_addc_u32 s1, s1, s15
	v_lshl_add_u64 v[4:5], s[0:1], 0, v[2:3]
	s_ashr_i32 s0, s17, 31
	s_lshr_b32 s0, s0, 22
	s_add_i32 s0, s17, s0
	s_and_b32 s0, s0, 0xfffffc00
	v_cmp_gt_i32_e32 vcc, s0, v0
	s_and_saveexec_b64 s[4:5], vcc
	s_cbranch_execz .LBB452_16
; %bb.13:
	v_mul_lo_u32 v6, v0, s16
	s_lshl_b32 s1, s16, 10
	s_mov_b64 s[8:9], 0
	v_mov_b32_e32 v3, 0
	s_mov_b64 s[10:11], 0x800
	v_mov_b64_e32 v[8:9], v[4:5]
	v_mov_b32_e32 v1, v0
.LBB452_14:                             ; =>This Inner Loop Header: Depth=1
	v_ashrrev_i32_e32 v7, 31, v6
	v_lshl_add_u64 v[10:11], v[6:7], 1, s[12:13]
	flat_load_ushort v2, v[8:9]
	flat_load_ushort v7, v[10:11]
	v_add_u32_e32 v1, 0x400, v1
	v_cmp_le_i32_e32 vcc, s0, v1
	v_lshl_add_u64 v[8:9], v[8:9], 0, s[10:11]
	v_add_u32_e32 v6, s1, v6
	s_or_b64 s[8:9], vcc, s[8:9]
	s_waitcnt vmcnt(0) lgkmcnt(0)
	v_mul_f16_e32 v2, v2, v7
	v_cvt_f32_f16_e32 v2, v2
	v_add_f32_e32 v3, v3, v2
	s_andn2_b64 exec, exec, s[8:9]
	s_cbranch_execnz .LBB452_14
; %bb.15:
	s_or_b64 exec, exec, s[8:9]
.LBB452_16:
	s_or_b64 exec, exec, s[4:5]
	v_or_b32_e32 v1, s0, v0
	v_cmp_gt_i32_e32 vcc, s17, v1
	s_and_saveexec_b64 s[4:5], vcc
	s_cbranch_execz .LBB452_18
; %bb.17:
	s_ashr_i32 s1, s0, 31
	v_lshl_add_u64 v[4:5], s[0:1], 1, v[4:5]
	flat_load_ushort v2, v[4:5]
	v_mul_lo_u32 v4, v1, s16
	v_ashrrev_i32_e32 v5, 31, v4
	v_lshl_add_u64 v[4:5], v[4:5], 1, s[12:13]
	flat_load_ushort v1, v[4:5]
	s_waitcnt vmcnt(0) lgkmcnt(0)
	v_mul_f16_e32 v1, v2, v1
	v_cvt_f32_f16_e32 v1, v1
	v_add_f32_e32 v3, v3, v1
.LBB452_18:
	s_or_b64 exec, exec, s[4:5]
	v_and_b32_e32 v2, 63, v0
	v_cmp_gt_u32_e32 vcc, 64, v0
	v_lshlrev_b32_e32 v1, 2, v2
	s_and_saveexec_b64 s[0:1], vcc
	s_cbranch_execz .LBB452_20
; %bb.19:
	v_mov_b32_e32 v4, 0
	ds_write_b32 v1, v4
.LBB452_20:
	s_or_b64 exec, exec, s[0:1]
	v_mbcnt_lo_u32_b32 v4, -1, 0
	v_mbcnt_hi_u32_b32 v6, -1, v4
	v_and_b32_e32 v7, 63, v6
	v_cmp_gt_u32_e64 s[0:1], 32, v7
	s_waitcnt lgkmcnt(0)
	s_barrier
	v_cndmask_b32_e64 v4, 0, 1, s[0:1]
	v_lshlrev_b32_e32 v4, 5, v4
	v_add_lshl_u32 v4, v4, v6, 2
	ds_bpermute_b32 v4, v4, v3
	v_cmp_gt_u32_e64 s[0:1], 48, v7
	s_waitcnt lgkmcnt(0)
	v_add_f32_e32 v3, v3, v4
	v_cndmask_b32_e64 v5, 0, 1, s[0:1]
	v_lshlrev_b32_e32 v5, 4, v5
	v_add_lshl_u32 v4, v5, v6, 2
	ds_bpermute_b32 v4, v4, v3
	v_cmp_gt_u32_e64 s[0:1], 56, v7
	s_waitcnt lgkmcnt(0)
	v_add_f32_e32 v4, v3, v4
	;; [unrolled: 7-line block ×4, first 2 shown]
	v_cndmask_b32_e64 v9, 0, 1, s[0:1]
	v_lshlrev_b32_e32 v9, 1, v9
	v_add_lshl_u32 v5, v9, v6, 2
	ds_bpermute_b32 v9, v5, v8
	v_cmp_ne_u32_e64 s[0:1], 63, v7
	s_waitcnt lgkmcnt(0)
	v_add_f32_e32 v7, v8, v9
	v_addc_co_u32_e64 v6, s[0:1], 0, v6, s[0:1]
	v_lshlrev_b32_e32 v6, 2, v6
	ds_bpermute_b32 v8, v6, v7
	v_cmp_eq_u32_e64 s[0:1], 0, v2
	s_and_saveexec_b64 s[4:5], s[0:1]
	s_cbranch_execz .LBB452_22
; %bb.21:
	v_lshrrev_b32_e32 v2, 4, v0
	v_and_b32_e32 v2, 60, v2
	s_waitcnt lgkmcnt(0)
	v_add_f32_e32 v7, v7, v8
	ds_write_b32 v2, v7
.LBB452_22:
	s_or_b64 exec, exec, s[4:5]
	v_cmp_gt_u32_e64 s[0:1], 16, v0
	v_mov_b32_e32 v2, 0
	s_waitcnt lgkmcnt(0)
	s_barrier
	s_and_saveexec_b64 s[4:5], s[0:1]
	s_cbranch_execz .LBB452_24
; %bb.23:
	ds_read_b32 v2, v1
	s_or_b64 exec, exec, s[4:5]
	s_and_saveexec_b64 s[0:1], vcc
	s_cbranch_execz .LBB452_26
	s_branch .LBB452_25
.LBB452_24:
	s_or_b64 exec, exec, s[4:5]
	s_and_saveexec_b64 s[0:1], vcc
	s_cbranch_execz .LBB452_26
.LBB452_25:
	s_waitcnt lgkmcnt(0)
	ds_bpermute_b32 v1, v3, v2
	s_waitcnt lgkmcnt(0)
	v_add_f32_e32 v1, v2, v1
	ds_bpermute_b32 v2, v4, v1
	s_waitcnt lgkmcnt(0)
	v_add_f32_e32 v1, v1, v2
	;; [unrolled: 3-line block ×4, first 2 shown]
.LBB452_26:
	s_or_b64 exec, exec, s[0:1]
	v_cmp_eq_u32_e32 vcc, 0, v0
                                        ; implicit-def: $vgpr1
                                        ; implicit-def: $sgpr8_sgpr9
	s_and_saveexec_b64 s[0:1], vcc
	s_cbranch_execz .LBB452_30
; %bb.27:
	v_cmp_eq_f32_e64 s[4:5], s3, 0
	s_mul_i32 s8, s2, s20
	s_waitcnt lgkmcnt(0)
	v_mul_f32_e32 v0, s22, v2
	s_ashr_i32 s9, s8, 31
	s_and_b64 vcc, exec, s[4:5]
	s_cbranch_vccnz .LBB452_29
; %bb.28:
	s_lshl_b64 s[4:5], s[8:9], 1
	s_add_u32 s4, s18, s4
	s_addc_u32 s5, s19, s5
	v_mov_b32_e32 v1, 0
	global_load_ushort v1, v1, s[4:5]
	s_waitcnt vmcnt(0)
	v_fma_mix_f32 v0, s3, v1, v0 op_sel_hi:[0,1,0]
.LBB452_29:
	v_cvt_f16_f32_e32 v1, v0
	s_or_b64 s[6:7], s[6:7], exec
.LBB452_30:
	s_or_b64 exec, exec, s[0:1]
.LBB452_31:
	s_and_saveexec_b64 s[0:1], s[6:7]
	s_cbranch_execz .LBB452_33
; %bb.32:
	s_lshl_b64 s[0:1], s[8:9], 1
	s_add_u32 s0, s18, s0
	s_addc_u32 s1, s19, s1
	v_mov_b32_e32 v0, 0
	global_store_short v0, v1, s[0:1]
.LBB452_33:
	s_endpgm
	.section	.rodata,"a",@progbits
	.p2align	6, 0x0
	.amdhsa_kernel _ZL32rocblas_gemvt_warp_reduce_kernelILb0ELi1024EiPKDF16_PKfKPDF16_EviiT3_lPKT2_lT1_lS9_lSA_lS6_lPT4_lSA_li
		.amdhsa_group_segment_fixed_size 256
		.amdhsa_private_segment_fixed_size 0
		.amdhsa_kernarg_size 140
		.amdhsa_user_sgpr_count 2
		.amdhsa_user_sgpr_dispatch_ptr 0
		.amdhsa_user_sgpr_queue_ptr 0
		.amdhsa_user_sgpr_kernarg_segment_ptr 1
		.amdhsa_user_sgpr_dispatch_id 0
		.amdhsa_user_sgpr_kernarg_preload_length 0
		.amdhsa_user_sgpr_kernarg_preload_offset 0
		.amdhsa_user_sgpr_private_segment_size 0
		.amdhsa_uses_dynamic_stack 0
		.amdhsa_enable_private_segment 0
		.amdhsa_system_sgpr_workgroup_id_x 1
		.amdhsa_system_sgpr_workgroup_id_y 0
		.amdhsa_system_sgpr_workgroup_id_z 1
		.amdhsa_system_sgpr_workgroup_info 0
		.amdhsa_system_vgpr_workitem_id 0
		.amdhsa_next_free_vgpr 12
		.amdhsa_next_free_sgpr 23
		.amdhsa_accum_offset 12
		.amdhsa_reserve_vcc 1
		.amdhsa_float_round_mode_32 0
		.amdhsa_float_round_mode_16_64 0
		.amdhsa_float_denorm_mode_32 3
		.amdhsa_float_denorm_mode_16_64 3
		.amdhsa_dx10_clamp 1
		.amdhsa_ieee_mode 1
		.amdhsa_fp16_overflow 0
		.amdhsa_tg_split 0
		.amdhsa_exception_fp_ieee_invalid_op 0
		.amdhsa_exception_fp_denorm_src 0
		.amdhsa_exception_fp_ieee_div_zero 0
		.amdhsa_exception_fp_ieee_overflow 0
		.amdhsa_exception_fp_ieee_underflow 0
		.amdhsa_exception_fp_ieee_inexact 0
		.amdhsa_exception_int_div_zero 0
	.end_amdhsa_kernel
	.section	.text._ZL32rocblas_gemvt_warp_reduce_kernelILb0ELi1024EiPKDF16_PKfKPDF16_EviiT3_lPKT2_lT1_lS9_lSA_lS6_lPT4_lSA_li,"axG",@progbits,_ZL32rocblas_gemvt_warp_reduce_kernelILb0ELi1024EiPKDF16_PKfKPDF16_EviiT3_lPKT2_lT1_lS9_lSA_lS6_lPT4_lSA_li,comdat
.Lfunc_end452:
	.size	_ZL32rocblas_gemvt_warp_reduce_kernelILb0ELi1024EiPKDF16_PKfKPDF16_EviiT3_lPKT2_lT1_lS9_lSA_lS6_lPT4_lSA_li, .Lfunc_end452-_ZL32rocblas_gemvt_warp_reduce_kernelILb0ELi1024EiPKDF16_PKfKPDF16_EviiT3_lPKT2_lT1_lS9_lSA_lS6_lPT4_lSA_li
                                        ; -- End function
	.section	.AMDGPU.csdata,"",@progbits
; Kernel info:
; codeLenInByte = 1384
; NumSgprs: 29
; NumVgprs: 12
; NumAgprs: 0
; TotalNumVgprs: 12
; ScratchSize: 0
; MemoryBound: 0
; FloatMode: 240
; IeeeMode: 1
; LDSByteSize: 256 bytes/workgroup (compile time only)
; SGPRBlocks: 3
; VGPRBlocks: 1
; NumSGPRsForWavesPerEU: 29
; NumVGPRsForWavesPerEU: 12
; AccumOffset: 12
; Occupancy: 8
; WaveLimiterHint : 1
; COMPUTE_PGM_RSRC2:SCRATCH_EN: 0
; COMPUTE_PGM_RSRC2:USER_SGPR: 2
; COMPUTE_PGM_RSRC2:TRAP_HANDLER: 0
; COMPUTE_PGM_RSRC2:TGID_X_EN: 1
; COMPUTE_PGM_RSRC2:TGID_Y_EN: 0
; COMPUTE_PGM_RSRC2:TGID_Z_EN: 1
; COMPUTE_PGM_RSRC2:TIDIG_COMP_CNT: 0
; COMPUTE_PGM_RSRC3_GFX90A:ACCUM_OFFSET: 2
; COMPUTE_PGM_RSRC3_GFX90A:TG_SPLIT: 0
	.section	.text._ZL32rocblas_gemvt_warp_reduce_kernelILb0ELi1024ElPKDF16_PKfKPDF16_EviiT3_lPKT2_lT1_lS9_lSA_lS6_lPT4_lSA_li,"axG",@progbits,_ZL32rocblas_gemvt_warp_reduce_kernelILb0ELi1024ElPKDF16_PKfKPDF16_EviiT3_lPKT2_lT1_lS9_lSA_lS6_lPT4_lSA_li,comdat
	.globl	_ZL32rocblas_gemvt_warp_reduce_kernelILb0ELi1024ElPKDF16_PKfKPDF16_EviiT3_lPKT2_lT1_lS9_lSA_lS6_lPT4_lSA_li ; -- Begin function _ZL32rocblas_gemvt_warp_reduce_kernelILb0ELi1024ElPKDF16_PKfKPDF16_EviiT3_lPKT2_lT1_lS9_lSA_lS6_lPT4_lSA_li
	.p2align	8
	.type	_ZL32rocblas_gemvt_warp_reduce_kernelILb0ELi1024ElPKDF16_PKfKPDF16_EviiT3_lPKT2_lT1_lS9_lSA_lS6_lPT4_lSA_li,@function
_ZL32rocblas_gemvt_warp_reduce_kernelILb0ELi1024ElPKDF16_PKfKPDF16_EviiT3_lPKT2_lT1_lS9_lSA_lS6_lPT4_lSA_li: ; @_ZL32rocblas_gemvt_warp_reduce_kernelILb0ELi1024ElPKDF16_PKfKPDF16_EviiT3_lPKT2_lT1_lS9_lSA_lS6_lPT4_lSA_li
; %bb.0:
	s_load_dwordx8 s[12:19], s[0:1], 0x8
	s_load_dwordx8 s[4:11], s[0:1], 0x58
	s_mov_b32 s24, s3
	s_waitcnt lgkmcnt(0)
	s_mul_i32 s3, s3, s15
	s_mul_hi_u32 s15, s24, s14
	s_add_i32 s15, s15, s3
	s_mul_i32 s14, s24, s14
	s_lshl_b64 s[14:15], s[14:15], 2
	s_add_u32 s12, s12, s14
	s_mul_i32 s3, s24, s7
	s_mul_hi_u32 s7, s24, s6
	s_addc_u32 s13, s13, s15
	s_add_i32 s7, s7, s3
	s_mul_i32 s6, s24, s6
	s_lshl_b64 s[6:7], s[6:7], 2
	s_add_u32 s4, s4, s6
	s_addc_u32 s5, s5, s7
	s_load_dword s30, s[12:13], 0x0
	s_load_dword s3, s[4:5], 0x0
	s_waitcnt lgkmcnt(0)
	v_cmp_eq_f32_e64 s[26:27], s30, 0
	v_cmp_eq_f32_e64 s[4:5], s3, 1.0
	s_and_b64 s[4:5], s[26:27], s[4:5]
	s_and_b64 vcc, exec, s[4:5]
	s_cbranch_vccnz .LBB453_33
; %bb.1:
	s_load_dwordx2 s[20:21], s[0:1], 0x28
	s_load_dwordx2 s[12:13], s[0:1], 0x78
	s_mov_b32 s25, 0
	v_cmp_neq_f32_e64 s[28:29], s30, 0
	s_mov_b64 s[14:15], 0
	s_and_b64 vcc, exec, s[26:27]
	s_mov_b64 s[22:23], 0
	s_cbranch_vccnz .LBB453_3
; %bb.2:
	s_lshl_b64 s[4:5], s[24:25], 3
	s_add_u32 s4, s16, s4
	s_addc_u32 s5, s17, s5
	s_load_dwordx2 s[4:5], s[4:5], 0x0
	s_lshl_b64 s[6:7], s[18:19], 1
	s_waitcnt lgkmcnt(0)
	s_add_u32 s22, s4, s6
	s_addc_u32 s23, s5, s7
.LBB453_3:
	s_load_dwordx4 s[4:7], s[0:1], 0x38
	s_load_dwordx2 s[16:17], s[0:1], 0x48
	s_andn2_b64 vcc, exec, s[28:29]
	s_cbranch_vccnz .LBB453_5
; %bb.4:
	s_lshl_b64 s[14:15], s[24:25], 3
	s_waitcnt lgkmcnt(0)
	s_add_u32 s4, s4, s14
	s_addc_u32 s5, s5, s15
	s_load_dwordx2 s[4:5], s[4:5], 0x0
	s_lshl_b64 s[6:7], s[6:7], 1
	s_waitcnt lgkmcnt(0)
	s_add_u32 s14, s4, s6
	s_addc_u32 s15, s5, s7
.LBB453_5:
	s_waitcnt lgkmcnt(0)
	s_lshl_b64 s[4:5], s[24:25], 3
	s_add_u32 s4, s8, s4
	s_addc_u32 s5, s9, s5
	s_load_dwordx2 s[4:5], s[4:5], 0x0
	s_lshl_b64 s[6:7], s[10:11], 1
	s_waitcnt lgkmcnt(0)
	s_add_u32 s24, s4, s6
	s_addc_u32 s25, s5, s7
	s_andn2_b64 vcc, exec, s[26:27]
	v_cmp_eq_u32_e64 s[4:5], 0, v0
	s_cbranch_vccnz .LBB453_9
; %bb.6:
	s_mov_b64 s[10:11], 0
	s_mov_b64 s[6:7], 0
                                        ; implicit-def: $vgpr1
                                        ; implicit-def: $sgpr8_sgpr9
	s_and_saveexec_b64 s[18:19], s[4:5]
	s_cbranch_execz .LBB453_10
; %bb.7:
	s_ashr_i32 s6, s2, 31
	s_mul_i32 s7, s2, s13
	s_mul_hi_u32 s8, s2, s12
	v_cmp_eq_f32_e64 s[4:5], s3, 0
	s_add_i32 s7, s8, s7
	s_mul_i32 s6, s6, s12
	s_add_i32 s9, s7, s6
	s_mul_i32 s8, s2, s12
	s_and_b64 vcc, exec, s[4:5]
	s_cbranch_vccnz .LBB453_11
; %bb.8:
	s_lshl_b64 s[4:5], s[8:9], 1
	s_add_u32 s4, s24, s4
	s_addc_u32 s5, s25, s5
	v_mov_b32_e32 v1, 0
	global_load_ushort v1, v1, s[4:5]
	s_waitcnt vmcnt(0)
	v_fma_mixlo_f16 v1, s3, v1, 0 op_sel_hi:[0,1,0]
	s_mov_b64 s[6:7], exec
	s_or_b64 exec, exec, s[18:19]
	s_and_b64 vcc, exec, s[10:11]
	s_cbranch_vccz .LBB453_31
	s_branch .LBB453_12
.LBB453_9:
	s_mov_b64 s[6:7], 0
                                        ; implicit-def: $vgpr1
                                        ; implicit-def: $sgpr8_sgpr9
	s_cbranch_execnz .LBB453_12
	s_branch .LBB453_31
.LBB453_10:
	s_or_b64 exec, exec, s[18:19]
	s_and_b64 vcc, exec, s[10:11]
	s_cbranch_vccnz .LBB453_12
	s_branch .LBB453_31
.LBB453_11:
	v_mov_b32_e32 v1, 0
	s_mov_b64 s[6:7], exec
	s_or_b64 exec, exec, s[18:19]
	s_and_b64 vcc, exec, s[10:11]
	s_cbranch_vccz .LBB453_31
.LBB453_12:
	s_load_dword s1, s[0:1], 0x0
	s_ashr_i32 s26, s2, 31
	s_mul_i32 s0, s2, s21
	s_mul_hi_u32 s4, s2, s20
	s_add_i32 s0, s4, s0
	s_mul_i32 s4, s26, s20
	s_add_i32 s5, s0, s4
	s_mul_i32 s4, s2, s20
	s_lshl_b64 s[4:5], s[4:5], 1
	s_add_u32 s4, s4, s22
	s_addc_u32 s5, s5, s23
	s_waitcnt lgkmcnt(0)
	s_ashr_i32 s0, s1, 31
	v_cmp_gt_i32_e32 vcc, s1, v0
	s_lshr_b32 s0, s0, 22
	s_add_i32 s0, s1, s0
	v_cndmask_b32_e32 v1, 0, v0, vcc
	v_mov_b32_e32 v3, 0
	v_lshlrev_b32_e32 v2, 1, v1
	s_and_b32 s0, s0, 0xfffffc00
	v_lshl_add_u64 v[4:5], s[4:5], 0, v[2:3]
	v_cmp_gt_i32_e32 vcc, s0, v0
	s_and_saveexec_b64 s[4:5], vcc
	s_cbranch_execz .LBB453_16
; %bb.13:
	v_mad_u64_u32 v[2:3], s[8:9], s16, v0, 0
	v_mov_b32_e32 v6, v3
	v_mad_u64_u32 v[6:7], s[8:9], s17, v0, v[6:7]
	v_mov_b32_e32 v3, v6
	v_lshl_add_u64 v[6:7], v[2:3], 1, s[14:15]
	s_lshl_b64 s[10:11], s[16:17], 11
	s_mov_b64 s[8:9], 0
	v_mov_b32_e32 v3, 0
	s_mov_b64 s[18:19], 0x800
	v_mov_b64_e32 v[8:9], v[4:5]
	v_mov_b32_e32 v1, v0
.LBB453_14:                             ; =>This Inner Loop Header: Depth=1
	flat_load_ushort v2, v[8:9]
	flat_load_ushort v10, v[6:7]
	v_add_u32_e32 v1, 0x400, v1
	v_cmp_le_i32_e32 vcc, s0, v1
	v_lshl_add_u64 v[8:9], v[8:9], 0, s[18:19]
	v_lshl_add_u64 v[6:7], v[6:7], 0, s[10:11]
	s_or_b64 s[8:9], vcc, s[8:9]
	s_waitcnt vmcnt(0) lgkmcnt(0)
	v_mul_f16_e32 v2, v2, v10
	v_cvt_f32_f16_e32 v2, v2
	v_add_f32_e32 v3, v3, v2
	s_andn2_b64 exec, exec, s[8:9]
	s_cbranch_execnz .LBB453_14
; %bb.15:
	s_or_b64 exec, exec, s[8:9]
.LBB453_16:
	s_or_b64 exec, exec, s[4:5]
	v_or_b32_e32 v1, s0, v0
	v_cmp_gt_i32_e32 vcc, s1, v1
	s_and_saveexec_b64 s[4:5], vcc
	s_cbranch_execz .LBB453_18
; %bb.17:
	s_ashr_i32 s1, s0, 31
	v_lshl_add_u64 v[4:5], s[0:1], 1, v[4:5]
	flat_load_ushort v2, v[4:5]
	v_ashrrev_i32_e32 v4, 31, v1
	v_mul_lo_u32 v6, v1, s17
	v_mul_lo_u32 v7, v4, s16
	v_mad_u64_u32 v[4:5], s[0:1], v1, s16, 0
	v_add3_u32 v5, v5, v6, v7
	v_lshl_add_u64 v[4:5], v[4:5], 1, s[14:15]
	flat_load_ushort v1, v[4:5]
	s_waitcnt vmcnt(0) lgkmcnt(0)
	v_mul_f16_e32 v1, v2, v1
	v_cvt_f32_f16_e32 v1, v1
	v_add_f32_e32 v3, v3, v1
.LBB453_18:
	s_or_b64 exec, exec, s[4:5]
	v_and_b32_e32 v2, 63, v0
	v_cmp_gt_u32_e32 vcc, 64, v0
	v_lshlrev_b32_e32 v1, 2, v2
	s_and_saveexec_b64 s[0:1], vcc
	s_cbranch_execz .LBB453_20
; %bb.19:
	v_mov_b32_e32 v4, 0
	ds_write_b32 v1, v4
.LBB453_20:
	s_or_b64 exec, exec, s[0:1]
	v_mbcnt_lo_u32_b32 v4, -1, 0
	v_mbcnt_hi_u32_b32 v6, -1, v4
	v_and_b32_e32 v7, 63, v6
	v_cmp_gt_u32_e64 s[0:1], 32, v7
	s_waitcnt lgkmcnt(0)
	s_barrier
	v_cndmask_b32_e64 v4, 0, 1, s[0:1]
	v_lshlrev_b32_e32 v4, 5, v4
	v_add_lshl_u32 v4, v4, v6, 2
	ds_bpermute_b32 v4, v4, v3
	v_cmp_gt_u32_e64 s[0:1], 48, v7
	s_waitcnt lgkmcnt(0)
	v_add_f32_e32 v3, v3, v4
	v_cndmask_b32_e64 v5, 0, 1, s[0:1]
	v_lshlrev_b32_e32 v5, 4, v5
	v_add_lshl_u32 v4, v5, v6, 2
	ds_bpermute_b32 v4, v4, v3
	v_cmp_gt_u32_e64 s[0:1], 56, v7
	s_waitcnt lgkmcnt(0)
	v_add_f32_e32 v4, v3, v4
	;; [unrolled: 7-line block ×4, first 2 shown]
	v_cndmask_b32_e64 v9, 0, 1, s[0:1]
	v_lshlrev_b32_e32 v9, 1, v9
	v_add_lshl_u32 v5, v9, v6, 2
	ds_bpermute_b32 v9, v5, v8
	v_cmp_ne_u32_e64 s[0:1], 63, v7
	s_waitcnt lgkmcnt(0)
	v_add_f32_e32 v7, v8, v9
	v_addc_co_u32_e64 v6, s[0:1], 0, v6, s[0:1]
	v_lshlrev_b32_e32 v6, 2, v6
	ds_bpermute_b32 v8, v6, v7
	v_cmp_eq_u32_e64 s[0:1], 0, v2
	s_and_saveexec_b64 s[4:5], s[0:1]
	s_cbranch_execz .LBB453_22
; %bb.21:
	v_lshrrev_b32_e32 v2, 4, v0
	v_and_b32_e32 v2, 60, v2
	s_waitcnt lgkmcnt(0)
	v_add_f32_e32 v7, v7, v8
	ds_write_b32 v2, v7
.LBB453_22:
	s_or_b64 exec, exec, s[4:5]
	v_cmp_gt_u32_e64 s[0:1], 16, v0
	v_mov_b32_e32 v2, 0
	s_waitcnt lgkmcnt(0)
	s_barrier
	s_and_saveexec_b64 s[4:5], s[0:1]
	s_cbranch_execz .LBB453_24
; %bb.23:
	ds_read_b32 v2, v1
	s_or_b64 exec, exec, s[4:5]
	s_and_saveexec_b64 s[0:1], vcc
	s_cbranch_execz .LBB453_26
	s_branch .LBB453_25
.LBB453_24:
	s_or_b64 exec, exec, s[4:5]
	s_and_saveexec_b64 s[0:1], vcc
	s_cbranch_execz .LBB453_26
.LBB453_25:
	s_waitcnt lgkmcnt(0)
	ds_bpermute_b32 v1, v3, v2
	s_waitcnt lgkmcnt(0)
	v_add_f32_e32 v1, v2, v1
	ds_bpermute_b32 v2, v4, v1
	s_waitcnt lgkmcnt(0)
	v_add_f32_e32 v1, v1, v2
	;; [unrolled: 3-line block ×4, first 2 shown]
.LBB453_26:
	s_or_b64 exec, exec, s[0:1]
	v_cmp_eq_u32_e32 vcc, 0, v0
                                        ; implicit-def: $vgpr1
                                        ; implicit-def: $sgpr8_sgpr9
	s_and_saveexec_b64 s[0:1], vcc
	s_cbranch_execz .LBB453_30
; %bb.27:
	s_mul_i32 s8, s2, s13
	s_mul_hi_u32 s9, s2, s12
	v_cmp_eq_f32_e64 s[4:5], s3, 0
	s_add_i32 s8, s9, s8
	s_mul_i32 s9, s26, s12
	s_waitcnt lgkmcnt(0)
	v_mul_f32_e32 v0, s30, v2
	s_add_i32 s9, s8, s9
	s_mul_i32 s8, s2, s12
	s_and_b64 vcc, exec, s[4:5]
	s_cbranch_vccnz .LBB453_29
; %bb.28:
	s_lshl_b64 s[4:5], s[8:9], 1
	s_add_u32 s4, s24, s4
	s_addc_u32 s5, s25, s5
	v_mov_b32_e32 v1, 0
	global_load_ushort v1, v1, s[4:5]
	s_waitcnt vmcnt(0)
	v_fma_mix_f32 v0, s3, v1, v0 op_sel_hi:[0,1,0]
.LBB453_29:
	v_cvt_f16_f32_e32 v1, v0
	s_or_b64 s[6:7], s[6:7], exec
.LBB453_30:
	s_or_b64 exec, exec, s[0:1]
.LBB453_31:
	s_and_saveexec_b64 s[0:1], s[6:7]
	s_cbranch_execz .LBB453_33
; %bb.32:
	s_lshl_b64 s[0:1], s[8:9], 1
	s_add_u32 s0, s24, s0
	s_addc_u32 s1, s25, s1
	v_mov_b32_e32 v0, 0
	global_store_short v0, v1, s[0:1]
.LBB453_33:
	s_endpgm
	.section	.rodata,"a",@progbits
	.p2align	6, 0x0
	.amdhsa_kernel _ZL32rocblas_gemvt_warp_reduce_kernelILb0ELi1024ElPKDF16_PKfKPDF16_EviiT3_lPKT2_lT1_lS9_lSA_lS6_lPT4_lSA_li
		.amdhsa_group_segment_fixed_size 256
		.amdhsa_private_segment_fixed_size 0
		.amdhsa_kernarg_size 140
		.amdhsa_user_sgpr_count 2
		.amdhsa_user_sgpr_dispatch_ptr 0
		.amdhsa_user_sgpr_queue_ptr 0
		.amdhsa_user_sgpr_kernarg_segment_ptr 1
		.amdhsa_user_sgpr_dispatch_id 0
		.amdhsa_user_sgpr_kernarg_preload_length 0
		.amdhsa_user_sgpr_kernarg_preload_offset 0
		.amdhsa_user_sgpr_private_segment_size 0
		.amdhsa_uses_dynamic_stack 0
		.amdhsa_enable_private_segment 0
		.amdhsa_system_sgpr_workgroup_id_x 1
		.amdhsa_system_sgpr_workgroup_id_y 0
		.amdhsa_system_sgpr_workgroup_id_z 1
		.amdhsa_system_sgpr_workgroup_info 0
		.amdhsa_system_vgpr_workitem_id 0
		.amdhsa_next_free_vgpr 11
		.amdhsa_next_free_sgpr 31
		.amdhsa_accum_offset 12
		.amdhsa_reserve_vcc 1
		.amdhsa_float_round_mode_32 0
		.amdhsa_float_round_mode_16_64 0
		.amdhsa_float_denorm_mode_32 3
		.amdhsa_float_denorm_mode_16_64 3
		.amdhsa_dx10_clamp 1
		.amdhsa_ieee_mode 1
		.amdhsa_fp16_overflow 0
		.amdhsa_tg_split 0
		.amdhsa_exception_fp_ieee_invalid_op 0
		.amdhsa_exception_fp_denorm_src 0
		.amdhsa_exception_fp_ieee_div_zero 0
		.amdhsa_exception_fp_ieee_overflow 0
		.amdhsa_exception_fp_ieee_underflow 0
		.amdhsa_exception_fp_ieee_inexact 0
		.amdhsa_exception_int_div_zero 0
	.end_amdhsa_kernel
	.section	.text._ZL32rocblas_gemvt_warp_reduce_kernelILb0ELi1024ElPKDF16_PKfKPDF16_EviiT3_lPKT2_lT1_lS9_lSA_lS6_lPT4_lSA_li,"axG",@progbits,_ZL32rocblas_gemvt_warp_reduce_kernelILb0ELi1024ElPKDF16_PKfKPDF16_EviiT3_lPKT2_lT1_lS9_lSA_lS6_lPT4_lSA_li,comdat
.Lfunc_end453:
	.size	_ZL32rocblas_gemvt_warp_reduce_kernelILb0ELi1024ElPKDF16_PKfKPDF16_EviiT3_lPKT2_lT1_lS9_lSA_lS6_lPT4_lSA_li, .Lfunc_end453-_ZL32rocblas_gemvt_warp_reduce_kernelILb0ELi1024ElPKDF16_PKfKPDF16_EviiT3_lPKT2_lT1_lS9_lSA_lS6_lPT4_lSA_li
                                        ; -- End function
	.section	.AMDGPU.csdata,"",@progbits
; Kernel info:
; codeLenInByte = 1484
; NumSgprs: 37
; NumVgprs: 11
; NumAgprs: 0
; TotalNumVgprs: 11
; ScratchSize: 0
; MemoryBound: 0
; FloatMode: 240
; IeeeMode: 1
; LDSByteSize: 256 bytes/workgroup (compile time only)
; SGPRBlocks: 4
; VGPRBlocks: 1
; NumSGPRsForWavesPerEU: 37
; NumVGPRsForWavesPerEU: 11
; AccumOffset: 12
; Occupancy: 8
; WaveLimiterHint : 1
; COMPUTE_PGM_RSRC2:SCRATCH_EN: 0
; COMPUTE_PGM_RSRC2:USER_SGPR: 2
; COMPUTE_PGM_RSRC2:TRAP_HANDLER: 0
; COMPUTE_PGM_RSRC2:TGID_X_EN: 1
; COMPUTE_PGM_RSRC2:TGID_Y_EN: 0
; COMPUTE_PGM_RSRC2:TGID_Z_EN: 1
; COMPUTE_PGM_RSRC2:TIDIG_COMP_CNT: 0
; COMPUTE_PGM_RSRC3_GFX90A:ACCUM_OFFSET: 2
; COMPUTE_PGM_RSRC3_GFX90A:TG_SPLIT: 0
	.section	.text._ZL32rocblas_gemvt_warp_reduce_kernelILb0ELi1024EiPKDF16_fKPDF16_EviiT3_lPKT2_lT1_lS7_lS8_lS4_lPT4_lS8_li,"axG",@progbits,_ZL32rocblas_gemvt_warp_reduce_kernelILb0ELi1024EiPKDF16_fKPDF16_EviiT3_lPKT2_lT1_lS7_lS8_lS4_lPT4_lS8_li,comdat
	.globl	_ZL32rocblas_gemvt_warp_reduce_kernelILb0ELi1024EiPKDF16_fKPDF16_EviiT3_lPKT2_lT1_lS7_lS8_lS4_lPT4_lS8_li ; -- Begin function _ZL32rocblas_gemvt_warp_reduce_kernelILb0ELi1024EiPKDF16_fKPDF16_EviiT3_lPKT2_lT1_lS7_lS8_lS4_lPT4_lS8_li
	.p2align	8
	.type	_ZL32rocblas_gemvt_warp_reduce_kernelILb0ELi1024EiPKDF16_fKPDF16_EviiT3_lPKT2_lT1_lS7_lS8_lS4_lPT4_lS8_li,@function
_ZL32rocblas_gemvt_warp_reduce_kernelILb0ELi1024EiPKDF16_fKPDF16_EviiT3_lPKT2_lT1_lS7_lS8_lS4_lPT4_lS8_li: ; @_ZL32rocblas_gemvt_warp_reduce_kernelILb0ELi1024EiPKDF16_fKPDF16_EviiT3_lPKT2_lT1_lS7_lS8_lS4_lPT4_lS8_li
; %bb.0:
	s_mov_b32 s12, s3
	s_load_dword s18, s[0:1], 0x8
	s_load_dword s3, s[0:1], 0x58
	s_waitcnt lgkmcnt(0)
	v_cmp_eq_f32_e64 s[4:5], s18, 0
	v_cmp_eq_f32_e64 s[6:7], s3, 1.0
	s_and_b64 s[6:7], s[4:5], s[6:7]
	s_and_b64 vcc, exec, s[6:7]
	s_cbranch_vccnz .LBB454_35
; %bb.1:
	v_cmp_neq_f32_e64 s[8:9], s18, 0
	s_mov_b32 s13, 0
	s_and_b64 vcc, exec, s[8:9]
	s_cbranch_vccnz .LBB454_3
; %bb.2:
	s_mov_b64 s[10:11], 0
	s_cbranch_execz .LBB454_4
	s_branch .LBB454_5
.LBB454_3:
                                        ; implicit-def: $sgpr10_sgpr11
.LBB454_4:
	s_load_dwordx4 s[20:23], s[0:1], 0x18
	s_lshl_b64 s[6:7], s[12:13], 3
	s_waitcnt lgkmcnt(0)
	s_add_u32 s6, s20, s6
	s_addc_u32 s7, s21, s7
	s_load_dwordx2 s[6:7], s[6:7], 0x0
	s_lshl_b64 s[10:11], s[22:23], 1
	s_waitcnt lgkmcnt(0)
	s_add_u32 s10, s6, s10
	s_addc_u32 s11, s7, s11
.LBB454_5:
	s_mov_b64 s[6:7], 0
	s_andn2_b64 vcc, exec, s[8:9]
	s_mov_b64 s[8:9], 0
	s_cbranch_vccnz .LBB454_7
; %bb.6:
	s_load_dwordx4 s[20:23], s[0:1], 0x38
	s_lshl_b64 s[8:9], s[12:13], 3
	s_waitcnt lgkmcnt(0)
	s_add_u32 s8, s20, s8
	s_addc_u32 s9, s21, s9
	s_load_dwordx2 s[8:9], s[8:9], 0x0
	s_lshl_b64 s[14:15], s[22:23], 1
	s_waitcnt lgkmcnt(0)
	s_add_u32 s8, s8, s14
	s_addc_u32 s9, s9, s15
.LBB454_7:
	s_load_dwordx4 s[24:27], s[0:1], 0x68
	s_load_dword s21, s[0:1], 0x78
	s_lshl_b64 s[12:13], s[12:13], 3
	s_waitcnt lgkmcnt(0)
	s_add_u32 s12, s24, s12
	s_addc_u32 s13, s25, s13
	s_load_dwordx2 s[12:13], s[12:13], 0x0
	s_lshl_b64 s[14:15], s[26:27], 1
	s_waitcnt lgkmcnt(0)
	s_add_u32 s19, s12, s14
	s_addc_u32 s20, s13, s15
	s_andn2_b64 vcc, exec, s[4:5]
	v_cmp_eq_u32_e64 s[4:5], 0, v0
	s_cbranch_vccnz .LBB454_11
; %bb.8:
	s_mov_b64 s[14:15], 0
                                        ; implicit-def: $vgpr1
                                        ; implicit-def: $sgpr12_sgpr13
	s_and_saveexec_b64 s[16:17], s[4:5]
	s_cbranch_execz .LBB454_12
; %bb.9:
	v_cmp_eq_f32_e64 s[4:5], s3, 0
	s_mul_i32 s12, s2, s21
	s_ashr_i32 s13, s12, 31
	s_and_b64 vcc, exec, s[4:5]
	s_cbranch_vccnz .LBB454_13
; %bb.10:
	s_lshl_b64 s[4:5], s[12:13], 1
	s_add_u32 s4, s19, s4
	s_addc_u32 s5, s20, s5
	v_mov_b32_e32 v1, 0
	global_load_ushort v1, v1, s[4:5]
	s_waitcnt vmcnt(0)
	v_fma_mixlo_f16 v1, v1, s3, 0 op_sel_hi:[1,0,0]
	s_mov_b64 s[6:7], exec
	s_or_b64 exec, exec, s[16:17]
	s_and_b64 vcc, exec, s[14:15]
	s_cbranch_vccz .LBB454_33
	s_branch .LBB454_14
.LBB454_11:
                                        ; implicit-def: $vgpr1
                                        ; implicit-def: $sgpr12_sgpr13
	s_cbranch_execnz .LBB454_14
	s_branch .LBB454_33
.LBB454_12:
	s_or_b64 exec, exec, s[16:17]
	s_and_b64 vcc, exec, s[14:15]
	s_cbranch_vccnz .LBB454_14
	s_branch .LBB454_33
.LBB454_13:
	v_mov_b32_e32 v1, 0
	s_mov_b64 s[6:7], exec
	s_or_b64 exec, exec, s[16:17]
	s_and_b64 vcc, exec, s[14:15]
	s_cbranch_vccz .LBB454_33
.LBB454_14:
	s_load_dword s15, s[0:1], 0x0
	s_load_dword s4, s[0:1], 0x28
	;; [unrolled: 1-line block ×3, first 2 shown]
	v_mov_b32_e32 v3, 0
	s_waitcnt lgkmcnt(0)
	v_cmp_gt_i32_e32 vcc, s15, v0
	s_mul_i32 s0, s2, s4
	s_ashr_i32 s1, s0, 31
	s_lshl_b64 s[0:1], s[0:1], 1
	v_cndmask_b32_e32 v1, 0, v0, vcc
	s_add_u32 s0, s0, s10
	v_lshlrev_b32_e32 v2, 1, v1
	s_addc_u32 s1, s1, s11
	v_lshl_add_u64 v[4:5], s[0:1], 0, v[2:3]
	s_ashr_i32 s0, s15, 31
	s_lshr_b32 s0, s0, 22
	s_add_i32 s0, s15, s0
	s_and_b32 s0, s0, 0xfffffc00
	v_cmp_gt_i32_e32 vcc, s0, v0
	s_and_saveexec_b64 s[4:5], vcc
	s_cbranch_execz .LBB454_18
; %bb.15:
	v_mul_lo_u32 v6, v0, s14
	s_lshl_b32 s1, s14, 10
	s_mov_b64 s[10:11], 0
	v_mov_b32_e32 v3, 0
	s_mov_b64 s[12:13], 0x800
	v_mov_b64_e32 v[8:9], v[4:5]
	v_mov_b32_e32 v1, v0
.LBB454_16:                             ; =>This Inner Loop Header: Depth=1
	v_ashrrev_i32_e32 v7, 31, v6
	v_lshl_add_u64 v[10:11], v[6:7], 1, s[8:9]
	flat_load_ushort v2, v[8:9]
	flat_load_ushort v7, v[10:11]
	v_add_u32_e32 v1, 0x400, v1
	v_cmp_le_i32_e32 vcc, s0, v1
	v_lshl_add_u64 v[8:9], v[8:9], 0, s[12:13]
	v_add_u32_e32 v6, s1, v6
	s_or_b64 s[10:11], vcc, s[10:11]
	s_waitcnt vmcnt(0) lgkmcnt(0)
	v_mul_f16_e32 v2, v2, v7
	v_cvt_f32_f16_e32 v2, v2
	v_add_f32_e32 v3, v3, v2
	s_andn2_b64 exec, exec, s[10:11]
	s_cbranch_execnz .LBB454_16
; %bb.17:
	s_or_b64 exec, exec, s[10:11]
.LBB454_18:
	s_or_b64 exec, exec, s[4:5]
	v_or_b32_e32 v1, s0, v0
	v_cmp_gt_i32_e32 vcc, s15, v1
	s_and_saveexec_b64 s[4:5], vcc
	s_cbranch_execz .LBB454_20
; %bb.19:
	s_ashr_i32 s1, s0, 31
	v_lshl_add_u64 v[4:5], s[0:1], 1, v[4:5]
	flat_load_ushort v2, v[4:5]
	v_mul_lo_u32 v4, v1, s14
	v_ashrrev_i32_e32 v5, 31, v4
	v_lshl_add_u64 v[4:5], v[4:5], 1, s[8:9]
	flat_load_ushort v1, v[4:5]
	s_waitcnt vmcnt(0) lgkmcnt(0)
	v_mul_f16_e32 v1, v2, v1
	v_cvt_f32_f16_e32 v1, v1
	v_add_f32_e32 v3, v3, v1
.LBB454_20:
	s_or_b64 exec, exec, s[4:5]
	v_and_b32_e32 v2, 63, v0
	v_cmp_gt_u32_e32 vcc, 64, v0
	v_lshlrev_b32_e32 v1, 2, v2
	s_and_saveexec_b64 s[0:1], vcc
	s_cbranch_execz .LBB454_22
; %bb.21:
	v_mov_b32_e32 v4, 0
	ds_write_b32 v1, v4
.LBB454_22:
	s_or_b64 exec, exec, s[0:1]
	v_mbcnt_lo_u32_b32 v4, -1, 0
	v_mbcnt_hi_u32_b32 v6, -1, v4
	v_and_b32_e32 v7, 63, v6
	v_cmp_gt_u32_e64 s[0:1], 32, v7
	s_waitcnt lgkmcnt(0)
	s_barrier
	v_cndmask_b32_e64 v4, 0, 1, s[0:1]
	v_lshlrev_b32_e32 v4, 5, v4
	v_add_lshl_u32 v4, v4, v6, 2
	ds_bpermute_b32 v4, v4, v3
	v_cmp_gt_u32_e64 s[0:1], 48, v7
	s_waitcnt lgkmcnt(0)
	v_add_f32_e32 v3, v3, v4
	v_cndmask_b32_e64 v5, 0, 1, s[0:1]
	v_lshlrev_b32_e32 v5, 4, v5
	v_add_lshl_u32 v4, v5, v6, 2
	ds_bpermute_b32 v4, v4, v3
	v_cmp_gt_u32_e64 s[0:1], 56, v7
	s_waitcnt lgkmcnt(0)
	v_add_f32_e32 v4, v3, v4
	;; [unrolled: 7-line block ×4, first 2 shown]
	v_cndmask_b32_e64 v9, 0, 1, s[0:1]
	v_lshlrev_b32_e32 v9, 1, v9
	v_add_lshl_u32 v5, v9, v6, 2
	ds_bpermute_b32 v9, v5, v8
	v_cmp_ne_u32_e64 s[0:1], 63, v7
	s_waitcnt lgkmcnt(0)
	v_add_f32_e32 v7, v8, v9
	v_addc_co_u32_e64 v6, s[0:1], 0, v6, s[0:1]
	v_lshlrev_b32_e32 v6, 2, v6
	ds_bpermute_b32 v8, v6, v7
	v_cmp_eq_u32_e64 s[0:1], 0, v2
	s_and_saveexec_b64 s[4:5], s[0:1]
	s_cbranch_execz .LBB454_24
; %bb.23:
	v_lshrrev_b32_e32 v2, 4, v0
	v_and_b32_e32 v2, 60, v2
	s_waitcnt lgkmcnt(0)
	v_add_f32_e32 v7, v7, v8
	ds_write_b32 v2, v7
.LBB454_24:
	s_or_b64 exec, exec, s[4:5]
	v_cmp_gt_u32_e64 s[0:1], 16, v0
	v_mov_b32_e32 v2, 0
	s_waitcnt lgkmcnt(0)
	s_barrier
	s_and_saveexec_b64 s[4:5], s[0:1]
	s_cbranch_execz .LBB454_26
; %bb.25:
	ds_read_b32 v2, v1
	s_or_b64 exec, exec, s[4:5]
	s_and_saveexec_b64 s[0:1], vcc
	s_cbranch_execz .LBB454_28
	s_branch .LBB454_27
.LBB454_26:
	s_or_b64 exec, exec, s[4:5]
	s_and_saveexec_b64 s[0:1], vcc
	s_cbranch_execz .LBB454_28
.LBB454_27:
	s_waitcnt lgkmcnt(0)
	ds_bpermute_b32 v1, v3, v2
	s_waitcnt lgkmcnt(0)
	v_add_f32_e32 v1, v2, v1
	ds_bpermute_b32 v2, v4, v1
	s_waitcnt lgkmcnt(0)
	v_add_f32_e32 v1, v1, v2
	ds_bpermute_b32 v2, v5, v1
	s_waitcnt lgkmcnt(0)
	v_add_f32_e32 v1, v1, v2
	ds_bpermute_b32 v2, v6, v1
	s_waitcnt lgkmcnt(0)
	v_add_f32_e32 v2, v1, v2
.LBB454_28:
	s_or_b64 exec, exec, s[0:1]
	v_cmp_eq_u32_e32 vcc, 0, v0
                                        ; implicit-def: $vgpr1
                                        ; implicit-def: $sgpr12_sgpr13
	s_and_saveexec_b64 s[0:1], vcc
	s_cbranch_execz .LBB454_32
; %bb.29:
	v_cmp_eq_f32_e64 s[4:5], s3, 0
	s_mul_i32 s12, s2, s21
	s_waitcnt lgkmcnt(0)
	v_mul_f32_e32 v0, s18, v2
	s_ashr_i32 s13, s12, 31
	s_and_b64 vcc, exec, s[4:5]
	s_cbranch_vccnz .LBB454_31
; %bb.30:
	s_lshl_b64 s[4:5], s[12:13], 1
	s_add_u32 s4, s19, s4
	s_addc_u32 s5, s20, s5
	v_mov_b32_e32 v1, 0
	global_load_ushort v1, v1, s[4:5]
	s_waitcnt vmcnt(0)
	v_fma_mix_f32 v0, v1, s3, v0 op_sel_hi:[1,0,0]
.LBB454_31:
	s_nop 0
	v_cvt_f16_f32_e32 v1, v0
	s_or_b64 s[6:7], s[6:7], exec
.LBB454_32:
	s_or_b64 exec, exec, s[0:1]
.LBB454_33:
	s_and_saveexec_b64 s[0:1], s[6:7]
	s_cbranch_execz .LBB454_35
; %bb.34:
	s_lshl_b64 s[0:1], s[12:13], 1
	s_add_u32 s0, s19, s0
	s_addc_u32 s1, s20, s1
	v_mov_b32_e32 v0, 0
	global_store_short v0, v1, s[0:1]
.LBB454_35:
	s_endpgm
	.section	.rodata,"a",@progbits
	.p2align	6, 0x0
	.amdhsa_kernel _ZL32rocblas_gemvt_warp_reduce_kernelILb0ELi1024EiPKDF16_fKPDF16_EviiT3_lPKT2_lT1_lS7_lS8_lS4_lPT4_lS8_li
		.amdhsa_group_segment_fixed_size 256
		.amdhsa_private_segment_fixed_size 0
		.amdhsa_kernarg_size 140
		.amdhsa_user_sgpr_count 2
		.amdhsa_user_sgpr_dispatch_ptr 0
		.amdhsa_user_sgpr_queue_ptr 0
		.amdhsa_user_sgpr_kernarg_segment_ptr 1
		.amdhsa_user_sgpr_dispatch_id 0
		.amdhsa_user_sgpr_kernarg_preload_length 0
		.amdhsa_user_sgpr_kernarg_preload_offset 0
		.amdhsa_user_sgpr_private_segment_size 0
		.amdhsa_uses_dynamic_stack 0
		.amdhsa_enable_private_segment 0
		.amdhsa_system_sgpr_workgroup_id_x 1
		.amdhsa_system_sgpr_workgroup_id_y 0
		.amdhsa_system_sgpr_workgroup_id_z 1
		.amdhsa_system_sgpr_workgroup_info 0
		.amdhsa_system_vgpr_workitem_id 0
		.amdhsa_next_free_vgpr 12
		.amdhsa_next_free_sgpr 28
		.amdhsa_accum_offset 12
		.amdhsa_reserve_vcc 1
		.amdhsa_float_round_mode_32 0
		.amdhsa_float_round_mode_16_64 0
		.amdhsa_float_denorm_mode_32 3
		.amdhsa_float_denorm_mode_16_64 3
		.amdhsa_dx10_clamp 1
		.amdhsa_ieee_mode 1
		.amdhsa_fp16_overflow 0
		.amdhsa_tg_split 0
		.amdhsa_exception_fp_ieee_invalid_op 0
		.amdhsa_exception_fp_denorm_src 0
		.amdhsa_exception_fp_ieee_div_zero 0
		.amdhsa_exception_fp_ieee_overflow 0
		.amdhsa_exception_fp_ieee_underflow 0
		.amdhsa_exception_fp_ieee_inexact 0
		.amdhsa_exception_int_div_zero 0
	.end_amdhsa_kernel
	.section	.text._ZL32rocblas_gemvt_warp_reduce_kernelILb0ELi1024EiPKDF16_fKPDF16_EviiT3_lPKT2_lT1_lS7_lS8_lS4_lPT4_lS8_li,"axG",@progbits,_ZL32rocblas_gemvt_warp_reduce_kernelILb0ELi1024EiPKDF16_fKPDF16_EviiT3_lPKT2_lT1_lS7_lS8_lS4_lPT4_lS8_li,comdat
.Lfunc_end454:
	.size	_ZL32rocblas_gemvt_warp_reduce_kernelILb0ELi1024EiPKDF16_fKPDF16_EviiT3_lPKT2_lT1_lS7_lS8_lS4_lPT4_lS8_li, .Lfunc_end454-_ZL32rocblas_gemvt_warp_reduce_kernelILb0ELi1024EiPKDF16_fKPDF16_EviiT3_lPKT2_lT1_lS7_lS8_lS4_lPT4_lS8_li
                                        ; -- End function
	.section	.AMDGPU.csdata,"",@progbits
; Kernel info:
; codeLenInByte = 1340
; NumSgprs: 34
; NumVgprs: 12
; NumAgprs: 0
; TotalNumVgprs: 12
; ScratchSize: 0
; MemoryBound: 0
; FloatMode: 240
; IeeeMode: 1
; LDSByteSize: 256 bytes/workgroup (compile time only)
; SGPRBlocks: 4
; VGPRBlocks: 1
; NumSGPRsForWavesPerEU: 34
; NumVGPRsForWavesPerEU: 12
; AccumOffset: 12
; Occupancy: 8
; WaveLimiterHint : 1
; COMPUTE_PGM_RSRC2:SCRATCH_EN: 0
; COMPUTE_PGM_RSRC2:USER_SGPR: 2
; COMPUTE_PGM_RSRC2:TRAP_HANDLER: 0
; COMPUTE_PGM_RSRC2:TGID_X_EN: 1
; COMPUTE_PGM_RSRC2:TGID_Y_EN: 0
; COMPUTE_PGM_RSRC2:TGID_Z_EN: 1
; COMPUTE_PGM_RSRC2:TIDIG_COMP_CNT: 0
; COMPUTE_PGM_RSRC3_GFX90A:ACCUM_OFFSET: 2
; COMPUTE_PGM_RSRC3_GFX90A:TG_SPLIT: 0
	.section	.text._ZL32rocblas_gemvt_warp_reduce_kernelILb0ELi1024ElPKDF16_fKPDF16_EviiT3_lPKT2_lT1_lS7_lS8_lS4_lPT4_lS8_li,"axG",@progbits,_ZL32rocblas_gemvt_warp_reduce_kernelILb0ELi1024ElPKDF16_fKPDF16_EviiT3_lPKT2_lT1_lS7_lS8_lS4_lPT4_lS8_li,comdat
	.globl	_ZL32rocblas_gemvt_warp_reduce_kernelILb0ELi1024ElPKDF16_fKPDF16_EviiT3_lPKT2_lT1_lS7_lS8_lS4_lPT4_lS8_li ; -- Begin function _ZL32rocblas_gemvt_warp_reduce_kernelILb0ELi1024ElPKDF16_fKPDF16_EviiT3_lPKT2_lT1_lS7_lS8_lS4_lPT4_lS8_li
	.p2align	8
	.type	_ZL32rocblas_gemvt_warp_reduce_kernelILb0ELi1024ElPKDF16_fKPDF16_EviiT3_lPKT2_lT1_lS7_lS8_lS4_lPT4_lS8_li,@function
_ZL32rocblas_gemvt_warp_reduce_kernelILb0ELi1024ElPKDF16_fKPDF16_EviiT3_lPKT2_lT1_lS7_lS8_lS4_lPT4_lS8_li: ; @_ZL32rocblas_gemvt_warp_reduce_kernelILb0ELi1024ElPKDF16_fKPDF16_EviiT3_lPKT2_lT1_lS7_lS8_lS4_lPT4_lS8_li
; %bb.0:
	s_mov_b32 s20, s3
	s_load_dword s24, s[0:1], 0x8
	s_load_dword s3, s[0:1], 0x58
	s_waitcnt lgkmcnt(0)
	v_cmp_eq_f32_e64 s[18:19], s24, 0
	v_cmp_eq_f32_e64 s[4:5], s3, 1.0
	s_and_b64 s[4:5], s[18:19], s[4:5]
	s_and_b64 vcc, exec, s[4:5]
	s_cbranch_vccnz .LBB455_35
; %bb.1:
	s_load_dwordx4 s[4:7], s[0:1], 0x18
	s_load_dwordx2 s[14:15], s[0:1], 0x28
	v_cmp_neq_f32_e64 s[12:13], s24, 0
	s_mov_b32 s21, 0
	s_and_b64 vcc, exec, s[12:13]
	s_cbranch_vccnz .LBB455_3
; %bb.2:
	s_mov_b64 s[16:17], 0
	s_cbranch_execz .LBB455_4
	s_branch .LBB455_5
.LBB455_3:
                                        ; implicit-def: $sgpr16_sgpr17
.LBB455_4:
	s_lshl_b64 s[8:9], s[20:21], 3
	s_waitcnt lgkmcnt(0)
	s_add_u32 s4, s4, s8
	s_addc_u32 s5, s5, s9
	s_load_dwordx2 s[4:5], s[4:5], 0x0
	s_lshl_b64 s[6:7], s[6:7], 1
	s_waitcnt lgkmcnt(0)
	s_add_u32 s16, s4, s6
	s_addc_u32 s17, s5, s7
.LBB455_5:
	s_waitcnt lgkmcnt(0)
	s_load_dwordx4 s[4:7], s[0:1], 0x38
	s_load_dwordx2 s[10:11], s[0:1], 0x48
	s_mov_b64 s[8:9], 0
	s_andn2_b64 vcc, exec, s[12:13]
	s_mov_b64 s[12:13], 0
	s_cbranch_vccnz .LBB455_7
; %bb.6:
	s_lshl_b64 s[12:13], s[20:21], 3
	s_waitcnt lgkmcnt(0)
	s_add_u32 s4, s4, s12
	s_addc_u32 s5, s5, s13
	s_load_dwordx2 s[4:5], s[4:5], 0x0
	s_lshl_b64 s[6:7], s[6:7], 1
	s_waitcnt lgkmcnt(0)
	s_add_u32 s12, s4, s6
	s_addc_u32 s13, s5, s7
.LBB455_7:
	s_load_dwordx4 s[28:31], s[0:1], 0x68
	s_waitcnt lgkmcnt(0)
	s_load_dwordx2 s[6:7], s[0:1], 0x78
	s_lshl_b64 s[4:5], s[20:21], 3
	s_add_u32 s4, s28, s4
	s_addc_u32 s5, s29, s5
	s_load_dwordx2 s[4:5], s[4:5], 0x0
	s_lshl_b64 s[20:21], s[30:31], 1
	s_waitcnt lgkmcnt(0)
	s_add_u32 s25, s4, s20
	s_addc_u32 s26, s5, s21
	s_andn2_b64 vcc, exec, s[18:19]
	v_cmp_eq_u32_e64 s[4:5], 0, v0
	s_cbranch_vccnz .LBB455_11
; %bb.8:
	s_mov_b64 s[20:21], 0
                                        ; implicit-def: $vgpr1
                                        ; implicit-def: $sgpr18_sgpr19
	s_and_saveexec_b64 s[22:23], s[4:5]
	s_cbranch_execz .LBB455_12
; %bb.9:
	s_ashr_i32 s8, s2, 31
	s_mul_i32 s9, s2, s7
	s_mul_hi_u32 s18, s2, s6
	v_cmp_eq_f32_e64 s[4:5], s3, 0
	s_add_i32 s9, s18, s9
	s_mul_i32 s8, s8, s6
	s_add_i32 s19, s9, s8
	s_mul_i32 s18, s2, s6
	s_and_b64 vcc, exec, s[4:5]
	s_cbranch_vccnz .LBB455_13
; %bb.10:
	s_lshl_b64 s[4:5], s[18:19], 1
	s_add_u32 s4, s25, s4
	s_addc_u32 s5, s26, s5
	v_mov_b32_e32 v1, 0
	global_load_ushort v1, v1, s[4:5]
	s_waitcnt vmcnt(0)
	v_fma_mixlo_f16 v1, v1, s3, 0 op_sel_hi:[1,0,0]
	s_mov_b64 s[8:9], exec
	s_or_b64 exec, exec, s[22:23]
	s_and_b64 vcc, exec, s[20:21]
	s_cbranch_vccz .LBB455_33
	s_branch .LBB455_14
.LBB455_11:
                                        ; implicit-def: $vgpr1
                                        ; implicit-def: $sgpr18_sgpr19
	s_cbranch_execnz .LBB455_14
	s_branch .LBB455_33
.LBB455_12:
	s_or_b64 exec, exec, s[22:23]
	s_and_b64 vcc, exec, s[20:21]
	s_cbranch_vccnz .LBB455_14
	s_branch .LBB455_33
.LBB455_13:
	v_mov_b32_e32 v1, 0
	s_mov_b64 s[8:9], exec
	s_or_b64 exec, exec, s[22:23]
	s_and_b64 vcc, exec, s[20:21]
	s_cbranch_vccz .LBB455_33
.LBB455_14:
	s_load_dword s1, s[0:1], 0x0
	s_ashr_i32 s20, s2, 31
	s_mul_i32 s0, s2, s15
	s_mul_hi_u32 s4, s2, s14
	s_add_i32 s0, s4, s0
	s_mul_i32 s4, s20, s14
	s_add_i32 s5, s0, s4
	s_mul_i32 s4, s2, s14
	s_lshl_b64 s[4:5], s[4:5], 1
	s_add_u32 s4, s4, s16
	s_addc_u32 s5, s5, s17
	s_waitcnt lgkmcnt(0)
	s_ashr_i32 s0, s1, 31
	v_cmp_gt_i32_e32 vcc, s1, v0
	s_lshr_b32 s0, s0, 22
	s_add_i32 s0, s1, s0
	v_cndmask_b32_e32 v1, 0, v0, vcc
	v_mov_b32_e32 v3, 0
	v_lshlrev_b32_e32 v2, 1, v1
	s_and_b32 s0, s0, 0xfffffc00
	v_lshl_add_u64 v[4:5], s[4:5], 0, v[2:3]
	v_cmp_gt_i32_e32 vcc, s0, v0
	s_and_saveexec_b64 s[4:5], vcc
	s_cbranch_execz .LBB455_18
; %bb.15:
	v_mad_u64_u32 v[2:3], s[14:15], s10, v0, 0
	v_mov_b32_e32 v6, v3
	v_mad_u64_u32 v[6:7], s[14:15], s11, v0, v[6:7]
	v_mov_b32_e32 v3, v6
	v_lshl_add_u64 v[6:7], v[2:3], 1, s[12:13]
	s_lshl_b64 s[16:17], s[10:11], 11
	s_mov_b64 s[14:15], 0
	v_mov_b32_e32 v3, 0
	s_mov_b64 s[18:19], 0x800
	v_mov_b64_e32 v[8:9], v[4:5]
	v_mov_b32_e32 v1, v0
.LBB455_16:                             ; =>This Inner Loop Header: Depth=1
	flat_load_ushort v2, v[8:9]
	flat_load_ushort v10, v[6:7]
	v_add_u32_e32 v1, 0x400, v1
	v_cmp_le_i32_e32 vcc, s0, v1
	v_lshl_add_u64 v[8:9], v[8:9], 0, s[18:19]
	v_lshl_add_u64 v[6:7], v[6:7], 0, s[16:17]
	s_or_b64 s[14:15], vcc, s[14:15]
	s_waitcnt vmcnt(0) lgkmcnt(0)
	v_mul_f16_e32 v2, v2, v10
	v_cvt_f32_f16_e32 v2, v2
	v_add_f32_e32 v3, v3, v2
	s_andn2_b64 exec, exec, s[14:15]
	s_cbranch_execnz .LBB455_16
; %bb.17:
	s_or_b64 exec, exec, s[14:15]
.LBB455_18:
	s_or_b64 exec, exec, s[4:5]
	v_or_b32_e32 v1, s0, v0
	v_cmp_gt_i32_e32 vcc, s1, v1
	s_and_saveexec_b64 s[4:5], vcc
	s_cbranch_execz .LBB455_20
; %bb.19:
	s_ashr_i32 s1, s0, 31
	v_lshl_add_u64 v[4:5], s[0:1], 1, v[4:5]
	flat_load_ushort v2, v[4:5]
	v_ashrrev_i32_e32 v4, 31, v1
	v_mul_lo_u32 v6, v1, s11
	v_mul_lo_u32 v7, v4, s10
	v_mad_u64_u32 v[4:5], s[0:1], v1, s10, 0
	v_add3_u32 v5, v5, v6, v7
	v_lshl_add_u64 v[4:5], v[4:5], 1, s[12:13]
	flat_load_ushort v1, v[4:5]
	s_waitcnt vmcnt(0) lgkmcnt(0)
	v_mul_f16_e32 v1, v2, v1
	v_cvt_f32_f16_e32 v1, v1
	v_add_f32_e32 v3, v3, v1
.LBB455_20:
	s_or_b64 exec, exec, s[4:5]
	v_and_b32_e32 v2, 63, v0
	v_cmp_gt_u32_e32 vcc, 64, v0
	v_lshlrev_b32_e32 v1, 2, v2
	s_and_saveexec_b64 s[0:1], vcc
	s_cbranch_execz .LBB455_22
; %bb.21:
	v_mov_b32_e32 v4, 0
	ds_write_b32 v1, v4
.LBB455_22:
	s_or_b64 exec, exec, s[0:1]
	v_mbcnt_lo_u32_b32 v4, -1, 0
	v_mbcnt_hi_u32_b32 v6, -1, v4
	v_and_b32_e32 v7, 63, v6
	v_cmp_gt_u32_e64 s[0:1], 32, v7
	s_waitcnt lgkmcnt(0)
	s_barrier
	v_cndmask_b32_e64 v4, 0, 1, s[0:1]
	v_lshlrev_b32_e32 v4, 5, v4
	v_add_lshl_u32 v4, v4, v6, 2
	ds_bpermute_b32 v4, v4, v3
	v_cmp_gt_u32_e64 s[0:1], 48, v7
	s_waitcnt lgkmcnt(0)
	v_add_f32_e32 v3, v3, v4
	v_cndmask_b32_e64 v5, 0, 1, s[0:1]
	v_lshlrev_b32_e32 v5, 4, v5
	v_add_lshl_u32 v4, v5, v6, 2
	ds_bpermute_b32 v4, v4, v3
	v_cmp_gt_u32_e64 s[0:1], 56, v7
	s_waitcnt lgkmcnt(0)
	v_add_f32_e32 v4, v3, v4
	;; [unrolled: 7-line block ×4, first 2 shown]
	v_cndmask_b32_e64 v9, 0, 1, s[0:1]
	v_lshlrev_b32_e32 v9, 1, v9
	v_add_lshl_u32 v5, v9, v6, 2
	ds_bpermute_b32 v9, v5, v8
	v_cmp_ne_u32_e64 s[0:1], 63, v7
	s_waitcnt lgkmcnt(0)
	v_add_f32_e32 v7, v8, v9
	v_addc_co_u32_e64 v6, s[0:1], 0, v6, s[0:1]
	v_lshlrev_b32_e32 v6, 2, v6
	ds_bpermute_b32 v8, v6, v7
	v_cmp_eq_u32_e64 s[0:1], 0, v2
	s_and_saveexec_b64 s[4:5], s[0:1]
	s_cbranch_execz .LBB455_24
; %bb.23:
	v_lshrrev_b32_e32 v2, 4, v0
	v_and_b32_e32 v2, 60, v2
	s_waitcnt lgkmcnt(0)
	v_add_f32_e32 v7, v7, v8
	ds_write_b32 v2, v7
.LBB455_24:
	s_or_b64 exec, exec, s[4:5]
	v_cmp_gt_u32_e64 s[0:1], 16, v0
	v_mov_b32_e32 v2, 0
	s_waitcnt lgkmcnt(0)
	s_barrier
	s_and_saveexec_b64 s[4:5], s[0:1]
	s_cbranch_execz .LBB455_26
; %bb.25:
	ds_read_b32 v2, v1
	s_or_b64 exec, exec, s[4:5]
	s_and_saveexec_b64 s[0:1], vcc
	s_cbranch_execz .LBB455_28
	s_branch .LBB455_27
.LBB455_26:
	s_or_b64 exec, exec, s[4:5]
	s_and_saveexec_b64 s[0:1], vcc
	s_cbranch_execz .LBB455_28
.LBB455_27:
	s_waitcnt lgkmcnt(0)
	ds_bpermute_b32 v1, v3, v2
	s_waitcnt lgkmcnt(0)
	v_add_f32_e32 v1, v2, v1
	ds_bpermute_b32 v2, v4, v1
	s_waitcnt lgkmcnt(0)
	v_add_f32_e32 v1, v1, v2
	;; [unrolled: 3-line block ×4, first 2 shown]
.LBB455_28:
	s_or_b64 exec, exec, s[0:1]
	v_cmp_eq_u32_e32 vcc, 0, v0
                                        ; implicit-def: $vgpr1
                                        ; implicit-def: $sgpr18_sgpr19
	s_and_saveexec_b64 s[0:1], vcc
	s_cbranch_execz .LBB455_32
; %bb.29:
	s_mul_i32 s7, s2, s7
	s_mul_hi_u32 s10, s2, s6
	v_cmp_eq_f32_e64 s[4:5], s3, 0
	s_add_i32 s7, s10, s7
	s_mul_i32 s10, s20, s6
	s_waitcnt lgkmcnt(0)
	v_mul_f32_e32 v0, s24, v2
	s_add_i32 s19, s7, s10
	s_mul_i32 s18, s2, s6
	s_and_b64 vcc, exec, s[4:5]
	s_cbranch_vccnz .LBB455_31
; %bb.30:
	s_lshl_b64 s[4:5], s[18:19], 1
	s_add_u32 s4, s25, s4
	s_addc_u32 s5, s26, s5
	v_mov_b32_e32 v1, 0
	global_load_ushort v1, v1, s[4:5]
	s_waitcnt vmcnt(0)
	v_fma_mix_f32 v0, v1, s3, v0 op_sel_hi:[1,0,0]
.LBB455_31:
	s_nop 0
	v_cvt_f16_f32_e32 v1, v0
	s_or_b64 s[8:9], s[8:9], exec
.LBB455_32:
	s_or_b64 exec, exec, s[0:1]
.LBB455_33:
	s_and_saveexec_b64 s[0:1], s[8:9]
	s_cbranch_execz .LBB455_35
; %bb.34:
	s_lshl_b64 s[0:1], s[18:19], 1
	s_add_u32 s0, s25, s0
	s_addc_u32 s1, s26, s1
	v_mov_b32_e32 v0, 0
	global_store_short v0, v1, s[0:1]
.LBB455_35:
	s_endpgm
	.section	.rodata,"a",@progbits
	.p2align	6, 0x0
	.amdhsa_kernel _ZL32rocblas_gemvt_warp_reduce_kernelILb0ELi1024ElPKDF16_fKPDF16_EviiT3_lPKT2_lT1_lS7_lS8_lS4_lPT4_lS8_li
		.amdhsa_group_segment_fixed_size 256
		.amdhsa_private_segment_fixed_size 0
		.amdhsa_kernarg_size 140
		.amdhsa_user_sgpr_count 2
		.amdhsa_user_sgpr_dispatch_ptr 0
		.amdhsa_user_sgpr_queue_ptr 0
		.amdhsa_user_sgpr_kernarg_segment_ptr 1
		.amdhsa_user_sgpr_dispatch_id 0
		.amdhsa_user_sgpr_kernarg_preload_length 0
		.amdhsa_user_sgpr_kernarg_preload_offset 0
		.amdhsa_user_sgpr_private_segment_size 0
		.amdhsa_uses_dynamic_stack 0
		.amdhsa_enable_private_segment 0
		.amdhsa_system_sgpr_workgroup_id_x 1
		.amdhsa_system_sgpr_workgroup_id_y 0
		.amdhsa_system_sgpr_workgroup_id_z 1
		.amdhsa_system_sgpr_workgroup_info 0
		.amdhsa_system_vgpr_workitem_id 0
		.amdhsa_next_free_vgpr 11
		.amdhsa_next_free_sgpr 32
		.amdhsa_accum_offset 12
		.amdhsa_reserve_vcc 1
		.amdhsa_float_round_mode_32 0
		.amdhsa_float_round_mode_16_64 0
		.amdhsa_float_denorm_mode_32 3
		.amdhsa_float_denorm_mode_16_64 3
		.amdhsa_dx10_clamp 1
		.amdhsa_ieee_mode 1
		.amdhsa_fp16_overflow 0
		.amdhsa_tg_split 0
		.amdhsa_exception_fp_ieee_invalid_op 0
		.amdhsa_exception_fp_denorm_src 0
		.amdhsa_exception_fp_ieee_div_zero 0
		.amdhsa_exception_fp_ieee_overflow 0
		.amdhsa_exception_fp_ieee_underflow 0
		.amdhsa_exception_fp_ieee_inexact 0
		.amdhsa_exception_int_div_zero 0
	.end_amdhsa_kernel
	.section	.text._ZL32rocblas_gemvt_warp_reduce_kernelILb0ELi1024ElPKDF16_fKPDF16_EviiT3_lPKT2_lT1_lS7_lS8_lS4_lPT4_lS8_li,"axG",@progbits,_ZL32rocblas_gemvt_warp_reduce_kernelILb0ELi1024ElPKDF16_fKPDF16_EviiT3_lPKT2_lT1_lS7_lS8_lS4_lPT4_lS8_li,comdat
.Lfunc_end455:
	.size	_ZL32rocblas_gemvt_warp_reduce_kernelILb0ELi1024ElPKDF16_fKPDF16_EviiT3_lPKT2_lT1_lS7_lS8_lS4_lPT4_lS8_li, .Lfunc_end455-_ZL32rocblas_gemvt_warp_reduce_kernelILb0ELi1024ElPKDF16_fKPDF16_EviiT3_lPKT2_lT1_lS7_lS8_lS4_lPT4_lS8_li
                                        ; -- End function
	.section	.AMDGPU.csdata,"",@progbits
; Kernel info:
; codeLenInByte = 1440
; NumSgprs: 38
; NumVgprs: 11
; NumAgprs: 0
; TotalNumVgprs: 11
; ScratchSize: 0
; MemoryBound: 0
; FloatMode: 240
; IeeeMode: 1
; LDSByteSize: 256 bytes/workgroup (compile time only)
; SGPRBlocks: 4
; VGPRBlocks: 1
; NumSGPRsForWavesPerEU: 38
; NumVGPRsForWavesPerEU: 11
; AccumOffset: 12
; Occupancy: 8
; WaveLimiterHint : 1
; COMPUTE_PGM_RSRC2:SCRATCH_EN: 0
; COMPUTE_PGM_RSRC2:USER_SGPR: 2
; COMPUTE_PGM_RSRC2:TRAP_HANDLER: 0
; COMPUTE_PGM_RSRC2:TGID_X_EN: 1
; COMPUTE_PGM_RSRC2:TGID_Y_EN: 0
; COMPUTE_PGM_RSRC2:TGID_Z_EN: 1
; COMPUTE_PGM_RSRC2:TIDIG_COMP_CNT: 0
; COMPUTE_PGM_RSRC3_GFX90A:ACCUM_OFFSET: 2
; COMPUTE_PGM_RSRC3_GFX90A:TG_SPLIT: 0
	.section	.text._ZL22rocblas_gemvtsm_kernelILb1ELi256EPKDF16_PKfKPDF16_EviiT2_lPKT1_lilS9_lilS6_lPT3_lil,"axG",@progbits,_ZL22rocblas_gemvtsm_kernelILb1ELi256EPKDF16_PKfKPDF16_EviiT2_lPKT1_lilS9_lilS6_lPT3_lil,comdat
	.globl	_ZL22rocblas_gemvtsm_kernelILb1ELi256EPKDF16_PKfKPDF16_EviiT2_lPKT1_lilS9_lilS6_lPT3_lil ; -- Begin function _ZL22rocblas_gemvtsm_kernelILb1ELi256EPKDF16_PKfKPDF16_EviiT2_lPKT1_lilS9_lilS6_lPT3_lil
	.p2align	8
	.type	_ZL22rocblas_gemvtsm_kernelILb1ELi256EPKDF16_PKfKPDF16_EviiT2_lPKT1_lilS9_lilS6_lPT3_lil,@function
_ZL22rocblas_gemvtsm_kernelILb1ELi256EPKDF16_PKfKPDF16_EviiT2_lPKT1_lilS9_lilS6_lPT3_lil: ; @_ZL22rocblas_gemvtsm_kernelILb1ELi256EPKDF16_PKfKPDF16_EviiT2_lPKT1_lilS9_lilS6_lPT3_lil
; %bb.0:
	s_load_dwordx8 s[12:19], s[0:1], 0x8
	s_load_dwordx8 s[4:11], s[0:1], 0x58
	s_waitcnt lgkmcnt(0)
	s_mul_i32 s3, s2, s15
	s_mul_hi_u32 s15, s2, s14
	s_add_i32 s15, s15, s3
	s_mul_i32 s14, s2, s14
	s_lshl_b64 s[14:15], s[14:15], 2
	s_add_u32 s12, s12, s14
	s_mul_i32 s3, s2, s7
	s_mul_hi_u32 s7, s2, s6
	s_addc_u32 s13, s13, s15
	s_add_i32 s7, s7, s3
	s_mul_i32 s6, s2, s6
	s_lshl_b64 s[6:7], s[6:7], 2
	s_add_u32 s4, s4, s6
	s_addc_u32 s5, s5, s7
	s_load_dword s23, s[12:13], 0x0
	s_load_dword s22, s[4:5], 0x0
	s_waitcnt lgkmcnt(0)
	v_cmp_eq_f32_e64 s[20:21], s23, 0
	v_cmp_eq_f32_e64 s[4:5], s22, 1.0
	s_and_b64 s[4:5], s[20:21], s[4:5]
	s_and_b64 vcc, exec, s[4:5]
	s_cbranch_vccnz .LBB456_38
; %bb.1:
	s_mov_b32 s3, 0
	v_cmp_neq_f32_e64 s[12:13], s23, 0
	s_mov_b64 s[6:7], 0
	s_and_b64 vcc, exec, s[20:21]
	s_mov_b64 s[4:5], 0
	s_cbranch_vccnz .LBB456_3
; %bb.2:
	s_lshl_b64 s[4:5], s[2:3], 3
	s_add_u32 s4, s16, s4
	s_addc_u32 s5, s17, s5
	s_load_dwordx2 s[4:5], s[4:5], 0x0
	s_lshl_b64 s[14:15], s[18:19], 1
	s_waitcnt lgkmcnt(0)
	s_add_u32 s4, s4, s14
	s_addc_u32 s5, s5, s15
.LBB456_3:
	s_andn2_b64 vcc, exec, s[12:13]
	s_cbranch_vccnz .LBB456_5
; %bb.4:
	s_load_dwordx4 s[12:15], s[0:1], 0x38
	s_lshl_b64 s[6:7], s[2:3], 3
	s_waitcnt lgkmcnt(0)
	s_add_u32 s6, s12, s6
	s_addc_u32 s7, s13, s7
	s_load_dwordx2 s[6:7], s[6:7], 0x0
	s_lshl_b64 s[12:13], s[14:15], 1
	s_waitcnt lgkmcnt(0)
	s_add_u32 s6, s6, s12
	s_addc_u32 s7, s7, s13
.LBB456_5:
	s_lshl_b64 s[2:3], s[2:3], 3
	s_add_u32 s2, s8, s2
	s_addc_u32 s3, s9, s3
	s_load_dwordx2 s[12:13], s[0:1], 0x0
	s_load_dword s14, s[0:1], 0x78
	s_load_dwordx2 s[8:9], s[2:3], 0x0
	s_andn2_b64 vcc, exec, s[20:21]
	s_mov_b64 s[2:3], -1
	s_cbranch_vccnz .LBB456_20
; %bb.6:
	s_waitcnt lgkmcnt(0)
	s_cmp_gt_i32 s13, 0
	s_cselect_b64 s[16:17], -1, 0
	v_cmp_neq_f32_e64 s[2:3], s22, 0
	v_cndmask_b32_e64 v1, 0, 1, s[16:17]
	s_and_b64 vcc, exec, s[2:3]
	v_cmp_ne_u32_e64 s[2:3], 1, v1
	s_cbranch_vccnz .LBB456_13
; %bb.7:
	s_and_b64 vcc, exec, s[2:3]
	s_cbranch_vccnz .LBB456_12
; %bb.8:
	v_mad_i64_i32 v[2:3], s[16:17], s14, v0, 0
	s_ashr_i32 s15, s14, 31
	s_lshl_b64 s[16:17], s[10:11], 1
	s_add_u32 s16, s8, s16
	s_addc_u32 s17, s9, s17
	v_lshl_add_u64 v[2:3], v[2:3], 1, s[16:17]
	s_lshl_b64 s[16:17], s[14:15], 9
	s_mov_b32 s15, 0
	v_mov_b32_e32 v1, 0
	s_branch .LBB456_10
.LBB456_9:                              ;   in Loop: Header=BB456_10 Depth=1
	s_or_b64 exec, exec, s[18:19]
	s_addk_i32 s15, 0x100
	s_cmp_ge_i32 s15, s13
	v_lshl_add_u64 v[2:3], v[2:3], 0, s[16:17]
	s_cbranch_scc1 .LBB456_12
.LBB456_10:                             ; =>This Inner Loop Header: Depth=1
	v_add_u32_e32 v4, s15, v0
	v_cmp_gt_i32_e32 vcc, s13, v4
	s_and_saveexec_b64 s[18:19], vcc
	s_cbranch_execz .LBB456_9
; %bb.11:                               ;   in Loop: Header=BB456_10 Depth=1
	global_store_short v[2:3], v1, off
	s_branch .LBB456_9
.LBB456_12:
	s_cbranch_execz .LBB456_14
	s_branch .LBB456_19
.LBB456_13:
.LBB456_14:
	s_and_b64 vcc, exec, s[2:3]
	s_cbranch_vccnz .LBB456_19
; %bb.15:
	v_mad_i64_i32 v[2:3], s[2:3], s14, v0, 0
	s_ashr_i32 s15, s14, 31
	s_lshl_b64 s[2:3], s[10:11], 1
	s_add_u32 s2, s8, s2
	s_addc_u32 s3, s9, s3
	v_lshl_add_u64 v[2:3], v[2:3], 1, s[2:3]
	s_lshl_b64 s[2:3], s[14:15], 9
	s_mov_b32 s15, 0
	s_branch .LBB456_17
.LBB456_16:                             ;   in Loop: Header=BB456_17 Depth=1
	s_or_b64 exec, exec, s[16:17]
	s_addk_i32 s15, 0x100
	s_cmp_ge_i32 s15, s13
	v_lshl_add_u64 v[2:3], v[2:3], 0, s[2:3]
	s_cbranch_scc1 .LBB456_19
.LBB456_17:                             ; =>This Inner Loop Header: Depth=1
	v_add_u32_e32 v1, s15, v0
	v_cmp_gt_i32_e32 vcc, s13, v1
	s_and_saveexec_b64 s[16:17], vcc
	s_cbranch_execz .LBB456_16
; %bb.18:                               ;   in Loop: Header=BB456_17 Depth=1
	global_load_ushort v1, v[2:3], off
	s_waitcnt vmcnt(0)
	v_fma_mixlo_f16 v1, s22, v1, 0 op_sel_hi:[0,1,0]
	global_store_short v[2:3], v1, off
	s_branch .LBB456_16
.LBB456_19:
	s_mov_b64 s[2:3], 0
.LBB456_20:
	s_andn2_b64 vcc, exec, s[2:3]
	s_cbranch_vccnz .LBB456_38
; %bb.21:
	s_waitcnt lgkmcnt(0)
	v_cmp_gt_i32_e32 vcc, s12, v0
	s_and_saveexec_b64 s[2:3], vcc
	s_cbranch_execz .LBB456_23
; %bb.22:
	s_load_dword s15, s[0:1], 0x48
	s_waitcnt lgkmcnt(0)
	v_mad_i64_i32 v[2:3], s[16:17], s15, v0, 0
	v_lshl_add_u64 v[2:3], v[2:3], 1, s[6:7]
	flat_load_ushort v1, v[2:3]
	v_lshlrev_b32_e32 v2, 2, v0
	s_waitcnt vmcnt(0) lgkmcnt(0)
	v_cvt_f32_f16_e32 v1, v1
	v_mul_f32_e32 v1, s23, v1
	ds_write_b32 v2, v1
.LBB456_23:
	s_or_b64 exec, exec, s[2:3]
	s_cmp_lt_i32 s13, 1
	s_waitcnt lgkmcnt(0)
	s_barrier
	s_cbranch_scc1 .LBB456_38
; %bb.24:
	s_load_dword s0, s[0:1], 0x28
	s_lshl_b64 s[2:3], s[10:11], 1
	s_add_u32 s8, s8, s2
	s_addc_u32 s9, s9, s3
	s_ashr_i32 s15, s14, 31
	s_waitcnt lgkmcnt(0)
	s_ashr_i32 s1, s0, 31
	s_cmp_gt_i32 s12, 0
	s_cselect_b64 s[2:3], -1, 0
	s_and_b32 s20, s12, 7
	s_cmp_gt_u32 s12, 7
	s_cselect_b64 s[6:7], -1, 0
	s_and_b32 s12, s12, 0x7ffffff8
	s_cmp_lg_u32 s20, 0
	v_mad_i64_i32 v[2:3], s[16:17], s0, v0, 0
	s_cselect_b64 s[18:19], -1, 0
	s_lshl_b64 s[16:17], s[0:1], 9
	v_cmp_neq_f32_e64 s[0:1], s22, 0
	v_lshl_add_u64 v[2:3], v[2:3], 1, s[4:5]
	s_mov_b32 s11, 0
	v_cndmask_b32_e64 v1, 0, 1, s[0:1]
	v_cmp_ne_u32_e64 s[0:1], 1, v1
	v_cndmask_b32_e64 v1, 0, 1, s[2:3]
	v_cmp_ne_u32_e64 s[2:3], 1, v1
	;; [unrolled: 2-line block ×4, first 2 shown]
	s_mov_b32 s21, 0
	s_branch .LBB456_27
.LBB456_25:                             ;   in Loop: Header=BB456_27 Depth=1
	v_cvt_f16_f32_e32 v1, v1
	global_store_short v[4:5], v1, off
.LBB456_26:                             ;   in Loop: Header=BB456_27 Depth=1
	s_or_b64 exec, exec, s[18:19]
	s_addk_i32 s21, 0x100
	s_cmp_ge_i32 s21, s13
	v_lshl_add_u64 v[2:3], v[2:3], 0, s[16:17]
	s_cbranch_scc1 .LBB456_38
.LBB456_27:                             ; =>This Loop Header: Depth=1
                                        ;     Child Loop BB456_33 Depth 2
                                        ;     Child Loop BB456_37 Depth 2
	v_add_u32_e32 v1, s21, v0
	v_cmp_gt_i32_e32 vcc, s13, v1
	s_and_saveexec_b64 s[18:19], vcc
	s_cbranch_execz .LBB456_26
; %bb.28:                               ;   in Loop: Header=BB456_27 Depth=1
	v_mad_u64_u32 v[4:5], s[24:25], v1, s14, 0
	v_mov_b32_e32 v6, v5
	v_mad_u64_u32 v[6:7], s[24:25], v1, s15, v[6:7]
	v_mov_b32_e32 v5, v6
	s_and_b64 vcc, exec, s[0:1]
	v_lshl_add_u64 v[4:5], v[4:5], 1, s[8:9]
	s_cbranch_vccnz .LBB456_30
; %bb.29:                               ;   in Loop: Header=BB456_27 Depth=1
	global_load_ushort v1, v[4:5], off
	s_waitcnt vmcnt(0)
	v_cvt_f32_f16_e32 v1, v1
	v_mul_f32_e32 v1, s22, v1
	s_and_b64 vcc, exec, s[2:3]
	s_cbranch_vccz .LBB456_31
	s_branch .LBB456_25
.LBB456_30:                             ;   in Loop: Header=BB456_27 Depth=1
	v_mov_b32_e32 v1, 0
	s_and_b64 vcc, exec, s[2:3]
	s_cbranch_vccnz .LBB456_25
.LBB456_31:                             ;   in Loop: Header=BB456_27 Depth=1
	s_mov_b32 s10, 0
	s_and_b64 vcc, exec, s[4:5]
	s_cbranch_vccnz .LBB456_35
; %bb.32:                               ;   in Loop: Header=BB456_27 Depth=1
	s_mov_b32 s23, 0
	v_mov_b64_e32 v[6:7], v[2:3]
.LBB456_33:                             ;   Parent Loop BB456_27 Depth=1
                                        ; =>  This Inner Loop Header: Depth=2
	flat_load_dwordx4 v[8:11], v[6:7]
	v_mov_b32_e32 v16, s10
	ds_read_b128 v[12:15], v16
	ds_read_b128 v[16:19], v16 offset:16
	s_add_i32 s23, s23, 8
	s_add_i32 s10, s10, 32
	v_lshl_add_u64 v[6:7], v[6:7], 0, 16
	s_cmp_eq_u32 s12, s23
	s_waitcnt vmcnt(0) lgkmcnt(0)
	v_fma_mix_f32 v1, v12, v8, v1 op_sel_hi:[0,1,0]
	v_fma_mix_f32 v1, v13, v8, v1 op_sel:[0,1,0] op_sel_hi:[0,1,0]
	v_fma_mix_f32 v1, v14, v9, v1 op_sel_hi:[0,1,0]
	v_fma_mix_f32 v1, v15, v9, v1 op_sel:[0,1,0] op_sel_hi:[0,1,0]
	;; [unrolled: 2-line block ×4, first 2 shown]
	s_cbranch_scc0 .LBB456_33
; %bb.34:                               ;   in Loop: Header=BB456_27 Depth=1
	s_mov_b32 s10, s12
.LBB456_35:                             ;   in Loop: Header=BB456_27 Depth=1
	s_and_b64 vcc, exec, s[6:7]
	s_cbranch_vccnz .LBB456_25
; %bb.36:                               ;   in Loop: Header=BB456_27 Depth=1
	s_lshl_b32 s23, s10, 2
	s_lshl_b32 s10, s10, 1
	v_lshl_add_u64 v[6:7], v[2:3], 0, s[10:11]
	s_mov_b32 s10, s20
.LBB456_37:                             ;   Parent Loop BB456_27 Depth=1
                                        ; =>  This Inner Loop Header: Depth=2
	flat_load_ushort v8, v[6:7]
	v_mov_b32_e32 v9, s23
	ds_read_b32 v9, v9
	s_add_i32 s23, s23, 4
	s_add_i32 s10, s10, -1
	v_lshl_add_u64 v[6:7], v[6:7], 0, 2
	s_cmp_lg_u32 s10, 0
	s_waitcnt vmcnt(0) lgkmcnt(0)
	v_fma_mix_f32 v1, v9, v8, v1 op_sel_hi:[0,1,0]
	s_cbranch_scc1 .LBB456_37
	s_branch .LBB456_25
.LBB456_38:
	s_endpgm
	.section	.rodata,"a",@progbits
	.p2align	6, 0x0
	.amdhsa_kernel _ZL22rocblas_gemvtsm_kernelILb1ELi256EPKDF16_PKfKPDF16_EviiT2_lPKT1_lilS9_lilS6_lPT3_lil
		.amdhsa_group_segment_fixed_size 256
		.amdhsa_private_segment_fixed_size 0
		.amdhsa_kernarg_size 136
		.amdhsa_user_sgpr_count 2
		.amdhsa_user_sgpr_dispatch_ptr 0
		.amdhsa_user_sgpr_queue_ptr 0
		.amdhsa_user_sgpr_kernarg_segment_ptr 1
		.amdhsa_user_sgpr_dispatch_id 0
		.amdhsa_user_sgpr_kernarg_preload_length 0
		.amdhsa_user_sgpr_kernarg_preload_offset 0
		.amdhsa_user_sgpr_private_segment_size 0
		.amdhsa_uses_dynamic_stack 0
		.amdhsa_enable_private_segment 0
		.amdhsa_system_sgpr_workgroup_id_x 1
		.amdhsa_system_sgpr_workgroup_id_y 0
		.amdhsa_system_sgpr_workgroup_id_z 0
		.amdhsa_system_sgpr_workgroup_info 0
		.amdhsa_system_vgpr_workitem_id 0
		.amdhsa_next_free_vgpr 20
		.amdhsa_next_free_sgpr 26
		.amdhsa_accum_offset 20
		.amdhsa_reserve_vcc 1
		.amdhsa_float_round_mode_32 0
		.amdhsa_float_round_mode_16_64 0
		.amdhsa_float_denorm_mode_32 3
		.amdhsa_float_denorm_mode_16_64 3
		.amdhsa_dx10_clamp 1
		.amdhsa_ieee_mode 1
		.amdhsa_fp16_overflow 0
		.amdhsa_tg_split 0
		.amdhsa_exception_fp_ieee_invalid_op 0
		.amdhsa_exception_fp_denorm_src 0
		.amdhsa_exception_fp_ieee_div_zero 0
		.amdhsa_exception_fp_ieee_overflow 0
		.amdhsa_exception_fp_ieee_underflow 0
		.amdhsa_exception_fp_ieee_inexact 0
		.amdhsa_exception_int_div_zero 0
	.end_amdhsa_kernel
	.section	.text._ZL22rocblas_gemvtsm_kernelILb1ELi256EPKDF16_PKfKPDF16_EviiT2_lPKT1_lilS9_lilS6_lPT3_lil,"axG",@progbits,_ZL22rocblas_gemvtsm_kernelILb1ELi256EPKDF16_PKfKPDF16_EviiT2_lPKT1_lilS9_lilS6_lPT3_lil,comdat
.Lfunc_end456:
	.size	_ZL22rocblas_gemvtsm_kernelILb1ELi256EPKDF16_PKfKPDF16_EviiT2_lPKT1_lilS9_lilS6_lPT3_lil, .Lfunc_end456-_ZL22rocblas_gemvtsm_kernelILb1ELi256EPKDF16_PKfKPDF16_EviiT2_lPKT1_lilS9_lilS6_lPT3_lil
                                        ; -- End function
	.section	.AMDGPU.csdata,"",@progbits
; Kernel info:
; codeLenInByte = 1228
; NumSgprs: 32
; NumVgprs: 20
; NumAgprs: 0
; TotalNumVgprs: 20
; ScratchSize: 0
; MemoryBound: 0
; FloatMode: 240
; IeeeMode: 1
; LDSByteSize: 256 bytes/workgroup (compile time only)
; SGPRBlocks: 3
; VGPRBlocks: 2
; NumSGPRsForWavesPerEU: 32
; NumVGPRsForWavesPerEU: 20
; AccumOffset: 20
; Occupancy: 8
; WaveLimiterHint : 1
; COMPUTE_PGM_RSRC2:SCRATCH_EN: 0
; COMPUTE_PGM_RSRC2:USER_SGPR: 2
; COMPUTE_PGM_RSRC2:TRAP_HANDLER: 0
; COMPUTE_PGM_RSRC2:TGID_X_EN: 1
; COMPUTE_PGM_RSRC2:TGID_Y_EN: 0
; COMPUTE_PGM_RSRC2:TGID_Z_EN: 0
; COMPUTE_PGM_RSRC2:TIDIG_COMP_CNT: 0
; COMPUTE_PGM_RSRC3_GFX90A:ACCUM_OFFSET: 4
; COMPUTE_PGM_RSRC3_GFX90A:TG_SPLIT: 0
	.section	.text._ZL22rocblas_gemvtsm_kernelILb1ELi256EPKDF16_fKPDF16_EviiT2_lPKT1_lilS7_lilS4_lPT3_lil,"axG",@progbits,_ZL22rocblas_gemvtsm_kernelILb1ELi256EPKDF16_fKPDF16_EviiT2_lPKT1_lilS7_lilS4_lPT3_lil,comdat
	.globl	_ZL22rocblas_gemvtsm_kernelILb1ELi256EPKDF16_fKPDF16_EviiT2_lPKT1_lilS7_lilS4_lPT3_lil ; -- Begin function _ZL22rocblas_gemvtsm_kernelILb1ELi256EPKDF16_fKPDF16_EviiT2_lPKT1_lilS7_lilS4_lPT3_lil
	.p2align	8
	.type	_ZL22rocblas_gemvtsm_kernelILb1ELi256EPKDF16_fKPDF16_EviiT2_lPKT1_lilS7_lilS4_lPT3_lil,@function
_ZL22rocblas_gemvtsm_kernelILb1ELi256EPKDF16_fKPDF16_EviiT2_lPKT1_lilS7_lilS4_lPT3_lil: ; @_ZL22rocblas_gemvtsm_kernelILb1ELi256EPKDF16_fKPDF16_EviiT2_lPKT1_lilS7_lilS4_lPT3_lil
; %bb.0:
	s_load_dwordx4 s[8:11], s[0:1], 0x0
	s_load_dword s22, s[0:1], 0x58
	s_waitcnt lgkmcnt(0)
	v_cmp_eq_f32_e64 s[18:19], s10, 0
	v_cmp_eq_f32_e64 s[4:5], s22, 1.0
	s_and_b64 s[4:5], s[18:19], s[4:5]
	s_and_b64 vcc, exec, s[4:5]
	s_cbranch_vccnz .LBB457_41
; %bb.1:
	v_cmp_neq_f32_e64 s[4:5], s10, 0
	s_mov_b32 s3, 0
	s_and_b64 vcc, exec, s[4:5]
	s_cbranch_vccnz .LBB457_3
; %bb.2:
	s_mov_b64 s[14:15], 0
	s_cbranch_execz .LBB457_4
	s_branch .LBB457_5
.LBB457_3:
                                        ; implicit-def: $sgpr14_sgpr15
.LBB457_4:
	s_load_dwordx4 s[12:15], s[0:1], 0x18
	s_lshl_b64 s[6:7], s[2:3], 3
	s_waitcnt lgkmcnt(0)
	s_add_u32 s6, s12, s6
	s_addc_u32 s7, s13, s7
	s_load_dwordx2 s[6:7], s[6:7], 0x0
	s_lshl_b64 s[12:13], s[14:15], 1
	s_waitcnt lgkmcnt(0)
	s_add_u32 s14, s6, s12
	s_addc_u32 s15, s7, s13
.LBB457_5:
	s_andn2_b64 vcc, exec, s[4:5]
	s_cbranch_vccnz .LBB457_7
; %bb.6:
	s_load_dwordx4 s[4:7], s[0:1], 0x38
	s_lshl_b64 s[12:13], s[2:3], 3
	s_waitcnt lgkmcnt(0)
	s_add_u32 s4, s4, s12
	s_addc_u32 s5, s5, s13
	s_load_dwordx2 s[4:5], s[4:5], 0x0
	s_lshl_b64 s[6:7], s[6:7], 1
	s_waitcnt lgkmcnt(0)
	s_add_u32 s16, s4, s6
	s_addc_u32 s17, s5, s7
	s_branch .LBB457_8
.LBB457_7:
	s_mov_b64 s[16:17], 0
.LBB457_8:
	s_load_dwordx4 s[4:7], s[0:1], 0x68
	s_load_dword s12, s[0:1], 0x78
	s_lshl_b64 s[2:3], s[2:3], 3
	s_waitcnt lgkmcnt(0)
	s_add_u32 s2, s4, s2
	s_addc_u32 s3, s5, s3
	s_load_dwordx2 s[4:5], s[2:3], 0x0
	s_andn2_b64 vcc, exec, s[18:19]
	s_mov_b64 s[2:3], -1
	s_cbranch_vccnz .LBB457_23
; %bb.9:
	s_cmp_gt_i32 s9, 0
	s_cselect_b64 s[18:19], -1, 0
	v_cmp_neq_f32_e64 s[2:3], s22, 0
	v_cndmask_b32_e64 v1, 0, 1, s[18:19]
	s_and_b64 vcc, exec, s[2:3]
	v_cmp_ne_u32_e64 s[2:3], 1, v1
	s_cbranch_vccnz .LBB457_16
; %bb.10:
	s_and_b64 vcc, exec, s[2:3]
	s_cbranch_vccnz .LBB457_15
; %bb.11:
	v_mad_i64_i32 v[2:3], s[18:19], s12, v0, 0
	s_ashr_i32 s13, s12, 31
	s_lshl_b64 s[18:19], s[6:7], 1
	s_waitcnt lgkmcnt(0)
	s_add_u32 s18, s4, s18
	s_addc_u32 s19, s5, s19
	v_lshl_add_u64 v[2:3], v[2:3], 1, s[18:19]
	s_lshl_b64 s[18:19], s[12:13], 9
	s_mov_b32 s11, 0
	v_mov_b32_e32 v1, 0
	s_branch .LBB457_13
.LBB457_12:                             ;   in Loop: Header=BB457_13 Depth=1
	s_or_b64 exec, exec, s[20:21]
	s_addk_i32 s11, 0x100
	s_cmp_ge_i32 s11, s9
	v_lshl_add_u64 v[2:3], v[2:3], 0, s[18:19]
	s_cbranch_scc1 .LBB457_15
.LBB457_13:                             ; =>This Inner Loop Header: Depth=1
	v_add_u32_e32 v4, s11, v0
	v_cmp_gt_i32_e32 vcc, s9, v4
	s_and_saveexec_b64 s[20:21], vcc
	s_cbranch_execz .LBB457_12
; %bb.14:                               ;   in Loop: Header=BB457_13 Depth=1
	global_store_short v[2:3], v1, off
	s_branch .LBB457_12
.LBB457_15:
	s_cbranch_execz .LBB457_17
	s_branch .LBB457_22
.LBB457_16:
.LBB457_17:
	s_and_b64 vcc, exec, s[2:3]
	s_cbranch_vccnz .LBB457_22
; %bb.18:
	v_mad_i64_i32 v[2:3], s[2:3], s12, v0, 0
	s_ashr_i32 s13, s12, 31
	s_lshl_b64 s[2:3], s[6:7], 1
	s_waitcnt lgkmcnt(0)
	s_add_u32 s2, s4, s2
	s_addc_u32 s3, s5, s3
	v_lshl_add_u64 v[2:3], v[2:3], 1, s[2:3]
	s_lshl_b64 s[2:3], s[12:13], 9
	s_mov_b32 s11, 0
	s_branch .LBB457_20
.LBB457_19:                             ;   in Loop: Header=BB457_20 Depth=1
	s_or_b64 exec, exec, s[18:19]
	s_addk_i32 s11, 0x100
	s_cmp_ge_i32 s11, s9
	v_lshl_add_u64 v[2:3], v[2:3], 0, s[2:3]
	s_cbranch_scc1 .LBB457_22
.LBB457_20:                             ; =>This Inner Loop Header: Depth=1
	v_add_u32_e32 v1, s11, v0
	v_cmp_gt_i32_e32 vcc, s9, v1
	s_and_saveexec_b64 s[18:19], vcc
	s_cbranch_execz .LBB457_19
; %bb.21:                               ;   in Loop: Header=BB457_20 Depth=1
	global_load_ushort v1, v[2:3], off
	s_waitcnt vmcnt(0)
	v_fma_mixlo_f16 v1, v1, s22, 0 op_sel_hi:[1,0,0]
	global_store_short v[2:3], v1, off
	s_branch .LBB457_19
.LBB457_22:
	s_mov_b64 s[2:3], 0
.LBB457_23:
	s_andn2_b64 vcc, exec, s[2:3]
	s_cbranch_vccnz .LBB457_41
; %bb.24:
	v_cmp_gt_i32_e32 vcc, s8, v0
	s_and_saveexec_b64 s[2:3], vcc
	s_cbranch_execz .LBB457_26
; %bb.25:
	s_load_dword s11, s[0:1], 0x48
	s_waitcnt lgkmcnt(0)
	v_mad_i64_i32 v[2:3], s[18:19], s11, v0, 0
	v_lshl_add_u64 v[2:3], v[2:3], 1, s[16:17]
	flat_load_ushort v1, v[2:3]
	v_lshlrev_b32_e32 v2, 2, v0
	s_waitcnt vmcnt(0) lgkmcnt(0)
	v_cvt_f32_f16_e32 v1, v1
	v_mul_f32_e32 v1, s10, v1
	ds_write_b32 v2, v1
.LBB457_26:
	s_or_b64 exec, exec, s[2:3]
	s_cmp_lt_i32 s9, 1
	s_waitcnt lgkmcnt(0)
	s_barrier
	s_cbranch_scc1 .LBB457_41
; %bb.27:
	s_load_dword s0, s[0:1], 0x28
	s_lshl_b64 s[2:3], s[6:7], 1
	s_add_u32 s10, s4, s2
	s_addc_u32 s11, s5, s3
	s_ashr_i32 s13, s12, 31
	s_waitcnt lgkmcnt(0)
	s_ashr_i32 s1, s0, 31
	s_cmp_gt_i32 s8, 0
	s_cselect_b64 s[2:3], -1, 0
	s_and_b32 s20, s8, 7
	s_cmp_gt_u32 s8, 7
	s_cselect_b64 s[4:5], -1, 0
	s_and_b32 s8, s8, 0x7ffffff8
	s_cmp_lg_u32 s20, 0
	v_mad_i64_i32 v[2:3], s[18:19], s0, v0, 0
	s_cselect_b64 s[6:7], -1, 0
	v_lshl_add_u64 v[2:3], v[2:3], 1, s[14:15]
	s_lshl_b64 s[14:15], s[0:1], 9
	v_cmp_neq_f32_e64 s[0:1], s22, 0
	s_mov_b32 s17, 0
	s_mov_b32 s21, 0
	v_cndmask_b32_e64 v1, 0, 1, s[0:1]
	v_cmp_ne_u32_e64 s[0:1], 1, v1
	v_cndmask_b32_e64 v1, 0, 1, s[2:3]
	v_cmp_ne_u32_e64 s[2:3], 1, v1
	;; [unrolled: 2-line block ×4, first 2 shown]
	s_branch .LBB457_30
.LBB457_28:                             ;   in Loop: Header=BB457_30 Depth=1
	v_cvt_f16_f32_e32 v1, v1
	global_store_short v[4:5], v1, off
.LBB457_29:                             ;   in Loop: Header=BB457_30 Depth=1
	s_or_b64 exec, exec, s[18:19]
	s_addk_i32 s21, 0x100
	s_cmp_ge_i32 s21, s9
	v_lshl_add_u64 v[2:3], v[2:3], 0, s[14:15]
	s_cbranch_scc1 .LBB457_41
.LBB457_30:                             ; =>This Loop Header: Depth=1
                                        ;     Child Loop BB457_36 Depth 2
                                        ;     Child Loop BB457_40 Depth 2
	v_add_u32_e32 v1, s21, v0
	v_cmp_gt_i32_e32 vcc, s9, v1
	s_and_saveexec_b64 s[18:19], vcc
	s_cbranch_execz .LBB457_29
; %bb.31:                               ;   in Loop: Header=BB457_30 Depth=1
	v_mad_u64_u32 v[4:5], s[24:25], v1, s12, 0
	v_mov_b32_e32 v6, v5
	v_mad_u64_u32 v[6:7], s[24:25], v1, s13, v[6:7]
	v_mov_b32_e32 v5, v6
	s_and_b64 vcc, exec, s[0:1]
	v_lshl_add_u64 v[4:5], v[4:5], 1, s[10:11]
	s_cbranch_vccnz .LBB457_33
; %bb.32:                               ;   in Loop: Header=BB457_30 Depth=1
	global_load_ushort v1, v[4:5], off
	s_waitcnt vmcnt(0)
	v_cvt_f32_f16_e32 v1, v1
	v_mul_f32_e32 v1, s22, v1
	s_and_b64 vcc, exec, s[2:3]
	s_cbranch_vccz .LBB457_34
	s_branch .LBB457_28
.LBB457_33:                             ;   in Loop: Header=BB457_30 Depth=1
	v_mov_b32_e32 v1, 0
	s_and_b64 vcc, exec, s[2:3]
	s_cbranch_vccnz .LBB457_28
.LBB457_34:                             ;   in Loop: Header=BB457_30 Depth=1
	s_mov_b32 s16, 0
	s_and_b64 vcc, exec, s[4:5]
	s_cbranch_vccnz .LBB457_38
; %bb.35:                               ;   in Loop: Header=BB457_30 Depth=1
	s_mov_b32 s23, 0
	v_mov_b64_e32 v[6:7], v[2:3]
.LBB457_36:                             ;   Parent Loop BB457_30 Depth=1
                                        ; =>  This Inner Loop Header: Depth=2
	flat_load_dwordx4 v[8:11], v[6:7]
	v_mov_b32_e32 v16, s16
	ds_read_b128 v[12:15], v16
	ds_read_b128 v[16:19], v16 offset:16
	s_add_i32 s23, s23, 8
	s_add_i32 s16, s16, 32
	v_lshl_add_u64 v[6:7], v[6:7], 0, 16
	s_cmp_eq_u32 s8, s23
	s_waitcnt vmcnt(0) lgkmcnt(0)
	v_fma_mix_f32 v1, v12, v8, v1 op_sel_hi:[0,1,0]
	v_fma_mix_f32 v1, v13, v8, v1 op_sel:[0,1,0] op_sel_hi:[0,1,0]
	v_fma_mix_f32 v1, v14, v9, v1 op_sel_hi:[0,1,0]
	v_fma_mix_f32 v1, v15, v9, v1 op_sel:[0,1,0] op_sel_hi:[0,1,0]
	;; [unrolled: 2-line block ×4, first 2 shown]
	s_cbranch_scc0 .LBB457_36
; %bb.37:                               ;   in Loop: Header=BB457_30 Depth=1
	s_mov_b32 s16, s8
.LBB457_38:                             ;   in Loop: Header=BB457_30 Depth=1
	s_and_b64 vcc, exec, s[6:7]
	s_cbranch_vccnz .LBB457_28
; %bb.39:                               ;   in Loop: Header=BB457_30 Depth=1
	s_lshl_b32 s23, s16, 2
	s_lshl_b32 s16, s16, 1
	v_lshl_add_u64 v[6:7], v[2:3], 0, s[16:17]
	s_mov_b32 s16, s20
.LBB457_40:                             ;   Parent Loop BB457_30 Depth=1
                                        ; =>  This Inner Loop Header: Depth=2
	flat_load_ushort v8, v[6:7]
	v_mov_b32_e32 v9, s23
	ds_read_b32 v9, v9
	s_add_i32 s23, s23, 4
	s_add_i32 s16, s16, -1
	v_lshl_add_u64 v[6:7], v[6:7], 0, 2
	s_cmp_lg_u32 s16, 0
	s_waitcnt vmcnt(0) lgkmcnt(0)
	v_fma_mix_f32 v1, v9, v8, v1 op_sel_hi:[0,1,0]
	s_cbranch_scc1 .LBB457_40
	s_branch .LBB457_28
.LBB457_41:
	s_endpgm
	.section	.rodata,"a",@progbits
	.p2align	6, 0x0
	.amdhsa_kernel _ZL22rocblas_gemvtsm_kernelILb1ELi256EPKDF16_fKPDF16_EviiT2_lPKT1_lilS7_lilS4_lPT3_lil
		.amdhsa_group_segment_fixed_size 256
		.amdhsa_private_segment_fixed_size 0
		.amdhsa_kernarg_size 136
		.amdhsa_user_sgpr_count 2
		.amdhsa_user_sgpr_dispatch_ptr 0
		.amdhsa_user_sgpr_queue_ptr 0
		.amdhsa_user_sgpr_kernarg_segment_ptr 1
		.amdhsa_user_sgpr_dispatch_id 0
		.amdhsa_user_sgpr_kernarg_preload_length 0
		.amdhsa_user_sgpr_kernarg_preload_offset 0
		.amdhsa_user_sgpr_private_segment_size 0
		.amdhsa_uses_dynamic_stack 0
		.amdhsa_enable_private_segment 0
		.amdhsa_system_sgpr_workgroup_id_x 1
		.amdhsa_system_sgpr_workgroup_id_y 0
		.amdhsa_system_sgpr_workgroup_id_z 0
		.amdhsa_system_sgpr_workgroup_info 0
		.amdhsa_system_vgpr_workitem_id 0
		.amdhsa_next_free_vgpr 20
		.amdhsa_next_free_sgpr 26
		.amdhsa_accum_offset 20
		.amdhsa_reserve_vcc 1
		.amdhsa_float_round_mode_32 0
		.amdhsa_float_round_mode_16_64 0
		.amdhsa_float_denorm_mode_32 3
		.amdhsa_float_denorm_mode_16_64 3
		.amdhsa_dx10_clamp 1
		.amdhsa_ieee_mode 1
		.amdhsa_fp16_overflow 0
		.amdhsa_tg_split 0
		.amdhsa_exception_fp_ieee_invalid_op 0
		.amdhsa_exception_fp_denorm_src 0
		.amdhsa_exception_fp_ieee_div_zero 0
		.amdhsa_exception_fp_ieee_overflow 0
		.amdhsa_exception_fp_ieee_underflow 0
		.amdhsa_exception_fp_ieee_inexact 0
		.amdhsa_exception_int_div_zero 0
	.end_amdhsa_kernel
	.section	.text._ZL22rocblas_gemvtsm_kernelILb1ELi256EPKDF16_fKPDF16_EviiT2_lPKT1_lilS7_lilS4_lPT3_lil,"axG",@progbits,_ZL22rocblas_gemvtsm_kernelILb1ELi256EPKDF16_fKPDF16_EviiT2_lPKT1_lilS7_lilS4_lPT3_lil,comdat
.Lfunc_end457:
	.size	_ZL22rocblas_gemvtsm_kernelILb1ELi256EPKDF16_fKPDF16_EviiT2_lPKT1_lilS7_lilS4_lPT3_lil, .Lfunc_end457-_ZL22rocblas_gemvtsm_kernelILb1ELi256EPKDF16_fKPDF16_EviiT2_lPKT1_lilS7_lilS4_lPT3_lil
                                        ; -- End function
	.section	.AMDGPU.csdata,"",@progbits
; Kernel info:
; codeLenInByte = 1180
; NumSgprs: 32
; NumVgprs: 20
; NumAgprs: 0
; TotalNumVgprs: 20
; ScratchSize: 0
; MemoryBound: 0
; FloatMode: 240
; IeeeMode: 1
; LDSByteSize: 256 bytes/workgroup (compile time only)
; SGPRBlocks: 3
; VGPRBlocks: 2
; NumSGPRsForWavesPerEU: 32
; NumVGPRsForWavesPerEU: 20
; AccumOffset: 20
; Occupancy: 8
; WaveLimiterHint : 1
; COMPUTE_PGM_RSRC2:SCRATCH_EN: 0
; COMPUTE_PGM_RSRC2:USER_SGPR: 2
; COMPUTE_PGM_RSRC2:TRAP_HANDLER: 0
; COMPUTE_PGM_RSRC2:TGID_X_EN: 1
; COMPUTE_PGM_RSRC2:TGID_Y_EN: 0
; COMPUTE_PGM_RSRC2:TGID_Z_EN: 0
; COMPUTE_PGM_RSRC2:TIDIG_COMP_CNT: 0
; COMPUTE_PGM_RSRC3_GFX90A:ACCUM_OFFSET: 4
; COMPUTE_PGM_RSRC3_GFX90A:TG_SPLIT: 0
	.section	.text._ZL23rocblas_gemvt_sn_kernelILb1ELi256ELi4EiPKDF16_PKffEviiT4_lPKT3_lilS7_lilPT5_i,"axG",@progbits,_ZL23rocblas_gemvt_sn_kernelILb1ELi256ELi4EiPKDF16_PKffEviiT4_lPKT3_lilS7_lilPT5_i,comdat
	.globl	_ZL23rocblas_gemvt_sn_kernelILb1ELi256ELi4EiPKDF16_PKffEviiT4_lPKT3_lilS7_lilPT5_i ; -- Begin function _ZL23rocblas_gemvt_sn_kernelILb1ELi256ELi4EiPKDF16_PKffEviiT4_lPKT3_lilS7_lilPT5_i
	.p2align	8
	.type	_ZL23rocblas_gemvt_sn_kernelILb1ELi256ELi4EiPKDF16_PKffEviiT4_lPKT3_lilS7_lilPT5_i,@function
_ZL23rocblas_gemvt_sn_kernelILb1ELi256ELi4EiPKDF16_PKffEviiT4_lPKT3_lilS7_lilPT5_i: ; @_ZL23rocblas_gemvt_sn_kernelILb1ELi256ELi4EiPKDF16_PKffEviiT4_lPKT3_lilS7_lilPT5_i
; %bb.0:
	s_load_dwordx8 s[4:11], s[0:1], 0x8
	s_mov_b32 s12, s3
	s_mov_b32 s13, 0
	s_mov_b64 s[22:23], 0
	s_waitcnt lgkmcnt(0)
	s_mul_i32 s3, s3, s7
	s_mul_hi_u32 s7, s12, s6
	s_add_i32 s7, s7, s3
	s_mul_i32 s6, s12, s6
	s_lshl_b64 s[6:7], s[6:7], 2
	s_add_u32 s4, s4, s6
	s_addc_u32 s5, s5, s7
	s_load_dword s33, s[4:5], 0x0
	s_mov_b64 s[4:5], 0
	s_waitcnt lgkmcnt(0)
	v_cmp_eq_f32_e64 s[14:15], s33, 0
	v_cmp_neq_f32_e64 s[6:7], s33, 0
	s_and_b64 vcc, exec, s[14:15]
	s_cbranch_vccnz .LBB458_2
; %bb.1:
	s_lshl_b64 s[4:5], s[12:13], 3
	s_add_u32 s4, s8, s4
	s_addc_u32 s5, s9, s5
	s_load_dwordx2 s[4:5], s[4:5], 0x0
	s_lshl_b64 s[8:9], s[10:11], 1
	s_waitcnt lgkmcnt(0)
	s_add_u32 s4, s4, s8
	s_addc_u32 s5, s5, s9
.LBB458_2:
	s_andn2_b64 vcc, exec, s[6:7]
	s_cbranch_vccnz .LBB458_4
; %bb.3:
	s_load_dwordx4 s[8:11], s[0:1], 0x38
	s_lshl_b64 s[6:7], s[12:13], 3
	s_waitcnt lgkmcnt(0)
	s_add_u32 s6, s8, s6
	s_addc_u32 s7, s9, s7
	s_load_dwordx2 s[6:7], s[6:7], 0x0
	s_lshl_b64 s[8:9], s[10:11], 1
	s_waitcnt lgkmcnt(0)
	s_add_u32 s22, s6, s8
	s_addc_u32 s23, s7, s9
.LBB458_4:
	s_load_dwordx2 s[24:25], s[0:1], 0x0
	s_load_dwordx2 s[6:7], s[0:1], 0x58
	s_load_dword s26, s[0:1], 0x68
	s_mov_b32 s27, 0
	s_waitcnt lgkmcnt(0)
	s_ashr_i32 s16, s25, 31
	s_mul_hi_u32 s3, s25, s12
	s_mul_i32 s8, s16, s12
	s_add_i32 s11, s3, s8
	s_mul_i32 s10, s25, s12
	s_mul_i32 s3, s11, s26
	s_mul_hi_u32 s8, s10, s26
	s_add_i32 s9, s8, s3
	s_mul_i32 s8, s10, s26
	s_lshl_b64 s[8:9], s[8:9], 2
	s_add_u32 s49, s6, s8
	s_addc_u32 s50, s7, s9
	s_andn2_b64 vcc, exec, s[14:15]
	s_mov_b64 s[8:9], -1
	s_cbranch_vccnz .LBB458_14
; %bb.5:
	s_cmp_gt_i32 s25, 0
	v_cmp_eq_u32_e32 vcc, 0, v0
	s_cselect_b64 s[8:9], -1, 0
	s_and_b64 s[12:13], vcc, s[8:9]
	s_and_saveexec_b64 s[8:9], s[12:13]
	s_cbranch_execz .LBB458_13
; %bb.6:
	s_cmp_gt_u32 s25, 1
	s_cselect_b64 s[12:13], -1, 0
	s_cmp_eq_u32 s26, 1
	s_cselect_b64 s[18:19], -1, 0
	s_mov_b32 s3, 0
	s_and_b64 s[12:13], s[12:13], s[18:19]
	s_mov_b64 s[14:15], -1
	s_andn2_b64 vcc, exec, s[12:13]
	s_mov_b32 s12, s3
	s_cbranch_vccnz .LBB458_10
; %bb.7:
	s_lshl_b64 s[12:13], s[2:3], 2
	s_add_u32 s14, s49, s12
	s_addc_u32 s15, s50, s13
	s_and_b32 s12, s25, 0x7ffffffe
	v_mov_b32_e32 v2, 0
	v_mov_b32_e32 v3, v2
	s_mov_b32 s13, s12
.LBB458_8:                              ; =>This Inner Loop Header: Depth=1
	global_store_dwordx2 v2, v[2:3], s[14:15]
	s_add_u32 s14, s14, 8
	s_addc_u32 s15, s15, 0
	s_add_i32 s13, s13, -2
	s_cmp_lg_u32 s13, 0
	s_cbranch_scc1 .LBB458_8
; %bb.9:
	s_cmp_lg_u32 s12, s25
	s_cselect_b64 s[14:15], -1, 0
.LBB458_10:
	s_and_b64 vcc, exec, s[14:15]
	s_cbranch_vccz .LBB458_13
; %bb.11:
	s_mov_b32 s13, 0
	s_sub_i32 s14, s25, s12
	s_lshl_b64 s[10:11], s[10:11], 2
	s_lshl_b64 s[12:13], s[12:13], 2
	s_add_u32 s10, s10, s12
	s_addc_u32 s11, s11, s13
	s_mul_i32 s11, s11, s26
	s_mul_hi_u32 s12, s10, s26
	s_add_i32 s12, s12, s11
	s_mul_i32 s13, s10, s26
	s_lshl_b64 s[10:11], s[2:3], 2
	s_add_u32 s3, s13, s10
	s_addc_u32 s10, s12, s11
	s_add_u32 s6, s6, s3
	s_addc_u32 s7, s7, s10
	s_lshl_b64 s[10:11], s[26:27], 2
	v_mov_b32_e32 v1, 0
.LBB458_12:                             ; =>This Inner Loop Header: Depth=1
	s_add_i32 s14, s14, -1
	global_store_dword v1, v1, s[6:7]
	s_add_u32 s6, s6, s10
	s_addc_u32 s7, s7, s11
	s_cmp_eq_u32 s14, 0
	s_cbranch_scc0 .LBB458_12
.LBB458_13:
	s_or_b64 exec, exec, s[8:9]
	s_mov_b64 s[8:9], 0
.LBB458_14:
	s_andn2_b64 vcc, exec, s[8:9]
	s_cbranch_vccnz .LBB458_88
; %bb.15:
	s_load_dword s28, s[0:1], 0x28
	s_load_dword s27, s[0:1], 0x48
	s_lshl_b32 s0, s2, 10
	v_lshl_or_b32 v2, v0, 2, s0
	s_lshr_b32 s0, s16, 30
	s_add_i32 s0, s25, s0
	s_and_b32 s3, s0, -4
	s_ashr_i32 s0, s24, 31
	s_lshr_b32 s0, s0, 30
	s_add_i32 s0, s24, s0
	s_and_b32 s0, s0, -4
	v_ashrrev_i32_e32 v3, 31, v2
	s_sub_i32 s48, s24, s0
	v_lshl_add_u64 v[6:7], v[2:3], 1, s[4:5]
	s_cmp_lt_i32 s3, 1
	v_add_u32_e32 v23, 4, v2
	v_add_u32_e32 v24, s48, v2
	v_and_b32_e32 v1, 63, v0
	v_cmp_gt_u32_e64 s[0:1], 64, v0
	v_mbcnt_lo_u32_b32 v22, -1, 0
	v_cmp_gt_u32_e64 s[4:5], 4, v0
	v_lshrrev_b32_e32 v9, 4, v0
	v_cmp_eq_u32_e64 s[6:7], 0, v0
	s_waitcnt lgkmcnt(0)
	v_mul_lo_u32 v8, v2, s27
	s_cbranch_scc1 .LBB458_63
; %bb.16:
	v_mbcnt_hi_u32_b32 v3, -1, v22
	v_and_b32_e32 v4, 63, v3
	v_cmp_gt_u32_e32 vcc, 32, v4
	v_mul_lo_u32 v10, v2, s27
	v_add_u32_e32 v2, s27, v10
	v_cndmask_b32_e64 v5, 0, 1, vcc
	v_lshlrev_b32_e32 v5, 5, v5
	v_cmp_gt_u32_e32 vcc, 48, v4
	v_add_lshl_u32 v25, v5, v3, 2
	s_mov_b32 s31, 0
	v_cndmask_b32_e64 v5, 0, 1, vcc
	v_lshlrev_b32_e32 v5, 4, v5
	v_cmp_gt_u32_e32 vcc, 56, v4
	v_add_lshl_u32 v26, v5, v3, 2
	s_cmp_gt_i32 s48, 0
	v_cndmask_b32_e64 v5, 0, 1, vcc
	v_lshlrev_b32_e32 v5, 3, v5
	v_cmp_gt_u32_e32 vcc, 60, v4
	v_add_lshl_u32 v27, v5, v3, 2
	s_cselect_b64 s[34:35], -1, 0
	v_cndmask_b32_e64 v5, 0, 1, vcc
	v_lshlrev_b32_e32 v5, 2, v5
	v_cmp_gt_u32_e32 vcc, 62, v4
	v_add_lshl_u32 v28, v5, v3, 2
	v_ashrrev_i32_e32 v11, 31, v10
	v_cndmask_b32_e64 v5, 0, 1, vcc
	v_lshlrev_b32_e32 v5, 1, v5
	v_cmp_ne_u32_e32 vcc, 63, v4
	v_add_lshl_u32 v29, v5, v3, 2
	s_mov_b32 s29, s31
	v_addc_co_u32_e32 v3, vcc, 0, v3, vcc
	v_lshlrev_b32_e32 v30, 2, v3
	v_ashrrev_i32_e32 v3, 31, v2
	v_lshl_add_u64 v[14:15], v[2:3], 1, s[22:23]
	v_add_u32_e32 v2, s27, v2
	v_ashrrev_i32_e32 v3, 31, v2
	v_lshl_add_u64 v[16:17], v[2:3], 1, s[22:23]
	v_add_u32_e32 v2, s27, v2
	v_ashrrev_i32_e32 v3, 31, v2
	s_lshl_b32 s30, s28, 1
	v_cmp_ge_i32_e64 s[8:9], s24, v23
	v_cmp_ge_i32_e64 s[10:11], s24, v24
	v_cmp_eq_u32_e64 s[12:13], 0, v1
	v_lshlrev_b32_e32 v31, 2, v1
	v_and_b32_e32 v32, 12, v9
	v_lshl_add_u64 v[12:13], v[10:11], 1, s[22:23]
	v_lshl_add_u64 v[18:19], v[2:3], 1, s[22:23]
	s_lshl_b32 s51, s28, 2
	s_mul_i32 s52, s28, 3
	s_mov_b32 s53, s31
	v_mov_b32_e32 v11, 0
	s_mov_b32 s36, s31
	s_mov_b64 s[38:39], s[30:31]
	s_mov_b64 s[40:41], s[28:29]
	s_mov_b32 s29, 0
                                        ; implicit-def: $vgpr2_vgpr3_vgpr4_vgpr5
	s_branch .LBB458_18
.LBB458_17:                             ;   in Loop: Header=BB458_18 Depth=1
	s_or_b64 exec, exec, s[14:15]
	s_add_i32 s29, s29, 4
	s_add_u32 s40, s40, s51
	s_addc_u32 s41, s41, 0
	s_add_u32 s38, s38, s51
	s_addc_u32 s39, s39, 0
	;; [unrolled: 2-line block ×3, first 2 shown]
	s_add_i32 s36, s36, s51
	s_cmp_ge_i32 s29, s3
	s_cbranch_scc1 .LBB458_64
.LBB458_18:                             ; =>This Loop Header: Depth=1
                                        ;     Child Loop BB458_49 Depth 2
                                        ;     Child Loop BB458_52 Depth 2
                                        ; implicit-def: $vgpr33
                                        ; implicit-def: $vgpr34
                                        ; implicit-def: $vgpr35
                                        ; implicit-def: $vgpr36
	s_and_saveexec_b64 s[14:15], s[8:9]
	s_xor_b64 s[14:15], exec, s[14:15]
	s_cbranch_execnz .LBB458_45
; %bb.19:                               ;   in Loop: Header=BB458_18 Depth=1
	s_andn2_saveexec_b64 s[42:43], s[14:15]
	s_cbranch_execnz .LBB458_46
.LBB458_20:                             ;   in Loop: Header=BB458_18 Depth=1
	s_or_b64 exec, exec, s[42:43]
	s_and_saveexec_b64 s[14:15], s[0:1]
	s_cbranch_execz .LBB458_22
.LBB458_21:                             ;   in Loop: Header=BB458_18 Depth=1
	ds_write_b32 v31, v11
.LBB458_22:                             ;   in Loop: Header=BB458_18 Depth=1
	s_or_b64 exec, exec, s[14:15]
	ds_bpermute_b32 v20, v25, v36
	s_waitcnt lgkmcnt(0)
	s_barrier
	v_add_f32_e32 v20, v36, v20
	ds_bpermute_b32 v21, v26, v20
	s_waitcnt lgkmcnt(0)
	v_add_f32_e32 v20, v20, v21
	ds_bpermute_b32 v21, v27, v20
	s_waitcnt lgkmcnt(0)
	;; [unrolled: 3-line block ×4, first 2 shown]
	v_add_f32_e32 v20, v20, v21
	ds_bpermute_b32 v21, v30, v20
	s_and_saveexec_b64 s[14:15], s[12:13]
	s_cbranch_execz .LBB458_24
; %bb.23:                               ;   in Loop: Header=BB458_18 Depth=1
	s_waitcnt lgkmcnt(0)
	v_add_f32_e32 v20, v20, v21
	ds_write_b32 v32, v20
.LBB458_24:                             ;   in Loop: Header=BB458_18 Depth=1
	s_or_b64 exec, exec, s[14:15]
	v_mov_b32_e32 v20, 0
	s_waitcnt lgkmcnt(0)
	s_barrier
	s_and_saveexec_b64 s[14:15], s[4:5]
	s_cbranch_execnz .LBB458_54
; %bb.25:                               ;   in Loop: Header=BB458_18 Depth=1
	s_or_b64 exec, exec, s[14:15]
	s_and_saveexec_b64 s[14:15], s[0:1]
	s_cbranch_execnz .LBB458_55
.LBB458_26:                             ;   in Loop: Header=BB458_18 Depth=1
	s_or_b64 exec, exec, s[14:15]
	s_and_saveexec_b64 s[14:15], s[0:1]
	s_cbranch_execz .LBB458_28
.LBB458_27:                             ;   in Loop: Header=BB458_18 Depth=1
	ds_write_b32 v31, v11
.LBB458_28:                             ;   in Loop: Header=BB458_18 Depth=1
	s_or_b64 exec, exec, s[14:15]
	ds_bpermute_b32 v21, v25, v35
	s_waitcnt lgkmcnt(0)
	s_barrier
	v_add_f32_e32 v21, v35, v21
	ds_bpermute_b32 v35, v26, v21
	s_waitcnt lgkmcnt(0)
	v_add_f32_e32 v21, v21, v35
	ds_bpermute_b32 v35, v27, v21
	s_waitcnt lgkmcnt(0)
	;; [unrolled: 3-line block ×4, first 2 shown]
	v_add_f32_e32 v21, v21, v35
	ds_bpermute_b32 v35, v30, v21
	s_and_saveexec_b64 s[14:15], s[12:13]
	s_cbranch_execz .LBB458_30
; %bb.29:                               ;   in Loop: Header=BB458_18 Depth=1
	s_waitcnt lgkmcnt(0)
	v_add_f32_e32 v21, v21, v35
	ds_write_b32 v32, v21
.LBB458_30:                             ;   in Loop: Header=BB458_18 Depth=1
	s_or_b64 exec, exec, s[14:15]
	v_mov_b32_e32 v21, 0
	s_waitcnt lgkmcnt(0)
	s_barrier
	s_and_saveexec_b64 s[14:15], s[4:5]
	s_cbranch_execnz .LBB458_56
; %bb.31:                               ;   in Loop: Header=BB458_18 Depth=1
	s_or_b64 exec, exec, s[14:15]
	s_and_saveexec_b64 s[14:15], s[0:1]
	s_cbranch_execnz .LBB458_57
.LBB458_32:                             ;   in Loop: Header=BB458_18 Depth=1
	s_or_b64 exec, exec, s[14:15]
	s_and_saveexec_b64 s[14:15], s[0:1]
	s_cbranch_execz .LBB458_34
.LBB458_33:                             ;   in Loop: Header=BB458_18 Depth=1
	ds_write_b32 v31, v11
.LBB458_34:                             ;   in Loop: Header=BB458_18 Depth=1
	s_or_b64 exec, exec, s[14:15]
	ds_bpermute_b32 v35, v25, v34
	s_waitcnt lgkmcnt(0)
	s_barrier
	v_add_f32_e32 v34, v34, v35
	ds_bpermute_b32 v35, v26, v34
	s_waitcnt lgkmcnt(0)
	v_add_f32_e32 v34, v34, v35
	ds_bpermute_b32 v35, v27, v34
	s_waitcnt lgkmcnt(0)
	;; [unrolled: 3-line block ×4, first 2 shown]
	v_add_f32_e32 v34, v34, v35
	ds_bpermute_b32 v35, v30, v34
	s_and_saveexec_b64 s[14:15], s[12:13]
	s_cbranch_execz .LBB458_36
; %bb.35:                               ;   in Loop: Header=BB458_18 Depth=1
	s_waitcnt lgkmcnt(0)
	v_add_f32_e32 v34, v34, v35
	ds_write_b32 v32, v34
.LBB458_36:                             ;   in Loop: Header=BB458_18 Depth=1
	s_or_b64 exec, exec, s[14:15]
	v_mov_b32_e32 v34, 0
	s_waitcnt lgkmcnt(0)
	s_barrier
	s_and_saveexec_b64 s[14:15], s[4:5]
	s_cbranch_execnz .LBB458_58
; %bb.37:                               ;   in Loop: Header=BB458_18 Depth=1
	s_or_b64 exec, exec, s[14:15]
	s_and_saveexec_b64 s[14:15], s[0:1]
	s_cbranch_execnz .LBB458_59
.LBB458_38:                             ;   in Loop: Header=BB458_18 Depth=1
	s_or_b64 exec, exec, s[14:15]
	s_and_saveexec_b64 s[14:15], s[0:1]
	s_cbranch_execz .LBB458_40
.LBB458_39:                             ;   in Loop: Header=BB458_18 Depth=1
	ds_write_b32 v31, v11
.LBB458_40:                             ;   in Loop: Header=BB458_18 Depth=1
	s_or_b64 exec, exec, s[14:15]
	ds_bpermute_b32 v35, v25, v33
	s_waitcnt lgkmcnt(0)
	s_barrier
	v_add_f32_e32 v33, v33, v35
	ds_bpermute_b32 v35, v26, v33
	s_waitcnt lgkmcnt(0)
	v_add_f32_e32 v33, v33, v35
	ds_bpermute_b32 v35, v27, v33
	s_waitcnt lgkmcnt(0)
	;; [unrolled: 3-line block ×4, first 2 shown]
	v_add_f32_e32 v33, v33, v35
	ds_bpermute_b32 v35, v30, v33
	s_and_saveexec_b64 s[14:15], s[12:13]
	s_cbranch_execz .LBB458_42
; %bb.41:                               ;   in Loop: Header=BB458_18 Depth=1
	s_waitcnt lgkmcnt(0)
	v_add_f32_e32 v33, v33, v35
	ds_write_b32 v32, v33
.LBB458_42:                             ;   in Loop: Header=BB458_18 Depth=1
	s_or_b64 exec, exec, s[14:15]
	v_mov_b32_e32 v33, 0
	s_waitcnt lgkmcnt(0)
	s_barrier
	s_and_saveexec_b64 s[14:15], s[4:5]
	s_cbranch_execnz .LBB458_60
; %bb.43:                               ;   in Loop: Header=BB458_18 Depth=1
	s_or_b64 exec, exec, s[14:15]
	s_and_saveexec_b64 s[14:15], s[0:1]
	s_cbranch_execnz .LBB458_61
.LBB458_44:                             ;   in Loop: Header=BB458_18 Depth=1
	s_or_b64 exec, exec, s[14:15]
	s_and_saveexec_b64 s[14:15], s[6:7]
	s_cbranch_execz .LBB458_17
	s_branch .LBB458_62
.LBB458_45:                             ;   in Loop: Header=BB458_18 Depth=1
	s_mul_i32 s16, s29, s28
	s_ashr_i32 s17, s16, 31
	v_lshl_add_u64 v[2:3], s[16:17], 1, v[6:7]
	s_add_i32 s16, s16, s28
	s_ashr_i32 s17, s16, 31
	v_lshl_add_u64 v[4:5], s[16:17], 1, v[6:7]
	s_add_i32 s16, s16, s28
	;; [unrolled: 3-line block ×3, first 2 shown]
	s_ashr_i32 s17, s16, 31
	s_waitcnt lgkmcnt(0)
	flat_load_ushort v33, v[12:13]
	flat_load_ushort v40, v[14:15]
	;; [unrolled: 1-line block ×4, first 2 shown]
	flat_load_dwordx2 v[34:35], v[2:3]
	flat_load_dwordx2 v[36:37], v[4:5]
	v_lshl_add_u64 v[2:3], s[16:17], 1, v[6:7]
	flat_load_dwordx2 v[20:21], v[20:21]
	s_waitcnt vmcnt(0) lgkmcnt(0)
	v_cvt_f32_f16_e32 v4, v41
	flat_load_dwordx2 v[38:39], v[2:3]
	v_fma_mix_f32 v43, v33, v34, 0 op_sel_hi:[1,1,0]
	v_cvt_f32_f16_e32 v2, v33
	v_cvt_f32_f16_e32 v3, v40
	;; [unrolled: 1-line block ×3, first 2 shown]
	v_fma_mix_f32 v44, v33, v36, 0 op_sel_hi:[1,1,0]
	v_fma_mix_f32 v34, v40, v34, v43 op_sel:[0,1,0] op_sel_hi:[1,1,0]
	v_fma_mix_f32 v43, v33, v20, 0 op_sel_hi:[1,1,0]
	v_fma_mix_f32 v36, v40, v36, v44 op_sel:[0,1,0] op_sel_hi:[1,1,0]
	v_fma_mix_f32 v20, v40, v20, v43 op_sel:[0,1,0] op_sel_hi:[1,1,0]
	v_fma_mix_f32 v34, v41, v35, v34 op_sel_hi:[1,1,0]
	v_fma_mix_f32 v43, v41, v37, v36 op_sel_hi:[1,1,0]
	;; [unrolled: 1-line block ×3, first 2 shown]
	v_fma_mix_f32 v36, v42, v35, v34 op_sel:[0,1,0] op_sel_hi:[1,1,0]
	v_fma_mix_f32 v35, v42, v37, v43 op_sel:[0,1,0] op_sel_hi:[1,1,0]
	;; [unrolled: 1-line block ×3, first 2 shown]
	s_waitcnt vmcnt(0) lgkmcnt(0)
	v_fma_mix_f32 v33, v33, v38, 0 op_sel_hi:[1,1,0]
	s_nop 0
	v_fma_mix_f32 v33, v40, v38, v33 op_sel:[0,1,0] op_sel_hi:[1,1,0]
	s_nop 0
	v_fma_mix_f32 v33, v41, v39, v33 op_sel_hi:[1,1,0]
	s_nop 0
	v_fma_mix_f32 v33, v42, v39, v33 op_sel:[0,1,0] op_sel_hi:[1,1,0]
	s_andn2_saveexec_b64 s[42:43], s[14:15]
	s_cbranch_execz .LBB458_20
.LBB458_46:                             ;   in Loop: Header=BB458_18 Depth=1
	s_waitcnt lgkmcnt(0)
	v_mov_b32_e32 v33, 0
	v_mov_b32_e32 v34, 0
	;; [unrolled: 1-line block ×4, first 2 shown]
	s_and_saveexec_b64 s[44:45], s[10:11]
	s_cbranch_execz .LBB458_53
; %bb.47:                               ;   in Loop: Header=BB458_18 Depth=1
	v_cndmask_b32_e64 v20, 0, 1, s[34:35]
	v_cmp_ne_u32_e64 s[14:15], 1, v20
	s_andn2_b64 vcc, exec, s[34:35]
	s_cbranch_vccnz .LBB458_50
; %bb.48:                               ;   in Loop: Header=BB458_18 Depth=1
	s_mov_b64 s[46:47], 0
	v_mov_b32_e32 v20, v10
.LBB458_49:                             ;   Parent Loop BB458_18 Depth=1
                                        ; =>  This Inner Loop Header: Depth=2
	v_ashrrev_i32_e32 v21, 31, v20
	v_lshl_add_u64 v[34:35], v[20:21], 1, s[22:23]
	flat_load_ushort v21, v[34:35]
	s_cmp_eq_u32 s46, 3
	s_cselect_b64 vcc, -1, 0
	s_cmp_eq_u32 s46, 2
	s_cselect_b64 s[16:17], -1, 0
	s_cmp_eq_u32 s46, 1
	s_cselect_b64 s[18:19], -1, 0
	s_cmp_eq_u32 s46, 0
	s_cselect_b64 s[20:21], -1, 0
	s_add_u32 s46, s46, 1
	s_addc_u32 s47, s47, 0
	v_add_u32_e32 v20, s27, v20
	s_cmp_eq_u32 s48, s46
	s_waitcnt vmcnt(0) lgkmcnt(0)
	v_cvt_f32_f16_e32 v21, v21
	v_cndmask_b32_e32 v5, v5, v21, vcc
	v_cndmask_b32_e64 v4, v4, v21, s[16:17]
	v_cndmask_b32_e64 v3, v3, v21, s[18:19]
	;; [unrolled: 1-line block ×3, first 2 shown]
	s_cbranch_scc0 .LBB458_49
.LBB458_50:                             ;   in Loop: Header=BB458_18 Depth=1
	s_and_b64 vcc, exec, s[14:15]
	v_mov_b32_e32 v33, 0
	v_mov_b32_e32 v34, 0
	;; [unrolled: 1-line block ×4, first 2 shown]
	s_cbranch_vccnz .LBB458_53
; %bb.51:                               ;   in Loop: Header=BB458_18 Depth=1
	s_ashr_i32 s37, s36, 31
	v_lshl_add_u64 v[20:21], s[36:37], 1, v[6:7]
	s_mov_b64 s[14:15], 0
	v_mov_b32_e32 v36, 0
	v_mov_b32_e32 v35, 0
	;; [unrolled: 1-line block ×4, first 2 shown]
.LBB458_52:                             ;   Parent Loop BB458_18 Depth=1
                                        ; =>  This Inner Loop Header: Depth=2
	s_cmp_eq_u32 s14, 1
	s_cselect_b64 vcc, -1, 0
	s_cmp_eq_u32 s14, 2
	v_cndmask_b32_e32 v38, v2, v3, vcc
	s_cselect_b64 vcc, -1, 0
	s_cmp_eq_u32 s14, 3
	v_cndmask_b32_e32 v44, v38, v4, vcc
	s_cselect_b64 vcc, -1, 0
	s_add_i32 s16, s40, s14
	s_add_i32 s18, s38, s14
	;; [unrolled: 1-line block ×3, first 2 shown]
	s_ashr_i32 s17, s16, 31
	s_ashr_i32 s19, s18, 31
	;; [unrolled: 1-line block ×3, first 2 shown]
	v_lshl_add_u64 v[38:39], s[16:17], 1, v[6:7]
	flat_load_ushort v37, v[20:21]
	v_lshl_add_u64 v[40:41], s[18:19], 1, v[6:7]
	v_lshl_add_u64 v[42:43], s[20:21], 1, v[6:7]
	flat_load_ushort v38, v[38:39]
	s_nop 0
	flat_load_ushort v39, v[40:41]
	flat_load_ushort v45, v[42:43]
	s_add_u32 s14, s14, 1
	v_cndmask_b32_e32 v40, v44, v5, vcc
	s_addc_u32 s15, s15, 0
	v_lshl_add_u64 v[20:21], v[20:21], 0, 2
	s_cmp_lg_u32 s48, s14
	s_waitcnt vmcnt(0) lgkmcnt(0)
	v_fma_mix_f32 v36, v40, v37, v36 op_sel_hi:[0,1,0]
	v_fma_mix_f32 v35, v40, v38, v35 op_sel_hi:[0,1,0]
	;; [unrolled: 1-line block ×4, first 2 shown]
	s_cbranch_scc1 .LBB458_52
.LBB458_53:                             ;   in Loop: Header=BB458_18 Depth=1
	s_or_b64 exec, exec, s[44:45]
	s_or_b64 exec, exec, s[42:43]
	s_and_saveexec_b64 s[14:15], s[0:1]
	s_cbranch_execnz .LBB458_21
	s_branch .LBB458_22
.LBB458_54:                             ;   in Loop: Header=BB458_18 Depth=1
	ds_read_b32 v20, v31
	s_or_b64 exec, exec, s[14:15]
	s_and_saveexec_b64 s[14:15], s[0:1]
	s_cbranch_execz .LBB458_26
.LBB458_55:                             ;   in Loop: Header=BB458_18 Depth=1
	s_waitcnt lgkmcnt(0)
	ds_bpermute_b32 v21, v29, v20
	s_waitcnt lgkmcnt(0)
	v_add_f32_e32 v20, v20, v21
	ds_bpermute_b32 v21, v30, v20
	s_waitcnt lgkmcnt(0)
	v_add_f32_e32 v20, v20, v21
	s_or_b64 exec, exec, s[14:15]
	s_and_saveexec_b64 s[14:15], s[0:1]
	s_cbranch_execnz .LBB458_27
	s_branch .LBB458_28
.LBB458_56:                             ;   in Loop: Header=BB458_18 Depth=1
	ds_read_b32 v21, v31
	s_or_b64 exec, exec, s[14:15]
	s_and_saveexec_b64 s[14:15], s[0:1]
	s_cbranch_execz .LBB458_32
.LBB458_57:                             ;   in Loop: Header=BB458_18 Depth=1
	s_waitcnt lgkmcnt(0)
	ds_bpermute_b32 v35, v29, v21
	s_waitcnt lgkmcnt(0)
	v_add_f32_e32 v21, v21, v35
	ds_bpermute_b32 v35, v30, v21
	s_waitcnt lgkmcnt(0)
	v_add_f32_e32 v21, v21, v35
	s_or_b64 exec, exec, s[14:15]
	s_and_saveexec_b64 s[14:15], s[0:1]
	s_cbranch_execnz .LBB458_33
	s_branch .LBB458_34
.LBB458_58:                             ;   in Loop: Header=BB458_18 Depth=1
	ds_read_b32 v34, v31
	s_or_b64 exec, exec, s[14:15]
	s_and_saveexec_b64 s[14:15], s[0:1]
	s_cbranch_execz .LBB458_38
.LBB458_59:                             ;   in Loop: Header=BB458_18 Depth=1
	s_waitcnt lgkmcnt(0)
	ds_bpermute_b32 v35, v29, v34
	s_waitcnt lgkmcnt(0)
	v_add_f32_e32 v34, v34, v35
	ds_bpermute_b32 v35, v30, v34
	s_waitcnt lgkmcnt(0)
	v_add_f32_e32 v34, v34, v35
	s_or_b64 exec, exec, s[14:15]
	s_and_saveexec_b64 s[14:15], s[0:1]
	s_cbranch_execnz .LBB458_39
	s_branch .LBB458_40
.LBB458_60:                             ;   in Loop: Header=BB458_18 Depth=1
	ds_read_b32 v33, v31
	s_or_b64 exec, exec, s[14:15]
	s_and_saveexec_b64 s[14:15], s[0:1]
	s_cbranch_execz .LBB458_44
.LBB458_61:                             ;   in Loop: Header=BB458_18 Depth=1
	s_waitcnt lgkmcnt(0)
	ds_bpermute_b32 v35, v29, v33
	s_waitcnt lgkmcnt(0)
	v_add_f32_e32 v33, v33, v35
	ds_bpermute_b32 v35, v30, v33
	s_waitcnt lgkmcnt(0)
	v_add_f32_e32 v33, v33, v35
	s_or_b64 exec, exec, s[14:15]
	s_and_saveexec_b64 s[14:15], s[6:7]
	s_cbranch_execz .LBB458_17
.LBB458_62:                             ;   in Loop: Header=BB458_18 Depth=1
	s_mul_i32 s16, s29, s26
	s_add_i32 s30, s16, s2
	s_lshl_b64 s[16:17], s[30:31], 2
	s_add_u32 s16, s49, s16
	v_mul_f32_e32 v20, s33, v20
	s_addc_u32 s17, s50, s17
	s_add_i32 s30, s30, s26
	global_store_dword v11, v20, s[16:17]
	s_lshl_b64 s[16:17], s[30:31], 2
	s_add_u32 s16, s49, s16
	v_mul_f32_e32 v20, s33, v21
	s_addc_u32 s17, s50, s17
	s_add_i32 s30, s30, s26
	global_store_dword v11, v20, s[16:17]
	;; [unrolled: 6-line block ×3, first 2 shown]
	s_lshl_b64 s[16:17], s[30:31], 2
	s_add_u32 s16, s49, s16
	s_waitcnt lgkmcnt(0)
	v_mul_f32_e32 v20, s33, v33
	s_addc_u32 s17, s50, s17
	global_store_dword v11, v20, s[16:17]
	s_branch .LBB458_17
.LBB458_63:
	s_mov_b32 s29, 0
                                        ; implicit-def: $vgpr2_vgpr3_vgpr4_vgpr5
.LBB458_64:
	s_cmp_ge_i32 s29, s25
	s_cbranch_scc1 .LBB458_88
; %bb.65:
	v_mbcnt_hi_u32_b32 v10, -1, v22
	v_and_b32_e32 v11, 63, v10
	v_cmp_gt_u32_e32 vcc, 32, v11
	v_cmp_ge_i32_e64 s[0:1], s24, v23
	v_add_u32_e32 v14, s27, v8
	v_cndmask_b32_e64 v12, 0, 1, vcc
	v_lshlrev_b32_e32 v12, 5, v12
	v_cmp_gt_u32_e32 vcc, 48, v11
	v_add_lshl_u32 v21, v12, v10, 2
	v_cmp_ge_i32_e64 s[4:5], s24, v24
	v_cndmask_b32_e64 v12, 0, 1, vcc
	v_lshlrev_b32_e32 v12, 4, v12
	v_cmp_gt_u32_e32 vcc, 56, v11
	v_add_lshl_u32 v22, v12, v10, 2
	v_add_u32_e32 v16, s27, v14
	v_cndmask_b32_e64 v12, 0, 1, vcc
	v_lshlrev_b32_e32 v12, 3, v12
	v_cmp_gt_u32_e32 vcc, 60, v11
	v_add_lshl_u32 v23, v12, v10, 2
	s_mov_b32 s3, 0
	v_cndmask_b32_e64 v12, 0, 1, vcc
	v_lshlrev_b32_e32 v12, 2, v12
	v_cmp_gt_u32_e32 vcc, 62, v11
	v_add_lshl_u32 v24, v12, v10, 2
	s_cmp_gt_i32 s48, 0
	v_cndmask_b32_e64 v12, 0, 1, vcc
	v_lshlrev_b32_e32 v12, 1, v12
	v_ashrrev_i32_e32 v15, 31, v14
	v_ashrrev_i32_e32 v17, 31, v16
	s_cselect_b64 s[30:31], -1, 0
	v_add_lshl_u32 v25, v12, v10, 2
	v_cmp_ne_u32_e32 vcc, 63, v11
	s_lshl_b64 s[14:15], s[2:3], 2
	v_lshl_add_u64 v[12:13], v[14:15], 1, s[22:23]
	v_lshl_add_u64 v[14:15], v[16:17], 1, s[22:23]
	v_add_u32_e32 v16, s27, v16
	v_lshlrev_b32_e32 v20, 2, v1
	v_addc_co_u32_e32 v10, vcc, 0, v10, vcc
	v_cmp_eq_u32_e64 s[8:9], 0, v1
	v_and_b32_e32 v1, 12, v9
	s_add_u32 s2, s49, s14
	v_ashrrev_i32_e32 v9, 31, v8
	v_ashrrev_i32_e32 v17, 31, v16
	v_cmp_gt_u32_e64 s[6:7], 64, v0
	v_lshlrev_b32_e32 v26, 2, v10
	v_cmp_gt_u32_e64 s[10:11], 4, v0
	v_cmp_eq_u32_e64 s[12:13], 0, v0
	s_addc_u32 s24, s50, s15
	v_lshl_add_u64 v[10:11], v[8:9], 1, s[22:23]
	v_lshl_add_u64 v[16:17], v[16:17], 1, s[22:23]
	s_mul_i32 s34, s29, s28
	v_mov_b32_e32 v9, 0
	s_branch .LBB458_67
.LBB458_66:                             ;   in Loop: Header=BB458_67 Depth=1
	s_or_b64 exec, exec, s[14:15]
	s_add_i32 s29, s29, 1
	s_add_i32 s34, s34, s28
	s_cmp_ge_i32 s29, s25
	s_cbranch_scc1 .LBB458_88
.LBB458_67:                             ; =>This Loop Header: Depth=1
                                        ;     Child Loop BB458_80 Depth 2
                                        ;     Child Loop BB458_83 Depth 2
	s_waitcnt lgkmcnt(0)
	v_mov_b32_e32 v0, s3
	s_and_saveexec_b64 s[14:15], s[0:1]
	s_xor_b64 s[14:15], exec, s[14:15]
	s_cbranch_execnz .LBB458_76
; %bb.68:                               ;   in Loop: Header=BB458_67 Depth=1
	s_andn2_saveexec_b64 s[36:37], s[14:15]
	s_cbranch_execnz .LBB458_77
.LBB458_69:                             ;   in Loop: Header=BB458_67 Depth=1
	s_or_b64 exec, exec, s[36:37]
	s_and_saveexec_b64 s[14:15], s[6:7]
	s_cbranch_execz .LBB458_71
.LBB458_70:                             ;   in Loop: Header=BB458_67 Depth=1
	ds_write_b32 v20, v9
.LBB458_71:                             ;   in Loop: Header=BB458_67 Depth=1
	s_or_b64 exec, exec, s[14:15]
	ds_bpermute_b32 v18, v21, v0
	s_waitcnt lgkmcnt(0)
	s_barrier
	v_add_f32_e32 v0, v0, v18
	ds_bpermute_b32 v18, v22, v0
	s_waitcnt lgkmcnt(0)
	v_add_f32_e32 v0, v0, v18
	ds_bpermute_b32 v18, v23, v0
	s_waitcnt lgkmcnt(0)
	;; [unrolled: 3-line block ×4, first 2 shown]
	v_add_f32_e32 v0, v0, v18
	ds_bpermute_b32 v18, v26, v0
	s_and_saveexec_b64 s[14:15], s[8:9]
	s_cbranch_execz .LBB458_73
; %bb.72:                               ;   in Loop: Header=BB458_67 Depth=1
	s_waitcnt lgkmcnt(0)
	v_add_f32_e32 v0, v0, v18
	ds_write_b32 v1, v0
.LBB458_73:                             ;   in Loop: Header=BB458_67 Depth=1
	s_or_b64 exec, exec, s[14:15]
	v_mov_b32_e32 v0, 0
	s_waitcnt lgkmcnt(0)
	s_barrier
	s_and_saveexec_b64 s[14:15], s[10:11]
	s_cbranch_execnz .LBB458_85
; %bb.74:                               ;   in Loop: Header=BB458_67 Depth=1
	s_or_b64 exec, exec, s[14:15]
	s_and_saveexec_b64 s[14:15], s[6:7]
	s_cbranch_execnz .LBB458_86
.LBB458_75:                             ;   in Loop: Header=BB458_67 Depth=1
	s_or_b64 exec, exec, s[14:15]
	s_and_saveexec_b64 s[14:15], s[12:13]
	s_cbranch_execz .LBB458_66
	s_branch .LBB458_87
.LBB458_76:                             ;   in Loop: Header=BB458_67 Depth=1
	s_mul_i32 s16, s29, s28
	s_ashr_i32 s17, s16, 31
	flat_load_ushort v0, v[16:17]
	flat_load_ushort v4, v[10:11]
	;; [unrolled: 1-line block ×3, first 2 shown]
	v_lshl_add_u64 v[2:3], s[16:17], 1, v[6:7]
	flat_load_dwordx2 v[18:19], v[2:3]
	flat_load_ushort v27, v[14:15]
	s_waitcnt vmcnt(0) lgkmcnt(0)
	v_cvt_f32_f16_e32 v2, v4
	v_cvt_f32_f16_e32 v3, v5
	;; [unrolled: 1-line block ×3, first 2 shown]
	v_cvt_f32_f16_sdwa v29, v18 dst_sel:DWORD dst_unused:UNUSED_PAD src0_sel:WORD_1
	v_cvt_f32_f16_e32 v5, v0
	v_cvt_f32_f16_e32 v4, v27
	;; [unrolled: 1-line block ×3, first 2 shown]
	v_cvt_f32_f16_sdwa v19, v19 dst_sel:DWORD dst_unused:UNUSED_PAD src0_sel:WORD_1
	v_pk_mul_f32 v[28:29], v[2:3], v[28:29]
	v_pk_mul_f32 v[18:19], v[4:5], v[18:19]
	v_add_f32_e32 v0, 0, v28
	v_add_f32_e32 v0, v0, v29
	;; [unrolled: 1-line block ×4, first 2 shown]
	s_andn2_saveexec_b64 s[36:37], s[14:15]
	s_cbranch_execz .LBB458_69
.LBB458_77:                             ;   in Loop: Header=BB458_67 Depth=1
	s_and_saveexec_b64 s[38:39], s[4:5]
	s_cbranch_execz .LBB458_84
; %bb.78:                               ;   in Loop: Header=BB458_67 Depth=1
	v_cndmask_b32_e64 v18, 0, 1, s[30:31]
	v_cmp_ne_u32_e64 s[14:15], 1, v18
	s_andn2_b64 vcc, exec, s[30:31]
	s_cbranch_vccnz .LBB458_81
; %bb.79:                               ;   in Loop: Header=BB458_67 Depth=1
	s_mov_b64 s[40:41], 0
	v_mov_b32_e32 v18, v8
.LBB458_80:                             ;   Parent Loop BB458_67 Depth=1
                                        ; =>  This Inner Loop Header: Depth=2
	v_ashrrev_i32_e32 v19, 31, v18
	v_lshl_add_u64 v[28:29], v[18:19], 1, s[22:23]
	flat_load_ushort v19, v[28:29]
	s_cmp_eq_u32 s40, 3
	s_cselect_b64 vcc, -1, 0
	s_cmp_eq_u32 s40, 2
	s_cselect_b64 s[16:17], -1, 0
	s_cmp_eq_u32 s40, 1
	s_cselect_b64 s[18:19], -1, 0
	;; [unrolled: 2-line block ×3, first 2 shown]
	s_add_u32 s40, s40, 1
	s_addc_u32 s41, s41, 0
	v_add_u32_e32 v18, s27, v18
	s_cmp_eq_u32 s48, s40
	s_waitcnt vmcnt(0) lgkmcnt(0)
	v_cvt_f32_f16_e32 v19, v19
	v_cndmask_b32_e32 v5, v5, v19, vcc
	v_cndmask_b32_e64 v4, v4, v19, s[16:17]
	v_cndmask_b32_e64 v3, v3, v19, s[18:19]
	v_cndmask_b32_e64 v2, v2, v19, s[20:21]
	s_cbranch_scc0 .LBB458_80
.LBB458_81:                             ;   in Loop: Header=BB458_67 Depth=1
	s_and_b64 vcc, exec, s[14:15]
	s_cbranch_vccnz .LBB458_84
; %bb.82:                               ;   in Loop: Header=BB458_67 Depth=1
	s_ashr_i32 s35, s34, 31
	v_lshl_add_u64 v[18:19], s[34:35], 1, v[6:7]
	s_mov_b64 s[14:15], 0
.LBB458_83:                             ;   Parent Loop BB458_67 Depth=1
                                        ; =>  This Inner Loop Header: Depth=2
	flat_load_ushort v27, v[18:19]
	s_cmp_eq_u32 s14, 1
	s_cselect_b64 vcc, -1, 0
	s_cmp_eq_u32 s14, 2
	v_cndmask_b32_e32 v28, v2, v3, vcc
	s_cselect_b64 vcc, -1, 0
	s_cmp_eq_u32 s14, 3
	v_cndmask_b32_e32 v28, v28, v4, vcc
	s_cselect_b64 vcc, -1, 0
	s_add_u32 s14, s14, 1
	v_cndmask_b32_e32 v28, v28, v5, vcc
	s_addc_u32 s15, s15, 0
	v_lshl_add_u64 v[18:19], v[18:19], 0, 2
	s_cmp_lg_u32 s48, s14
	s_waitcnt vmcnt(0) lgkmcnt(0)
	v_fma_mix_f32 v0, v28, v27, v0 op_sel_hi:[0,1,0]
	s_cbranch_scc1 .LBB458_83
.LBB458_84:                             ;   in Loop: Header=BB458_67 Depth=1
	s_or_b64 exec, exec, s[38:39]
	s_or_b64 exec, exec, s[36:37]
	s_and_saveexec_b64 s[14:15], s[6:7]
	s_cbranch_execnz .LBB458_70
	s_branch .LBB458_71
.LBB458_85:                             ;   in Loop: Header=BB458_67 Depth=1
	ds_read_b32 v0, v20
	s_or_b64 exec, exec, s[14:15]
	s_and_saveexec_b64 s[14:15], s[6:7]
	s_cbranch_execz .LBB458_75
.LBB458_86:                             ;   in Loop: Header=BB458_67 Depth=1
	s_waitcnt lgkmcnt(0)
	ds_bpermute_b32 v18, v25, v0
	s_waitcnt lgkmcnt(0)
	v_add_f32_e32 v0, v0, v18
	ds_bpermute_b32 v18, v26, v0
	s_waitcnt lgkmcnt(0)
	v_add_f32_e32 v0, v0, v18
	s_or_b64 exec, exec, s[14:15]
	s_and_saveexec_b64 s[14:15], s[12:13]
	s_cbranch_execz .LBB458_66
.LBB458_87:                             ;   in Loop: Header=BB458_67 Depth=1
	s_mul_hi_u32 s17, s29, s26
	s_mul_i32 s16, s29, s26
	s_lshl_b64 s[16:17], s[16:17], 2
	s_add_u32 s16, s2, s16
	s_waitcnt lgkmcnt(0)
	v_mul_f32_e32 v0, s33, v0
	s_addc_u32 s17, s24, s17
	global_store_dword v9, v0, s[16:17]
	s_branch .LBB458_66
.LBB458_88:
	s_endpgm
	.section	.rodata,"a",@progbits
	.p2align	6, 0x0
	.amdhsa_kernel _ZL23rocblas_gemvt_sn_kernelILb1ELi256ELi4EiPKDF16_PKffEviiT4_lPKT3_lilS7_lilPT5_i
		.amdhsa_group_segment_fixed_size 256
		.amdhsa_private_segment_fixed_size 0
		.amdhsa_kernarg_size 360
		.amdhsa_user_sgpr_count 2
		.amdhsa_user_sgpr_dispatch_ptr 0
		.amdhsa_user_sgpr_queue_ptr 0
		.amdhsa_user_sgpr_kernarg_segment_ptr 1
		.amdhsa_user_sgpr_dispatch_id 0
		.amdhsa_user_sgpr_kernarg_preload_length 0
		.amdhsa_user_sgpr_kernarg_preload_offset 0
		.amdhsa_user_sgpr_private_segment_size 0
		.amdhsa_uses_dynamic_stack 0
		.amdhsa_enable_private_segment 0
		.amdhsa_system_sgpr_workgroup_id_x 1
		.amdhsa_system_sgpr_workgroup_id_y 0
		.amdhsa_system_sgpr_workgroup_id_z 1
		.amdhsa_system_sgpr_workgroup_info 0
		.amdhsa_system_vgpr_workitem_id 0
		.amdhsa_next_free_vgpr 46
		.amdhsa_next_free_sgpr 54
		.amdhsa_accum_offset 48
		.amdhsa_reserve_vcc 1
		.amdhsa_float_round_mode_32 0
		.amdhsa_float_round_mode_16_64 0
		.amdhsa_float_denorm_mode_32 3
		.amdhsa_float_denorm_mode_16_64 3
		.amdhsa_dx10_clamp 1
		.amdhsa_ieee_mode 1
		.amdhsa_fp16_overflow 0
		.amdhsa_tg_split 0
		.amdhsa_exception_fp_ieee_invalid_op 0
		.amdhsa_exception_fp_denorm_src 0
		.amdhsa_exception_fp_ieee_div_zero 0
		.amdhsa_exception_fp_ieee_overflow 0
		.amdhsa_exception_fp_ieee_underflow 0
		.amdhsa_exception_fp_ieee_inexact 0
		.amdhsa_exception_int_div_zero 0
	.end_amdhsa_kernel
	.section	.text._ZL23rocblas_gemvt_sn_kernelILb1ELi256ELi4EiPKDF16_PKffEviiT4_lPKT3_lilS7_lilPT5_i,"axG",@progbits,_ZL23rocblas_gemvt_sn_kernelILb1ELi256ELi4EiPKDF16_PKffEviiT4_lPKT3_lilS7_lilPT5_i,comdat
.Lfunc_end458:
	.size	_ZL23rocblas_gemvt_sn_kernelILb1ELi256ELi4EiPKDF16_PKffEviiT4_lPKT3_lilS7_lilPT5_i, .Lfunc_end458-_ZL23rocblas_gemvt_sn_kernelILb1ELi256ELi4EiPKDF16_PKffEviiT4_lPKT3_lilS7_lilPT5_i
                                        ; -- End function
	.section	.AMDGPU.csdata,"",@progbits
; Kernel info:
; codeLenInByte = 3960
; NumSgprs: 60
; NumVgprs: 46
; NumAgprs: 0
; TotalNumVgprs: 46
; ScratchSize: 0
; MemoryBound: 0
; FloatMode: 240
; IeeeMode: 1
; LDSByteSize: 256 bytes/workgroup (compile time only)
; SGPRBlocks: 7
; VGPRBlocks: 5
; NumSGPRsForWavesPerEU: 60
; NumVGPRsForWavesPerEU: 46
; AccumOffset: 48
; Occupancy: 8
; WaveLimiterHint : 0
; COMPUTE_PGM_RSRC2:SCRATCH_EN: 0
; COMPUTE_PGM_RSRC2:USER_SGPR: 2
; COMPUTE_PGM_RSRC2:TRAP_HANDLER: 0
; COMPUTE_PGM_RSRC2:TGID_X_EN: 1
; COMPUTE_PGM_RSRC2:TGID_Y_EN: 0
; COMPUTE_PGM_RSRC2:TGID_Z_EN: 1
; COMPUTE_PGM_RSRC2:TIDIG_COMP_CNT: 0
; COMPUTE_PGM_RSRC3_GFX90A:ACCUM_OFFSET: 11
; COMPUTE_PGM_RSRC3_GFX90A:TG_SPLIT: 0
	.section	.text._ZL23rocblas_gemvt_sn_kernelILb1ELi256ELi4ElPKDF16_PKffEviiT4_lPKT3_lilS7_lilPT5_i,"axG",@progbits,_ZL23rocblas_gemvt_sn_kernelILb1ELi256ELi4ElPKDF16_PKffEviiT4_lPKT3_lilS7_lilPT5_i,comdat
	.globl	_ZL23rocblas_gemvt_sn_kernelILb1ELi256ELi4ElPKDF16_PKffEviiT4_lPKT3_lilS7_lilPT5_i ; -- Begin function _ZL23rocblas_gemvt_sn_kernelILb1ELi256ELi4ElPKDF16_PKffEviiT4_lPKT3_lilS7_lilPT5_i
	.p2align	8
	.type	_ZL23rocblas_gemvt_sn_kernelILb1ELi256ELi4ElPKDF16_PKffEviiT4_lPKT3_lilS7_lilPT5_i,@function
_ZL23rocblas_gemvt_sn_kernelILb1ELi256ELi4ElPKDF16_PKffEviiT4_lPKT3_lilS7_lilPT5_i: ; @_ZL23rocblas_gemvt_sn_kernelILb1ELi256ELi4ElPKDF16_PKffEviiT4_lPKT3_lilS7_lilPT5_i
; %bb.0:
	s_load_dwordx8 s[4:11], s[0:1], 0x8
	s_mov_b32 s12, s3
	s_mov_b32 s13, 0
	s_mov_b64 s[30:31], 0
	s_mov_b64 s[28:29], 0
	s_waitcnt lgkmcnt(0)
	s_mul_i32 s3, s3, s7
	s_mul_hi_u32 s7, s12, s6
	s_add_i32 s7, s7, s3
	s_mul_i32 s6, s12, s6
	s_lshl_b64 s[6:7], s[6:7], 2
	s_add_u32 s4, s4, s6
	s_addc_u32 s5, s5, s7
	s_load_dword s33, s[4:5], 0x0
	s_waitcnt lgkmcnt(0)
	v_cmp_eq_f32_e64 s[6:7], s33, 0
	v_cmp_neq_f32_e64 s[4:5], s33, 0
	s_and_b64 vcc, exec, s[6:7]
	s_cbranch_vccnz .LBB459_2
; %bb.1:
	s_lshl_b64 s[14:15], s[12:13], 3
	s_add_u32 s8, s8, s14
	s_addc_u32 s9, s9, s15
	s_load_dwordx2 s[8:9], s[8:9], 0x0
	s_lshl_b64 s[10:11], s[10:11], 1
	s_waitcnt lgkmcnt(0)
	s_add_u32 s28, s8, s10
	s_addc_u32 s29, s9, s11
.LBB459_2:
	s_andn2_b64 vcc, exec, s[4:5]
	s_cbranch_vccnz .LBB459_4
; %bb.3:
	s_load_dwordx4 s[8:11], s[0:1], 0x38
	s_lshl_b64 s[4:5], s[12:13], 3
	s_waitcnt lgkmcnt(0)
	s_add_u32 s4, s8, s4
	s_addc_u32 s5, s9, s5
	s_load_dwordx2 s[4:5], s[4:5], 0x0
	s_lshl_b64 s[8:9], s[10:11], 1
	s_waitcnt lgkmcnt(0)
	s_add_u32 s30, s4, s8
	s_addc_u32 s31, s5, s9
.LBB459_4:
	s_load_dwordx2 s[22:23], s[0:1], 0x0
	s_load_dwordx2 s[4:5], s[0:1], 0x58
	s_load_dword s24, s[0:1], 0x68
	s_mov_b32 s25, 0
	s_waitcnt lgkmcnt(0)
	s_ashr_i32 s14, s23, 31
	s_mul_hi_u32 s3, s23, s12
	s_mul_i32 s8, s14, s12
	s_add_i32 s9, s3, s8
	s_mul_i32 s8, s23, s12
	s_mul_i32 s3, s9, s24
	s_mul_hi_u32 s10, s8, s24
	s_add_i32 s11, s10, s3
	s_mul_i32 s10, s8, s24
	s_lshl_b64 s[10:11], s[10:11], 2
	s_add_u32 s54, s4, s10
	s_addc_u32 s55, s5, s11
	s_andn2_b64 vcc, exec, s[6:7]
	s_mov_b64 s[6:7], -1
	s_cbranch_vccnz .LBB459_14
; %bb.5:
	s_cmp_gt_i32 s23, 0
	v_cmp_eq_u32_e32 vcc, 0, v0
	s_cselect_b64 s[6:7], -1, 0
	s_and_b64 s[10:11], vcc, s[6:7]
	s_and_saveexec_b64 s[6:7], s[10:11]
	s_cbranch_execz .LBB459_13
; %bb.6:
	s_cmp_gt_u32 s23, 1
	s_cselect_b64 s[10:11], -1, 0
	s_cmp_eq_u32 s24, 1
	s_cselect_b64 s[16:17], -1, 0
	s_mov_b32 s3, 0
	s_and_b64 s[10:11], s[10:11], s[16:17]
	s_mov_b64 s[12:13], -1
	s_andn2_b64 vcc, exec, s[10:11]
	s_mov_b32 s10, s3
	s_cbranch_vccnz .LBB459_10
; %bb.7:
	s_lshl_b64 s[10:11], s[2:3], 2
	s_add_u32 s12, s54, s10
	s_addc_u32 s13, s55, s11
	s_and_b32 s10, s23, 0x7ffffffe
	v_mov_b32_e32 v2, 0
	v_mov_b32_e32 v3, v2
	s_mov_b32 s11, s10
.LBB459_8:                              ; =>This Inner Loop Header: Depth=1
	global_store_dwordx2 v2, v[2:3], s[12:13]
	s_add_u32 s12, s12, 8
	s_addc_u32 s13, s13, 0
	s_add_i32 s11, s11, -2
	s_cmp_lg_u32 s11, 0
	s_cbranch_scc1 .LBB459_8
; %bb.9:
	s_cmp_lg_u32 s10, s23
	s_cselect_b64 s[12:13], -1, 0
.LBB459_10:
	s_and_b64 vcc, exec, s[12:13]
	s_cbranch_vccz .LBB459_13
; %bb.11:
	s_mov_b32 s11, 0
	s_sub_i32 s12, s23, s10
	s_lshl_b64 s[8:9], s[8:9], 2
	s_lshl_b64 s[10:11], s[10:11], 2
	s_add_u32 s8, s8, s10
	s_addc_u32 s9, s9, s11
	s_mul_i32 s9, s9, s24
	s_mul_hi_u32 s10, s8, s24
	s_add_i32 s10, s10, s9
	s_mul_i32 s11, s8, s24
	s_lshl_b64 s[8:9], s[2:3], 2
	s_add_u32 s3, s11, s8
	s_addc_u32 s8, s10, s9
	s_add_u32 s4, s4, s3
	s_addc_u32 s5, s5, s8
	s_lshl_b64 s[8:9], s[24:25], 2
	v_mov_b32_e32 v1, 0
.LBB459_12:                             ; =>This Inner Loop Header: Depth=1
	s_add_i32 s12, s12, -1
	global_store_dword v1, v1, s[4:5]
	s_add_u32 s4, s4, s8
	s_addc_u32 s5, s5, s9
	s_cmp_eq_u32 s12, 0
	s_cbranch_scc0 .LBB459_12
.LBB459_13:
	s_or_b64 exec, exec, s[6:7]
	s_mov_b64 s[6:7], 0
.LBB459_14:
	s_andn2_b64 vcc, exec, s[6:7]
	s_cbranch_vccnz .LBB459_88
; %bb.15:
	s_load_dword s26, s[0:1], 0x28
	s_load_dword s34, s[0:1], 0x48
	s_lshl_b32 s0, s2, 10
	v_lshl_or_b32 v8, v0, 2, s0
	s_lshr_b32 s0, s14, 30
	s_add_i32 s0, s23, s0
	s_and_b32 s56, s0, -4
	s_ashr_i32 s0, s22, 31
	s_lshr_b32 s0, s0, 30
	s_add_i32 s0, s22, s0
	s_and_b32 s0, s0, -4
	s_waitcnt lgkmcnt(0)
	s_ashr_i32 s27, s26, 31
	s_ashr_i32 s35, s34, 31
	v_ashrrev_i32_e32 v9, 31, v8
	s_sub_i32 s25, s22, s0
	v_lshl_add_u64 v[6:7], v[8:9], 1, s[28:29]
	s_cmp_lt_i32 s56, 1
	v_add_u32_e32 v27, 4, v8
	v_add_u32_e32 v28, s25, v8
	v_and_b32_e32 v24, 63, v0
	v_cmp_gt_u32_e64 s[0:1], 64, v0
	v_mbcnt_lo_u32_b32 v26, -1, 0
	v_cmp_gt_u32_e64 s[4:5], 4, v0
	v_lshrrev_b32_e32 v25, 4, v0
	v_cmp_eq_u32_e64 s[6:7], 0, v0
	v_or_b32_e32 v23, 1, v8
	v_or_b32_e32 v22, 2, v8
	;; [unrolled: 1-line block ×3, first 2 shown]
	s_cbranch_scc1 .LBB459_63
; %bb.16:
	v_mbcnt_hi_u32_b32 v2, -1, v26
	v_and_b32_e32 v3, 63, v2
	v_cmp_gt_u32_e32 vcc, 32, v3
	s_mov_b32 s3, 0
	s_cmp_gt_i32 s25, 0
	v_cndmask_b32_e64 v4, 0, 1, vcc
	v_lshlrev_b32_e32 v4, 5, v4
	v_cmp_gt_u32_e32 vcc, 48, v3
	v_add_lshl_u32 v29, v4, v2, 2
	s_cselect_b64 s[36:37], -1, 0
	v_cndmask_b32_e64 v4, 0, 1, vcc
	v_lshlrev_b32_e32 v4, 4, v4
	v_cmp_gt_u32_e32 vcc, 56, v3
	v_add_lshl_u32 v30, v4, v2, 2
	s_lshl_b64 s[14:15], s[2:3], 2
	v_cndmask_b32_e64 v4, 0, 1, vcc
	v_lshlrev_b32_e32 v4, 3, v4
	v_cmp_gt_u32_e32 vcc, 60, v3
	v_add_lshl_u32 v31, v4, v2, 2
	s_add_u32 s57, s54, s14
	v_cndmask_b32_e64 v4, 0, 1, vcc
	v_lshlrev_b32_e32 v4, 2, v4
	v_cmp_gt_u32_e32 vcc, 62, v3
	v_add_lshl_u32 v32, v4, v2, 2
	s_addc_u32 s58, s55, s15
	v_cndmask_b32_e64 v4, 0, 1, vcc
	v_lshlrev_b32_e32 v4, 1, v4
	v_cmp_ne_u32_e32 vcc, 63, v3
	v_add_lshl_u32 v33, v4, v2, 2
	v_cmp_ge_i32_e64 s[8:9], s22, v27
	v_addc_co_u32_e32 v2, vcc, 0, v2, vcc
	v_lshlrev_b32_e32 v34, 2, v2
	v_mad_i64_i32 v[2:3], s[14:15], s34, v8, 0
	v_lshl_add_u64 v[10:11], v[2:3], 1, s[30:31]
	v_mad_i64_i32 v[2:3], s[14:15], s34, v23, 0
	v_lshl_add_u64 v[12:13], v[2:3], 1, s[30:31]
	;; [unrolled: 2-line block ×3, first 2 shown]
	v_mad_i64_i32 v[2:3], s[14:15], s34, v1, 0
	v_cmp_ge_i32_e64 s[10:11], s22, v28
	v_cmp_eq_u32_e64 s[12:13], 0, v24
	v_lshlrev_b32_e32 v35, 2, v24
	v_and_b32_e32 v36, 12, v25
	v_lshl_add_u64 v[16:17], v[2:3], 1, s[30:31]
	s_lshl_b64 s[38:39], s[34:35], 1
	s_mul_hi_i32 s41, s26, 6
	s_mul_i32 s40, s26, 6
	s_lshl_b64 s[42:43], s[26:27], 3
	s_lshl_b64 s[44:45], s[26:27], 2
	s_lshl_b64 s[46:47], s[26:27], 1
	v_mov_b32_e32 v37, 0
	v_mov_b64_e32 v[18:19], v[6:7]
                                        ; implicit-def: $vgpr2_vgpr3_vgpr4_vgpr5
	s_branch .LBB459_18
.LBB459_17:                             ;   in Loop: Header=BB459_18 Depth=1
	s_or_b64 exec, exec, s[14:15]
	s_add_i32 s3, s3, 4
	s_cmp_ge_i32 s3, s56
	v_lshl_add_u64 v[18:19], v[18:19], 0, s[42:43]
	s_cbranch_scc1 .LBB459_64
.LBB459_18:                             ; =>This Loop Header: Depth=1
                                        ;     Child Loop BB459_49 Depth 2
                                        ;     Child Loop BB459_52 Depth 2
                                        ; implicit-def: $vgpr38
                                        ; implicit-def: $vgpr39
                                        ; implicit-def: $vgpr40
                                        ; implicit-def: $vgpr41
	s_and_saveexec_b64 s[14:15], s[8:9]
	s_xor_b64 s[14:15], exec, s[14:15]
	s_cbranch_execnz .LBB459_45
; %bb.19:                               ;   in Loop: Header=BB459_18 Depth=1
	s_andn2_saveexec_b64 s[48:49], s[14:15]
	s_cbranch_execnz .LBB459_46
.LBB459_20:                             ;   in Loop: Header=BB459_18 Depth=1
	s_or_b64 exec, exec, s[48:49]
	s_and_saveexec_b64 s[14:15], s[0:1]
	s_cbranch_execz .LBB459_22
.LBB459_21:                             ;   in Loop: Header=BB459_18 Depth=1
	ds_write_b32 v35, v37
.LBB459_22:                             ;   in Loop: Header=BB459_18 Depth=1
	s_or_b64 exec, exec, s[14:15]
	ds_bpermute_b32 v20, v29, v41
	s_waitcnt lgkmcnt(0)
	s_barrier
	v_add_f32_e32 v20, v41, v20
	ds_bpermute_b32 v21, v30, v20
	s_waitcnt lgkmcnt(0)
	v_add_f32_e32 v20, v20, v21
	ds_bpermute_b32 v21, v31, v20
	s_waitcnt lgkmcnt(0)
	;; [unrolled: 3-line block ×4, first 2 shown]
	v_add_f32_e32 v20, v20, v21
	ds_bpermute_b32 v21, v34, v20
	s_and_saveexec_b64 s[14:15], s[12:13]
	s_cbranch_execz .LBB459_24
; %bb.23:                               ;   in Loop: Header=BB459_18 Depth=1
	s_waitcnt lgkmcnt(0)
	v_add_f32_e32 v20, v20, v21
	ds_write_b32 v36, v20
.LBB459_24:                             ;   in Loop: Header=BB459_18 Depth=1
	s_or_b64 exec, exec, s[14:15]
	v_mov_b32_e32 v20, 0
	s_waitcnt lgkmcnt(0)
	s_barrier
	s_and_saveexec_b64 s[14:15], s[4:5]
	s_cbranch_execnz .LBB459_54
; %bb.25:                               ;   in Loop: Header=BB459_18 Depth=1
	s_or_b64 exec, exec, s[14:15]
	s_and_saveexec_b64 s[14:15], s[0:1]
	s_cbranch_execnz .LBB459_55
.LBB459_26:                             ;   in Loop: Header=BB459_18 Depth=1
	s_or_b64 exec, exec, s[14:15]
	s_and_saveexec_b64 s[14:15], s[0:1]
	s_cbranch_execz .LBB459_28
.LBB459_27:                             ;   in Loop: Header=BB459_18 Depth=1
	ds_write_b32 v35, v37
.LBB459_28:                             ;   in Loop: Header=BB459_18 Depth=1
	s_or_b64 exec, exec, s[14:15]
	ds_bpermute_b32 v21, v29, v40
	s_waitcnt lgkmcnt(0)
	s_barrier
	v_add_f32_e32 v21, v40, v21
	ds_bpermute_b32 v40, v30, v21
	s_waitcnt lgkmcnt(0)
	v_add_f32_e32 v21, v21, v40
	ds_bpermute_b32 v40, v31, v21
	s_waitcnt lgkmcnt(0)
	;; [unrolled: 3-line block ×4, first 2 shown]
	v_add_f32_e32 v21, v21, v40
	ds_bpermute_b32 v40, v34, v21
	s_and_saveexec_b64 s[14:15], s[12:13]
	s_cbranch_execz .LBB459_30
; %bb.29:                               ;   in Loop: Header=BB459_18 Depth=1
	s_waitcnt lgkmcnt(0)
	v_add_f32_e32 v21, v21, v40
	ds_write_b32 v36, v21
.LBB459_30:                             ;   in Loop: Header=BB459_18 Depth=1
	s_or_b64 exec, exec, s[14:15]
	v_mov_b32_e32 v21, 0
	s_waitcnt lgkmcnt(0)
	s_barrier
	s_and_saveexec_b64 s[14:15], s[4:5]
	s_cbranch_execnz .LBB459_56
; %bb.31:                               ;   in Loop: Header=BB459_18 Depth=1
	s_or_b64 exec, exec, s[14:15]
	s_and_saveexec_b64 s[14:15], s[0:1]
	s_cbranch_execnz .LBB459_57
.LBB459_32:                             ;   in Loop: Header=BB459_18 Depth=1
	s_or_b64 exec, exec, s[14:15]
	s_and_saveexec_b64 s[14:15], s[0:1]
	s_cbranch_execz .LBB459_34
.LBB459_33:                             ;   in Loop: Header=BB459_18 Depth=1
	ds_write_b32 v35, v37
.LBB459_34:                             ;   in Loop: Header=BB459_18 Depth=1
	s_or_b64 exec, exec, s[14:15]
	ds_bpermute_b32 v40, v29, v39
	s_waitcnt lgkmcnt(0)
	s_barrier
	v_add_f32_e32 v39, v39, v40
	ds_bpermute_b32 v40, v30, v39
	s_waitcnt lgkmcnt(0)
	v_add_f32_e32 v39, v39, v40
	ds_bpermute_b32 v40, v31, v39
	s_waitcnt lgkmcnt(0)
	;; [unrolled: 3-line block ×4, first 2 shown]
	v_add_f32_e32 v39, v39, v40
	ds_bpermute_b32 v40, v34, v39
	s_and_saveexec_b64 s[14:15], s[12:13]
	s_cbranch_execz .LBB459_36
; %bb.35:                               ;   in Loop: Header=BB459_18 Depth=1
	s_waitcnt lgkmcnt(0)
	v_add_f32_e32 v39, v39, v40
	ds_write_b32 v36, v39
.LBB459_36:                             ;   in Loop: Header=BB459_18 Depth=1
	s_or_b64 exec, exec, s[14:15]
	v_mov_b32_e32 v39, 0
	s_waitcnt lgkmcnt(0)
	s_barrier
	s_and_saveexec_b64 s[14:15], s[4:5]
	s_cbranch_execnz .LBB459_58
; %bb.37:                               ;   in Loop: Header=BB459_18 Depth=1
	s_or_b64 exec, exec, s[14:15]
	s_and_saveexec_b64 s[14:15], s[0:1]
	s_cbranch_execnz .LBB459_59
.LBB459_38:                             ;   in Loop: Header=BB459_18 Depth=1
	s_or_b64 exec, exec, s[14:15]
	s_and_saveexec_b64 s[14:15], s[0:1]
	s_cbranch_execz .LBB459_40
.LBB459_39:                             ;   in Loop: Header=BB459_18 Depth=1
	ds_write_b32 v35, v37
.LBB459_40:                             ;   in Loop: Header=BB459_18 Depth=1
	s_or_b64 exec, exec, s[14:15]
	ds_bpermute_b32 v40, v29, v38
	s_waitcnt lgkmcnt(0)
	s_barrier
	v_add_f32_e32 v38, v38, v40
	ds_bpermute_b32 v40, v30, v38
	s_waitcnt lgkmcnt(0)
	v_add_f32_e32 v38, v38, v40
	ds_bpermute_b32 v40, v31, v38
	s_waitcnt lgkmcnt(0)
	;; [unrolled: 3-line block ×4, first 2 shown]
	v_add_f32_e32 v38, v38, v40
	ds_bpermute_b32 v40, v34, v38
	s_and_saveexec_b64 s[14:15], s[12:13]
	s_cbranch_execz .LBB459_42
; %bb.41:                               ;   in Loop: Header=BB459_18 Depth=1
	s_waitcnt lgkmcnt(0)
	v_add_f32_e32 v38, v38, v40
	ds_write_b32 v36, v38
.LBB459_42:                             ;   in Loop: Header=BB459_18 Depth=1
	s_or_b64 exec, exec, s[14:15]
	v_mov_b32_e32 v38, 0
	s_waitcnt lgkmcnt(0)
	s_barrier
	s_and_saveexec_b64 s[14:15], s[4:5]
	s_cbranch_execnz .LBB459_60
; %bb.43:                               ;   in Loop: Header=BB459_18 Depth=1
	s_or_b64 exec, exec, s[14:15]
	s_and_saveexec_b64 s[14:15], s[0:1]
	s_cbranch_execnz .LBB459_61
.LBB459_44:                             ;   in Loop: Header=BB459_18 Depth=1
	s_or_b64 exec, exec, s[14:15]
	s_and_saveexec_b64 s[14:15], s[6:7]
	s_cbranch_execz .LBB459_17
	s_branch .LBB459_62
.LBB459_45:                             ;   in Loop: Header=BB459_18 Depth=1
	s_mul_i32 s16, s3, s27
	s_mul_hi_u32 s17, s3, s26
	s_add_i32 s17, s17, s16
	s_mul_i32 s16, s3, s26
	v_lshl_add_u64 v[2:3], s[16:17], 1, v[6:7]
	s_or_b32 s16, s3, 1
	s_mul_i32 s17, s16, s27
	s_mul_hi_u32 s18, s16, s26
	s_add_i32 s17, s18, s17
	s_mul_i32 s16, s16, s26
	v_lshl_add_u64 v[4:5], s[16:17], 1, v[6:7]
	s_or_b32 s16, s3, 2
	s_mul_i32 s17, s16, s27
	s_mul_hi_u32 s18, s16, s26
	s_add_i32 s17, s18, s17
	s_mul_i32 s16, s16, s26
	v_lshl_add_u64 v[20:21], s[16:17], 1, v[6:7]
	s_or_b32 s16, s3, 3
	s_mul_i32 s17, s16, s27
	s_mul_hi_u32 s18, s16, s26
	s_add_i32 s17, s18, s17
	s_mul_i32 s16, s16, s26
	flat_load_ushort v48, v[12:13]
	flat_load_ushort v49, v[14:15]
	;; [unrolled: 1-line block ×4, first 2 shown]
	s_waitcnt lgkmcnt(0)
	v_lshl_add_u64 v[38:39], s[16:17], 1, v[6:7]
	flat_load_dwordx2 v[40:41], v[2:3]
	flat_load_dwordx2 v[42:43], v[4:5]
	;; [unrolled: 1-line block ×4, first 2 shown]
	s_waitcnt vmcnt(0) lgkmcnt(0)
	v_cvt_f32_f16_e32 v3, v48
	v_cvt_f32_f16_e32 v4, v49
	;; [unrolled: 1-line block ×4, first 2 shown]
	v_fma_mix_f32 v20, v50, v40, 0 op_sel_hi:[1,1,0]
	v_fma_mix_f32 v21, v50, v42, 0 op_sel_hi:[1,1,0]
	;; [unrolled: 1-line block ×4, first 2 shown]
	v_fma_mix_f32 v20, v48, v40, v20 op_sel:[0,1,0] op_sel_hi:[1,1,0]
	v_fma_mix_f32 v21, v48, v42, v21 op_sel:[0,1,0] op_sel_hi:[1,1,0]
	v_fma_mix_f32 v38, v48, v44, v38 op_sel:[0,1,0] op_sel_hi:[1,1,0]
	v_fma_mix_f32 v39, v48, v46, v39 op_sel:[0,1,0] op_sel_hi:[1,1,0]
	v_fma_mix_f32 v20, v49, v41, v20 op_sel_hi:[1,1,0]
	v_fma_mix_f32 v21, v49, v43, v21 op_sel_hi:[1,1,0]
	;; [unrolled: 1-line block ×4, first 2 shown]
	v_fma_mix_f32 v41, v51, v41, v20 op_sel:[0,1,0] op_sel_hi:[1,1,0]
	v_fma_mix_f32 v40, v51, v43, v21 op_sel:[0,1,0] op_sel_hi:[1,1,0]
	;; [unrolled: 1-line block ×4, first 2 shown]
	s_andn2_saveexec_b64 s[48:49], s[14:15]
	s_cbranch_execz .LBB459_20
.LBB459_46:                             ;   in Loop: Header=BB459_18 Depth=1
	s_waitcnt lgkmcnt(0)
	v_mov_b32_e32 v38, 0
	v_mov_b32_e32 v39, 0
	;; [unrolled: 1-line block ×4, first 2 shown]
	s_and_saveexec_b64 s[50:51], s[10:11]
	s_cbranch_execz .LBB459_53
; %bb.47:                               ;   in Loop: Header=BB459_18 Depth=1
	v_cndmask_b32_e64 v20, 0, 1, s[36:37]
	v_cmp_ne_u32_e64 s[14:15], 1, v20
	s_andn2_b64 vcc, exec, s[36:37]
	s_cbranch_vccnz .LBB459_50
; %bb.48:                               ;   in Loop: Header=BB459_18 Depth=1
	s_mov_b64 s[52:53], 0
	v_mov_b64_e32 v[20:21], v[10:11]
.LBB459_49:                             ;   Parent Loop BB459_18 Depth=1
                                        ; =>  This Inner Loop Header: Depth=2
	flat_load_ushort v38, v[20:21]
	s_cmp_eq_u32 s52, 3
	s_cselect_b64 vcc, -1, 0
	s_cmp_eq_u32 s52, 2
	s_cselect_b64 s[16:17], -1, 0
	s_cmp_eq_u32 s52, 1
	s_cselect_b64 s[18:19], -1, 0
	;; [unrolled: 2-line block ×3, first 2 shown]
	s_add_u32 s52, s52, 1
	s_addc_u32 s53, s53, 0
	v_lshl_add_u64 v[20:21], v[20:21], 0, s[38:39]
	s_cmp_eq_u32 s25, s52
	s_waitcnt vmcnt(0) lgkmcnt(0)
	v_cvt_f32_f16_e32 v38, v38
	v_cndmask_b32_e32 v5, v5, v38, vcc
	v_cndmask_b32_e64 v4, v4, v38, s[16:17]
	v_cndmask_b32_e64 v3, v3, v38, s[18:19]
	;; [unrolled: 1-line block ×3, first 2 shown]
	s_cbranch_scc0 .LBB459_49
.LBB459_50:                             ;   in Loop: Header=BB459_18 Depth=1
	s_and_b64 vcc, exec, s[14:15]
	v_mov_b32_e32 v38, 0
	v_mov_b32_e32 v39, 0
	;; [unrolled: 1-line block ×4, first 2 shown]
	s_cbranch_vccnz .LBB459_53
; %bb.51:                               ;   in Loop: Header=BB459_18 Depth=1
	s_mov_b64 s[14:15], 0
	v_mov_b32_e32 v41, 0
	v_mov_b64_e32 v[20:21], v[18:19]
	v_mov_b32_e32 v40, 0
	v_mov_b32_e32 v39, 0
	;; [unrolled: 1-line block ×3, first 2 shown]
.LBB459_52:                             ;   Parent Loop BB459_18 Depth=1
                                        ; =>  This Inner Loop Header: Depth=2
	v_lshl_add_u64 v[42:43], v[20:21], 0, s[46:47]
	v_lshl_add_u64 v[44:45], v[20:21], 0, s[44:45]
	flat_load_ushort v48, v[20:21]
	v_lshl_add_u64 v[46:47], v[20:21], 0, s[40:41]
	flat_load_ushort v42, v[42:43]
	s_nop 0
	flat_load_ushort v43, v[44:45]
	s_nop 0
	flat_load_ushort v44, v[46:47]
	s_cmp_eq_u32 s14, 1
	s_cselect_b64 vcc, -1, 0
	s_cmp_eq_u32 s14, 2
	v_cndmask_b32_e32 v45, v2, v3, vcc
	s_cselect_b64 vcc, -1, 0
	s_cmp_eq_u32 s14, 3
	v_cndmask_b32_e32 v45, v45, v4, vcc
	s_cselect_b64 vcc, -1, 0
	s_add_u32 s14, s14, 1
	v_cndmask_b32_e32 v45, v45, v5, vcc
	s_addc_u32 s15, s15, 0
	v_lshl_add_u64 v[20:21], v[20:21], 0, 2
	s_cmp_lg_u32 s25, s14
	s_waitcnt vmcnt(0) lgkmcnt(0)
	v_fma_mix_f32 v40, v45, v42, v40 op_sel_hi:[0,1,0]
	v_fma_mix_f32 v41, v45, v48, v41 op_sel_hi:[0,1,0]
	;; [unrolled: 1-line block ×4, first 2 shown]
	s_cbranch_scc1 .LBB459_52
.LBB459_53:                             ;   in Loop: Header=BB459_18 Depth=1
	s_or_b64 exec, exec, s[50:51]
	s_or_b64 exec, exec, s[48:49]
	s_and_saveexec_b64 s[14:15], s[0:1]
	s_cbranch_execnz .LBB459_21
	s_branch .LBB459_22
.LBB459_54:                             ;   in Loop: Header=BB459_18 Depth=1
	ds_read_b32 v20, v35
	s_or_b64 exec, exec, s[14:15]
	s_and_saveexec_b64 s[14:15], s[0:1]
	s_cbranch_execz .LBB459_26
.LBB459_55:                             ;   in Loop: Header=BB459_18 Depth=1
	s_waitcnt lgkmcnt(0)
	ds_bpermute_b32 v21, v33, v20
	s_waitcnt lgkmcnt(0)
	v_add_f32_e32 v20, v20, v21
	ds_bpermute_b32 v21, v34, v20
	s_waitcnt lgkmcnt(0)
	v_add_f32_e32 v20, v20, v21
	s_or_b64 exec, exec, s[14:15]
	s_and_saveexec_b64 s[14:15], s[0:1]
	s_cbranch_execnz .LBB459_27
	s_branch .LBB459_28
.LBB459_56:                             ;   in Loop: Header=BB459_18 Depth=1
	ds_read_b32 v21, v35
	s_or_b64 exec, exec, s[14:15]
	s_and_saveexec_b64 s[14:15], s[0:1]
	s_cbranch_execz .LBB459_32
.LBB459_57:                             ;   in Loop: Header=BB459_18 Depth=1
	s_waitcnt lgkmcnt(0)
	ds_bpermute_b32 v40, v33, v21
	s_waitcnt lgkmcnt(0)
	v_add_f32_e32 v21, v21, v40
	ds_bpermute_b32 v40, v34, v21
	s_waitcnt lgkmcnt(0)
	v_add_f32_e32 v21, v21, v40
	s_or_b64 exec, exec, s[14:15]
	s_and_saveexec_b64 s[14:15], s[0:1]
	s_cbranch_execnz .LBB459_33
	s_branch .LBB459_34
.LBB459_58:                             ;   in Loop: Header=BB459_18 Depth=1
	ds_read_b32 v39, v35
	s_or_b64 exec, exec, s[14:15]
	s_and_saveexec_b64 s[14:15], s[0:1]
	s_cbranch_execz .LBB459_38
.LBB459_59:                             ;   in Loop: Header=BB459_18 Depth=1
	s_waitcnt lgkmcnt(0)
	ds_bpermute_b32 v40, v33, v39
	s_waitcnt lgkmcnt(0)
	v_add_f32_e32 v39, v39, v40
	ds_bpermute_b32 v40, v34, v39
	s_waitcnt lgkmcnt(0)
	v_add_f32_e32 v39, v39, v40
	s_or_b64 exec, exec, s[14:15]
	s_and_saveexec_b64 s[14:15], s[0:1]
	s_cbranch_execnz .LBB459_39
	s_branch .LBB459_40
.LBB459_60:                             ;   in Loop: Header=BB459_18 Depth=1
	ds_read_b32 v38, v35
	s_or_b64 exec, exec, s[14:15]
	s_and_saveexec_b64 s[14:15], s[0:1]
	s_cbranch_execz .LBB459_44
.LBB459_61:                             ;   in Loop: Header=BB459_18 Depth=1
	s_waitcnt lgkmcnt(0)
	ds_bpermute_b32 v40, v33, v38
	s_waitcnt lgkmcnt(0)
	v_add_f32_e32 v38, v38, v40
	ds_bpermute_b32 v40, v34, v38
	s_waitcnt lgkmcnt(0)
	v_add_f32_e32 v38, v38, v40
	s_or_b64 exec, exec, s[14:15]
	s_and_saveexec_b64 s[14:15], s[6:7]
	s_cbranch_execz .LBB459_17
.LBB459_62:                             ;   in Loop: Header=BB459_18 Depth=1
	s_mul_hi_u32 s17, s3, s24
	s_mul_i32 s16, s3, s24
	s_lshl_b64 s[16:17], s[16:17], 2
	s_add_u32 s16, s57, s16
	v_mul_f32_e32 v20, s33, v20
	s_addc_u32 s17, s58, s17
	global_store_dword v37, v20, s[16:17]
	s_or_b32 s16, s3, 1
	s_mul_hi_u32 s17, s16, s24
	s_mul_i32 s16, s16, s24
	s_lshl_b64 s[16:17], s[16:17], 2
	s_add_u32 s16, s57, s16
	v_mul_f32_e32 v20, s33, v21
	s_addc_u32 s17, s58, s17
	global_store_dword v37, v20, s[16:17]
	s_or_b32 s16, s3, 2
	;; [unrolled: 8-line block ×3, first 2 shown]
	s_mul_hi_u32 s17, s16, s24
	s_mul_i32 s16, s16, s24
	s_lshl_b64 s[16:17], s[16:17], 2
	s_add_u32 s16, s57, s16
	s_waitcnt lgkmcnt(0)
	v_mul_f32_e32 v20, s33, v38
	s_addc_u32 s17, s58, s17
	global_store_dword v37, v20, s[16:17]
	s_branch .LBB459_17
.LBB459_63:
	s_mov_b32 s3, 0
                                        ; implicit-def: $vgpr2_vgpr3_vgpr4_vgpr5
.LBB459_64:
	s_cmp_ge_i32 s3, s23
	s_cbranch_scc1 .LBB459_88
; %bb.65:
	v_mbcnt_hi_u32_b32 v10, -1, v26
	v_and_b32_e32 v11, 63, v10
	v_cmp_gt_u32_e32 vcc, 32, v11
	v_cmp_ge_i32_e64 s[0:1], s22, v27
	v_cmp_ge_i32_e64 s[4:5], s22, v28
	v_cndmask_b32_e64 v12, 0, 1, vcc
	v_lshlrev_b32_e32 v12, 5, v12
	v_cmp_gt_u32_e32 vcc, 48, v11
	v_add_lshl_u32 v21, v12, v10, 2
	s_mov_b32 s37, 0
	v_cndmask_b32_e64 v12, 0, 1, vcc
	v_lshlrev_b32_e32 v12, 4, v12
	v_cmp_gt_u32_e32 vcc, 56, v11
	v_add_lshl_u32 v26, v12, v10, 2
	s_cmp_gt_i32 s25, 0
	v_cndmask_b32_e64 v12, 0, 1, vcc
	v_lshlrev_b32_e32 v12, 3, v12
	v_cmp_gt_u32_e32 vcc, 60, v11
	v_add_lshl_u32 v27, v12, v10, 2
	s_mov_b32 s36, s2
	v_cndmask_b32_e64 v12, 0, 1, vcc
	v_lshlrev_b32_e32 v12, 2, v12
	v_cmp_gt_u32_e32 vcc, 62, v11
	v_add_lshl_u32 v28, v12, v10, 2
	s_cselect_b64 s[38:39], -1, 0
	v_cndmask_b32_e64 v12, 0, 1, vcc
	v_lshlrev_b32_e32 v12, 1, v12
	v_cmp_ne_u32_e32 vcc, 63, v11
	s_lshl_b64 s[14:15], s[36:37], 2
	v_add_lshl_u32 v29, v12, v10, 2
	v_addc_co_u32_e32 v10, vcc, 0, v10, vcc
	s_add_u32 s2, s54, s14
	v_cmp_gt_u32_e64 s[6:7], 64, v0
	v_lshlrev_b32_e32 v30, 2, v10
	v_cmp_gt_u32_e64 s[10:11], 4, v0
	v_cmp_eq_u32_e64 s[12:13], 0, v0
	s_addc_u32 s22, s55, s15
	v_mad_i64_i32 v[10:11], s[14:15], s34, v8, 0
	v_mad_i64_i32 v[12:13], s[14:15], s34, v23, 0
	v_mad_i64_i32 v[14:15], s[14:15], s34, v22, 0
	v_mad_i64_i32 v[0:1], s[14:15], s34, v1, 0
	s_mul_i32 s14, s27, s3
	s_mul_hi_u32 s15, s26, s3
	s_add_i32 s15, s15, s14
	s_mul_i32 s14, s26, s3
	v_lshl_add_u64 v[10:11], v[10:11], 1, s[30:31]
	v_lshl_add_u64 v[12:13], v[12:13], 1, s[30:31]
	;; [unrolled: 1-line block ×4, first 2 shown]
	s_lshl_b64 s[30:31], s[34:35], 1
	s_lshl_b64 s[14:15], s[14:15], 1
	s_add_u32 s14, s28, s14
	s_addc_u32 s15, s29, s15
	v_lshlrev_b32_e32 v20, 2, v24
	v_cmp_eq_u32_e64 s[8:9], 0, v24
	v_and_b32_e32 v24, 12, v25
	v_lshl_add_u64 v[8:9], v[8:9], 1, s[14:15]
	s_lshl_b64 s[28:29], s[26:27], 1
	v_mov_b32_e32 v1, 0
	s_branch .LBB459_67
.LBB459_66:                             ;   in Loop: Header=BB459_67 Depth=1
	s_or_b64 exec, exec, s[14:15]
	s_add_i32 s3, s3, 1
	s_cmp_ge_i32 s3, s23
	v_lshl_add_u64 v[8:9], v[8:9], 0, s[28:29]
	s_cbranch_scc1 .LBB459_88
.LBB459_67:                             ; =>This Loop Header: Depth=1
                                        ;     Child Loop BB459_80 Depth 2
                                        ;     Child Loop BB459_83 Depth 2
	s_waitcnt lgkmcnt(0)
	v_mov_b32_e32 v0, s37
	s_and_saveexec_b64 s[14:15], s[0:1]
	s_xor_b64 s[14:15], exec, s[14:15]
	s_cbranch_execnz .LBB459_76
; %bb.68:                               ;   in Loop: Header=BB459_67 Depth=1
	s_andn2_saveexec_b64 s[34:35], s[14:15]
	s_cbranch_execnz .LBB459_77
.LBB459_69:                             ;   in Loop: Header=BB459_67 Depth=1
	s_or_b64 exec, exec, s[34:35]
	s_and_saveexec_b64 s[14:15], s[6:7]
	s_cbranch_execz .LBB459_71
.LBB459_70:                             ;   in Loop: Header=BB459_67 Depth=1
	ds_write_b32 v20, v1
.LBB459_71:                             ;   in Loop: Header=BB459_67 Depth=1
	s_or_b64 exec, exec, s[14:15]
	ds_bpermute_b32 v18, v21, v0
	s_waitcnt lgkmcnt(0)
	s_barrier
	v_add_f32_e32 v0, v0, v18
	ds_bpermute_b32 v18, v26, v0
	s_waitcnt lgkmcnt(0)
	v_add_f32_e32 v0, v0, v18
	ds_bpermute_b32 v18, v27, v0
	s_waitcnt lgkmcnt(0)
	;; [unrolled: 3-line block ×4, first 2 shown]
	v_add_f32_e32 v0, v0, v18
	ds_bpermute_b32 v18, v30, v0
	s_and_saveexec_b64 s[14:15], s[8:9]
	s_cbranch_execz .LBB459_73
; %bb.72:                               ;   in Loop: Header=BB459_67 Depth=1
	s_waitcnt lgkmcnt(0)
	v_add_f32_e32 v0, v0, v18
	ds_write_b32 v24, v0
.LBB459_73:                             ;   in Loop: Header=BB459_67 Depth=1
	s_or_b64 exec, exec, s[14:15]
	v_mov_b32_e32 v0, 0
	s_waitcnt lgkmcnt(0)
	s_barrier
	s_and_saveexec_b64 s[14:15], s[10:11]
	s_cbranch_execnz .LBB459_85
; %bb.74:                               ;   in Loop: Header=BB459_67 Depth=1
	s_or_b64 exec, exec, s[14:15]
	s_and_saveexec_b64 s[14:15], s[6:7]
	s_cbranch_execnz .LBB459_86
.LBB459_75:                             ;   in Loop: Header=BB459_67 Depth=1
	s_or_b64 exec, exec, s[14:15]
	s_and_saveexec_b64 s[14:15], s[12:13]
	s_cbranch_execz .LBB459_66
	s_branch .LBB459_87
.LBB459_76:                             ;   in Loop: Header=BB459_67 Depth=1
	s_mul_i32 s16, s3, s27
	s_mul_hi_u32 s17, s3, s26
	s_add_i32 s17, s17, s16
	s_mul_i32 s16, s3, s26
	v_lshl_add_u64 v[2:3], s[16:17], 1, v[6:7]
	flat_load_ushort v0, v[12:13]
	flat_load_ushort v22, v[14:15]
	;; [unrolled: 1-line block ×4, first 2 shown]
	flat_load_dwordx2 v[18:19], v[2:3]
	s_waitcnt vmcnt(0) lgkmcnt(0)
	v_cvt_f32_f16_e32 v3, v0
	v_cvt_f32_f16_e32 v4, v22
	;; [unrolled: 1-line block ×4, first 2 shown]
	v_fma_mix_f32 v23, v23, v18, 0 op_sel_hi:[1,1,0]
	s_nop 0
	v_fma_mix_f32 v0, v0, v18, v23 op_sel:[0,1,0] op_sel_hi:[1,1,0]
	s_nop 0
	v_fma_mix_f32 v0, v22, v19, v0 op_sel_hi:[1,1,0]
	s_nop 0
	v_fma_mix_f32 v0, v25, v19, v0 op_sel:[0,1,0] op_sel_hi:[1,1,0]
	s_andn2_saveexec_b64 s[34:35], s[14:15]
	s_cbranch_execz .LBB459_69
.LBB459_77:                             ;   in Loop: Header=BB459_67 Depth=1
	s_and_saveexec_b64 s[40:41], s[4:5]
	s_cbranch_execz .LBB459_84
; %bb.78:                               ;   in Loop: Header=BB459_67 Depth=1
	v_cndmask_b32_e64 v18, 0, 1, s[38:39]
	v_cmp_ne_u32_e64 s[14:15], 1, v18
	s_andn2_b64 vcc, exec, s[38:39]
	s_cbranch_vccnz .LBB459_81
; %bb.79:                               ;   in Loop: Header=BB459_67 Depth=1
	s_mov_b64 s[42:43], 0
	v_mov_b64_e32 v[18:19], v[10:11]
.LBB459_80:                             ;   Parent Loop BB459_67 Depth=1
                                        ; =>  This Inner Loop Header: Depth=2
	flat_load_ushort v22, v[18:19]
	s_cmp_eq_u32 s42, 3
	s_cselect_b64 vcc, -1, 0
	s_cmp_eq_u32 s42, 2
	s_cselect_b64 s[16:17], -1, 0
	s_cmp_eq_u32 s42, 1
	s_cselect_b64 s[18:19], -1, 0
	;; [unrolled: 2-line block ×3, first 2 shown]
	s_add_u32 s42, s42, 1
	s_addc_u32 s43, s43, 0
	v_lshl_add_u64 v[18:19], v[18:19], 0, s[30:31]
	s_cmp_eq_u32 s25, s42
	s_waitcnt vmcnt(0) lgkmcnt(0)
	v_cvt_f32_f16_e32 v22, v22
	v_cndmask_b32_e32 v5, v5, v22, vcc
	v_cndmask_b32_e64 v4, v4, v22, s[16:17]
	v_cndmask_b32_e64 v3, v3, v22, s[18:19]
	;; [unrolled: 1-line block ×3, first 2 shown]
	s_cbranch_scc0 .LBB459_80
.LBB459_81:                             ;   in Loop: Header=BB459_67 Depth=1
	s_and_b64 vcc, exec, s[14:15]
	s_cbranch_vccnz .LBB459_84
; %bb.82:                               ;   in Loop: Header=BB459_67 Depth=1
	s_mov_b64 s[14:15], 0
	v_mov_b64_e32 v[18:19], v[8:9]
.LBB459_83:                             ;   Parent Loop BB459_67 Depth=1
                                        ; =>  This Inner Loop Header: Depth=2
	flat_load_ushort v22, v[18:19]
	s_cmp_eq_u32 s14, 1
	s_cselect_b64 vcc, -1, 0
	s_cmp_eq_u32 s14, 2
	v_cndmask_b32_e32 v23, v2, v3, vcc
	s_cselect_b64 vcc, -1, 0
	s_cmp_eq_u32 s14, 3
	v_cndmask_b32_e32 v23, v23, v4, vcc
	s_cselect_b64 vcc, -1, 0
	s_add_u32 s14, s14, 1
	v_cndmask_b32_e32 v23, v23, v5, vcc
	s_addc_u32 s15, s15, 0
	v_lshl_add_u64 v[18:19], v[18:19], 0, 2
	s_cmp_lg_u32 s25, s14
	s_waitcnt vmcnt(0) lgkmcnt(0)
	v_fma_mix_f32 v0, v23, v22, v0 op_sel_hi:[0,1,0]
	s_cbranch_scc1 .LBB459_83
.LBB459_84:                             ;   in Loop: Header=BB459_67 Depth=1
	s_or_b64 exec, exec, s[40:41]
	s_or_b64 exec, exec, s[34:35]
	s_and_saveexec_b64 s[14:15], s[6:7]
	s_cbranch_execnz .LBB459_70
	s_branch .LBB459_71
.LBB459_85:                             ;   in Loop: Header=BB459_67 Depth=1
	ds_read_b32 v0, v20
	s_or_b64 exec, exec, s[14:15]
	s_and_saveexec_b64 s[14:15], s[6:7]
	s_cbranch_execz .LBB459_75
.LBB459_86:                             ;   in Loop: Header=BB459_67 Depth=1
	s_waitcnt lgkmcnt(0)
	ds_bpermute_b32 v18, v29, v0
	s_waitcnt lgkmcnt(0)
	v_add_f32_e32 v0, v0, v18
	ds_bpermute_b32 v18, v30, v0
	s_waitcnt lgkmcnt(0)
	v_add_f32_e32 v0, v0, v18
	s_or_b64 exec, exec, s[14:15]
	s_and_saveexec_b64 s[14:15], s[12:13]
	s_cbranch_execz .LBB459_66
.LBB459_87:                             ;   in Loop: Header=BB459_67 Depth=1
	s_mul_hi_u32 s17, s3, s24
	s_mul_i32 s16, s3, s24
	s_lshl_b64 s[16:17], s[16:17], 2
	s_add_u32 s16, s2, s16
	s_waitcnt lgkmcnt(0)
	v_mul_f32_e32 v0, s33, v0
	s_addc_u32 s17, s22, s17
	global_store_dword v1, v0, s[16:17]
	s_branch .LBB459_66
.LBB459_88:
	s_endpgm
	.section	.rodata,"a",@progbits
	.p2align	6, 0x0
	.amdhsa_kernel _ZL23rocblas_gemvt_sn_kernelILb1ELi256ELi4ElPKDF16_PKffEviiT4_lPKT3_lilS7_lilPT5_i
		.amdhsa_group_segment_fixed_size 256
		.amdhsa_private_segment_fixed_size 0
		.amdhsa_kernarg_size 360
		.amdhsa_user_sgpr_count 2
		.amdhsa_user_sgpr_dispatch_ptr 0
		.amdhsa_user_sgpr_queue_ptr 0
		.amdhsa_user_sgpr_kernarg_segment_ptr 1
		.amdhsa_user_sgpr_dispatch_id 0
		.amdhsa_user_sgpr_kernarg_preload_length 0
		.amdhsa_user_sgpr_kernarg_preload_offset 0
		.amdhsa_user_sgpr_private_segment_size 0
		.amdhsa_uses_dynamic_stack 0
		.amdhsa_enable_private_segment 0
		.amdhsa_system_sgpr_workgroup_id_x 1
		.amdhsa_system_sgpr_workgroup_id_y 0
		.amdhsa_system_sgpr_workgroup_id_z 1
		.amdhsa_system_sgpr_workgroup_info 0
		.amdhsa_system_vgpr_workitem_id 0
		.amdhsa_next_free_vgpr 52
		.amdhsa_next_free_sgpr 59
		.amdhsa_accum_offset 52
		.amdhsa_reserve_vcc 1
		.amdhsa_float_round_mode_32 0
		.amdhsa_float_round_mode_16_64 0
		.amdhsa_float_denorm_mode_32 3
		.amdhsa_float_denorm_mode_16_64 3
		.amdhsa_dx10_clamp 1
		.amdhsa_ieee_mode 1
		.amdhsa_fp16_overflow 0
		.amdhsa_tg_split 0
		.amdhsa_exception_fp_ieee_invalid_op 0
		.amdhsa_exception_fp_denorm_src 0
		.amdhsa_exception_fp_ieee_div_zero 0
		.amdhsa_exception_fp_ieee_overflow 0
		.amdhsa_exception_fp_ieee_underflow 0
		.amdhsa_exception_fp_ieee_inexact 0
		.amdhsa_exception_int_div_zero 0
	.end_amdhsa_kernel
	.section	.text._ZL23rocblas_gemvt_sn_kernelILb1ELi256ELi4ElPKDF16_PKffEviiT4_lPKT3_lilS7_lilPT5_i,"axG",@progbits,_ZL23rocblas_gemvt_sn_kernelILb1ELi256ELi4ElPKDF16_PKffEviiT4_lPKT3_lilS7_lilPT5_i,comdat
.Lfunc_end459:
	.size	_ZL23rocblas_gemvt_sn_kernelILb1ELi256ELi4ElPKDF16_PKffEviiT4_lPKT3_lilS7_lilPT5_i, .Lfunc_end459-_ZL23rocblas_gemvt_sn_kernelILb1ELi256ELi4ElPKDF16_PKffEviiT4_lPKT3_lilS7_lilPT5_i
                                        ; -- End function
	.section	.AMDGPU.csdata,"",@progbits
; Kernel info:
; codeLenInByte = 4000
; NumSgprs: 65
; NumVgprs: 52
; NumAgprs: 0
; TotalNumVgprs: 52
; ScratchSize: 0
; MemoryBound: 0
; FloatMode: 240
; IeeeMode: 1
; LDSByteSize: 256 bytes/workgroup (compile time only)
; SGPRBlocks: 8
; VGPRBlocks: 6
; NumSGPRsForWavesPerEU: 65
; NumVGPRsForWavesPerEU: 52
; AccumOffset: 52
; Occupancy: 8
; WaveLimiterHint : 0
; COMPUTE_PGM_RSRC2:SCRATCH_EN: 0
; COMPUTE_PGM_RSRC2:USER_SGPR: 2
; COMPUTE_PGM_RSRC2:TRAP_HANDLER: 0
; COMPUTE_PGM_RSRC2:TGID_X_EN: 1
; COMPUTE_PGM_RSRC2:TGID_Y_EN: 0
; COMPUTE_PGM_RSRC2:TGID_Z_EN: 1
; COMPUTE_PGM_RSRC2:TIDIG_COMP_CNT: 0
; COMPUTE_PGM_RSRC3_GFX90A:ACCUM_OFFSET: 12
; COMPUTE_PGM_RSRC3_GFX90A:TG_SPLIT: 0
	.section	.text._ZL23rocblas_gemvt_sn_kernelILb1ELi256ELi4EiPKDF16_ffEviiT4_lPKT3_lilS5_lilPT5_i,"axG",@progbits,_ZL23rocblas_gemvt_sn_kernelILb1ELi256ELi4EiPKDF16_ffEviiT4_lPKT3_lilS5_lilPT5_i,comdat
	.globl	_ZL23rocblas_gemvt_sn_kernelILb1ELi256ELi4EiPKDF16_ffEviiT4_lPKT3_lilS5_lilPT5_i ; -- Begin function _ZL23rocblas_gemvt_sn_kernelILb1ELi256ELi4EiPKDF16_ffEviiT4_lPKT3_lilS5_lilPT5_i
	.p2align	8
	.type	_ZL23rocblas_gemvt_sn_kernelILb1ELi256ELi4EiPKDF16_ffEviiT4_lPKT3_lilS5_lilPT5_i,@function
_ZL23rocblas_gemvt_sn_kernelILb1ELi256ELi4EiPKDF16_ffEviiT4_lPKT3_lilS5_lilPT5_i: ; @_ZL23rocblas_gemvt_sn_kernelILb1ELi256ELi4EiPKDF16_ffEviiT4_lPKT3_lilS5_lilPT5_i
; %bb.0:
	s_load_dwordx4 s[24:27], s[0:1], 0x0
	s_mov_b32 s10, s3
	s_mov_b32 s11, 0
	s_waitcnt lgkmcnt(0)
	v_cmp_neq_f32_e64 s[6:7], s26, 0
	v_cmp_eq_f32_e64 s[8:9], s26, 0
	s_and_b64 vcc, exec, s[6:7]
	s_cbranch_vccnz .LBB460_2
; %bb.1:
	s_mov_b64 s[4:5], 0
	s_cbranch_execz .LBB460_3
	s_branch .LBB460_4
.LBB460_2:
                                        ; implicit-def: $sgpr4_sgpr5
.LBB460_3:
	s_load_dwordx4 s[12:15], s[0:1], 0x18
	s_lshl_b64 s[4:5], s[10:11], 3
	s_waitcnt lgkmcnt(0)
	s_add_u32 s4, s12, s4
	s_addc_u32 s5, s13, s5
	s_load_dwordx2 s[4:5], s[4:5], 0x0
	s_lshl_b64 s[12:13], s[14:15], 1
	s_waitcnt lgkmcnt(0)
	s_add_u32 s4, s4, s12
	s_addc_u32 s5, s5, s13
.LBB460_4:
	s_andn2_b64 vcc, exec, s[6:7]
	s_cbranch_vccnz .LBB460_6
; %bb.5:
	s_load_dwordx4 s[12:15], s[0:1], 0x38
	s_lshl_b64 s[6:7], s[10:11], 3
	s_waitcnt lgkmcnt(0)
	s_add_u32 s6, s12, s6
	s_addc_u32 s7, s13, s7
	s_load_dwordx2 s[6:7], s[6:7], 0x0
	s_lshl_b64 s[12:13], s[14:15], 1
	s_waitcnt lgkmcnt(0)
	s_add_u32 s22, s6, s12
	s_addc_u32 s23, s7, s13
	s_branch .LBB460_7
.LBB460_6:
	s_mov_b64 s[22:23], 0
.LBB460_7:
	s_load_dwordx2 s[6:7], s[0:1], 0x58
	s_load_dword s28, s[0:1], 0x68
	s_ashr_i32 s16, s25, 31
	s_mul_hi_u32 s3, s10, s25
	s_mul_i32 s12, s10, s16
	s_add_i32 s3, s3, s12
	s_mul_i32 s11, s11, s25
	s_add_i32 s11, s3, s11
	s_mul_i32 s10, s10, s25
	s_waitcnt lgkmcnt(0)
	s_mul_i32 s3, s11, s28
	s_mul_hi_u32 s12, s10, s28
	s_add_i32 s13, s12, s3
	s_mul_i32 s12, s10, s28
	s_lshl_b64 s[12:13], s[12:13], 2
	s_add_u32 s33, s6, s12
	s_mov_b32 s29, 0
	s_addc_u32 s50, s7, s13
	s_andn2_b64 vcc, exec, s[8:9]
	s_mov_b64 s[8:9], -1
	s_cbranch_vccnz .LBB460_17
; %bb.8:
	s_cmp_gt_i32 s25, 0
	v_cmp_eq_u32_e32 vcc, 0, v0
	s_cselect_b64 s[8:9], -1, 0
	s_and_b64 s[12:13], vcc, s[8:9]
	s_and_saveexec_b64 s[8:9], s[12:13]
	s_cbranch_execz .LBB460_16
; %bb.9:
	s_cmp_gt_u32 s25, 1
	s_cselect_b64 s[12:13], -1, 0
	s_cmp_eq_u32 s28, 1
	s_cselect_b64 s[18:19], -1, 0
	s_mov_b32 s3, 0
	s_and_b64 s[12:13], s[12:13], s[18:19]
	s_mov_b64 s[14:15], -1
	s_andn2_b64 vcc, exec, s[12:13]
	s_mov_b32 s12, s3
	s_cbranch_vccnz .LBB460_13
; %bb.10:
	s_lshl_b64 s[12:13], s[2:3], 2
	s_add_u32 s14, s33, s12
	s_addc_u32 s15, s50, s13
	s_and_b32 s12, s25, 0x7ffffffe
	v_mov_b32_e32 v2, 0
	v_mov_b32_e32 v3, v2
	s_mov_b32 s13, s12
.LBB460_11:                             ; =>This Inner Loop Header: Depth=1
	global_store_dwordx2 v2, v[2:3], s[14:15]
	s_add_u32 s14, s14, 8
	s_addc_u32 s15, s15, 0
	s_add_i32 s13, s13, -2
	s_cmp_lg_u32 s13, 0
	s_cbranch_scc1 .LBB460_11
; %bb.12:
	s_cmp_lg_u32 s12, s25
	s_cselect_b64 s[14:15], -1, 0
.LBB460_13:
	s_and_b64 vcc, exec, s[14:15]
	s_cbranch_vccz .LBB460_16
; %bb.14:
	s_mov_b32 s13, 0
	s_sub_i32 s14, s25, s12
	s_lshl_b64 s[10:11], s[10:11], 2
	s_lshl_b64 s[12:13], s[12:13], 2
	s_add_u32 s10, s10, s12
	s_addc_u32 s11, s11, s13
	s_mul_i32 s11, s11, s28
	s_mul_hi_u32 s12, s10, s28
	s_add_i32 s12, s12, s11
	s_mul_i32 s13, s10, s28
	s_lshl_b64 s[10:11], s[2:3], 2
	s_add_u32 s3, s13, s10
	s_addc_u32 s10, s12, s11
	s_add_u32 s6, s6, s3
	s_addc_u32 s7, s7, s10
	s_lshl_b64 s[10:11], s[28:29], 2
	v_mov_b32_e32 v1, 0
.LBB460_15:                             ; =>This Inner Loop Header: Depth=1
	s_add_i32 s14, s14, -1
	global_store_dword v1, v1, s[6:7]
	s_add_u32 s6, s6, s10
	s_addc_u32 s7, s7, s11
	s_cmp_eq_u32 s14, 0
	s_cbranch_scc0 .LBB460_15
.LBB460_16:
	s_or_b64 exec, exec, s[8:9]
	s_mov_b64 s[8:9], 0
.LBB460_17:
	s_andn2_b64 vcc, exec, s[8:9]
	s_cbranch_vccnz .LBB460_91
; %bb.18:
	s_load_dword s30, s[0:1], 0x28
	s_load_dword s27, s[0:1], 0x48
	s_lshl_b32 s0, s2, 10
	v_lshl_or_b32 v2, v0, 2, s0
	s_lshr_b32 s0, s16, 30
	s_add_i32 s0, s25, s0
	s_and_b32 s3, s0, -4
	s_ashr_i32 s0, s24, 31
	s_lshr_b32 s0, s0, 30
	s_add_i32 s0, s24, s0
	s_and_b32 s0, s0, -4
	v_ashrrev_i32_e32 v3, 31, v2
	s_sub_i32 s29, s24, s0
	v_lshl_add_u64 v[6:7], v[2:3], 1, s[4:5]
	s_cmp_lt_i32 s3, 1
	v_add_u32_e32 v23, 4, v2
	v_add_u32_e32 v24, s29, v2
	v_and_b32_e32 v1, 63, v0
	v_cmp_gt_u32_e64 s[0:1], 64, v0
	v_mbcnt_lo_u32_b32 v22, -1, 0
	v_cmp_gt_u32_e64 s[4:5], 4, v0
	v_lshrrev_b32_e32 v9, 4, v0
	v_cmp_eq_u32_e64 s[6:7], 0, v0
	s_waitcnt lgkmcnt(0)
	v_mul_lo_u32 v8, v2, s27
	s_cbranch_scc1 .LBB460_66
; %bb.19:
	v_mbcnt_hi_u32_b32 v3, -1, v22
	v_and_b32_e32 v4, 63, v3
	v_cmp_gt_u32_e32 vcc, 32, v4
	v_mul_lo_u32 v10, v2, s27
	v_add_u32_e32 v2, s27, v10
	v_cndmask_b32_e64 v5, 0, 1, vcc
	v_lshlrev_b32_e32 v5, 5, v5
	v_cmp_gt_u32_e32 vcc, 48, v4
	v_add_lshl_u32 v25, v5, v3, 2
	s_mov_b32 s35, 0
	v_cndmask_b32_e64 v5, 0, 1, vcc
	v_lshlrev_b32_e32 v5, 4, v5
	v_cmp_gt_u32_e32 vcc, 56, v4
	v_add_lshl_u32 v26, v5, v3, 2
	s_cmp_gt_i32 s29, 0
	v_cndmask_b32_e64 v5, 0, 1, vcc
	v_lshlrev_b32_e32 v5, 3, v5
	v_cmp_gt_u32_e32 vcc, 60, v4
	v_add_lshl_u32 v27, v5, v3, 2
	s_cselect_b64 s[36:37], -1, 0
	v_cndmask_b32_e64 v5, 0, 1, vcc
	v_lshlrev_b32_e32 v5, 2, v5
	v_cmp_gt_u32_e32 vcc, 62, v4
	v_add_lshl_u32 v28, v5, v3, 2
	v_ashrrev_i32_e32 v11, 31, v10
	v_cndmask_b32_e64 v5, 0, 1, vcc
	v_lshlrev_b32_e32 v5, 1, v5
	v_cmp_ne_u32_e32 vcc, 63, v4
	v_add_lshl_u32 v29, v5, v3, 2
	s_mov_b32 s31, s35
	v_addc_co_u32_e32 v3, vcc, 0, v3, vcc
	v_lshlrev_b32_e32 v30, 2, v3
	v_ashrrev_i32_e32 v3, 31, v2
	v_lshl_add_u64 v[14:15], v[2:3], 1, s[22:23]
	v_add_u32_e32 v2, s27, v2
	v_ashrrev_i32_e32 v3, 31, v2
	v_lshl_add_u64 v[16:17], v[2:3], 1, s[22:23]
	v_add_u32_e32 v2, s27, v2
	v_ashrrev_i32_e32 v3, 31, v2
	s_lshl_b32 s34, s30, 1
	v_cmp_ge_i32_e64 s[8:9], s24, v23
	v_cmp_ge_i32_e64 s[10:11], s24, v24
	v_cmp_eq_u32_e64 s[12:13], 0, v1
	v_lshlrev_b32_e32 v31, 2, v1
	v_and_b32_e32 v32, 12, v9
	v_lshl_add_u64 v[12:13], v[10:11], 1, s[22:23]
	v_lshl_add_u64 v[18:19], v[2:3], 1, s[22:23]
	s_lshl_b32 s51, s30, 2
	s_mul_i32 s52, s30, 3
	s_mov_b32 s53, s35
	v_mov_b32_e32 v11, 0
	s_mov_b32 s38, s35
	s_mov_b64 s[40:41], s[34:35]
	s_mov_b64 s[42:43], s[30:31]
	s_mov_b32 s31, 0
                                        ; implicit-def: $vgpr2_vgpr3_vgpr4_vgpr5
	s_branch .LBB460_21
.LBB460_20:                             ;   in Loop: Header=BB460_21 Depth=1
	s_or_b64 exec, exec, s[14:15]
	s_add_i32 s31, s31, 4
	s_add_u32 s42, s42, s51
	s_addc_u32 s43, s43, 0
	s_add_u32 s40, s40, s51
	s_addc_u32 s41, s41, 0
	;; [unrolled: 2-line block ×3, first 2 shown]
	s_add_i32 s38, s38, s51
	s_cmp_ge_i32 s31, s3
	s_cbranch_scc1 .LBB460_67
.LBB460_21:                             ; =>This Loop Header: Depth=1
                                        ;     Child Loop BB460_52 Depth 2
                                        ;     Child Loop BB460_55 Depth 2
                                        ; implicit-def: $vgpr33
                                        ; implicit-def: $vgpr34
                                        ; implicit-def: $vgpr35
                                        ; implicit-def: $vgpr36
	s_and_saveexec_b64 s[14:15], s[8:9]
	s_xor_b64 s[14:15], exec, s[14:15]
	s_cbranch_execnz .LBB460_48
; %bb.22:                               ;   in Loop: Header=BB460_21 Depth=1
	s_andn2_saveexec_b64 s[44:45], s[14:15]
	s_cbranch_execnz .LBB460_49
.LBB460_23:                             ;   in Loop: Header=BB460_21 Depth=1
	s_or_b64 exec, exec, s[44:45]
	s_and_saveexec_b64 s[14:15], s[0:1]
	s_cbranch_execz .LBB460_25
.LBB460_24:                             ;   in Loop: Header=BB460_21 Depth=1
	ds_write_b32 v31, v11
.LBB460_25:                             ;   in Loop: Header=BB460_21 Depth=1
	s_or_b64 exec, exec, s[14:15]
	ds_bpermute_b32 v20, v25, v36
	s_waitcnt lgkmcnt(0)
	s_barrier
	v_add_f32_e32 v20, v36, v20
	ds_bpermute_b32 v21, v26, v20
	s_waitcnt lgkmcnt(0)
	v_add_f32_e32 v20, v20, v21
	ds_bpermute_b32 v21, v27, v20
	s_waitcnt lgkmcnt(0)
	;; [unrolled: 3-line block ×4, first 2 shown]
	v_add_f32_e32 v20, v20, v21
	ds_bpermute_b32 v21, v30, v20
	s_and_saveexec_b64 s[14:15], s[12:13]
	s_cbranch_execz .LBB460_27
; %bb.26:                               ;   in Loop: Header=BB460_21 Depth=1
	s_waitcnt lgkmcnt(0)
	v_add_f32_e32 v20, v20, v21
	ds_write_b32 v32, v20
.LBB460_27:                             ;   in Loop: Header=BB460_21 Depth=1
	s_or_b64 exec, exec, s[14:15]
	v_mov_b32_e32 v20, 0
	s_waitcnt lgkmcnt(0)
	s_barrier
	s_and_saveexec_b64 s[14:15], s[4:5]
	s_cbranch_execnz .LBB460_57
; %bb.28:                               ;   in Loop: Header=BB460_21 Depth=1
	s_or_b64 exec, exec, s[14:15]
	s_and_saveexec_b64 s[14:15], s[0:1]
	s_cbranch_execnz .LBB460_58
.LBB460_29:                             ;   in Loop: Header=BB460_21 Depth=1
	s_or_b64 exec, exec, s[14:15]
	s_and_saveexec_b64 s[14:15], s[0:1]
	s_cbranch_execz .LBB460_31
.LBB460_30:                             ;   in Loop: Header=BB460_21 Depth=1
	ds_write_b32 v31, v11
.LBB460_31:                             ;   in Loop: Header=BB460_21 Depth=1
	s_or_b64 exec, exec, s[14:15]
	ds_bpermute_b32 v21, v25, v35
	s_waitcnt lgkmcnt(0)
	s_barrier
	v_add_f32_e32 v21, v35, v21
	ds_bpermute_b32 v35, v26, v21
	s_waitcnt lgkmcnt(0)
	v_add_f32_e32 v21, v21, v35
	ds_bpermute_b32 v35, v27, v21
	s_waitcnt lgkmcnt(0)
	;; [unrolled: 3-line block ×4, first 2 shown]
	v_add_f32_e32 v21, v21, v35
	ds_bpermute_b32 v35, v30, v21
	s_and_saveexec_b64 s[14:15], s[12:13]
	s_cbranch_execz .LBB460_33
; %bb.32:                               ;   in Loop: Header=BB460_21 Depth=1
	s_waitcnt lgkmcnt(0)
	v_add_f32_e32 v21, v21, v35
	ds_write_b32 v32, v21
.LBB460_33:                             ;   in Loop: Header=BB460_21 Depth=1
	s_or_b64 exec, exec, s[14:15]
	v_mov_b32_e32 v21, 0
	s_waitcnt lgkmcnt(0)
	s_barrier
	s_and_saveexec_b64 s[14:15], s[4:5]
	s_cbranch_execnz .LBB460_59
; %bb.34:                               ;   in Loop: Header=BB460_21 Depth=1
	s_or_b64 exec, exec, s[14:15]
	s_and_saveexec_b64 s[14:15], s[0:1]
	s_cbranch_execnz .LBB460_60
.LBB460_35:                             ;   in Loop: Header=BB460_21 Depth=1
	s_or_b64 exec, exec, s[14:15]
	s_and_saveexec_b64 s[14:15], s[0:1]
	s_cbranch_execz .LBB460_37
.LBB460_36:                             ;   in Loop: Header=BB460_21 Depth=1
	ds_write_b32 v31, v11
.LBB460_37:                             ;   in Loop: Header=BB460_21 Depth=1
	s_or_b64 exec, exec, s[14:15]
	ds_bpermute_b32 v35, v25, v34
	s_waitcnt lgkmcnt(0)
	s_barrier
	v_add_f32_e32 v34, v34, v35
	ds_bpermute_b32 v35, v26, v34
	s_waitcnt lgkmcnt(0)
	v_add_f32_e32 v34, v34, v35
	ds_bpermute_b32 v35, v27, v34
	s_waitcnt lgkmcnt(0)
	;; [unrolled: 3-line block ×4, first 2 shown]
	v_add_f32_e32 v34, v34, v35
	ds_bpermute_b32 v35, v30, v34
	s_and_saveexec_b64 s[14:15], s[12:13]
	s_cbranch_execz .LBB460_39
; %bb.38:                               ;   in Loop: Header=BB460_21 Depth=1
	s_waitcnt lgkmcnt(0)
	v_add_f32_e32 v34, v34, v35
	ds_write_b32 v32, v34
.LBB460_39:                             ;   in Loop: Header=BB460_21 Depth=1
	s_or_b64 exec, exec, s[14:15]
	v_mov_b32_e32 v34, 0
	s_waitcnt lgkmcnt(0)
	s_barrier
	s_and_saveexec_b64 s[14:15], s[4:5]
	s_cbranch_execnz .LBB460_61
; %bb.40:                               ;   in Loop: Header=BB460_21 Depth=1
	s_or_b64 exec, exec, s[14:15]
	s_and_saveexec_b64 s[14:15], s[0:1]
	s_cbranch_execnz .LBB460_62
.LBB460_41:                             ;   in Loop: Header=BB460_21 Depth=1
	s_or_b64 exec, exec, s[14:15]
	s_and_saveexec_b64 s[14:15], s[0:1]
	s_cbranch_execz .LBB460_43
.LBB460_42:                             ;   in Loop: Header=BB460_21 Depth=1
	ds_write_b32 v31, v11
.LBB460_43:                             ;   in Loop: Header=BB460_21 Depth=1
	s_or_b64 exec, exec, s[14:15]
	ds_bpermute_b32 v35, v25, v33
	s_waitcnt lgkmcnt(0)
	s_barrier
	v_add_f32_e32 v33, v33, v35
	ds_bpermute_b32 v35, v26, v33
	s_waitcnt lgkmcnt(0)
	v_add_f32_e32 v33, v33, v35
	ds_bpermute_b32 v35, v27, v33
	s_waitcnt lgkmcnt(0)
	;; [unrolled: 3-line block ×4, first 2 shown]
	v_add_f32_e32 v33, v33, v35
	ds_bpermute_b32 v35, v30, v33
	s_and_saveexec_b64 s[14:15], s[12:13]
	s_cbranch_execz .LBB460_45
; %bb.44:                               ;   in Loop: Header=BB460_21 Depth=1
	s_waitcnt lgkmcnt(0)
	v_add_f32_e32 v33, v33, v35
	ds_write_b32 v32, v33
.LBB460_45:                             ;   in Loop: Header=BB460_21 Depth=1
	s_or_b64 exec, exec, s[14:15]
	v_mov_b32_e32 v33, 0
	s_waitcnt lgkmcnt(0)
	s_barrier
	s_and_saveexec_b64 s[14:15], s[4:5]
	s_cbranch_execnz .LBB460_63
; %bb.46:                               ;   in Loop: Header=BB460_21 Depth=1
	s_or_b64 exec, exec, s[14:15]
	s_and_saveexec_b64 s[14:15], s[0:1]
	s_cbranch_execnz .LBB460_64
.LBB460_47:                             ;   in Loop: Header=BB460_21 Depth=1
	s_or_b64 exec, exec, s[14:15]
	s_and_saveexec_b64 s[14:15], s[6:7]
	s_cbranch_execz .LBB460_20
	s_branch .LBB460_65
.LBB460_48:                             ;   in Loop: Header=BB460_21 Depth=1
	s_mul_i32 s16, s31, s30
	s_ashr_i32 s17, s16, 31
	v_lshl_add_u64 v[2:3], s[16:17], 1, v[6:7]
	s_add_i32 s16, s16, s30
	s_ashr_i32 s17, s16, 31
	v_lshl_add_u64 v[4:5], s[16:17], 1, v[6:7]
	s_add_i32 s16, s16, s30
	;; [unrolled: 3-line block ×3, first 2 shown]
	s_ashr_i32 s17, s16, 31
	s_waitcnt lgkmcnt(0)
	flat_load_ushort v33, v[12:13]
	flat_load_ushort v40, v[14:15]
	;; [unrolled: 1-line block ×4, first 2 shown]
	flat_load_dwordx2 v[34:35], v[2:3]
	flat_load_dwordx2 v[36:37], v[4:5]
	v_lshl_add_u64 v[2:3], s[16:17], 1, v[6:7]
	flat_load_dwordx2 v[20:21], v[20:21]
	s_waitcnt vmcnt(0) lgkmcnt(0)
	v_cvt_f32_f16_e32 v4, v41
	flat_load_dwordx2 v[38:39], v[2:3]
	v_fma_mix_f32 v43, v33, v34, 0 op_sel_hi:[1,1,0]
	v_cvt_f32_f16_e32 v2, v33
	v_cvt_f32_f16_e32 v3, v40
	;; [unrolled: 1-line block ×3, first 2 shown]
	v_fma_mix_f32 v44, v33, v36, 0 op_sel_hi:[1,1,0]
	v_fma_mix_f32 v34, v40, v34, v43 op_sel:[0,1,0] op_sel_hi:[1,1,0]
	v_fma_mix_f32 v43, v33, v20, 0 op_sel_hi:[1,1,0]
	v_fma_mix_f32 v36, v40, v36, v44 op_sel:[0,1,0] op_sel_hi:[1,1,0]
	v_fma_mix_f32 v20, v40, v20, v43 op_sel:[0,1,0] op_sel_hi:[1,1,0]
	v_fma_mix_f32 v34, v41, v35, v34 op_sel_hi:[1,1,0]
	v_fma_mix_f32 v43, v41, v37, v36 op_sel_hi:[1,1,0]
	;; [unrolled: 1-line block ×3, first 2 shown]
	v_fma_mix_f32 v36, v42, v35, v34 op_sel:[0,1,0] op_sel_hi:[1,1,0]
	v_fma_mix_f32 v35, v42, v37, v43 op_sel:[0,1,0] op_sel_hi:[1,1,0]
	;; [unrolled: 1-line block ×3, first 2 shown]
	s_waitcnt vmcnt(0) lgkmcnt(0)
	v_fma_mix_f32 v33, v33, v38, 0 op_sel_hi:[1,1,0]
	s_nop 0
	v_fma_mix_f32 v33, v40, v38, v33 op_sel:[0,1,0] op_sel_hi:[1,1,0]
	s_nop 0
	v_fma_mix_f32 v33, v41, v39, v33 op_sel_hi:[1,1,0]
	s_nop 0
	v_fma_mix_f32 v33, v42, v39, v33 op_sel:[0,1,0] op_sel_hi:[1,1,0]
	s_andn2_saveexec_b64 s[44:45], s[14:15]
	s_cbranch_execz .LBB460_23
.LBB460_49:                             ;   in Loop: Header=BB460_21 Depth=1
	s_waitcnt lgkmcnt(0)
	v_mov_b32_e32 v33, 0
	v_mov_b32_e32 v34, 0
	;; [unrolled: 1-line block ×4, first 2 shown]
	s_and_saveexec_b64 s[46:47], s[10:11]
	s_cbranch_execz .LBB460_56
; %bb.50:                               ;   in Loop: Header=BB460_21 Depth=1
	v_cndmask_b32_e64 v20, 0, 1, s[36:37]
	v_cmp_ne_u32_e64 s[14:15], 1, v20
	s_andn2_b64 vcc, exec, s[36:37]
	s_cbranch_vccnz .LBB460_53
; %bb.51:                               ;   in Loop: Header=BB460_21 Depth=1
	s_mov_b64 s[48:49], 0
	v_mov_b32_e32 v20, v10
.LBB460_52:                             ;   Parent Loop BB460_21 Depth=1
                                        ; =>  This Inner Loop Header: Depth=2
	v_ashrrev_i32_e32 v21, 31, v20
	v_lshl_add_u64 v[34:35], v[20:21], 1, s[22:23]
	flat_load_ushort v21, v[34:35]
	s_cmp_eq_u32 s48, 3
	s_cselect_b64 vcc, -1, 0
	s_cmp_eq_u32 s48, 2
	s_cselect_b64 s[16:17], -1, 0
	s_cmp_eq_u32 s48, 1
	s_cselect_b64 s[18:19], -1, 0
	;; [unrolled: 2-line block ×3, first 2 shown]
	s_add_u32 s48, s48, 1
	s_addc_u32 s49, s49, 0
	v_add_u32_e32 v20, s27, v20
	s_cmp_eq_u32 s29, s48
	s_waitcnt vmcnt(0) lgkmcnt(0)
	v_cvt_f32_f16_e32 v21, v21
	v_cndmask_b32_e32 v5, v5, v21, vcc
	v_cndmask_b32_e64 v4, v4, v21, s[16:17]
	v_cndmask_b32_e64 v3, v3, v21, s[18:19]
	;; [unrolled: 1-line block ×3, first 2 shown]
	s_cbranch_scc0 .LBB460_52
.LBB460_53:                             ;   in Loop: Header=BB460_21 Depth=1
	s_and_b64 vcc, exec, s[14:15]
	v_mov_b32_e32 v33, 0
	v_mov_b32_e32 v34, 0
	;; [unrolled: 1-line block ×4, first 2 shown]
	s_cbranch_vccnz .LBB460_56
; %bb.54:                               ;   in Loop: Header=BB460_21 Depth=1
	s_ashr_i32 s39, s38, 31
	v_lshl_add_u64 v[20:21], s[38:39], 1, v[6:7]
	s_mov_b64 s[14:15], 0
	v_mov_b32_e32 v36, 0
	v_mov_b32_e32 v35, 0
	;; [unrolled: 1-line block ×4, first 2 shown]
.LBB460_55:                             ;   Parent Loop BB460_21 Depth=1
                                        ; =>  This Inner Loop Header: Depth=2
	s_cmp_eq_u32 s14, 1
	s_cselect_b64 vcc, -1, 0
	s_cmp_eq_u32 s14, 2
	v_cndmask_b32_e32 v38, v2, v3, vcc
	s_cselect_b64 vcc, -1, 0
	s_cmp_eq_u32 s14, 3
	v_cndmask_b32_e32 v44, v38, v4, vcc
	s_cselect_b64 vcc, -1, 0
	s_add_i32 s16, s42, s14
	s_add_i32 s18, s40, s14
	;; [unrolled: 1-line block ×3, first 2 shown]
	s_ashr_i32 s17, s16, 31
	s_ashr_i32 s19, s18, 31
	;; [unrolled: 1-line block ×3, first 2 shown]
	v_lshl_add_u64 v[38:39], s[16:17], 1, v[6:7]
	flat_load_ushort v37, v[20:21]
	v_lshl_add_u64 v[40:41], s[18:19], 1, v[6:7]
	v_lshl_add_u64 v[42:43], s[20:21], 1, v[6:7]
	flat_load_ushort v38, v[38:39]
	s_nop 0
	flat_load_ushort v39, v[40:41]
	flat_load_ushort v45, v[42:43]
	s_add_u32 s14, s14, 1
	v_cndmask_b32_e32 v40, v44, v5, vcc
	s_addc_u32 s15, s15, 0
	v_lshl_add_u64 v[20:21], v[20:21], 0, 2
	s_cmp_lg_u32 s29, s14
	s_waitcnt vmcnt(0) lgkmcnt(0)
	v_fma_mix_f32 v36, v40, v37, v36 op_sel_hi:[0,1,0]
	v_fma_mix_f32 v35, v40, v38, v35 op_sel_hi:[0,1,0]
	;; [unrolled: 1-line block ×4, first 2 shown]
	s_cbranch_scc1 .LBB460_55
.LBB460_56:                             ;   in Loop: Header=BB460_21 Depth=1
	s_or_b64 exec, exec, s[46:47]
	s_or_b64 exec, exec, s[44:45]
	s_and_saveexec_b64 s[14:15], s[0:1]
	s_cbranch_execnz .LBB460_24
	s_branch .LBB460_25
.LBB460_57:                             ;   in Loop: Header=BB460_21 Depth=1
	ds_read_b32 v20, v31
	s_or_b64 exec, exec, s[14:15]
	s_and_saveexec_b64 s[14:15], s[0:1]
	s_cbranch_execz .LBB460_29
.LBB460_58:                             ;   in Loop: Header=BB460_21 Depth=1
	s_waitcnt lgkmcnt(0)
	ds_bpermute_b32 v21, v29, v20
	s_waitcnt lgkmcnt(0)
	v_add_f32_e32 v20, v20, v21
	ds_bpermute_b32 v21, v30, v20
	s_waitcnt lgkmcnt(0)
	v_add_f32_e32 v20, v20, v21
	s_or_b64 exec, exec, s[14:15]
	s_and_saveexec_b64 s[14:15], s[0:1]
	s_cbranch_execnz .LBB460_30
	s_branch .LBB460_31
.LBB460_59:                             ;   in Loop: Header=BB460_21 Depth=1
	ds_read_b32 v21, v31
	s_or_b64 exec, exec, s[14:15]
	s_and_saveexec_b64 s[14:15], s[0:1]
	s_cbranch_execz .LBB460_35
.LBB460_60:                             ;   in Loop: Header=BB460_21 Depth=1
	s_waitcnt lgkmcnt(0)
	ds_bpermute_b32 v35, v29, v21
	s_waitcnt lgkmcnt(0)
	v_add_f32_e32 v21, v21, v35
	ds_bpermute_b32 v35, v30, v21
	s_waitcnt lgkmcnt(0)
	v_add_f32_e32 v21, v21, v35
	s_or_b64 exec, exec, s[14:15]
	s_and_saveexec_b64 s[14:15], s[0:1]
	s_cbranch_execnz .LBB460_36
	s_branch .LBB460_37
.LBB460_61:                             ;   in Loop: Header=BB460_21 Depth=1
	ds_read_b32 v34, v31
	s_or_b64 exec, exec, s[14:15]
	s_and_saveexec_b64 s[14:15], s[0:1]
	s_cbranch_execz .LBB460_41
.LBB460_62:                             ;   in Loop: Header=BB460_21 Depth=1
	s_waitcnt lgkmcnt(0)
	ds_bpermute_b32 v35, v29, v34
	s_waitcnt lgkmcnt(0)
	v_add_f32_e32 v34, v34, v35
	ds_bpermute_b32 v35, v30, v34
	s_waitcnt lgkmcnt(0)
	v_add_f32_e32 v34, v34, v35
	s_or_b64 exec, exec, s[14:15]
	s_and_saveexec_b64 s[14:15], s[0:1]
	s_cbranch_execnz .LBB460_42
	s_branch .LBB460_43
.LBB460_63:                             ;   in Loop: Header=BB460_21 Depth=1
	ds_read_b32 v33, v31
	s_or_b64 exec, exec, s[14:15]
	s_and_saveexec_b64 s[14:15], s[0:1]
	s_cbranch_execz .LBB460_47
.LBB460_64:                             ;   in Loop: Header=BB460_21 Depth=1
	s_waitcnt lgkmcnt(0)
	ds_bpermute_b32 v35, v29, v33
	s_waitcnt lgkmcnt(0)
	v_add_f32_e32 v33, v33, v35
	ds_bpermute_b32 v35, v30, v33
	s_waitcnt lgkmcnt(0)
	v_add_f32_e32 v33, v33, v35
	s_or_b64 exec, exec, s[14:15]
	s_and_saveexec_b64 s[14:15], s[6:7]
	s_cbranch_execz .LBB460_20
.LBB460_65:                             ;   in Loop: Header=BB460_21 Depth=1
	s_mul_i32 s16, s31, s28
	s_add_i32 s34, s16, s2
	s_lshl_b64 s[16:17], s[34:35], 2
	s_add_u32 s16, s33, s16
	v_mul_f32_e32 v20, s26, v20
	s_addc_u32 s17, s50, s17
	s_add_i32 s34, s34, s28
	global_store_dword v11, v20, s[16:17]
	s_lshl_b64 s[16:17], s[34:35], 2
	s_add_u32 s16, s33, s16
	v_mul_f32_e32 v20, s26, v21
	s_addc_u32 s17, s50, s17
	s_add_i32 s34, s34, s28
	global_store_dword v11, v20, s[16:17]
	;; [unrolled: 6-line block ×3, first 2 shown]
	s_lshl_b64 s[16:17], s[34:35], 2
	s_add_u32 s16, s33, s16
	s_waitcnt lgkmcnt(0)
	v_mul_f32_e32 v20, s26, v33
	s_addc_u32 s17, s50, s17
	global_store_dword v11, v20, s[16:17]
	s_branch .LBB460_20
.LBB460_66:
	s_mov_b32 s31, 0
                                        ; implicit-def: $vgpr2_vgpr3_vgpr4_vgpr5
.LBB460_67:
	s_cmp_ge_i32 s31, s25
	s_cbranch_scc1 .LBB460_91
; %bb.68:
	v_mbcnt_hi_u32_b32 v10, -1, v22
	v_and_b32_e32 v11, 63, v10
	v_cmp_gt_u32_e32 vcc, 32, v11
	v_cmp_ge_i32_e64 s[0:1], s24, v23
	v_add_u32_e32 v14, s27, v8
	v_cndmask_b32_e64 v12, 0, 1, vcc
	v_lshlrev_b32_e32 v12, 5, v12
	v_cmp_gt_u32_e32 vcc, 48, v11
	v_add_lshl_u32 v21, v12, v10, 2
	v_cmp_ge_i32_e64 s[4:5], s24, v24
	v_cndmask_b32_e64 v12, 0, 1, vcc
	v_lshlrev_b32_e32 v12, 4, v12
	v_cmp_gt_u32_e32 vcc, 56, v11
	v_add_lshl_u32 v22, v12, v10, 2
	v_add_u32_e32 v16, s27, v14
	v_cndmask_b32_e64 v12, 0, 1, vcc
	v_lshlrev_b32_e32 v12, 3, v12
	v_cmp_gt_u32_e32 vcc, 60, v11
	v_add_lshl_u32 v23, v12, v10, 2
	s_mov_b32 s3, 0
	v_cndmask_b32_e64 v12, 0, 1, vcc
	v_lshlrev_b32_e32 v12, 2, v12
	v_cmp_gt_u32_e32 vcc, 62, v11
	v_add_lshl_u32 v24, v12, v10, 2
	s_cmp_gt_i32 s29, 0
	v_cndmask_b32_e64 v12, 0, 1, vcc
	v_lshlrev_b32_e32 v12, 1, v12
	v_ashrrev_i32_e32 v15, 31, v14
	v_ashrrev_i32_e32 v17, 31, v16
	s_cselect_b64 s[34:35], -1, 0
	v_add_lshl_u32 v25, v12, v10, 2
	v_cmp_ne_u32_e32 vcc, 63, v11
	s_lshl_b64 s[14:15], s[2:3], 2
	v_lshl_add_u64 v[12:13], v[14:15], 1, s[22:23]
	v_lshl_add_u64 v[14:15], v[16:17], 1, s[22:23]
	v_add_u32_e32 v16, s27, v16
	v_lshlrev_b32_e32 v20, 2, v1
	v_addc_co_u32_e32 v10, vcc, 0, v10, vcc
	v_cmp_eq_u32_e64 s[8:9], 0, v1
	v_and_b32_e32 v1, 12, v9
	s_add_u32 s2, s33, s14
	v_ashrrev_i32_e32 v9, 31, v8
	v_ashrrev_i32_e32 v17, 31, v16
	v_cmp_gt_u32_e64 s[6:7], 64, v0
	v_lshlrev_b32_e32 v26, 2, v10
	v_cmp_gt_u32_e64 s[10:11], 4, v0
	v_cmp_eq_u32_e64 s[12:13], 0, v0
	s_addc_u32 s24, s50, s15
	v_lshl_add_u64 v[10:11], v[8:9], 1, s[22:23]
	v_lshl_add_u64 v[16:17], v[16:17], 1, s[22:23]
	s_mul_i32 s36, s31, s30
	v_mov_b32_e32 v9, 0
	s_branch .LBB460_70
.LBB460_69:                             ;   in Loop: Header=BB460_70 Depth=1
	s_or_b64 exec, exec, s[14:15]
	s_add_i32 s31, s31, 1
	s_add_i32 s36, s36, s30
	s_cmp_ge_i32 s31, s25
	s_cbranch_scc1 .LBB460_91
.LBB460_70:                             ; =>This Loop Header: Depth=1
                                        ;     Child Loop BB460_83 Depth 2
                                        ;     Child Loop BB460_86 Depth 2
	s_waitcnt lgkmcnt(0)
	v_mov_b32_e32 v0, s3
	s_and_saveexec_b64 s[14:15], s[0:1]
	s_xor_b64 s[14:15], exec, s[14:15]
	s_cbranch_execnz .LBB460_79
; %bb.71:                               ;   in Loop: Header=BB460_70 Depth=1
	s_andn2_saveexec_b64 s[38:39], s[14:15]
	s_cbranch_execnz .LBB460_80
.LBB460_72:                             ;   in Loop: Header=BB460_70 Depth=1
	s_or_b64 exec, exec, s[38:39]
	s_and_saveexec_b64 s[14:15], s[6:7]
	s_cbranch_execz .LBB460_74
.LBB460_73:                             ;   in Loop: Header=BB460_70 Depth=1
	ds_write_b32 v20, v9
.LBB460_74:                             ;   in Loop: Header=BB460_70 Depth=1
	s_or_b64 exec, exec, s[14:15]
	ds_bpermute_b32 v18, v21, v0
	s_waitcnt lgkmcnt(0)
	s_barrier
	v_add_f32_e32 v0, v0, v18
	ds_bpermute_b32 v18, v22, v0
	s_waitcnt lgkmcnt(0)
	v_add_f32_e32 v0, v0, v18
	ds_bpermute_b32 v18, v23, v0
	s_waitcnt lgkmcnt(0)
	;; [unrolled: 3-line block ×4, first 2 shown]
	v_add_f32_e32 v0, v0, v18
	ds_bpermute_b32 v18, v26, v0
	s_and_saveexec_b64 s[14:15], s[8:9]
	s_cbranch_execz .LBB460_76
; %bb.75:                               ;   in Loop: Header=BB460_70 Depth=1
	s_waitcnt lgkmcnt(0)
	v_add_f32_e32 v0, v0, v18
	ds_write_b32 v1, v0
.LBB460_76:                             ;   in Loop: Header=BB460_70 Depth=1
	s_or_b64 exec, exec, s[14:15]
	v_mov_b32_e32 v0, 0
	s_waitcnt lgkmcnt(0)
	s_barrier
	s_and_saveexec_b64 s[14:15], s[10:11]
	s_cbranch_execnz .LBB460_88
; %bb.77:                               ;   in Loop: Header=BB460_70 Depth=1
	s_or_b64 exec, exec, s[14:15]
	s_and_saveexec_b64 s[14:15], s[6:7]
	s_cbranch_execnz .LBB460_89
.LBB460_78:                             ;   in Loop: Header=BB460_70 Depth=1
	s_or_b64 exec, exec, s[14:15]
	s_and_saveexec_b64 s[14:15], s[12:13]
	s_cbranch_execz .LBB460_69
	s_branch .LBB460_90
.LBB460_79:                             ;   in Loop: Header=BB460_70 Depth=1
	s_mul_i32 s16, s31, s30
	s_ashr_i32 s17, s16, 31
	flat_load_ushort v0, v[16:17]
	flat_load_ushort v4, v[10:11]
	;; [unrolled: 1-line block ×3, first 2 shown]
	v_lshl_add_u64 v[2:3], s[16:17], 1, v[6:7]
	flat_load_dwordx2 v[18:19], v[2:3]
	flat_load_ushort v27, v[14:15]
	s_waitcnt vmcnt(0) lgkmcnt(0)
	v_cvt_f32_f16_e32 v2, v4
	v_cvt_f32_f16_e32 v3, v5
	;; [unrolled: 1-line block ×3, first 2 shown]
	v_cvt_f32_f16_sdwa v29, v18 dst_sel:DWORD dst_unused:UNUSED_PAD src0_sel:WORD_1
	v_cvt_f32_f16_e32 v5, v0
	v_cvt_f32_f16_e32 v4, v27
	;; [unrolled: 1-line block ×3, first 2 shown]
	v_cvt_f32_f16_sdwa v19, v19 dst_sel:DWORD dst_unused:UNUSED_PAD src0_sel:WORD_1
	v_pk_mul_f32 v[28:29], v[2:3], v[28:29]
	v_pk_mul_f32 v[18:19], v[4:5], v[18:19]
	v_add_f32_e32 v0, 0, v28
	v_add_f32_e32 v0, v0, v29
	;; [unrolled: 1-line block ×4, first 2 shown]
	s_andn2_saveexec_b64 s[38:39], s[14:15]
	s_cbranch_execz .LBB460_72
.LBB460_80:                             ;   in Loop: Header=BB460_70 Depth=1
	s_and_saveexec_b64 s[40:41], s[4:5]
	s_cbranch_execz .LBB460_87
; %bb.81:                               ;   in Loop: Header=BB460_70 Depth=1
	v_cndmask_b32_e64 v18, 0, 1, s[34:35]
	v_cmp_ne_u32_e64 s[14:15], 1, v18
	s_andn2_b64 vcc, exec, s[34:35]
	s_cbranch_vccnz .LBB460_84
; %bb.82:                               ;   in Loop: Header=BB460_70 Depth=1
	s_mov_b64 s[42:43], 0
	v_mov_b32_e32 v18, v8
.LBB460_83:                             ;   Parent Loop BB460_70 Depth=1
                                        ; =>  This Inner Loop Header: Depth=2
	v_ashrrev_i32_e32 v19, 31, v18
	v_lshl_add_u64 v[28:29], v[18:19], 1, s[22:23]
	flat_load_ushort v19, v[28:29]
	s_cmp_eq_u32 s42, 3
	s_cselect_b64 vcc, -1, 0
	s_cmp_eq_u32 s42, 2
	s_cselect_b64 s[16:17], -1, 0
	s_cmp_eq_u32 s42, 1
	s_cselect_b64 s[18:19], -1, 0
	;; [unrolled: 2-line block ×3, first 2 shown]
	s_add_u32 s42, s42, 1
	s_addc_u32 s43, s43, 0
	v_add_u32_e32 v18, s27, v18
	s_cmp_eq_u32 s29, s42
	s_waitcnt vmcnt(0) lgkmcnt(0)
	v_cvt_f32_f16_e32 v19, v19
	v_cndmask_b32_e32 v5, v5, v19, vcc
	v_cndmask_b32_e64 v4, v4, v19, s[16:17]
	v_cndmask_b32_e64 v3, v3, v19, s[18:19]
	;; [unrolled: 1-line block ×3, first 2 shown]
	s_cbranch_scc0 .LBB460_83
.LBB460_84:                             ;   in Loop: Header=BB460_70 Depth=1
	s_and_b64 vcc, exec, s[14:15]
	s_cbranch_vccnz .LBB460_87
; %bb.85:                               ;   in Loop: Header=BB460_70 Depth=1
	s_ashr_i32 s37, s36, 31
	v_lshl_add_u64 v[18:19], s[36:37], 1, v[6:7]
	s_mov_b64 s[14:15], 0
.LBB460_86:                             ;   Parent Loop BB460_70 Depth=1
                                        ; =>  This Inner Loop Header: Depth=2
	flat_load_ushort v27, v[18:19]
	s_cmp_eq_u32 s14, 1
	s_cselect_b64 vcc, -1, 0
	s_cmp_eq_u32 s14, 2
	v_cndmask_b32_e32 v28, v2, v3, vcc
	s_cselect_b64 vcc, -1, 0
	s_cmp_eq_u32 s14, 3
	v_cndmask_b32_e32 v28, v28, v4, vcc
	s_cselect_b64 vcc, -1, 0
	s_add_u32 s14, s14, 1
	v_cndmask_b32_e32 v28, v28, v5, vcc
	s_addc_u32 s15, s15, 0
	v_lshl_add_u64 v[18:19], v[18:19], 0, 2
	s_cmp_lg_u32 s29, s14
	s_waitcnt vmcnt(0) lgkmcnt(0)
	v_fma_mix_f32 v0, v28, v27, v0 op_sel_hi:[0,1,0]
	s_cbranch_scc1 .LBB460_86
.LBB460_87:                             ;   in Loop: Header=BB460_70 Depth=1
	s_or_b64 exec, exec, s[40:41]
	s_or_b64 exec, exec, s[38:39]
	s_and_saveexec_b64 s[14:15], s[6:7]
	s_cbranch_execnz .LBB460_73
	s_branch .LBB460_74
.LBB460_88:                             ;   in Loop: Header=BB460_70 Depth=1
	ds_read_b32 v0, v20
	s_or_b64 exec, exec, s[14:15]
	s_and_saveexec_b64 s[14:15], s[6:7]
	s_cbranch_execz .LBB460_78
.LBB460_89:                             ;   in Loop: Header=BB460_70 Depth=1
	s_waitcnt lgkmcnt(0)
	ds_bpermute_b32 v18, v25, v0
	s_waitcnt lgkmcnt(0)
	v_add_f32_e32 v0, v0, v18
	ds_bpermute_b32 v18, v26, v0
	s_waitcnt lgkmcnt(0)
	v_add_f32_e32 v0, v0, v18
	s_or_b64 exec, exec, s[14:15]
	s_and_saveexec_b64 s[14:15], s[12:13]
	s_cbranch_execz .LBB460_69
.LBB460_90:                             ;   in Loop: Header=BB460_70 Depth=1
	s_mul_hi_u32 s17, s31, s28
	s_mul_i32 s16, s31, s28
	s_lshl_b64 s[16:17], s[16:17], 2
	s_add_u32 s16, s2, s16
	s_waitcnt lgkmcnt(0)
	v_mul_f32_e32 v0, s26, v0
	s_addc_u32 s17, s24, s17
	global_store_dword v9, v0, s[16:17]
	s_branch .LBB460_69
.LBB460_91:
	s_endpgm
	.section	.rodata,"a",@progbits
	.p2align	6, 0x0
	.amdhsa_kernel _ZL23rocblas_gemvt_sn_kernelILb1ELi256ELi4EiPKDF16_ffEviiT4_lPKT3_lilS5_lilPT5_i
		.amdhsa_group_segment_fixed_size 256
		.amdhsa_private_segment_fixed_size 0
		.amdhsa_kernarg_size 360
		.amdhsa_user_sgpr_count 2
		.amdhsa_user_sgpr_dispatch_ptr 0
		.amdhsa_user_sgpr_queue_ptr 0
		.amdhsa_user_sgpr_kernarg_segment_ptr 1
		.amdhsa_user_sgpr_dispatch_id 0
		.amdhsa_user_sgpr_kernarg_preload_length 0
		.amdhsa_user_sgpr_kernarg_preload_offset 0
		.amdhsa_user_sgpr_private_segment_size 0
		.amdhsa_uses_dynamic_stack 0
		.amdhsa_enable_private_segment 0
		.amdhsa_system_sgpr_workgroup_id_x 1
		.amdhsa_system_sgpr_workgroup_id_y 0
		.amdhsa_system_sgpr_workgroup_id_z 1
		.amdhsa_system_sgpr_workgroup_info 0
		.amdhsa_system_vgpr_workitem_id 0
		.amdhsa_next_free_vgpr 46
		.amdhsa_next_free_sgpr 54
		.amdhsa_accum_offset 48
		.amdhsa_reserve_vcc 1
		.amdhsa_float_round_mode_32 0
		.amdhsa_float_round_mode_16_64 0
		.amdhsa_float_denorm_mode_32 3
		.amdhsa_float_denorm_mode_16_64 3
		.amdhsa_dx10_clamp 1
		.amdhsa_ieee_mode 1
		.amdhsa_fp16_overflow 0
		.amdhsa_tg_split 0
		.amdhsa_exception_fp_ieee_invalid_op 0
		.amdhsa_exception_fp_denorm_src 0
		.amdhsa_exception_fp_ieee_div_zero 0
		.amdhsa_exception_fp_ieee_overflow 0
		.amdhsa_exception_fp_ieee_underflow 0
		.amdhsa_exception_fp_ieee_inexact 0
		.amdhsa_exception_int_div_zero 0
	.end_amdhsa_kernel
	.section	.text._ZL23rocblas_gemvt_sn_kernelILb1ELi256ELi4EiPKDF16_ffEviiT4_lPKT3_lilS5_lilPT5_i,"axG",@progbits,_ZL23rocblas_gemvt_sn_kernelILb1ELi256ELi4EiPKDF16_ffEviiT4_lPKT3_lilS5_lilPT5_i,comdat
.Lfunc_end460:
	.size	_ZL23rocblas_gemvt_sn_kernelILb1ELi256ELi4EiPKDF16_ffEviiT4_lPKT3_lilS5_lilPT5_i, .Lfunc_end460-_ZL23rocblas_gemvt_sn_kernelILb1ELi256ELi4EiPKDF16_ffEviiT4_lPKT3_lilS5_lilPT5_i
                                        ; -- End function
	.section	.AMDGPU.csdata,"",@progbits
; Kernel info:
; codeLenInByte = 3944
; NumSgprs: 60
; NumVgprs: 46
; NumAgprs: 0
; TotalNumVgprs: 46
; ScratchSize: 0
; MemoryBound: 0
; FloatMode: 240
; IeeeMode: 1
; LDSByteSize: 256 bytes/workgroup (compile time only)
; SGPRBlocks: 7
; VGPRBlocks: 5
; NumSGPRsForWavesPerEU: 60
; NumVGPRsForWavesPerEU: 46
; AccumOffset: 48
; Occupancy: 8
; WaveLimiterHint : 0
; COMPUTE_PGM_RSRC2:SCRATCH_EN: 0
; COMPUTE_PGM_RSRC2:USER_SGPR: 2
; COMPUTE_PGM_RSRC2:TRAP_HANDLER: 0
; COMPUTE_PGM_RSRC2:TGID_X_EN: 1
; COMPUTE_PGM_RSRC2:TGID_Y_EN: 0
; COMPUTE_PGM_RSRC2:TGID_Z_EN: 1
; COMPUTE_PGM_RSRC2:TIDIG_COMP_CNT: 0
; COMPUTE_PGM_RSRC3_GFX90A:ACCUM_OFFSET: 11
; COMPUTE_PGM_RSRC3_GFX90A:TG_SPLIT: 0
	.section	.text._ZL23rocblas_gemvt_sn_kernelILb1ELi256ELi4ElPKDF16_ffEviiT4_lPKT3_lilS5_lilPT5_i,"axG",@progbits,_ZL23rocblas_gemvt_sn_kernelILb1ELi256ELi4ElPKDF16_ffEviiT4_lPKT3_lilS5_lilPT5_i,comdat
	.globl	_ZL23rocblas_gemvt_sn_kernelILb1ELi256ELi4ElPKDF16_ffEviiT4_lPKT3_lilS5_lilPT5_i ; -- Begin function _ZL23rocblas_gemvt_sn_kernelILb1ELi256ELi4ElPKDF16_ffEviiT4_lPKT3_lilS5_lilPT5_i
	.p2align	8
	.type	_ZL23rocblas_gemvt_sn_kernelILb1ELi256ELi4ElPKDF16_ffEviiT4_lPKT3_lilS5_lilPT5_i,@function
_ZL23rocblas_gemvt_sn_kernelILb1ELi256ELi4ElPKDF16_ffEviiT4_lPKT3_lilS5_lilPT5_i: ; @_ZL23rocblas_gemvt_sn_kernelILb1ELi256ELi4ElPKDF16_ffEviiT4_lPKT3_lilS5_lilPT5_i
; %bb.0:
	s_load_dwordx4 s[24:27], s[0:1], 0x0
	s_mov_b32 s8, s3
	s_mov_b32 s9, 0
	s_waitcnt lgkmcnt(0)
	v_cmp_neq_f32_e64 s[4:5], s26, 0
	v_cmp_eq_f32_e64 s[6:7], s26, 0
	s_and_b64 vcc, exec, s[4:5]
	s_cbranch_vccnz .LBB461_2
; %bb.1:
	s_mov_b64 s[30:31], 0
	s_cbranch_execz .LBB461_3
	s_branch .LBB461_4
.LBB461_2:
                                        ; implicit-def: $sgpr30_sgpr31
.LBB461_3:
	s_load_dwordx4 s[12:15], s[0:1], 0x18
	s_lshl_b64 s[10:11], s[8:9], 3
	s_waitcnt lgkmcnt(0)
	s_add_u32 s10, s12, s10
	s_addc_u32 s11, s13, s11
	s_load_dwordx2 s[10:11], s[10:11], 0x0
	s_lshl_b64 s[12:13], s[14:15], 1
	s_waitcnt lgkmcnt(0)
	s_add_u32 s30, s10, s12
	s_addc_u32 s31, s11, s13
.LBB461_4:
	s_andn2_b64 vcc, exec, s[4:5]
	s_cbranch_vccnz .LBB461_6
; %bb.5:
	s_load_dwordx4 s[12:15], s[0:1], 0x38
	s_lshl_b64 s[4:5], s[8:9], 3
	s_waitcnt lgkmcnt(0)
	s_add_u32 s4, s12, s4
	s_addc_u32 s5, s13, s5
	s_load_dwordx2 s[4:5], s[4:5], 0x0
	s_lshl_b64 s[10:11], s[14:15], 1
	s_waitcnt lgkmcnt(0)
	s_add_u32 s34, s4, s10
	s_addc_u32 s35, s5, s11
	s_branch .LBB461_7
.LBB461_6:
	s_mov_b64 s[34:35], 0
.LBB461_7:
	s_load_dwordx2 s[4:5], s[0:1], 0x58
	s_load_dword s22, s[0:1], 0x68
	s_ashr_i32 s14, s25, 31
	s_mul_hi_u32 s3, s8, s25
	s_mul_i32 s10, s8, s14
	s_add_i32 s3, s3, s10
	s_mul_i32 s9, s9, s25
	s_add_i32 s9, s3, s9
	s_mul_i32 s8, s8, s25
	s_waitcnt lgkmcnt(0)
	s_mul_i32 s3, s9, s22
	s_mul_hi_u32 s10, s8, s22
	s_add_i32 s11, s10, s3
	s_mul_i32 s10, s8, s22
	s_lshl_b64 s[10:11], s[10:11], 2
	s_add_u32 s27, s4, s10
	s_mov_b32 s23, 0
	s_addc_u32 s33, s5, s11
	s_andn2_b64 vcc, exec, s[6:7]
	s_mov_b64 s[6:7], -1
	s_cbranch_vccnz .LBB461_17
; %bb.8:
	s_cmp_gt_i32 s25, 0
	v_cmp_eq_u32_e32 vcc, 0, v0
	s_cselect_b64 s[6:7], -1, 0
	s_and_b64 s[10:11], vcc, s[6:7]
	s_and_saveexec_b64 s[6:7], s[10:11]
	s_cbranch_execz .LBB461_16
; %bb.9:
	s_cmp_gt_u32 s25, 1
	s_cselect_b64 s[10:11], -1, 0
	s_cmp_eq_u32 s22, 1
	s_cselect_b64 s[16:17], -1, 0
	s_mov_b32 s3, 0
	s_and_b64 s[10:11], s[10:11], s[16:17]
	s_mov_b64 s[12:13], -1
	s_andn2_b64 vcc, exec, s[10:11]
	s_mov_b32 s10, s3
	s_cbranch_vccnz .LBB461_13
; %bb.10:
	s_lshl_b64 s[10:11], s[2:3], 2
	s_add_u32 s12, s27, s10
	s_addc_u32 s13, s33, s11
	s_and_b32 s10, s25, 0x7ffffffe
	v_mov_b32_e32 v2, 0
	v_mov_b32_e32 v3, v2
	s_mov_b32 s11, s10
.LBB461_11:                             ; =>This Inner Loop Header: Depth=1
	global_store_dwordx2 v2, v[2:3], s[12:13]
	s_add_u32 s12, s12, 8
	s_addc_u32 s13, s13, 0
	s_add_i32 s11, s11, -2
	s_cmp_lg_u32 s11, 0
	s_cbranch_scc1 .LBB461_11
; %bb.12:
	s_cmp_lg_u32 s10, s25
	s_cselect_b64 s[12:13], -1, 0
.LBB461_13:
	s_and_b64 vcc, exec, s[12:13]
	s_cbranch_vccz .LBB461_16
; %bb.14:
	s_mov_b32 s11, 0
	s_sub_i32 s12, s25, s10
	s_lshl_b64 s[8:9], s[8:9], 2
	s_lshl_b64 s[10:11], s[10:11], 2
	s_add_u32 s8, s8, s10
	s_addc_u32 s9, s9, s11
	s_mul_i32 s9, s9, s22
	s_mul_hi_u32 s10, s8, s22
	s_add_i32 s10, s10, s9
	s_mul_i32 s11, s8, s22
	s_lshl_b64 s[8:9], s[2:3], 2
	s_add_u32 s3, s11, s8
	s_addc_u32 s8, s10, s9
	s_add_u32 s4, s4, s3
	s_addc_u32 s5, s5, s8
	s_lshl_b64 s[8:9], s[22:23], 2
	v_mov_b32_e32 v1, 0
.LBB461_15:                             ; =>This Inner Loop Header: Depth=1
	s_add_i32 s12, s12, -1
	global_store_dword v1, v1, s[4:5]
	s_add_u32 s4, s4, s8
	s_addc_u32 s5, s5, s9
	s_cmp_eq_u32 s12, 0
	s_cbranch_scc0 .LBB461_15
.LBB461_16:
	s_or_b64 exec, exec, s[6:7]
	s_mov_b64 s[6:7], 0
.LBB461_17:
	s_andn2_b64 vcc, exec, s[6:7]
	s_cbranch_vccnz .LBB461_91
; %bb.18:
	s_load_dword s28, s[0:1], 0x28
	s_load_dword s36, s[0:1], 0x48
	s_lshl_b32 s0, s2, 10
	v_lshl_or_b32 v8, v0, 2, s0
	s_lshr_b32 s0, s14, 30
	s_add_i32 s0, s25, s0
	s_and_b32 s56, s0, -4
	s_ashr_i32 s0, s24, 31
	s_lshr_b32 s0, s0, 30
	s_add_i32 s0, s24, s0
	s_and_b32 s0, s0, -4
	s_waitcnt lgkmcnt(0)
	s_ashr_i32 s29, s28, 31
	s_ashr_i32 s37, s36, 31
	v_ashrrev_i32_e32 v9, 31, v8
	s_sub_i32 s23, s24, s0
	v_lshl_add_u64 v[6:7], v[8:9], 1, s[30:31]
	s_cmp_lt_i32 s56, 1
	v_add_u32_e32 v27, 4, v8
	v_add_u32_e32 v28, s23, v8
	v_and_b32_e32 v24, 63, v0
	v_cmp_gt_u32_e64 s[0:1], 64, v0
	v_mbcnt_lo_u32_b32 v26, -1, 0
	v_cmp_gt_u32_e64 s[4:5], 4, v0
	v_lshrrev_b32_e32 v25, 4, v0
	v_cmp_eq_u32_e64 s[6:7], 0, v0
	v_or_b32_e32 v23, 1, v8
	v_or_b32_e32 v22, 2, v8
	;; [unrolled: 1-line block ×3, first 2 shown]
	s_cbranch_scc1 .LBB461_66
; %bb.19:
	v_mbcnt_hi_u32_b32 v2, -1, v26
	v_and_b32_e32 v3, 63, v2
	v_cmp_gt_u32_e32 vcc, 32, v3
	s_mov_b32 s3, 0
	s_cmp_gt_i32 s23, 0
	v_cndmask_b32_e64 v4, 0, 1, vcc
	v_lshlrev_b32_e32 v4, 5, v4
	v_cmp_gt_u32_e32 vcc, 48, v3
	v_add_lshl_u32 v29, v4, v2, 2
	s_cselect_b64 s[38:39], -1, 0
	v_cndmask_b32_e64 v4, 0, 1, vcc
	v_lshlrev_b32_e32 v4, 4, v4
	v_cmp_gt_u32_e32 vcc, 56, v3
	v_add_lshl_u32 v30, v4, v2, 2
	s_lshl_b64 s[14:15], s[2:3], 2
	v_cndmask_b32_e64 v4, 0, 1, vcc
	v_lshlrev_b32_e32 v4, 3, v4
	v_cmp_gt_u32_e32 vcc, 60, v3
	v_add_lshl_u32 v31, v4, v2, 2
	s_add_u32 s57, s27, s14
	v_cndmask_b32_e64 v4, 0, 1, vcc
	v_lshlrev_b32_e32 v4, 2, v4
	v_cmp_gt_u32_e32 vcc, 62, v3
	v_add_lshl_u32 v32, v4, v2, 2
	s_addc_u32 s58, s33, s15
	v_cndmask_b32_e64 v4, 0, 1, vcc
	v_lshlrev_b32_e32 v4, 1, v4
	v_cmp_ne_u32_e32 vcc, 63, v3
	v_add_lshl_u32 v33, v4, v2, 2
	v_cmp_ge_i32_e64 s[8:9], s24, v27
	v_addc_co_u32_e32 v2, vcc, 0, v2, vcc
	v_lshlrev_b32_e32 v34, 2, v2
	v_mad_i64_i32 v[2:3], s[14:15], s36, v8, 0
	v_lshl_add_u64 v[10:11], v[2:3], 1, s[34:35]
	v_mad_i64_i32 v[2:3], s[14:15], s36, v23, 0
	v_lshl_add_u64 v[12:13], v[2:3], 1, s[34:35]
	;; [unrolled: 2-line block ×3, first 2 shown]
	v_mad_i64_i32 v[2:3], s[14:15], s36, v1, 0
	v_cmp_ge_i32_e64 s[10:11], s24, v28
	v_cmp_eq_u32_e64 s[12:13], 0, v24
	v_lshlrev_b32_e32 v35, 2, v24
	v_and_b32_e32 v36, 12, v25
	v_lshl_add_u64 v[16:17], v[2:3], 1, s[34:35]
	s_lshl_b64 s[40:41], s[36:37], 1
	s_mul_hi_i32 s43, s28, 6
	s_mul_i32 s42, s28, 6
	s_lshl_b64 s[44:45], s[28:29], 3
	s_lshl_b64 s[46:47], s[28:29], 2
	;; [unrolled: 1-line block ×3, first 2 shown]
	v_mov_b32_e32 v37, 0
	v_mov_b64_e32 v[18:19], v[6:7]
                                        ; implicit-def: $vgpr2_vgpr3_vgpr4_vgpr5
	s_branch .LBB461_21
.LBB461_20:                             ;   in Loop: Header=BB461_21 Depth=1
	s_or_b64 exec, exec, s[14:15]
	s_add_i32 s3, s3, 4
	s_cmp_ge_i32 s3, s56
	v_lshl_add_u64 v[18:19], v[18:19], 0, s[44:45]
	s_cbranch_scc1 .LBB461_67
.LBB461_21:                             ; =>This Loop Header: Depth=1
                                        ;     Child Loop BB461_52 Depth 2
                                        ;     Child Loop BB461_55 Depth 2
                                        ; implicit-def: $vgpr38
                                        ; implicit-def: $vgpr39
                                        ; implicit-def: $vgpr40
                                        ; implicit-def: $vgpr41
	s_and_saveexec_b64 s[14:15], s[8:9]
	s_xor_b64 s[14:15], exec, s[14:15]
	s_cbranch_execnz .LBB461_48
; %bb.22:                               ;   in Loop: Header=BB461_21 Depth=1
	s_andn2_saveexec_b64 s[50:51], s[14:15]
	s_cbranch_execnz .LBB461_49
.LBB461_23:                             ;   in Loop: Header=BB461_21 Depth=1
	s_or_b64 exec, exec, s[50:51]
	s_and_saveexec_b64 s[14:15], s[0:1]
	s_cbranch_execz .LBB461_25
.LBB461_24:                             ;   in Loop: Header=BB461_21 Depth=1
	ds_write_b32 v35, v37
.LBB461_25:                             ;   in Loop: Header=BB461_21 Depth=1
	s_or_b64 exec, exec, s[14:15]
	ds_bpermute_b32 v20, v29, v41
	s_waitcnt lgkmcnt(0)
	s_barrier
	v_add_f32_e32 v20, v41, v20
	ds_bpermute_b32 v21, v30, v20
	s_waitcnt lgkmcnt(0)
	v_add_f32_e32 v20, v20, v21
	ds_bpermute_b32 v21, v31, v20
	s_waitcnt lgkmcnt(0)
	;; [unrolled: 3-line block ×4, first 2 shown]
	v_add_f32_e32 v20, v20, v21
	ds_bpermute_b32 v21, v34, v20
	s_and_saveexec_b64 s[14:15], s[12:13]
	s_cbranch_execz .LBB461_27
; %bb.26:                               ;   in Loop: Header=BB461_21 Depth=1
	s_waitcnt lgkmcnt(0)
	v_add_f32_e32 v20, v20, v21
	ds_write_b32 v36, v20
.LBB461_27:                             ;   in Loop: Header=BB461_21 Depth=1
	s_or_b64 exec, exec, s[14:15]
	v_mov_b32_e32 v20, 0
	s_waitcnt lgkmcnt(0)
	s_barrier
	s_and_saveexec_b64 s[14:15], s[4:5]
	s_cbranch_execnz .LBB461_57
; %bb.28:                               ;   in Loop: Header=BB461_21 Depth=1
	s_or_b64 exec, exec, s[14:15]
	s_and_saveexec_b64 s[14:15], s[0:1]
	s_cbranch_execnz .LBB461_58
.LBB461_29:                             ;   in Loop: Header=BB461_21 Depth=1
	s_or_b64 exec, exec, s[14:15]
	s_and_saveexec_b64 s[14:15], s[0:1]
	s_cbranch_execz .LBB461_31
.LBB461_30:                             ;   in Loop: Header=BB461_21 Depth=1
	ds_write_b32 v35, v37
.LBB461_31:                             ;   in Loop: Header=BB461_21 Depth=1
	s_or_b64 exec, exec, s[14:15]
	ds_bpermute_b32 v21, v29, v40
	s_waitcnt lgkmcnt(0)
	s_barrier
	v_add_f32_e32 v21, v40, v21
	ds_bpermute_b32 v40, v30, v21
	s_waitcnt lgkmcnt(0)
	v_add_f32_e32 v21, v21, v40
	ds_bpermute_b32 v40, v31, v21
	s_waitcnt lgkmcnt(0)
	;; [unrolled: 3-line block ×4, first 2 shown]
	v_add_f32_e32 v21, v21, v40
	ds_bpermute_b32 v40, v34, v21
	s_and_saveexec_b64 s[14:15], s[12:13]
	s_cbranch_execz .LBB461_33
; %bb.32:                               ;   in Loop: Header=BB461_21 Depth=1
	s_waitcnt lgkmcnt(0)
	v_add_f32_e32 v21, v21, v40
	ds_write_b32 v36, v21
.LBB461_33:                             ;   in Loop: Header=BB461_21 Depth=1
	s_or_b64 exec, exec, s[14:15]
	v_mov_b32_e32 v21, 0
	s_waitcnt lgkmcnt(0)
	s_barrier
	s_and_saveexec_b64 s[14:15], s[4:5]
	s_cbranch_execnz .LBB461_59
; %bb.34:                               ;   in Loop: Header=BB461_21 Depth=1
	s_or_b64 exec, exec, s[14:15]
	s_and_saveexec_b64 s[14:15], s[0:1]
	s_cbranch_execnz .LBB461_60
.LBB461_35:                             ;   in Loop: Header=BB461_21 Depth=1
	s_or_b64 exec, exec, s[14:15]
	s_and_saveexec_b64 s[14:15], s[0:1]
	s_cbranch_execz .LBB461_37
.LBB461_36:                             ;   in Loop: Header=BB461_21 Depth=1
	ds_write_b32 v35, v37
.LBB461_37:                             ;   in Loop: Header=BB461_21 Depth=1
	s_or_b64 exec, exec, s[14:15]
	ds_bpermute_b32 v40, v29, v39
	s_waitcnt lgkmcnt(0)
	s_barrier
	v_add_f32_e32 v39, v39, v40
	ds_bpermute_b32 v40, v30, v39
	s_waitcnt lgkmcnt(0)
	v_add_f32_e32 v39, v39, v40
	ds_bpermute_b32 v40, v31, v39
	s_waitcnt lgkmcnt(0)
	;; [unrolled: 3-line block ×4, first 2 shown]
	v_add_f32_e32 v39, v39, v40
	ds_bpermute_b32 v40, v34, v39
	s_and_saveexec_b64 s[14:15], s[12:13]
	s_cbranch_execz .LBB461_39
; %bb.38:                               ;   in Loop: Header=BB461_21 Depth=1
	s_waitcnt lgkmcnt(0)
	v_add_f32_e32 v39, v39, v40
	ds_write_b32 v36, v39
.LBB461_39:                             ;   in Loop: Header=BB461_21 Depth=1
	s_or_b64 exec, exec, s[14:15]
	v_mov_b32_e32 v39, 0
	s_waitcnt lgkmcnt(0)
	s_barrier
	s_and_saveexec_b64 s[14:15], s[4:5]
	s_cbranch_execnz .LBB461_61
; %bb.40:                               ;   in Loop: Header=BB461_21 Depth=1
	s_or_b64 exec, exec, s[14:15]
	s_and_saveexec_b64 s[14:15], s[0:1]
	s_cbranch_execnz .LBB461_62
.LBB461_41:                             ;   in Loop: Header=BB461_21 Depth=1
	s_or_b64 exec, exec, s[14:15]
	s_and_saveexec_b64 s[14:15], s[0:1]
	s_cbranch_execz .LBB461_43
.LBB461_42:                             ;   in Loop: Header=BB461_21 Depth=1
	ds_write_b32 v35, v37
.LBB461_43:                             ;   in Loop: Header=BB461_21 Depth=1
	s_or_b64 exec, exec, s[14:15]
	ds_bpermute_b32 v40, v29, v38
	s_waitcnt lgkmcnt(0)
	s_barrier
	v_add_f32_e32 v38, v38, v40
	ds_bpermute_b32 v40, v30, v38
	s_waitcnt lgkmcnt(0)
	v_add_f32_e32 v38, v38, v40
	ds_bpermute_b32 v40, v31, v38
	s_waitcnt lgkmcnt(0)
	;; [unrolled: 3-line block ×4, first 2 shown]
	v_add_f32_e32 v38, v38, v40
	ds_bpermute_b32 v40, v34, v38
	s_and_saveexec_b64 s[14:15], s[12:13]
	s_cbranch_execz .LBB461_45
; %bb.44:                               ;   in Loop: Header=BB461_21 Depth=1
	s_waitcnt lgkmcnt(0)
	v_add_f32_e32 v38, v38, v40
	ds_write_b32 v36, v38
.LBB461_45:                             ;   in Loop: Header=BB461_21 Depth=1
	s_or_b64 exec, exec, s[14:15]
	v_mov_b32_e32 v38, 0
	s_waitcnt lgkmcnt(0)
	s_barrier
	s_and_saveexec_b64 s[14:15], s[4:5]
	s_cbranch_execnz .LBB461_63
; %bb.46:                               ;   in Loop: Header=BB461_21 Depth=1
	s_or_b64 exec, exec, s[14:15]
	s_and_saveexec_b64 s[14:15], s[0:1]
	s_cbranch_execnz .LBB461_64
.LBB461_47:                             ;   in Loop: Header=BB461_21 Depth=1
	s_or_b64 exec, exec, s[14:15]
	s_and_saveexec_b64 s[14:15], s[6:7]
	s_cbranch_execz .LBB461_20
	s_branch .LBB461_65
.LBB461_48:                             ;   in Loop: Header=BB461_21 Depth=1
	s_mul_i32 s16, s3, s29
	s_mul_hi_u32 s17, s3, s28
	s_add_i32 s17, s17, s16
	s_mul_i32 s16, s3, s28
	v_lshl_add_u64 v[2:3], s[16:17], 1, v[6:7]
	s_or_b32 s16, s3, 1
	s_mul_i32 s17, s16, s29
	s_mul_hi_u32 s18, s16, s28
	s_add_i32 s17, s18, s17
	s_mul_i32 s16, s16, s28
	v_lshl_add_u64 v[4:5], s[16:17], 1, v[6:7]
	s_or_b32 s16, s3, 2
	;; [unrolled: 6-line block ×3, first 2 shown]
	s_mul_i32 s17, s16, s29
	s_mul_hi_u32 s18, s16, s28
	s_add_i32 s17, s18, s17
	s_mul_i32 s16, s16, s28
	flat_load_ushort v48, v[12:13]
	flat_load_ushort v49, v[14:15]
	;; [unrolled: 1-line block ×4, first 2 shown]
	s_waitcnt lgkmcnt(0)
	v_lshl_add_u64 v[38:39], s[16:17], 1, v[6:7]
	flat_load_dwordx2 v[40:41], v[2:3]
	flat_load_dwordx2 v[42:43], v[4:5]
	;; [unrolled: 1-line block ×4, first 2 shown]
	s_waitcnt vmcnt(0) lgkmcnt(0)
	v_cvt_f32_f16_e32 v3, v48
	v_cvt_f32_f16_e32 v4, v49
	;; [unrolled: 1-line block ×4, first 2 shown]
	v_fma_mix_f32 v20, v50, v40, 0 op_sel_hi:[1,1,0]
	v_fma_mix_f32 v21, v50, v42, 0 op_sel_hi:[1,1,0]
	;; [unrolled: 1-line block ×4, first 2 shown]
	v_fma_mix_f32 v20, v48, v40, v20 op_sel:[0,1,0] op_sel_hi:[1,1,0]
	v_fma_mix_f32 v21, v48, v42, v21 op_sel:[0,1,0] op_sel_hi:[1,1,0]
	;; [unrolled: 1-line block ×4, first 2 shown]
	v_fma_mix_f32 v20, v49, v41, v20 op_sel_hi:[1,1,0]
	v_fma_mix_f32 v21, v49, v43, v21 op_sel_hi:[1,1,0]
	;; [unrolled: 1-line block ×4, first 2 shown]
	v_fma_mix_f32 v41, v51, v41, v20 op_sel:[0,1,0] op_sel_hi:[1,1,0]
	v_fma_mix_f32 v40, v51, v43, v21 op_sel:[0,1,0] op_sel_hi:[1,1,0]
	;; [unrolled: 1-line block ×4, first 2 shown]
	s_andn2_saveexec_b64 s[50:51], s[14:15]
	s_cbranch_execz .LBB461_23
.LBB461_49:                             ;   in Loop: Header=BB461_21 Depth=1
	s_waitcnt lgkmcnt(0)
	v_mov_b32_e32 v38, 0
	v_mov_b32_e32 v39, 0
	;; [unrolled: 1-line block ×4, first 2 shown]
	s_and_saveexec_b64 s[52:53], s[10:11]
	s_cbranch_execz .LBB461_56
; %bb.50:                               ;   in Loop: Header=BB461_21 Depth=1
	v_cndmask_b32_e64 v20, 0, 1, s[38:39]
	v_cmp_ne_u32_e64 s[14:15], 1, v20
	s_andn2_b64 vcc, exec, s[38:39]
	s_cbranch_vccnz .LBB461_53
; %bb.51:                               ;   in Loop: Header=BB461_21 Depth=1
	s_mov_b64 s[54:55], 0
	v_mov_b64_e32 v[20:21], v[10:11]
.LBB461_52:                             ;   Parent Loop BB461_21 Depth=1
                                        ; =>  This Inner Loop Header: Depth=2
	flat_load_ushort v38, v[20:21]
	s_cmp_eq_u32 s54, 3
	s_cselect_b64 vcc, -1, 0
	s_cmp_eq_u32 s54, 2
	s_cselect_b64 s[16:17], -1, 0
	s_cmp_eq_u32 s54, 1
	s_cselect_b64 s[18:19], -1, 0
	s_cmp_eq_u32 s54, 0
	s_cselect_b64 s[20:21], -1, 0
	s_add_u32 s54, s54, 1
	s_addc_u32 s55, s55, 0
	v_lshl_add_u64 v[20:21], v[20:21], 0, s[40:41]
	s_cmp_eq_u32 s23, s54
	s_waitcnt vmcnt(0) lgkmcnt(0)
	v_cvt_f32_f16_e32 v38, v38
	v_cndmask_b32_e32 v5, v5, v38, vcc
	v_cndmask_b32_e64 v4, v4, v38, s[16:17]
	v_cndmask_b32_e64 v3, v3, v38, s[18:19]
	;; [unrolled: 1-line block ×3, first 2 shown]
	s_cbranch_scc0 .LBB461_52
.LBB461_53:                             ;   in Loop: Header=BB461_21 Depth=1
	s_and_b64 vcc, exec, s[14:15]
	v_mov_b32_e32 v38, 0
	v_mov_b32_e32 v39, 0
	;; [unrolled: 1-line block ×4, first 2 shown]
	s_cbranch_vccnz .LBB461_56
; %bb.54:                               ;   in Loop: Header=BB461_21 Depth=1
	s_mov_b64 s[14:15], 0
	v_mov_b32_e32 v41, 0
	v_mov_b64_e32 v[20:21], v[18:19]
	v_mov_b32_e32 v40, 0
	v_mov_b32_e32 v39, 0
	;; [unrolled: 1-line block ×3, first 2 shown]
.LBB461_55:                             ;   Parent Loop BB461_21 Depth=1
                                        ; =>  This Inner Loop Header: Depth=2
	v_lshl_add_u64 v[42:43], v[20:21], 0, s[48:49]
	v_lshl_add_u64 v[44:45], v[20:21], 0, s[46:47]
	flat_load_ushort v48, v[20:21]
	v_lshl_add_u64 v[46:47], v[20:21], 0, s[42:43]
	flat_load_ushort v42, v[42:43]
	s_nop 0
	flat_load_ushort v43, v[44:45]
	s_nop 0
	flat_load_ushort v44, v[46:47]
	s_cmp_eq_u32 s14, 1
	s_cselect_b64 vcc, -1, 0
	s_cmp_eq_u32 s14, 2
	v_cndmask_b32_e32 v45, v2, v3, vcc
	s_cselect_b64 vcc, -1, 0
	s_cmp_eq_u32 s14, 3
	v_cndmask_b32_e32 v45, v45, v4, vcc
	s_cselect_b64 vcc, -1, 0
	s_add_u32 s14, s14, 1
	v_cndmask_b32_e32 v45, v45, v5, vcc
	s_addc_u32 s15, s15, 0
	v_lshl_add_u64 v[20:21], v[20:21], 0, 2
	s_cmp_lg_u32 s23, s14
	s_waitcnt vmcnt(0) lgkmcnt(0)
	v_fma_mix_f32 v40, v45, v42, v40 op_sel_hi:[0,1,0]
	v_fma_mix_f32 v41, v45, v48, v41 op_sel_hi:[0,1,0]
	;; [unrolled: 1-line block ×4, first 2 shown]
	s_cbranch_scc1 .LBB461_55
.LBB461_56:                             ;   in Loop: Header=BB461_21 Depth=1
	s_or_b64 exec, exec, s[52:53]
	s_or_b64 exec, exec, s[50:51]
	s_and_saveexec_b64 s[14:15], s[0:1]
	s_cbranch_execnz .LBB461_24
	s_branch .LBB461_25
.LBB461_57:                             ;   in Loop: Header=BB461_21 Depth=1
	ds_read_b32 v20, v35
	s_or_b64 exec, exec, s[14:15]
	s_and_saveexec_b64 s[14:15], s[0:1]
	s_cbranch_execz .LBB461_29
.LBB461_58:                             ;   in Loop: Header=BB461_21 Depth=1
	s_waitcnt lgkmcnt(0)
	ds_bpermute_b32 v21, v33, v20
	s_waitcnt lgkmcnt(0)
	v_add_f32_e32 v20, v20, v21
	ds_bpermute_b32 v21, v34, v20
	s_waitcnt lgkmcnt(0)
	v_add_f32_e32 v20, v20, v21
	s_or_b64 exec, exec, s[14:15]
	s_and_saveexec_b64 s[14:15], s[0:1]
	s_cbranch_execnz .LBB461_30
	s_branch .LBB461_31
.LBB461_59:                             ;   in Loop: Header=BB461_21 Depth=1
	ds_read_b32 v21, v35
	s_or_b64 exec, exec, s[14:15]
	s_and_saveexec_b64 s[14:15], s[0:1]
	s_cbranch_execz .LBB461_35
.LBB461_60:                             ;   in Loop: Header=BB461_21 Depth=1
	s_waitcnt lgkmcnt(0)
	ds_bpermute_b32 v40, v33, v21
	s_waitcnt lgkmcnt(0)
	v_add_f32_e32 v21, v21, v40
	ds_bpermute_b32 v40, v34, v21
	s_waitcnt lgkmcnt(0)
	v_add_f32_e32 v21, v21, v40
	s_or_b64 exec, exec, s[14:15]
	s_and_saveexec_b64 s[14:15], s[0:1]
	s_cbranch_execnz .LBB461_36
	s_branch .LBB461_37
.LBB461_61:                             ;   in Loop: Header=BB461_21 Depth=1
	ds_read_b32 v39, v35
	s_or_b64 exec, exec, s[14:15]
	s_and_saveexec_b64 s[14:15], s[0:1]
	s_cbranch_execz .LBB461_41
.LBB461_62:                             ;   in Loop: Header=BB461_21 Depth=1
	s_waitcnt lgkmcnt(0)
	ds_bpermute_b32 v40, v33, v39
	s_waitcnt lgkmcnt(0)
	v_add_f32_e32 v39, v39, v40
	ds_bpermute_b32 v40, v34, v39
	s_waitcnt lgkmcnt(0)
	v_add_f32_e32 v39, v39, v40
	s_or_b64 exec, exec, s[14:15]
	s_and_saveexec_b64 s[14:15], s[0:1]
	s_cbranch_execnz .LBB461_42
	s_branch .LBB461_43
.LBB461_63:                             ;   in Loop: Header=BB461_21 Depth=1
	ds_read_b32 v38, v35
	s_or_b64 exec, exec, s[14:15]
	s_and_saveexec_b64 s[14:15], s[0:1]
	s_cbranch_execz .LBB461_47
.LBB461_64:                             ;   in Loop: Header=BB461_21 Depth=1
	s_waitcnt lgkmcnt(0)
	ds_bpermute_b32 v40, v33, v38
	s_waitcnt lgkmcnt(0)
	v_add_f32_e32 v38, v38, v40
	ds_bpermute_b32 v40, v34, v38
	s_waitcnt lgkmcnt(0)
	v_add_f32_e32 v38, v38, v40
	s_or_b64 exec, exec, s[14:15]
	s_and_saveexec_b64 s[14:15], s[6:7]
	s_cbranch_execz .LBB461_20
.LBB461_65:                             ;   in Loop: Header=BB461_21 Depth=1
	s_mul_hi_u32 s17, s3, s22
	s_mul_i32 s16, s3, s22
	s_lshl_b64 s[16:17], s[16:17], 2
	s_add_u32 s16, s57, s16
	v_mul_f32_e32 v20, s26, v20
	s_addc_u32 s17, s58, s17
	global_store_dword v37, v20, s[16:17]
	s_or_b32 s16, s3, 1
	s_mul_hi_u32 s17, s16, s22
	s_mul_i32 s16, s16, s22
	s_lshl_b64 s[16:17], s[16:17], 2
	s_add_u32 s16, s57, s16
	v_mul_f32_e32 v20, s26, v21
	s_addc_u32 s17, s58, s17
	global_store_dword v37, v20, s[16:17]
	s_or_b32 s16, s3, 2
	;; [unrolled: 8-line block ×3, first 2 shown]
	s_mul_hi_u32 s17, s16, s22
	s_mul_i32 s16, s16, s22
	s_lshl_b64 s[16:17], s[16:17], 2
	s_add_u32 s16, s57, s16
	s_waitcnt lgkmcnt(0)
	v_mul_f32_e32 v20, s26, v38
	s_addc_u32 s17, s58, s17
	global_store_dword v37, v20, s[16:17]
	s_branch .LBB461_20
.LBB461_66:
	s_mov_b32 s3, 0
                                        ; implicit-def: $vgpr2_vgpr3_vgpr4_vgpr5
.LBB461_67:
	s_cmp_ge_i32 s3, s25
	s_cbranch_scc1 .LBB461_91
; %bb.68:
	v_mbcnt_hi_u32_b32 v10, -1, v26
	v_and_b32_e32 v11, 63, v10
	v_cmp_gt_u32_e32 vcc, 32, v11
	v_cmp_ge_i32_e64 s[0:1], s24, v27
	v_cmp_ge_i32_e64 s[4:5], s24, v28
	v_cndmask_b32_e64 v12, 0, 1, vcc
	v_lshlrev_b32_e32 v12, 5, v12
	v_cmp_gt_u32_e32 vcc, 48, v11
	v_add_lshl_u32 v21, v12, v10, 2
	s_mov_b32 s39, 0
	v_cndmask_b32_e64 v12, 0, 1, vcc
	v_lshlrev_b32_e32 v12, 4, v12
	v_cmp_gt_u32_e32 vcc, 56, v11
	v_add_lshl_u32 v26, v12, v10, 2
	s_cmp_gt_i32 s23, 0
	v_cndmask_b32_e64 v12, 0, 1, vcc
	v_lshlrev_b32_e32 v12, 3, v12
	v_cmp_gt_u32_e32 vcc, 60, v11
	v_add_lshl_u32 v27, v12, v10, 2
	s_mov_b32 s38, s2
	v_cndmask_b32_e64 v12, 0, 1, vcc
	v_lshlrev_b32_e32 v12, 2, v12
	v_cmp_gt_u32_e32 vcc, 62, v11
	v_add_lshl_u32 v28, v12, v10, 2
	s_cselect_b64 s[40:41], -1, 0
	v_cndmask_b32_e64 v12, 0, 1, vcc
	v_lshlrev_b32_e32 v12, 1, v12
	v_cmp_ne_u32_e32 vcc, 63, v11
	s_lshl_b64 s[14:15], s[38:39], 2
	v_add_lshl_u32 v29, v12, v10, 2
	v_addc_co_u32_e32 v10, vcc, 0, v10, vcc
	s_add_u32 s2, s27, s14
	v_cmp_gt_u32_e64 s[6:7], 64, v0
	v_lshlrev_b32_e32 v30, 2, v10
	v_cmp_gt_u32_e64 s[10:11], 4, v0
	v_cmp_eq_u32_e64 s[12:13], 0, v0
	s_addc_u32 s24, s33, s15
	v_mad_i64_i32 v[10:11], s[14:15], s36, v8, 0
	v_mad_i64_i32 v[12:13], s[14:15], s36, v23, 0
	;; [unrolled: 1-line block ×4, first 2 shown]
	s_mul_i32 s14, s29, s3
	s_mul_hi_u32 s15, s28, s3
	s_add_i32 s15, s15, s14
	s_mul_i32 s14, s28, s3
	v_lshl_add_u64 v[10:11], v[10:11], 1, s[34:35]
	v_lshl_add_u64 v[12:13], v[12:13], 1, s[34:35]
	;; [unrolled: 1-line block ×4, first 2 shown]
	s_lshl_b64 s[34:35], s[36:37], 1
	s_lshl_b64 s[14:15], s[14:15], 1
	s_add_u32 s14, s30, s14
	s_addc_u32 s15, s31, s15
	v_lshlrev_b32_e32 v20, 2, v24
	v_cmp_eq_u32_e64 s[8:9], 0, v24
	v_and_b32_e32 v24, 12, v25
	v_lshl_add_u64 v[8:9], v[8:9], 1, s[14:15]
	s_lshl_b64 s[30:31], s[28:29], 1
	v_mov_b32_e32 v1, 0
	s_branch .LBB461_70
.LBB461_69:                             ;   in Loop: Header=BB461_70 Depth=1
	s_or_b64 exec, exec, s[14:15]
	s_add_i32 s3, s3, 1
	s_cmp_ge_i32 s3, s25
	v_lshl_add_u64 v[8:9], v[8:9], 0, s[30:31]
	s_cbranch_scc1 .LBB461_91
.LBB461_70:                             ; =>This Loop Header: Depth=1
                                        ;     Child Loop BB461_83 Depth 2
                                        ;     Child Loop BB461_86 Depth 2
	s_waitcnt lgkmcnt(0)
	v_mov_b32_e32 v0, s39
	s_and_saveexec_b64 s[14:15], s[0:1]
	s_xor_b64 s[14:15], exec, s[14:15]
	s_cbranch_execnz .LBB461_79
; %bb.71:                               ;   in Loop: Header=BB461_70 Depth=1
	s_andn2_saveexec_b64 s[36:37], s[14:15]
	s_cbranch_execnz .LBB461_80
.LBB461_72:                             ;   in Loop: Header=BB461_70 Depth=1
	s_or_b64 exec, exec, s[36:37]
	s_and_saveexec_b64 s[14:15], s[6:7]
	s_cbranch_execz .LBB461_74
.LBB461_73:                             ;   in Loop: Header=BB461_70 Depth=1
	ds_write_b32 v20, v1
.LBB461_74:                             ;   in Loop: Header=BB461_70 Depth=1
	s_or_b64 exec, exec, s[14:15]
	ds_bpermute_b32 v18, v21, v0
	s_waitcnt lgkmcnt(0)
	s_barrier
	v_add_f32_e32 v0, v0, v18
	ds_bpermute_b32 v18, v26, v0
	s_waitcnt lgkmcnt(0)
	v_add_f32_e32 v0, v0, v18
	ds_bpermute_b32 v18, v27, v0
	s_waitcnt lgkmcnt(0)
	;; [unrolled: 3-line block ×4, first 2 shown]
	v_add_f32_e32 v0, v0, v18
	ds_bpermute_b32 v18, v30, v0
	s_and_saveexec_b64 s[14:15], s[8:9]
	s_cbranch_execz .LBB461_76
; %bb.75:                               ;   in Loop: Header=BB461_70 Depth=1
	s_waitcnt lgkmcnt(0)
	v_add_f32_e32 v0, v0, v18
	ds_write_b32 v24, v0
.LBB461_76:                             ;   in Loop: Header=BB461_70 Depth=1
	s_or_b64 exec, exec, s[14:15]
	v_mov_b32_e32 v0, 0
	s_waitcnt lgkmcnt(0)
	s_barrier
	s_and_saveexec_b64 s[14:15], s[10:11]
	s_cbranch_execnz .LBB461_88
; %bb.77:                               ;   in Loop: Header=BB461_70 Depth=1
	s_or_b64 exec, exec, s[14:15]
	s_and_saveexec_b64 s[14:15], s[6:7]
	s_cbranch_execnz .LBB461_89
.LBB461_78:                             ;   in Loop: Header=BB461_70 Depth=1
	s_or_b64 exec, exec, s[14:15]
	s_and_saveexec_b64 s[14:15], s[12:13]
	s_cbranch_execz .LBB461_69
	s_branch .LBB461_90
.LBB461_79:                             ;   in Loop: Header=BB461_70 Depth=1
	s_mul_i32 s16, s3, s29
	s_mul_hi_u32 s17, s3, s28
	s_add_i32 s17, s17, s16
	s_mul_i32 s16, s3, s28
	v_lshl_add_u64 v[2:3], s[16:17], 1, v[6:7]
	flat_load_ushort v0, v[12:13]
	flat_load_ushort v22, v[14:15]
	;; [unrolled: 1-line block ×4, first 2 shown]
	flat_load_dwordx2 v[18:19], v[2:3]
	s_waitcnt vmcnt(0) lgkmcnt(0)
	v_cvt_f32_f16_e32 v3, v0
	v_cvt_f32_f16_e32 v4, v22
	;; [unrolled: 1-line block ×4, first 2 shown]
	v_fma_mix_f32 v23, v23, v18, 0 op_sel_hi:[1,1,0]
	s_nop 0
	v_fma_mix_f32 v0, v0, v18, v23 op_sel:[0,1,0] op_sel_hi:[1,1,0]
	s_nop 0
	v_fma_mix_f32 v0, v22, v19, v0 op_sel_hi:[1,1,0]
	s_nop 0
	v_fma_mix_f32 v0, v25, v19, v0 op_sel:[0,1,0] op_sel_hi:[1,1,0]
	s_andn2_saveexec_b64 s[36:37], s[14:15]
	s_cbranch_execz .LBB461_72
.LBB461_80:                             ;   in Loop: Header=BB461_70 Depth=1
	s_and_saveexec_b64 s[42:43], s[4:5]
	s_cbranch_execz .LBB461_87
; %bb.81:                               ;   in Loop: Header=BB461_70 Depth=1
	v_cndmask_b32_e64 v18, 0, 1, s[40:41]
	v_cmp_ne_u32_e64 s[14:15], 1, v18
	s_andn2_b64 vcc, exec, s[40:41]
	s_cbranch_vccnz .LBB461_84
; %bb.82:                               ;   in Loop: Header=BB461_70 Depth=1
	s_mov_b64 s[44:45], 0
	v_mov_b64_e32 v[18:19], v[10:11]
.LBB461_83:                             ;   Parent Loop BB461_70 Depth=1
                                        ; =>  This Inner Loop Header: Depth=2
	flat_load_ushort v22, v[18:19]
	s_cmp_eq_u32 s44, 3
	s_cselect_b64 vcc, -1, 0
	s_cmp_eq_u32 s44, 2
	s_cselect_b64 s[16:17], -1, 0
	s_cmp_eq_u32 s44, 1
	s_cselect_b64 s[18:19], -1, 0
	;; [unrolled: 2-line block ×3, first 2 shown]
	s_add_u32 s44, s44, 1
	s_addc_u32 s45, s45, 0
	v_lshl_add_u64 v[18:19], v[18:19], 0, s[34:35]
	s_cmp_eq_u32 s23, s44
	s_waitcnt vmcnt(0) lgkmcnt(0)
	v_cvt_f32_f16_e32 v22, v22
	v_cndmask_b32_e32 v5, v5, v22, vcc
	v_cndmask_b32_e64 v4, v4, v22, s[16:17]
	v_cndmask_b32_e64 v3, v3, v22, s[18:19]
	;; [unrolled: 1-line block ×3, first 2 shown]
	s_cbranch_scc0 .LBB461_83
.LBB461_84:                             ;   in Loop: Header=BB461_70 Depth=1
	s_and_b64 vcc, exec, s[14:15]
	s_cbranch_vccnz .LBB461_87
; %bb.85:                               ;   in Loop: Header=BB461_70 Depth=1
	s_mov_b64 s[14:15], 0
	v_mov_b64_e32 v[18:19], v[8:9]
.LBB461_86:                             ;   Parent Loop BB461_70 Depth=1
                                        ; =>  This Inner Loop Header: Depth=2
	flat_load_ushort v22, v[18:19]
	s_cmp_eq_u32 s14, 1
	s_cselect_b64 vcc, -1, 0
	s_cmp_eq_u32 s14, 2
	v_cndmask_b32_e32 v23, v2, v3, vcc
	s_cselect_b64 vcc, -1, 0
	s_cmp_eq_u32 s14, 3
	v_cndmask_b32_e32 v23, v23, v4, vcc
	s_cselect_b64 vcc, -1, 0
	s_add_u32 s14, s14, 1
	v_cndmask_b32_e32 v23, v23, v5, vcc
	s_addc_u32 s15, s15, 0
	v_lshl_add_u64 v[18:19], v[18:19], 0, 2
	s_cmp_lg_u32 s23, s14
	s_waitcnt vmcnt(0) lgkmcnt(0)
	v_fma_mix_f32 v0, v23, v22, v0 op_sel_hi:[0,1,0]
	s_cbranch_scc1 .LBB461_86
.LBB461_87:                             ;   in Loop: Header=BB461_70 Depth=1
	s_or_b64 exec, exec, s[42:43]
	s_or_b64 exec, exec, s[36:37]
	s_and_saveexec_b64 s[14:15], s[6:7]
	s_cbranch_execnz .LBB461_73
	s_branch .LBB461_74
.LBB461_88:                             ;   in Loop: Header=BB461_70 Depth=1
	ds_read_b32 v0, v20
	s_or_b64 exec, exec, s[14:15]
	s_and_saveexec_b64 s[14:15], s[6:7]
	s_cbranch_execz .LBB461_78
.LBB461_89:                             ;   in Loop: Header=BB461_70 Depth=1
	s_waitcnt lgkmcnt(0)
	ds_bpermute_b32 v18, v29, v0
	s_waitcnt lgkmcnt(0)
	v_add_f32_e32 v0, v0, v18
	ds_bpermute_b32 v18, v30, v0
	s_waitcnt lgkmcnt(0)
	v_add_f32_e32 v0, v0, v18
	s_or_b64 exec, exec, s[14:15]
	s_and_saveexec_b64 s[14:15], s[12:13]
	s_cbranch_execz .LBB461_69
.LBB461_90:                             ;   in Loop: Header=BB461_70 Depth=1
	s_mul_hi_u32 s17, s3, s22
	s_mul_i32 s16, s3, s22
	s_lshl_b64 s[16:17], s[16:17], 2
	s_add_u32 s16, s2, s16
	s_waitcnt lgkmcnt(0)
	v_mul_f32_e32 v0, s26, v0
	s_addc_u32 s17, s24, s17
	global_store_dword v1, v0, s[16:17]
	s_branch .LBB461_69
.LBB461_91:
	s_endpgm
	.section	.rodata,"a",@progbits
	.p2align	6, 0x0
	.amdhsa_kernel _ZL23rocblas_gemvt_sn_kernelILb1ELi256ELi4ElPKDF16_ffEviiT4_lPKT3_lilS5_lilPT5_i
		.amdhsa_group_segment_fixed_size 256
		.amdhsa_private_segment_fixed_size 0
		.amdhsa_kernarg_size 360
		.amdhsa_user_sgpr_count 2
		.amdhsa_user_sgpr_dispatch_ptr 0
		.amdhsa_user_sgpr_queue_ptr 0
		.amdhsa_user_sgpr_kernarg_segment_ptr 1
		.amdhsa_user_sgpr_dispatch_id 0
		.amdhsa_user_sgpr_kernarg_preload_length 0
		.amdhsa_user_sgpr_kernarg_preload_offset 0
		.amdhsa_user_sgpr_private_segment_size 0
		.amdhsa_uses_dynamic_stack 0
		.amdhsa_enable_private_segment 0
		.amdhsa_system_sgpr_workgroup_id_x 1
		.amdhsa_system_sgpr_workgroup_id_y 0
		.amdhsa_system_sgpr_workgroup_id_z 1
		.amdhsa_system_sgpr_workgroup_info 0
		.amdhsa_system_vgpr_workitem_id 0
		.amdhsa_next_free_vgpr 52
		.amdhsa_next_free_sgpr 59
		.amdhsa_accum_offset 52
		.amdhsa_reserve_vcc 1
		.amdhsa_float_round_mode_32 0
		.amdhsa_float_round_mode_16_64 0
		.amdhsa_float_denorm_mode_32 3
		.amdhsa_float_denorm_mode_16_64 3
		.amdhsa_dx10_clamp 1
		.amdhsa_ieee_mode 1
		.amdhsa_fp16_overflow 0
		.amdhsa_tg_split 0
		.amdhsa_exception_fp_ieee_invalid_op 0
		.amdhsa_exception_fp_denorm_src 0
		.amdhsa_exception_fp_ieee_div_zero 0
		.amdhsa_exception_fp_ieee_overflow 0
		.amdhsa_exception_fp_ieee_underflow 0
		.amdhsa_exception_fp_ieee_inexact 0
		.amdhsa_exception_int_div_zero 0
	.end_amdhsa_kernel
	.section	.text._ZL23rocblas_gemvt_sn_kernelILb1ELi256ELi4ElPKDF16_ffEviiT4_lPKT3_lilS5_lilPT5_i,"axG",@progbits,_ZL23rocblas_gemvt_sn_kernelILb1ELi256ELi4ElPKDF16_ffEviiT4_lPKT3_lilS5_lilPT5_i,comdat
.Lfunc_end461:
	.size	_ZL23rocblas_gemvt_sn_kernelILb1ELi256ELi4ElPKDF16_ffEviiT4_lPKT3_lilS5_lilPT5_i, .Lfunc_end461-_ZL23rocblas_gemvt_sn_kernelILb1ELi256ELi4ElPKDF16_ffEviiT4_lPKT3_lilS5_lilPT5_i
                                        ; -- End function
	.section	.AMDGPU.csdata,"",@progbits
; Kernel info:
; codeLenInByte = 3984
; NumSgprs: 65
; NumVgprs: 52
; NumAgprs: 0
; TotalNumVgprs: 52
; ScratchSize: 0
; MemoryBound: 0
; FloatMode: 240
; IeeeMode: 1
; LDSByteSize: 256 bytes/workgroup (compile time only)
; SGPRBlocks: 8
; VGPRBlocks: 6
; NumSGPRsForWavesPerEU: 65
; NumVGPRsForWavesPerEU: 52
; AccumOffset: 52
; Occupancy: 8
; WaveLimiterHint : 0
; COMPUTE_PGM_RSRC2:SCRATCH_EN: 0
; COMPUTE_PGM_RSRC2:USER_SGPR: 2
; COMPUTE_PGM_RSRC2:TRAP_HANDLER: 0
; COMPUTE_PGM_RSRC2:TGID_X_EN: 1
; COMPUTE_PGM_RSRC2:TGID_Y_EN: 0
; COMPUTE_PGM_RSRC2:TGID_Z_EN: 1
; COMPUTE_PGM_RSRC2:TIDIG_COMP_CNT: 0
; COMPUTE_PGM_RSRC3_GFX90A:ACCUM_OFFSET: 12
; COMPUTE_PGM_RSRC3_GFX90A:TG_SPLIT: 0
	.section	.text._ZL20rocblas_gemvt_kernelILb1ELi256EPKDF16_PKfKPDF16_EviiT2_lPKT1_lilS9_lilS6_lPT3_lili,"axG",@progbits,_ZL20rocblas_gemvt_kernelILb1ELi256EPKDF16_PKfKPDF16_EviiT2_lPKT1_lilS9_lilS6_lPT3_lili,comdat
	.globl	_ZL20rocblas_gemvt_kernelILb1ELi256EPKDF16_PKfKPDF16_EviiT2_lPKT1_lilS9_lilS6_lPT3_lili ; -- Begin function _ZL20rocblas_gemvt_kernelILb1ELi256EPKDF16_PKfKPDF16_EviiT2_lPKT1_lilS9_lilS6_lPT3_lili
	.p2align	8
	.type	_ZL20rocblas_gemvt_kernelILb1ELi256EPKDF16_PKfKPDF16_EviiT2_lPKT1_lilS9_lilS6_lPT3_lili,@function
_ZL20rocblas_gemvt_kernelILb1ELi256EPKDF16_PKfKPDF16_EviiT2_lPKT1_lilS9_lilS6_lPT3_lili: ; @_ZL20rocblas_gemvt_kernelILb1ELi256EPKDF16_PKfKPDF16_EviiT2_lPKT1_lilS9_lilS6_lPT3_lili
; %bb.0:
	s_load_dwordx8 s[12:19], s[0:1], 0x8
	s_load_dwordx8 s[4:11], s[0:1], 0x58
	s_mov_b32 s20, s3
	s_waitcnt lgkmcnt(0)
	s_mul_i32 s3, s3, s15
	s_mul_hi_u32 s15, s20, s14
	s_add_i32 s15, s15, s3
	s_mul_i32 s14, s20, s14
	s_lshl_b64 s[14:15], s[14:15], 2
	s_add_u32 s12, s12, s14
	s_addc_u32 s13, s13, s15
	s_load_dword s3, s[12:13], 0x0
	s_mul_i32 s7, s20, s7
	s_mul_hi_u32 s12, s20, s6
	s_add_i32 s7, s12, s7
	s_mul_i32 s6, s20, s6
	s_lshl_b64 s[6:7], s[6:7], 2
	s_add_u32 s4, s4, s6
	s_addc_u32 s5, s5, s7
	s_load_dword s22, s[4:5], 0x0
	s_waitcnt lgkmcnt(0)
	v_cmp_eq_f32_e64 s[4:5], s3, 0
	v_cmp_eq_f32_e64 s[6:7], s22, 1.0
	s_and_b64 s[6:7], s[4:5], s[6:7]
	s_and_b64 vcc, exec, s[6:7]
	s_cbranch_vccnz .LBB462_41
; %bb.1:
	s_mov_b32 s21, 0
	v_cmp_neq_f32_e64 s[6:7], s3, 0
	s_mov_b64 s[12:13], 0
	s_and_b64 vcc, exec, s[4:5]
	s_mov_b64 s[14:15], 0
	s_cbranch_vccnz .LBB462_3
; %bb.2:
	s_lshl_b64 s[14:15], s[20:21], 3
	s_add_u32 s14, s16, s14
	s_addc_u32 s15, s17, s15
	s_load_dwordx2 s[14:15], s[14:15], 0x0
	s_lshl_b64 s[16:17], s[18:19], 1
	s_waitcnt lgkmcnt(0)
	s_add_u32 s14, s14, s16
	s_addc_u32 s15, s15, s17
.LBB462_3:
	s_andn2_b64 vcc, exec, s[6:7]
	s_cbranch_vccnz .LBB462_5
; %bb.4:
	s_load_dwordx4 s[16:19], s[0:1], 0x38
	s_lshl_b64 s[6:7], s[20:21], 3
	s_waitcnt lgkmcnt(0)
	s_add_u32 s6, s16, s6
	s_addc_u32 s7, s17, s7
	s_load_dwordx2 s[6:7], s[6:7], 0x0
	s_lshl_b64 s[12:13], s[18:19], 1
	s_waitcnt lgkmcnt(0)
	s_add_u32 s12, s6, s12
	s_addc_u32 s13, s7, s13
.LBB462_5:
	s_lshl_b64 s[6:7], s[20:21], 3
	s_add_u32 s6, s8, s6
	s_addc_u32 s7, s9, s7
	s_load_dwordx2 s[8:9], s[6:7], 0x0
	s_load_dword s20, s[0:1], 0x78
	s_lshl_b64 s[6:7], s[10:11], 1
	s_waitcnt lgkmcnt(0)
	s_add_u32 s18, s8, s6
	s_addc_u32 s19, s9, s7
	s_andn2_b64 vcc, exec, s[4:5]
	v_cmp_eq_u32_e64 s[4:5], 0, v0
	s_cbranch_vccnz .LBB462_9
; %bb.6:
	s_mov_b64 s[10:11], 0
	s_mov_b64 s[6:7], 0
                                        ; implicit-def: $vgpr1
                                        ; implicit-def: $sgpr8_sgpr9
	s_and_saveexec_b64 s[16:17], s[4:5]
	s_cbranch_execz .LBB462_10
; %bb.7:
	v_cmp_eq_f32_e64 s[4:5], s22, 0
	s_mul_hi_i32 s9, s20, s2
	s_mul_i32 s8, s20, s2
	s_and_b64 vcc, exec, s[4:5]
	s_cbranch_vccnz .LBB462_11
; %bb.8:
	s_lshl_b64 s[4:5], s[8:9], 1
	s_add_u32 s4, s18, s4
	s_addc_u32 s5, s19, s5
	v_mov_b32_e32 v1, 0
	global_load_ushort v1, v1, s[4:5]
	s_waitcnt vmcnt(0)
	v_fma_mixlo_f16 v1, s22, v1, 0 op_sel_hi:[0,1,0]
	s_branch .LBB462_12
.LBB462_9:
	s_mov_b64 s[6:7], 0
                                        ; implicit-def: $vgpr1
                                        ; implicit-def: $sgpr8_sgpr9
	s_cbranch_execnz .LBB462_13
	s_branch .LBB462_39
.LBB462_10:
	s_or_b64 exec, exec, s[16:17]
	s_and_b64 vcc, exec, s[10:11]
	s_cbranch_vccnz .LBB462_13
	s_branch .LBB462_39
.LBB462_11:
	v_mov_b32_e32 v1, 0
.LBB462_12:
	s_mov_b64 s[6:7], exec
	s_or_b64 exec, exec, s[16:17]
	s_and_b64 vcc, exec, s[10:11]
	s_cbranch_vccz .LBB462_39
.LBB462_13:
	s_load_dword s16, s[0:1], 0x0
	s_load_dword s5, s[0:1], 0x28
	;; [unrolled: 1-line block ×3, first 2 shown]
	v_mov_b32_e32 v3, 0
	s_mov_b32 s1, 0
	s_waitcnt lgkmcnt(0)
	v_cmp_gt_i32_e32 vcc, s16, v0
	s_mul_hi_i32 s9, s5, s2
	s_mul_i32 s8, s5, s2
	s_lshl_b64 s[8:9], s[8:9], 1
	s_add_u32 s8, s8, s14
	s_addc_u32 s9, s9, s15
	s_ashr_i32 s0, s16, 31
	s_lshr_b32 s0, s0, 24
	v_cndmask_b32_e32 v1, 0, v0, vcc
	s_add_i32 s0, s16, s0
	v_lshlrev_b32_e32 v2, 1, v1
	s_and_b32 s0, s0, 0xffffff00
	s_cmpk_lt_i32 s16, 0x100
	v_lshl_add_u64 v[4:5], s[8:9], 0, v[2:3]
	s_cbranch_scc1 .LBB462_16
; %bb.14:
	s_ashr_i32 s5, s4, 31
	v_mad_i64_i32 v[2:3], s[8:9], s4, v0, 0
	v_lshl_add_u64 v[6:7], v[2:3], 1, s[12:13]
	s_lshl_b64 s[8:9], s[4:5], 9
	v_mov_b32_e32 v3, 0
	s_mov_b64 s[10:11], 0x200
	v_mov_b64_e32 v[8:9], v[4:5]
.LBB462_15:                             ; =>This Inner Loop Header: Depth=1
	flat_load_ushort v1, v[8:9]
	flat_load_ushort v2, v[6:7]
	s_addk_i32 s1, 0x100
	v_lshl_add_u64 v[6:7], v[6:7], 0, s[8:9]
	v_lshl_add_u64 v[8:9], v[8:9], 0, s[10:11]
	s_cmp_ge_i32 s1, s0
	s_waitcnt vmcnt(0) lgkmcnt(0)
	v_mul_f16_e32 v1, v1, v2
	v_cvt_f32_f16_e32 v1, v1
	v_add_f32_e32 v3, v3, v1
	s_cbranch_scc0 .LBB462_15
.LBB462_16:
	v_add_u32_e32 v1, s0, v0
	v_cmp_gt_i32_e32 vcc, s16, v1
	s_and_saveexec_b64 s[8:9], vcc
	s_cbranch_execz .LBB462_18
; %bb.17:
	s_ashr_i32 s1, s0, 31
	v_lshl_add_u64 v[4:5], s[0:1], 1, v[4:5]
	flat_load_ushort v2, v[4:5]
	v_mad_i64_i32 v[4:5], s[0:1], s4, v1, 0
	v_lshl_add_u64 v[4:5], v[4:5], 1, s[12:13]
	flat_load_ushort v1, v[4:5]
	s_waitcnt vmcnt(0) lgkmcnt(0)
	v_mul_f16_e32 v1, v2, v1
	v_cvt_f32_f16_e32 v1, v1
	v_add_f32_e32 v3, v3, v1
.LBB462_18:
	s_or_b64 exec, exec, s[8:9]
	s_movk_i32 s0, 0x80
	v_lshlrev_b32_e32 v1, 2, v0
	v_cmp_gt_u32_e32 vcc, s0, v0
	ds_write_b32 v1, v3
	s_waitcnt lgkmcnt(0)
	s_barrier
	s_and_saveexec_b64 s[0:1], vcc
	s_cbranch_execz .LBB462_20
; %bb.19:
	ds_read2st64_b32 v[2:3], v1 offset1:2
	s_waitcnt lgkmcnt(0)
	v_add_f32_e32 v2, v3, v2
	ds_write_b32 v1, v2
.LBB462_20:
	s_or_b64 exec, exec, s[0:1]
	v_cmp_gt_u32_e32 vcc, 64, v0
	s_waitcnt lgkmcnt(0)
	s_barrier
	s_and_saveexec_b64 s[0:1], vcc
	s_cbranch_execz .LBB462_22
; %bb.21:
	ds_read2st64_b32 v[2:3], v1 offset1:1
	s_waitcnt lgkmcnt(0)
	v_add_f32_e32 v2, v3, v2
	ds_write_b32 v1, v2
.LBB462_22:
	s_or_b64 exec, exec, s[0:1]
	v_cmp_gt_u32_e32 vcc, 32, v0
	s_waitcnt lgkmcnt(0)
	s_barrier
	s_and_saveexec_b64 s[0:1], vcc
	s_cbranch_execz .LBB462_24
; %bb.23:
	ds_read2_b32 v[2:3], v1 offset1:32
	s_waitcnt lgkmcnt(0)
	v_add_f32_e32 v2, v3, v2
	ds_write_b32 v1, v2
.LBB462_24:
	s_or_b64 exec, exec, s[0:1]
	v_cmp_gt_u32_e32 vcc, 16, v0
	s_waitcnt lgkmcnt(0)
	s_barrier
	s_and_saveexec_b64 s[0:1], vcc
	s_cbranch_execz .LBB462_26
; %bb.25:
	ds_read2_b32 v[2:3], v1 offset1:16
	s_waitcnt lgkmcnt(0)
	v_add_f32_e32 v2, v3, v2
	ds_write_b32 v1, v2
.LBB462_26:
	;; [unrolled: 12-line block ×5, first 2 shown]
	s_or_b64 exec, exec, s[0:1]
	v_cmp_eq_u32_e32 vcc, 0, v0
	s_waitcnt lgkmcnt(0)
	s_barrier
	s_and_saveexec_b64 s[0:1], vcc
	s_cbranch_execz .LBB462_34
; %bb.33:
	v_mov_b32_e32 v2, 0
	ds_read_b64 v[0:1], v2
	s_waitcnt lgkmcnt(0)
	v_add_f32_e32 v0, v1, v0
	ds_write_b32 v2, v0
.LBB462_34:
	s_or_b64 exec, exec, s[0:1]
	s_waitcnt lgkmcnt(0)
	s_barrier
	s_waitcnt lgkmcnt(0)
                                        ; implicit-def: $vgpr1
                                        ; implicit-def: $sgpr8_sgpr9
	s_and_saveexec_b64 s[0:1], vcc
	s_cbranch_execz .LBB462_38
; %bb.35:
	v_mov_b32_e32 v1, 0
	ds_read_b32 v0, v1
	v_cmp_eq_f32_e64 s[4:5], s22, 0
	s_mul_hi_i32 s9, s20, s2
	s_mul_i32 s8, s20, s2
	s_and_b64 vcc, exec, s[4:5]
	s_waitcnt lgkmcnt(0)
	v_mul_f32_e32 v0, s3, v0
	s_cbranch_vccnz .LBB462_37
; %bb.36:
	s_lshl_b64 s[2:3], s[8:9], 1
	s_add_u32 s2, s18, s2
	s_addc_u32 s3, s19, s3
	global_load_ushort v1, v1, s[2:3]
	s_waitcnt vmcnt(0)
	v_fma_mix_f32 v0, s22, v1, v0 op_sel_hi:[0,1,0]
.LBB462_37:
	v_cvt_f16_f32_e32 v1, v0
	s_or_b64 s[6:7], s[6:7], exec
.LBB462_38:
	s_or_b64 exec, exec, s[0:1]
.LBB462_39:
	s_and_saveexec_b64 s[0:1], s[6:7]
	s_cbranch_execz .LBB462_41
; %bb.40:
	s_lshl_b64 s[0:1], s[8:9], 1
	s_add_u32 s0, s18, s0
	s_addc_u32 s1, s19, s1
	v_mov_b32_e32 v0, 0
	global_store_short v0, v1, s[0:1]
.LBB462_41:
	s_endpgm
	.section	.rodata,"a",@progbits
	.p2align	6, 0x0
	.amdhsa_kernel _ZL20rocblas_gemvt_kernelILb1ELi256EPKDF16_PKfKPDF16_EviiT2_lPKT1_lilS9_lilS6_lPT3_lili
		.amdhsa_group_segment_fixed_size 1024
		.amdhsa_private_segment_fixed_size 0
		.amdhsa_kernarg_size 140
		.amdhsa_user_sgpr_count 2
		.amdhsa_user_sgpr_dispatch_ptr 0
		.amdhsa_user_sgpr_queue_ptr 0
		.amdhsa_user_sgpr_kernarg_segment_ptr 1
		.amdhsa_user_sgpr_dispatch_id 0
		.amdhsa_user_sgpr_kernarg_preload_length 0
		.amdhsa_user_sgpr_kernarg_preload_offset 0
		.amdhsa_user_sgpr_private_segment_size 0
		.amdhsa_uses_dynamic_stack 0
		.amdhsa_enable_private_segment 0
		.amdhsa_system_sgpr_workgroup_id_x 1
		.amdhsa_system_sgpr_workgroup_id_y 0
		.amdhsa_system_sgpr_workgroup_id_z 1
		.amdhsa_system_sgpr_workgroup_info 0
		.amdhsa_system_vgpr_workitem_id 0
		.amdhsa_next_free_vgpr 10
		.amdhsa_next_free_sgpr 23
		.amdhsa_accum_offset 12
		.amdhsa_reserve_vcc 1
		.amdhsa_float_round_mode_32 0
		.amdhsa_float_round_mode_16_64 0
		.amdhsa_float_denorm_mode_32 3
		.amdhsa_float_denorm_mode_16_64 3
		.amdhsa_dx10_clamp 1
		.amdhsa_ieee_mode 1
		.amdhsa_fp16_overflow 0
		.amdhsa_tg_split 0
		.amdhsa_exception_fp_ieee_invalid_op 0
		.amdhsa_exception_fp_denorm_src 0
		.amdhsa_exception_fp_ieee_div_zero 0
		.amdhsa_exception_fp_ieee_overflow 0
		.amdhsa_exception_fp_ieee_underflow 0
		.amdhsa_exception_fp_ieee_inexact 0
		.amdhsa_exception_int_div_zero 0
	.end_amdhsa_kernel
	.section	.text._ZL20rocblas_gemvt_kernelILb1ELi256EPKDF16_PKfKPDF16_EviiT2_lPKT1_lilS9_lilS6_lPT3_lili,"axG",@progbits,_ZL20rocblas_gemvt_kernelILb1ELi256EPKDF16_PKfKPDF16_EviiT2_lPKT1_lilS9_lilS6_lPT3_lili,comdat
.Lfunc_end462:
	.size	_ZL20rocblas_gemvt_kernelILb1ELi256EPKDF16_PKfKPDF16_EviiT2_lPKT1_lilS9_lilS6_lPT3_lili, .Lfunc_end462-_ZL20rocblas_gemvt_kernelILb1ELi256EPKDF16_PKfKPDF16_EviiT2_lPKT1_lilS9_lilS6_lPT3_lili
                                        ; -- End function
	.section	.AMDGPU.csdata,"",@progbits
; Kernel info:
; codeLenInByte = 1268
; NumSgprs: 29
; NumVgprs: 10
; NumAgprs: 0
; TotalNumVgprs: 10
; ScratchSize: 0
; MemoryBound: 0
; FloatMode: 240
; IeeeMode: 1
; LDSByteSize: 1024 bytes/workgroup (compile time only)
; SGPRBlocks: 3
; VGPRBlocks: 1
; NumSGPRsForWavesPerEU: 29
; NumVGPRsForWavesPerEU: 10
; AccumOffset: 12
; Occupancy: 8
; WaveLimiterHint : 1
; COMPUTE_PGM_RSRC2:SCRATCH_EN: 0
; COMPUTE_PGM_RSRC2:USER_SGPR: 2
; COMPUTE_PGM_RSRC2:TRAP_HANDLER: 0
; COMPUTE_PGM_RSRC2:TGID_X_EN: 1
; COMPUTE_PGM_RSRC2:TGID_Y_EN: 0
; COMPUTE_PGM_RSRC2:TGID_Z_EN: 1
; COMPUTE_PGM_RSRC2:TIDIG_COMP_CNT: 0
; COMPUTE_PGM_RSRC3_GFX90A:ACCUM_OFFSET: 2
; COMPUTE_PGM_RSRC3_GFX90A:TG_SPLIT: 0
	.section	.text._ZL20rocblas_gemvt_kernelILb1ELi256EPKDF16_fKPDF16_EviiT2_lPKT1_lilS7_lilS4_lPT3_lili,"axG",@progbits,_ZL20rocblas_gemvt_kernelILb1ELi256EPKDF16_fKPDF16_EviiT2_lPKT1_lilS7_lilS4_lPT3_lili,comdat
	.globl	_ZL20rocblas_gemvt_kernelILb1ELi256EPKDF16_fKPDF16_EviiT2_lPKT1_lilS7_lilS4_lPT3_lili ; -- Begin function _ZL20rocblas_gemvt_kernelILb1ELi256EPKDF16_fKPDF16_EviiT2_lPKT1_lilS7_lilS4_lPT3_lili
	.p2align	8
	.type	_ZL20rocblas_gemvt_kernelILb1ELi256EPKDF16_fKPDF16_EviiT2_lPKT1_lilS7_lilS4_lPT3_lili,@function
_ZL20rocblas_gemvt_kernelILb1ELi256EPKDF16_fKPDF16_EviiT2_lPKT1_lilS7_lilS4_lPT3_lili: ; @_ZL20rocblas_gemvt_kernelILb1ELi256EPKDF16_fKPDF16_EviiT2_lPKT1_lilS7_lilS4_lPT3_lili
; %bb.0:
	s_mov_b32 s12, s3
	s_load_dword s18, s[0:1], 0x8
	s_load_dword s3, s[0:1], 0x58
	s_waitcnt lgkmcnt(0)
	v_cmp_eq_f32_e64 s[4:5], s18, 0
	v_cmp_eq_f32_e64 s[6:7], s3, 1.0
	s_and_b64 s[6:7], s[4:5], s[6:7]
	s_and_b64 vcc, exec, s[6:7]
	s_cbranch_vccnz .LBB463_43
; %bb.1:
	v_cmp_neq_f32_e64 s[8:9], s18, 0
	s_mov_b32 s13, 0
	s_and_b64 vcc, exec, s[8:9]
	s_cbranch_vccnz .LBB463_3
; %bb.2:
	s_mov_b64 s[10:11], 0
	s_cbranch_execz .LBB463_4
	s_branch .LBB463_5
.LBB463_3:
                                        ; implicit-def: $sgpr10_sgpr11
.LBB463_4:
	s_load_dwordx4 s[20:23], s[0:1], 0x18
	s_lshl_b64 s[6:7], s[12:13], 3
	s_waitcnt lgkmcnt(0)
	s_add_u32 s6, s20, s6
	s_addc_u32 s7, s21, s7
	s_load_dwordx2 s[6:7], s[6:7], 0x0
	s_lshl_b64 s[10:11], s[22:23], 1
	s_waitcnt lgkmcnt(0)
	s_add_u32 s10, s6, s10
	s_addc_u32 s11, s7, s11
.LBB463_5:
	s_mov_b64 s[6:7], 0
	s_andn2_b64 vcc, exec, s[8:9]
	s_mov_b64 s[8:9], 0
	s_cbranch_vccnz .LBB463_7
; %bb.6:
	s_load_dwordx4 s[20:23], s[0:1], 0x38
	s_lshl_b64 s[8:9], s[12:13], 3
	s_waitcnt lgkmcnt(0)
	s_add_u32 s8, s20, s8
	s_addc_u32 s9, s21, s9
	s_load_dwordx2 s[8:9], s[8:9], 0x0
	s_lshl_b64 s[14:15], s[22:23], 1
	s_waitcnt lgkmcnt(0)
	s_add_u32 s8, s8, s14
	s_addc_u32 s9, s9, s15
.LBB463_7:
	s_load_dwordx4 s[24:27], s[0:1], 0x68
	s_load_dword s21, s[0:1], 0x78
	s_lshl_b64 s[12:13], s[12:13], 3
	s_waitcnt lgkmcnt(0)
	s_add_u32 s12, s24, s12
	s_addc_u32 s13, s25, s13
	s_load_dwordx2 s[12:13], s[12:13], 0x0
	s_lshl_b64 s[14:15], s[26:27], 1
	s_waitcnt lgkmcnt(0)
	s_add_u32 s19, s12, s14
	s_addc_u32 s20, s13, s15
	s_andn2_b64 vcc, exec, s[4:5]
	v_cmp_eq_u32_e64 s[4:5], 0, v0
	s_cbranch_vccnz .LBB463_11
; %bb.8:
	s_mov_b64 s[14:15], 0
                                        ; implicit-def: $vgpr1
                                        ; implicit-def: $sgpr12_sgpr13
	s_and_saveexec_b64 s[16:17], s[4:5]
	s_cbranch_execz .LBB463_12
; %bb.9:
	v_cmp_eq_f32_e64 s[4:5], s3, 0
	s_mul_hi_i32 s13, s21, s2
	s_mul_i32 s12, s21, s2
	s_and_b64 vcc, exec, s[4:5]
	s_cbranch_vccnz .LBB463_13
; %bb.10:
	s_lshl_b64 s[4:5], s[12:13], 1
	s_add_u32 s4, s19, s4
	s_addc_u32 s5, s20, s5
	v_mov_b32_e32 v1, 0
	global_load_ushort v1, v1, s[4:5]
	s_waitcnt vmcnt(0)
	v_fma_mixlo_f16 v1, v1, s3, 0 op_sel_hi:[1,0,0]
	s_branch .LBB463_14
.LBB463_11:
                                        ; implicit-def: $vgpr1
                                        ; implicit-def: $sgpr12_sgpr13
	s_cbranch_execnz .LBB463_15
	s_branch .LBB463_41
.LBB463_12:
	s_or_b64 exec, exec, s[16:17]
	s_and_b64 vcc, exec, s[14:15]
	s_cbranch_vccnz .LBB463_15
	s_branch .LBB463_41
.LBB463_13:
	v_mov_b32_e32 v1, 0
.LBB463_14:
	s_mov_b64 s[6:7], exec
	s_or_b64 exec, exec, s[16:17]
	s_and_b64 vcc, exec, s[14:15]
	s_cbranch_vccz .LBB463_41
.LBB463_15:
	s_load_dword s14, s[0:1], 0x0
	s_load_dword s5, s[0:1], 0x28
	;; [unrolled: 1-line block ×3, first 2 shown]
	v_mov_b32_e32 v3, 0
	s_mov_b32 s1, 0
	s_waitcnt lgkmcnt(0)
	v_cmp_gt_i32_e32 vcc, s14, v0
	s_mul_hi_i32 s13, s5, s2
	s_mul_i32 s12, s5, s2
	s_lshl_b64 s[12:13], s[12:13], 1
	s_add_u32 s10, s12, s10
	s_addc_u32 s11, s13, s11
	s_ashr_i32 s0, s14, 31
	s_lshr_b32 s0, s0, 24
	v_cndmask_b32_e32 v1, 0, v0, vcc
	s_add_i32 s0, s14, s0
	v_lshlrev_b32_e32 v2, 1, v1
	s_and_b32 s0, s0, 0xffffff00
	s_cmpk_lt_i32 s14, 0x100
	v_lshl_add_u64 v[4:5], s[10:11], 0, v[2:3]
	s_cbranch_scc1 .LBB463_18
; %bb.16:
	s_ashr_i32 s5, s4, 31
	v_mad_i64_i32 v[2:3], s[10:11], s4, v0, 0
	v_lshl_add_u64 v[6:7], v[2:3], 1, s[8:9]
	s_lshl_b64 s[10:11], s[4:5], 9
	v_mov_b32_e32 v3, 0
	s_mov_b64 s[12:13], 0x200
	v_mov_b64_e32 v[8:9], v[4:5]
.LBB463_17:                             ; =>This Inner Loop Header: Depth=1
	flat_load_ushort v1, v[8:9]
	flat_load_ushort v2, v[6:7]
	s_addk_i32 s1, 0x100
	v_lshl_add_u64 v[6:7], v[6:7], 0, s[10:11]
	v_lshl_add_u64 v[8:9], v[8:9], 0, s[12:13]
	s_cmp_ge_i32 s1, s0
	s_waitcnt vmcnt(0) lgkmcnt(0)
	v_mul_f16_e32 v1, v1, v2
	v_cvt_f32_f16_e32 v1, v1
	v_add_f32_e32 v3, v3, v1
	s_cbranch_scc0 .LBB463_17
.LBB463_18:
	v_add_u32_e32 v1, s0, v0
	v_cmp_gt_i32_e32 vcc, s14, v1
	s_and_saveexec_b64 s[10:11], vcc
	s_cbranch_execz .LBB463_20
; %bb.19:
	s_ashr_i32 s1, s0, 31
	v_lshl_add_u64 v[4:5], s[0:1], 1, v[4:5]
	flat_load_ushort v2, v[4:5]
	v_mad_i64_i32 v[4:5], s[0:1], s4, v1, 0
	v_lshl_add_u64 v[4:5], v[4:5], 1, s[8:9]
	flat_load_ushort v1, v[4:5]
	s_waitcnt vmcnt(0) lgkmcnt(0)
	v_mul_f16_e32 v1, v2, v1
	v_cvt_f32_f16_e32 v1, v1
	v_add_f32_e32 v3, v3, v1
.LBB463_20:
	s_or_b64 exec, exec, s[10:11]
	s_movk_i32 s0, 0x80
	v_lshlrev_b32_e32 v1, 2, v0
	v_cmp_gt_u32_e32 vcc, s0, v0
	ds_write_b32 v1, v3
	s_waitcnt lgkmcnt(0)
	s_barrier
	s_and_saveexec_b64 s[0:1], vcc
	s_cbranch_execz .LBB463_22
; %bb.21:
	ds_read2st64_b32 v[2:3], v1 offset1:2
	s_waitcnt lgkmcnt(0)
	v_add_f32_e32 v2, v3, v2
	ds_write_b32 v1, v2
.LBB463_22:
	s_or_b64 exec, exec, s[0:1]
	v_cmp_gt_u32_e32 vcc, 64, v0
	s_waitcnt lgkmcnt(0)
	s_barrier
	s_and_saveexec_b64 s[0:1], vcc
	s_cbranch_execz .LBB463_24
; %bb.23:
	ds_read2st64_b32 v[2:3], v1 offset1:1
	s_waitcnt lgkmcnt(0)
	v_add_f32_e32 v2, v3, v2
	ds_write_b32 v1, v2
.LBB463_24:
	s_or_b64 exec, exec, s[0:1]
	v_cmp_gt_u32_e32 vcc, 32, v0
	s_waitcnt lgkmcnt(0)
	s_barrier
	s_and_saveexec_b64 s[0:1], vcc
	s_cbranch_execz .LBB463_26
; %bb.25:
	ds_read2_b32 v[2:3], v1 offset1:32
	s_waitcnt lgkmcnt(0)
	v_add_f32_e32 v2, v3, v2
	ds_write_b32 v1, v2
.LBB463_26:
	s_or_b64 exec, exec, s[0:1]
	v_cmp_gt_u32_e32 vcc, 16, v0
	s_waitcnt lgkmcnt(0)
	s_barrier
	s_and_saveexec_b64 s[0:1], vcc
	s_cbranch_execz .LBB463_28
; %bb.27:
	ds_read2_b32 v[2:3], v1 offset1:16
	s_waitcnt lgkmcnt(0)
	v_add_f32_e32 v2, v3, v2
	ds_write_b32 v1, v2
.LBB463_28:
	;; [unrolled: 12-line block ×5, first 2 shown]
	s_or_b64 exec, exec, s[0:1]
	v_cmp_eq_u32_e32 vcc, 0, v0
	s_waitcnt lgkmcnt(0)
	s_barrier
	s_and_saveexec_b64 s[0:1], vcc
	s_cbranch_execz .LBB463_36
; %bb.35:
	v_mov_b32_e32 v2, 0
	ds_read_b64 v[0:1], v2
	s_waitcnt lgkmcnt(0)
	v_add_f32_e32 v0, v1, v0
	ds_write_b32 v2, v0
.LBB463_36:
	s_or_b64 exec, exec, s[0:1]
	s_waitcnt lgkmcnt(0)
	s_barrier
	s_waitcnt lgkmcnt(0)
                                        ; implicit-def: $vgpr1
                                        ; implicit-def: $sgpr12_sgpr13
	s_and_saveexec_b64 s[0:1], vcc
	s_cbranch_execz .LBB463_40
; %bb.37:
	v_mov_b32_e32 v1, 0
	ds_read_b32 v0, v1
	v_cmp_eq_f32_e64 s[4:5], s3, 0
	s_mul_hi_i32 s13, s21, s2
	s_mul_i32 s12, s21, s2
	s_and_b64 vcc, exec, s[4:5]
	s_waitcnt lgkmcnt(0)
	v_mul_f32_e32 v0, s18, v0
	s_cbranch_vccnz .LBB463_39
; %bb.38:
	s_lshl_b64 s[4:5], s[12:13], 1
	s_add_u32 s4, s19, s4
	s_addc_u32 s5, s20, s5
	global_load_ushort v1, v1, s[4:5]
	s_waitcnt vmcnt(0)
	v_fma_mix_f32 v0, v1, s3, v0 op_sel_hi:[1,0,0]
.LBB463_39:
	s_nop 0
	v_cvt_f16_f32_e32 v1, v0
	s_or_b64 s[6:7], s[6:7], exec
.LBB463_40:
	s_or_b64 exec, exec, s[0:1]
.LBB463_41:
	s_and_saveexec_b64 s[0:1], s[6:7]
	s_cbranch_execz .LBB463_43
; %bb.42:
	s_lshl_b64 s[0:1], s[12:13], 1
	s_add_u32 s0, s19, s0
	s_addc_u32 s1, s20, s1
	v_mov_b32_e32 v0, 0
	global_store_short v0, v1, s[0:1]
.LBB463_43:
	s_endpgm
	.section	.rodata,"a",@progbits
	.p2align	6, 0x0
	.amdhsa_kernel _ZL20rocblas_gemvt_kernelILb1ELi256EPKDF16_fKPDF16_EviiT2_lPKT1_lilS7_lilS4_lPT3_lili
		.amdhsa_group_segment_fixed_size 1024
		.amdhsa_private_segment_fixed_size 0
		.amdhsa_kernarg_size 140
		.amdhsa_user_sgpr_count 2
		.amdhsa_user_sgpr_dispatch_ptr 0
		.amdhsa_user_sgpr_queue_ptr 0
		.amdhsa_user_sgpr_kernarg_segment_ptr 1
		.amdhsa_user_sgpr_dispatch_id 0
		.amdhsa_user_sgpr_kernarg_preload_length 0
		.amdhsa_user_sgpr_kernarg_preload_offset 0
		.amdhsa_user_sgpr_private_segment_size 0
		.amdhsa_uses_dynamic_stack 0
		.amdhsa_enable_private_segment 0
		.amdhsa_system_sgpr_workgroup_id_x 1
		.amdhsa_system_sgpr_workgroup_id_y 0
		.amdhsa_system_sgpr_workgroup_id_z 1
		.amdhsa_system_sgpr_workgroup_info 0
		.amdhsa_system_vgpr_workitem_id 0
		.amdhsa_next_free_vgpr 10
		.amdhsa_next_free_sgpr 28
		.amdhsa_accum_offset 12
		.amdhsa_reserve_vcc 1
		.amdhsa_float_round_mode_32 0
		.amdhsa_float_round_mode_16_64 0
		.amdhsa_float_denorm_mode_32 3
		.amdhsa_float_denorm_mode_16_64 3
		.amdhsa_dx10_clamp 1
		.amdhsa_ieee_mode 1
		.amdhsa_fp16_overflow 0
		.amdhsa_tg_split 0
		.amdhsa_exception_fp_ieee_invalid_op 0
		.amdhsa_exception_fp_denorm_src 0
		.amdhsa_exception_fp_ieee_div_zero 0
		.amdhsa_exception_fp_ieee_overflow 0
		.amdhsa_exception_fp_ieee_underflow 0
		.amdhsa_exception_fp_ieee_inexact 0
		.amdhsa_exception_int_div_zero 0
	.end_amdhsa_kernel
	.section	.text._ZL20rocblas_gemvt_kernelILb1ELi256EPKDF16_fKPDF16_EviiT2_lPKT1_lilS7_lilS4_lPT3_lili,"axG",@progbits,_ZL20rocblas_gemvt_kernelILb1ELi256EPKDF16_fKPDF16_EviiT2_lPKT1_lilS7_lilS4_lPT3_lili,comdat
.Lfunc_end463:
	.size	_ZL20rocblas_gemvt_kernelILb1ELi256EPKDF16_fKPDF16_EviiT2_lPKT1_lilS7_lilS4_lPT3_lili, .Lfunc_end463-_ZL20rocblas_gemvt_kernelILb1ELi256EPKDF16_fKPDF16_EviiT2_lPKT1_lilS7_lilS4_lPT3_lili
                                        ; -- End function
	.section	.AMDGPU.csdata,"",@progbits
; Kernel info:
; codeLenInByte = 1224
; NumSgprs: 34
; NumVgprs: 10
; NumAgprs: 0
; TotalNumVgprs: 10
; ScratchSize: 0
; MemoryBound: 0
; FloatMode: 240
; IeeeMode: 1
; LDSByteSize: 1024 bytes/workgroup (compile time only)
; SGPRBlocks: 4
; VGPRBlocks: 1
; NumSGPRsForWavesPerEU: 34
; NumVGPRsForWavesPerEU: 10
; AccumOffset: 12
; Occupancy: 8
; WaveLimiterHint : 1
; COMPUTE_PGM_RSRC2:SCRATCH_EN: 0
; COMPUTE_PGM_RSRC2:USER_SGPR: 2
; COMPUTE_PGM_RSRC2:TRAP_HANDLER: 0
; COMPUTE_PGM_RSRC2:TGID_X_EN: 1
; COMPUTE_PGM_RSRC2:TGID_Y_EN: 0
; COMPUTE_PGM_RSRC2:TGID_Z_EN: 1
; COMPUTE_PGM_RSRC2:TIDIG_COMP_CNT: 0
; COMPUTE_PGM_RSRC3_GFX90A:ACCUM_OFFSET: 2
; COMPUTE_PGM_RSRC3_GFX90A:TG_SPLIT: 0
	.section	.text._ZL32rocblas_gemvt_warp_reduce_kernelILb1ELi1024EiPKDF16_PKfKPDF16_EviiT3_lPKT2_lT1_lS9_lSA_lS6_lPT4_lSA_li,"axG",@progbits,_ZL32rocblas_gemvt_warp_reduce_kernelILb1ELi1024EiPKDF16_PKfKPDF16_EviiT3_lPKT2_lT1_lS9_lSA_lS6_lPT4_lSA_li,comdat
	.globl	_ZL32rocblas_gemvt_warp_reduce_kernelILb1ELi1024EiPKDF16_PKfKPDF16_EviiT3_lPKT2_lT1_lS9_lSA_lS6_lPT4_lSA_li ; -- Begin function _ZL32rocblas_gemvt_warp_reduce_kernelILb1ELi1024EiPKDF16_PKfKPDF16_EviiT3_lPKT2_lT1_lS9_lSA_lS6_lPT4_lSA_li
	.p2align	8
	.type	_ZL32rocblas_gemvt_warp_reduce_kernelILb1ELi1024EiPKDF16_PKfKPDF16_EviiT3_lPKT2_lT1_lS9_lSA_lS6_lPT4_lSA_li,@function
_ZL32rocblas_gemvt_warp_reduce_kernelILb1ELi1024EiPKDF16_PKfKPDF16_EviiT3_lPKT2_lT1_lS9_lSA_lS6_lPT4_lSA_li: ; @_ZL32rocblas_gemvt_warp_reduce_kernelILb1ELi1024EiPKDF16_PKfKPDF16_EviiT3_lPKT2_lT1_lS9_lSA_lS6_lPT4_lSA_li
; %bb.0:
	s_load_dwordx8 s[12:19], s[0:1], 0x8
	s_load_dwordx8 s[4:11], s[0:1], 0x58
	s_mov_b32 s20, s3
	s_waitcnt lgkmcnt(0)
	s_mul_i32 s3, s3, s15
	s_mul_hi_u32 s15, s20, s14
	s_add_i32 s15, s15, s3
	s_mul_i32 s14, s20, s14
	s_lshl_b64 s[14:15], s[14:15], 2
	s_add_u32 s12, s12, s14
	s_mul_i32 s3, s20, s7
	s_mul_hi_u32 s7, s20, s6
	s_addc_u32 s13, s13, s15
	s_add_i32 s7, s7, s3
	s_mul_i32 s6, s20, s6
	s_lshl_b64 s[6:7], s[6:7], 2
	s_add_u32 s4, s4, s6
	s_addc_u32 s5, s5, s7
	s_load_dword s22, s[12:13], 0x0
	s_load_dword s3, s[4:5], 0x0
	s_waitcnt lgkmcnt(0)
	v_cmp_eq_f32_e64 s[4:5], s22, 0
	v_cmp_eq_f32_e64 s[6:7], s3, 1.0
	s_and_b64 s[6:7], s[4:5], s[6:7]
	s_and_b64 vcc, exec, s[6:7]
	s_cbranch_vccnz .LBB464_33
; %bb.1:
	s_mov_b32 s21, 0
	v_cmp_neq_f32_e64 s[6:7], s22, 0
	s_mov_b64 s[12:13], 0
	s_and_b64 vcc, exec, s[4:5]
	s_mov_b64 s[14:15], 0
	s_cbranch_vccnz .LBB464_3
; %bb.2:
	s_lshl_b64 s[14:15], s[20:21], 3
	s_add_u32 s14, s16, s14
	s_addc_u32 s15, s17, s15
	s_load_dwordx2 s[14:15], s[14:15], 0x0
	s_lshl_b64 s[16:17], s[18:19], 1
	s_waitcnt lgkmcnt(0)
	s_add_u32 s14, s14, s16
	s_addc_u32 s15, s15, s17
.LBB464_3:
	s_andn2_b64 vcc, exec, s[6:7]
	s_cbranch_vccnz .LBB464_5
; %bb.4:
	s_load_dwordx4 s[16:19], s[0:1], 0x38
	s_lshl_b64 s[6:7], s[20:21], 3
	s_waitcnt lgkmcnt(0)
	s_add_u32 s6, s16, s6
	s_addc_u32 s7, s17, s7
	s_load_dwordx2 s[6:7], s[6:7], 0x0
	s_lshl_b64 s[12:13], s[18:19], 1
	s_waitcnt lgkmcnt(0)
	s_add_u32 s12, s6, s12
	s_addc_u32 s13, s7, s13
.LBB464_5:
	s_lshl_b64 s[6:7], s[20:21], 3
	s_add_u32 s6, s8, s6
	s_addc_u32 s7, s9, s7
	s_load_dwordx2 s[8:9], s[6:7], 0x0
	s_load_dword s20, s[0:1], 0x78
	s_lshl_b64 s[6:7], s[10:11], 1
	s_waitcnt lgkmcnt(0)
	s_add_u32 s18, s8, s6
	s_addc_u32 s19, s9, s7
	s_andn2_b64 vcc, exec, s[4:5]
	v_cmp_eq_u32_e64 s[4:5], 0, v0
	s_cbranch_vccnz .LBB464_9
; %bb.6:
	s_mov_b64 s[10:11], 0
	s_mov_b64 s[6:7], 0
                                        ; implicit-def: $vgpr1
                                        ; implicit-def: $sgpr8_sgpr9
	s_and_saveexec_b64 s[16:17], s[4:5]
	s_cbranch_execz .LBB464_10
; %bb.7:
	v_cmp_eq_f32_e64 s[4:5], s3, 0
	s_mul_i32 s8, s2, s20
	s_ashr_i32 s9, s8, 31
	s_and_b64 vcc, exec, s[4:5]
	s_cbranch_vccnz .LBB464_11
; %bb.8:
	s_lshl_b64 s[4:5], s[8:9], 1
	s_add_u32 s4, s18, s4
	s_addc_u32 s5, s19, s5
	v_mov_b32_e32 v1, 0
	global_load_ushort v1, v1, s[4:5]
	s_waitcnt vmcnt(0)
	v_fma_mixlo_f16 v1, s3, v1, 0 op_sel_hi:[0,1,0]
	s_mov_b64 s[6:7], exec
	s_or_b64 exec, exec, s[16:17]
	s_and_b64 vcc, exec, s[10:11]
	s_cbranch_vccz .LBB464_31
	s_branch .LBB464_12
.LBB464_9:
	s_mov_b64 s[6:7], 0
                                        ; implicit-def: $vgpr1
                                        ; implicit-def: $sgpr8_sgpr9
	s_cbranch_execnz .LBB464_12
	s_branch .LBB464_31
.LBB464_10:
	s_or_b64 exec, exec, s[16:17]
	s_and_b64 vcc, exec, s[10:11]
	s_cbranch_vccnz .LBB464_12
	s_branch .LBB464_31
.LBB464_11:
	v_mov_b32_e32 v1, 0
	s_mov_b64 s[6:7], exec
	s_or_b64 exec, exec, s[16:17]
	s_and_b64 vcc, exec, s[10:11]
	s_cbranch_vccz .LBB464_31
.LBB464_12:
	s_load_dword s17, s[0:1], 0x0
	s_load_dword s4, s[0:1], 0x28
	;; [unrolled: 1-line block ×3, first 2 shown]
	v_mov_b32_e32 v3, 0
	s_waitcnt lgkmcnt(0)
	v_cmp_gt_i32_e32 vcc, s17, v0
	s_mul_i32 s0, s2, s4
	s_ashr_i32 s1, s0, 31
	s_lshl_b64 s[0:1], s[0:1], 1
	v_cndmask_b32_e32 v1, 0, v0, vcc
	s_add_u32 s0, s0, s14
	v_lshlrev_b32_e32 v2, 1, v1
	s_addc_u32 s1, s1, s15
	v_lshl_add_u64 v[4:5], s[0:1], 0, v[2:3]
	s_ashr_i32 s0, s17, 31
	s_lshr_b32 s0, s0, 22
	s_add_i32 s0, s17, s0
	s_and_b32 s0, s0, 0xfffffc00
	v_cmp_gt_i32_e32 vcc, s0, v0
	s_and_saveexec_b64 s[4:5], vcc
	s_cbranch_execz .LBB464_16
; %bb.13:
	v_mul_lo_u32 v6, v0, s16
	s_lshl_b32 s1, s16, 10
	s_mov_b64 s[8:9], 0
	v_mov_b32_e32 v3, 0
	s_mov_b64 s[10:11], 0x800
	v_mov_b64_e32 v[8:9], v[4:5]
	v_mov_b32_e32 v1, v0
.LBB464_14:                             ; =>This Inner Loop Header: Depth=1
	v_ashrrev_i32_e32 v7, 31, v6
	v_lshl_add_u64 v[10:11], v[6:7], 1, s[12:13]
	flat_load_ushort v2, v[8:9]
	flat_load_ushort v7, v[10:11]
	v_add_u32_e32 v1, 0x400, v1
	v_cmp_le_i32_e32 vcc, s0, v1
	v_lshl_add_u64 v[8:9], v[8:9], 0, s[10:11]
	v_add_u32_e32 v6, s1, v6
	s_or_b64 s[8:9], vcc, s[8:9]
	s_waitcnt vmcnt(0) lgkmcnt(0)
	v_mul_f16_e32 v2, v2, v7
	v_cvt_f32_f16_e32 v2, v2
	v_add_f32_e32 v3, v3, v2
	s_andn2_b64 exec, exec, s[8:9]
	s_cbranch_execnz .LBB464_14
; %bb.15:
	s_or_b64 exec, exec, s[8:9]
.LBB464_16:
	s_or_b64 exec, exec, s[4:5]
	v_or_b32_e32 v1, s0, v0
	v_cmp_gt_i32_e32 vcc, s17, v1
	s_and_saveexec_b64 s[4:5], vcc
	s_cbranch_execz .LBB464_18
; %bb.17:
	s_ashr_i32 s1, s0, 31
	v_lshl_add_u64 v[4:5], s[0:1], 1, v[4:5]
	flat_load_ushort v2, v[4:5]
	v_mul_lo_u32 v4, v1, s16
	v_ashrrev_i32_e32 v5, 31, v4
	v_lshl_add_u64 v[4:5], v[4:5], 1, s[12:13]
	flat_load_ushort v1, v[4:5]
	s_waitcnt vmcnt(0) lgkmcnt(0)
	v_mul_f16_e32 v1, v2, v1
	v_cvt_f32_f16_e32 v1, v1
	v_add_f32_e32 v3, v3, v1
.LBB464_18:
	s_or_b64 exec, exec, s[4:5]
	v_and_b32_e32 v2, 63, v0
	v_cmp_gt_u32_e32 vcc, 64, v0
	v_lshlrev_b32_e32 v1, 2, v2
	s_and_saveexec_b64 s[0:1], vcc
	s_cbranch_execz .LBB464_20
; %bb.19:
	v_mov_b32_e32 v4, 0
	ds_write_b32 v1, v4
.LBB464_20:
	s_or_b64 exec, exec, s[0:1]
	v_mbcnt_lo_u32_b32 v4, -1, 0
	v_mbcnt_hi_u32_b32 v6, -1, v4
	v_and_b32_e32 v7, 63, v6
	v_cmp_gt_u32_e64 s[0:1], 32, v7
	s_waitcnt lgkmcnt(0)
	s_barrier
	v_cndmask_b32_e64 v4, 0, 1, s[0:1]
	v_lshlrev_b32_e32 v4, 5, v4
	v_add_lshl_u32 v4, v4, v6, 2
	ds_bpermute_b32 v4, v4, v3
	v_cmp_gt_u32_e64 s[0:1], 48, v7
	s_waitcnt lgkmcnt(0)
	v_add_f32_e32 v3, v3, v4
	v_cndmask_b32_e64 v5, 0, 1, s[0:1]
	v_lshlrev_b32_e32 v5, 4, v5
	v_add_lshl_u32 v4, v5, v6, 2
	ds_bpermute_b32 v4, v4, v3
	v_cmp_gt_u32_e64 s[0:1], 56, v7
	s_waitcnt lgkmcnt(0)
	v_add_f32_e32 v4, v3, v4
	;; [unrolled: 7-line block ×4, first 2 shown]
	v_cndmask_b32_e64 v9, 0, 1, s[0:1]
	v_lshlrev_b32_e32 v9, 1, v9
	v_add_lshl_u32 v5, v9, v6, 2
	ds_bpermute_b32 v9, v5, v8
	v_cmp_ne_u32_e64 s[0:1], 63, v7
	s_waitcnt lgkmcnt(0)
	v_add_f32_e32 v7, v8, v9
	v_addc_co_u32_e64 v6, s[0:1], 0, v6, s[0:1]
	v_lshlrev_b32_e32 v6, 2, v6
	ds_bpermute_b32 v8, v6, v7
	v_cmp_eq_u32_e64 s[0:1], 0, v2
	s_and_saveexec_b64 s[4:5], s[0:1]
	s_cbranch_execz .LBB464_22
; %bb.21:
	v_lshrrev_b32_e32 v2, 4, v0
	v_and_b32_e32 v2, 60, v2
	s_waitcnt lgkmcnt(0)
	v_add_f32_e32 v7, v7, v8
	ds_write_b32 v2, v7
.LBB464_22:
	s_or_b64 exec, exec, s[4:5]
	v_cmp_gt_u32_e64 s[0:1], 16, v0
	v_mov_b32_e32 v2, 0
	s_waitcnt lgkmcnt(0)
	s_barrier
	s_and_saveexec_b64 s[4:5], s[0:1]
	s_cbranch_execz .LBB464_24
; %bb.23:
	ds_read_b32 v2, v1
	s_or_b64 exec, exec, s[4:5]
	s_and_saveexec_b64 s[0:1], vcc
	s_cbranch_execz .LBB464_26
	s_branch .LBB464_25
.LBB464_24:
	s_or_b64 exec, exec, s[4:5]
	s_and_saveexec_b64 s[0:1], vcc
	s_cbranch_execz .LBB464_26
.LBB464_25:
	s_waitcnt lgkmcnt(0)
	ds_bpermute_b32 v1, v3, v2
	s_waitcnt lgkmcnt(0)
	v_add_f32_e32 v1, v2, v1
	ds_bpermute_b32 v2, v4, v1
	s_waitcnt lgkmcnt(0)
	v_add_f32_e32 v1, v1, v2
	;; [unrolled: 3-line block ×4, first 2 shown]
.LBB464_26:
	s_or_b64 exec, exec, s[0:1]
	v_cmp_eq_u32_e32 vcc, 0, v0
                                        ; implicit-def: $vgpr1
                                        ; implicit-def: $sgpr8_sgpr9
	s_and_saveexec_b64 s[0:1], vcc
	s_cbranch_execz .LBB464_30
; %bb.27:
	v_cmp_eq_f32_e64 s[4:5], s3, 0
	s_mul_i32 s8, s2, s20
	s_waitcnt lgkmcnt(0)
	v_mul_f32_e32 v0, s22, v2
	s_ashr_i32 s9, s8, 31
	s_and_b64 vcc, exec, s[4:5]
	s_cbranch_vccnz .LBB464_29
; %bb.28:
	s_lshl_b64 s[4:5], s[8:9], 1
	s_add_u32 s4, s18, s4
	s_addc_u32 s5, s19, s5
	v_mov_b32_e32 v1, 0
	global_load_ushort v1, v1, s[4:5]
	s_waitcnt vmcnt(0)
	v_fma_mix_f32 v0, s3, v1, v0 op_sel_hi:[0,1,0]
.LBB464_29:
	v_cvt_f16_f32_e32 v1, v0
	s_or_b64 s[6:7], s[6:7], exec
.LBB464_30:
	s_or_b64 exec, exec, s[0:1]
.LBB464_31:
	s_and_saveexec_b64 s[0:1], s[6:7]
	s_cbranch_execz .LBB464_33
; %bb.32:
	s_lshl_b64 s[0:1], s[8:9], 1
	s_add_u32 s0, s18, s0
	s_addc_u32 s1, s19, s1
	v_mov_b32_e32 v0, 0
	global_store_short v0, v1, s[0:1]
.LBB464_33:
	s_endpgm
	.section	.rodata,"a",@progbits
	.p2align	6, 0x0
	.amdhsa_kernel _ZL32rocblas_gemvt_warp_reduce_kernelILb1ELi1024EiPKDF16_PKfKPDF16_EviiT3_lPKT2_lT1_lS9_lSA_lS6_lPT4_lSA_li
		.amdhsa_group_segment_fixed_size 256
		.amdhsa_private_segment_fixed_size 0
		.amdhsa_kernarg_size 140
		.amdhsa_user_sgpr_count 2
		.amdhsa_user_sgpr_dispatch_ptr 0
		.amdhsa_user_sgpr_queue_ptr 0
		.amdhsa_user_sgpr_kernarg_segment_ptr 1
		.amdhsa_user_sgpr_dispatch_id 0
		.amdhsa_user_sgpr_kernarg_preload_length 0
		.amdhsa_user_sgpr_kernarg_preload_offset 0
		.amdhsa_user_sgpr_private_segment_size 0
		.amdhsa_uses_dynamic_stack 0
		.amdhsa_enable_private_segment 0
		.amdhsa_system_sgpr_workgroup_id_x 1
		.amdhsa_system_sgpr_workgroup_id_y 0
		.amdhsa_system_sgpr_workgroup_id_z 1
		.amdhsa_system_sgpr_workgroup_info 0
		.amdhsa_system_vgpr_workitem_id 0
		.amdhsa_next_free_vgpr 12
		.amdhsa_next_free_sgpr 23
		.amdhsa_accum_offset 12
		.amdhsa_reserve_vcc 1
		.amdhsa_float_round_mode_32 0
		.amdhsa_float_round_mode_16_64 0
		.amdhsa_float_denorm_mode_32 3
		.amdhsa_float_denorm_mode_16_64 3
		.amdhsa_dx10_clamp 1
		.amdhsa_ieee_mode 1
		.amdhsa_fp16_overflow 0
		.amdhsa_tg_split 0
		.amdhsa_exception_fp_ieee_invalid_op 0
		.amdhsa_exception_fp_denorm_src 0
		.amdhsa_exception_fp_ieee_div_zero 0
		.amdhsa_exception_fp_ieee_overflow 0
		.amdhsa_exception_fp_ieee_underflow 0
		.amdhsa_exception_fp_ieee_inexact 0
		.amdhsa_exception_int_div_zero 0
	.end_amdhsa_kernel
	.section	.text._ZL32rocblas_gemvt_warp_reduce_kernelILb1ELi1024EiPKDF16_PKfKPDF16_EviiT3_lPKT2_lT1_lS9_lSA_lS6_lPT4_lSA_li,"axG",@progbits,_ZL32rocblas_gemvt_warp_reduce_kernelILb1ELi1024EiPKDF16_PKfKPDF16_EviiT3_lPKT2_lT1_lS9_lSA_lS6_lPT4_lSA_li,comdat
.Lfunc_end464:
	.size	_ZL32rocblas_gemvt_warp_reduce_kernelILb1ELi1024EiPKDF16_PKfKPDF16_EviiT3_lPKT2_lT1_lS9_lSA_lS6_lPT4_lSA_li, .Lfunc_end464-_ZL32rocblas_gemvt_warp_reduce_kernelILb1ELi1024EiPKDF16_PKfKPDF16_EviiT3_lPKT2_lT1_lS9_lSA_lS6_lPT4_lSA_li
                                        ; -- End function
	.section	.AMDGPU.csdata,"",@progbits
; Kernel info:
; codeLenInByte = 1384
; NumSgprs: 29
; NumVgprs: 12
; NumAgprs: 0
; TotalNumVgprs: 12
; ScratchSize: 0
; MemoryBound: 0
; FloatMode: 240
; IeeeMode: 1
; LDSByteSize: 256 bytes/workgroup (compile time only)
; SGPRBlocks: 3
; VGPRBlocks: 1
; NumSGPRsForWavesPerEU: 29
; NumVGPRsForWavesPerEU: 12
; AccumOffset: 12
; Occupancy: 8
; WaveLimiterHint : 1
; COMPUTE_PGM_RSRC2:SCRATCH_EN: 0
; COMPUTE_PGM_RSRC2:USER_SGPR: 2
; COMPUTE_PGM_RSRC2:TRAP_HANDLER: 0
; COMPUTE_PGM_RSRC2:TGID_X_EN: 1
; COMPUTE_PGM_RSRC2:TGID_Y_EN: 0
; COMPUTE_PGM_RSRC2:TGID_Z_EN: 1
; COMPUTE_PGM_RSRC2:TIDIG_COMP_CNT: 0
; COMPUTE_PGM_RSRC3_GFX90A:ACCUM_OFFSET: 2
; COMPUTE_PGM_RSRC3_GFX90A:TG_SPLIT: 0
	.section	.text._ZL32rocblas_gemvt_warp_reduce_kernelILb1ELi1024ElPKDF16_PKfKPDF16_EviiT3_lPKT2_lT1_lS9_lSA_lS6_lPT4_lSA_li,"axG",@progbits,_ZL32rocblas_gemvt_warp_reduce_kernelILb1ELi1024ElPKDF16_PKfKPDF16_EviiT3_lPKT2_lT1_lS9_lSA_lS6_lPT4_lSA_li,comdat
	.globl	_ZL32rocblas_gemvt_warp_reduce_kernelILb1ELi1024ElPKDF16_PKfKPDF16_EviiT3_lPKT2_lT1_lS9_lSA_lS6_lPT4_lSA_li ; -- Begin function _ZL32rocblas_gemvt_warp_reduce_kernelILb1ELi1024ElPKDF16_PKfKPDF16_EviiT3_lPKT2_lT1_lS9_lSA_lS6_lPT4_lSA_li
	.p2align	8
	.type	_ZL32rocblas_gemvt_warp_reduce_kernelILb1ELi1024ElPKDF16_PKfKPDF16_EviiT3_lPKT2_lT1_lS9_lSA_lS6_lPT4_lSA_li,@function
_ZL32rocblas_gemvt_warp_reduce_kernelILb1ELi1024ElPKDF16_PKfKPDF16_EviiT3_lPKT2_lT1_lS9_lSA_lS6_lPT4_lSA_li: ; @_ZL32rocblas_gemvt_warp_reduce_kernelILb1ELi1024ElPKDF16_PKfKPDF16_EviiT3_lPKT2_lT1_lS9_lSA_lS6_lPT4_lSA_li
; %bb.0:
	s_load_dwordx8 s[12:19], s[0:1], 0x8
	s_load_dwordx8 s[4:11], s[0:1], 0x58
	s_mov_b32 s24, s3
	s_waitcnt lgkmcnt(0)
	s_mul_i32 s3, s3, s15
	s_mul_hi_u32 s15, s24, s14
	s_add_i32 s15, s15, s3
	s_mul_i32 s14, s24, s14
	s_lshl_b64 s[14:15], s[14:15], 2
	s_add_u32 s12, s12, s14
	s_mul_i32 s3, s24, s7
	s_mul_hi_u32 s7, s24, s6
	s_addc_u32 s13, s13, s15
	s_add_i32 s7, s7, s3
	s_mul_i32 s6, s24, s6
	s_lshl_b64 s[6:7], s[6:7], 2
	s_add_u32 s4, s4, s6
	s_addc_u32 s5, s5, s7
	s_load_dword s30, s[12:13], 0x0
	s_load_dword s3, s[4:5], 0x0
	s_waitcnt lgkmcnt(0)
	v_cmp_eq_f32_e64 s[26:27], s30, 0
	v_cmp_eq_f32_e64 s[4:5], s3, 1.0
	s_and_b64 s[4:5], s[26:27], s[4:5]
	s_and_b64 vcc, exec, s[4:5]
	s_cbranch_vccnz .LBB465_33
; %bb.1:
	s_load_dwordx2 s[20:21], s[0:1], 0x28
	s_load_dwordx2 s[12:13], s[0:1], 0x78
	s_mov_b32 s25, 0
	v_cmp_neq_f32_e64 s[28:29], s30, 0
	s_mov_b64 s[14:15], 0
	s_and_b64 vcc, exec, s[26:27]
	s_mov_b64 s[22:23], 0
	s_cbranch_vccnz .LBB465_3
; %bb.2:
	s_lshl_b64 s[4:5], s[24:25], 3
	s_add_u32 s4, s16, s4
	s_addc_u32 s5, s17, s5
	s_load_dwordx2 s[4:5], s[4:5], 0x0
	s_lshl_b64 s[6:7], s[18:19], 1
	s_waitcnt lgkmcnt(0)
	s_add_u32 s22, s4, s6
	s_addc_u32 s23, s5, s7
.LBB465_3:
	s_load_dwordx4 s[4:7], s[0:1], 0x38
	s_load_dwordx2 s[16:17], s[0:1], 0x48
	s_andn2_b64 vcc, exec, s[28:29]
	s_cbranch_vccnz .LBB465_5
; %bb.4:
	s_lshl_b64 s[14:15], s[24:25], 3
	s_waitcnt lgkmcnt(0)
	s_add_u32 s4, s4, s14
	s_addc_u32 s5, s5, s15
	s_load_dwordx2 s[4:5], s[4:5], 0x0
	s_lshl_b64 s[6:7], s[6:7], 1
	s_waitcnt lgkmcnt(0)
	s_add_u32 s14, s4, s6
	s_addc_u32 s15, s5, s7
.LBB465_5:
	s_waitcnt lgkmcnt(0)
	s_lshl_b64 s[4:5], s[24:25], 3
	s_add_u32 s4, s8, s4
	s_addc_u32 s5, s9, s5
	s_load_dwordx2 s[4:5], s[4:5], 0x0
	s_lshl_b64 s[6:7], s[10:11], 1
	s_waitcnt lgkmcnt(0)
	s_add_u32 s24, s4, s6
	s_addc_u32 s25, s5, s7
	s_andn2_b64 vcc, exec, s[26:27]
	v_cmp_eq_u32_e64 s[4:5], 0, v0
	s_cbranch_vccnz .LBB465_9
; %bb.6:
	s_mov_b64 s[10:11], 0
	s_mov_b64 s[6:7], 0
                                        ; implicit-def: $vgpr1
                                        ; implicit-def: $sgpr8_sgpr9
	s_and_saveexec_b64 s[18:19], s[4:5]
	s_cbranch_execz .LBB465_10
; %bb.7:
	s_ashr_i32 s6, s2, 31
	s_mul_i32 s7, s2, s13
	s_mul_hi_u32 s8, s2, s12
	v_cmp_eq_f32_e64 s[4:5], s3, 0
	s_add_i32 s7, s8, s7
	s_mul_i32 s6, s6, s12
	s_add_i32 s9, s7, s6
	s_mul_i32 s8, s2, s12
	s_and_b64 vcc, exec, s[4:5]
	s_cbranch_vccnz .LBB465_11
; %bb.8:
	s_lshl_b64 s[4:5], s[8:9], 1
	s_add_u32 s4, s24, s4
	s_addc_u32 s5, s25, s5
	v_mov_b32_e32 v1, 0
	global_load_ushort v1, v1, s[4:5]
	s_waitcnt vmcnt(0)
	v_fma_mixlo_f16 v1, s3, v1, 0 op_sel_hi:[0,1,0]
	s_mov_b64 s[6:7], exec
	s_or_b64 exec, exec, s[18:19]
	s_and_b64 vcc, exec, s[10:11]
	s_cbranch_vccz .LBB465_31
	s_branch .LBB465_12
.LBB465_9:
	s_mov_b64 s[6:7], 0
                                        ; implicit-def: $vgpr1
                                        ; implicit-def: $sgpr8_sgpr9
	s_cbranch_execnz .LBB465_12
	s_branch .LBB465_31
.LBB465_10:
	s_or_b64 exec, exec, s[18:19]
	s_and_b64 vcc, exec, s[10:11]
	s_cbranch_vccnz .LBB465_12
	s_branch .LBB465_31
.LBB465_11:
	v_mov_b32_e32 v1, 0
	s_mov_b64 s[6:7], exec
	s_or_b64 exec, exec, s[18:19]
	s_and_b64 vcc, exec, s[10:11]
	s_cbranch_vccz .LBB465_31
.LBB465_12:
	s_load_dword s1, s[0:1], 0x0
	s_ashr_i32 s26, s2, 31
	s_mul_i32 s0, s2, s21
	s_mul_hi_u32 s4, s2, s20
	s_add_i32 s0, s4, s0
	s_mul_i32 s4, s26, s20
	s_add_i32 s5, s0, s4
	s_mul_i32 s4, s2, s20
	s_lshl_b64 s[4:5], s[4:5], 1
	s_add_u32 s4, s4, s22
	s_addc_u32 s5, s5, s23
	s_waitcnt lgkmcnt(0)
	s_ashr_i32 s0, s1, 31
	v_cmp_gt_i32_e32 vcc, s1, v0
	s_lshr_b32 s0, s0, 22
	s_add_i32 s0, s1, s0
	v_cndmask_b32_e32 v1, 0, v0, vcc
	v_mov_b32_e32 v3, 0
	v_lshlrev_b32_e32 v2, 1, v1
	s_and_b32 s0, s0, 0xfffffc00
	v_lshl_add_u64 v[4:5], s[4:5], 0, v[2:3]
	v_cmp_gt_i32_e32 vcc, s0, v0
	s_and_saveexec_b64 s[4:5], vcc
	s_cbranch_execz .LBB465_16
; %bb.13:
	v_mad_u64_u32 v[2:3], s[8:9], s16, v0, 0
	v_mov_b32_e32 v6, v3
	v_mad_u64_u32 v[6:7], s[8:9], s17, v0, v[6:7]
	v_mov_b32_e32 v3, v6
	v_lshl_add_u64 v[6:7], v[2:3], 1, s[14:15]
	s_lshl_b64 s[10:11], s[16:17], 11
	s_mov_b64 s[8:9], 0
	v_mov_b32_e32 v3, 0
	s_mov_b64 s[18:19], 0x800
	v_mov_b64_e32 v[8:9], v[4:5]
	v_mov_b32_e32 v1, v0
.LBB465_14:                             ; =>This Inner Loop Header: Depth=1
	flat_load_ushort v2, v[8:9]
	flat_load_ushort v10, v[6:7]
	v_add_u32_e32 v1, 0x400, v1
	v_cmp_le_i32_e32 vcc, s0, v1
	v_lshl_add_u64 v[8:9], v[8:9], 0, s[18:19]
	v_lshl_add_u64 v[6:7], v[6:7], 0, s[10:11]
	s_or_b64 s[8:9], vcc, s[8:9]
	s_waitcnt vmcnt(0) lgkmcnt(0)
	v_mul_f16_e32 v2, v2, v10
	v_cvt_f32_f16_e32 v2, v2
	v_add_f32_e32 v3, v3, v2
	s_andn2_b64 exec, exec, s[8:9]
	s_cbranch_execnz .LBB465_14
; %bb.15:
	s_or_b64 exec, exec, s[8:9]
.LBB465_16:
	s_or_b64 exec, exec, s[4:5]
	v_or_b32_e32 v1, s0, v0
	v_cmp_gt_i32_e32 vcc, s1, v1
	s_and_saveexec_b64 s[4:5], vcc
	s_cbranch_execz .LBB465_18
; %bb.17:
	s_ashr_i32 s1, s0, 31
	v_lshl_add_u64 v[4:5], s[0:1], 1, v[4:5]
	flat_load_ushort v2, v[4:5]
	v_ashrrev_i32_e32 v4, 31, v1
	v_mul_lo_u32 v6, v1, s17
	v_mul_lo_u32 v7, v4, s16
	v_mad_u64_u32 v[4:5], s[0:1], v1, s16, 0
	v_add3_u32 v5, v5, v6, v7
	v_lshl_add_u64 v[4:5], v[4:5], 1, s[14:15]
	flat_load_ushort v1, v[4:5]
	s_waitcnt vmcnt(0) lgkmcnt(0)
	v_mul_f16_e32 v1, v2, v1
	v_cvt_f32_f16_e32 v1, v1
	v_add_f32_e32 v3, v3, v1
.LBB465_18:
	s_or_b64 exec, exec, s[4:5]
	v_and_b32_e32 v2, 63, v0
	v_cmp_gt_u32_e32 vcc, 64, v0
	v_lshlrev_b32_e32 v1, 2, v2
	s_and_saveexec_b64 s[0:1], vcc
	s_cbranch_execz .LBB465_20
; %bb.19:
	v_mov_b32_e32 v4, 0
	ds_write_b32 v1, v4
.LBB465_20:
	s_or_b64 exec, exec, s[0:1]
	v_mbcnt_lo_u32_b32 v4, -1, 0
	v_mbcnt_hi_u32_b32 v6, -1, v4
	v_and_b32_e32 v7, 63, v6
	v_cmp_gt_u32_e64 s[0:1], 32, v7
	s_waitcnt lgkmcnt(0)
	s_barrier
	v_cndmask_b32_e64 v4, 0, 1, s[0:1]
	v_lshlrev_b32_e32 v4, 5, v4
	v_add_lshl_u32 v4, v4, v6, 2
	ds_bpermute_b32 v4, v4, v3
	v_cmp_gt_u32_e64 s[0:1], 48, v7
	s_waitcnt lgkmcnt(0)
	v_add_f32_e32 v3, v3, v4
	v_cndmask_b32_e64 v5, 0, 1, s[0:1]
	v_lshlrev_b32_e32 v5, 4, v5
	v_add_lshl_u32 v4, v5, v6, 2
	ds_bpermute_b32 v4, v4, v3
	v_cmp_gt_u32_e64 s[0:1], 56, v7
	s_waitcnt lgkmcnt(0)
	v_add_f32_e32 v4, v3, v4
	;; [unrolled: 7-line block ×4, first 2 shown]
	v_cndmask_b32_e64 v9, 0, 1, s[0:1]
	v_lshlrev_b32_e32 v9, 1, v9
	v_add_lshl_u32 v5, v9, v6, 2
	ds_bpermute_b32 v9, v5, v8
	v_cmp_ne_u32_e64 s[0:1], 63, v7
	s_waitcnt lgkmcnt(0)
	v_add_f32_e32 v7, v8, v9
	v_addc_co_u32_e64 v6, s[0:1], 0, v6, s[0:1]
	v_lshlrev_b32_e32 v6, 2, v6
	ds_bpermute_b32 v8, v6, v7
	v_cmp_eq_u32_e64 s[0:1], 0, v2
	s_and_saveexec_b64 s[4:5], s[0:1]
	s_cbranch_execz .LBB465_22
; %bb.21:
	v_lshrrev_b32_e32 v2, 4, v0
	v_and_b32_e32 v2, 60, v2
	s_waitcnt lgkmcnt(0)
	v_add_f32_e32 v7, v7, v8
	ds_write_b32 v2, v7
.LBB465_22:
	s_or_b64 exec, exec, s[4:5]
	v_cmp_gt_u32_e64 s[0:1], 16, v0
	v_mov_b32_e32 v2, 0
	s_waitcnt lgkmcnt(0)
	s_barrier
	s_and_saveexec_b64 s[4:5], s[0:1]
	s_cbranch_execz .LBB465_24
; %bb.23:
	ds_read_b32 v2, v1
	s_or_b64 exec, exec, s[4:5]
	s_and_saveexec_b64 s[0:1], vcc
	s_cbranch_execz .LBB465_26
	s_branch .LBB465_25
.LBB465_24:
	s_or_b64 exec, exec, s[4:5]
	s_and_saveexec_b64 s[0:1], vcc
	s_cbranch_execz .LBB465_26
.LBB465_25:
	s_waitcnt lgkmcnt(0)
	ds_bpermute_b32 v1, v3, v2
	s_waitcnt lgkmcnt(0)
	v_add_f32_e32 v1, v2, v1
	ds_bpermute_b32 v2, v4, v1
	s_waitcnt lgkmcnt(0)
	v_add_f32_e32 v1, v1, v2
	;; [unrolled: 3-line block ×4, first 2 shown]
.LBB465_26:
	s_or_b64 exec, exec, s[0:1]
	v_cmp_eq_u32_e32 vcc, 0, v0
                                        ; implicit-def: $vgpr1
                                        ; implicit-def: $sgpr8_sgpr9
	s_and_saveexec_b64 s[0:1], vcc
	s_cbranch_execz .LBB465_30
; %bb.27:
	s_mul_i32 s8, s2, s13
	s_mul_hi_u32 s9, s2, s12
	v_cmp_eq_f32_e64 s[4:5], s3, 0
	s_add_i32 s8, s9, s8
	s_mul_i32 s9, s26, s12
	s_waitcnt lgkmcnt(0)
	v_mul_f32_e32 v0, s30, v2
	s_add_i32 s9, s8, s9
	s_mul_i32 s8, s2, s12
	s_and_b64 vcc, exec, s[4:5]
	s_cbranch_vccnz .LBB465_29
; %bb.28:
	s_lshl_b64 s[4:5], s[8:9], 1
	s_add_u32 s4, s24, s4
	s_addc_u32 s5, s25, s5
	v_mov_b32_e32 v1, 0
	global_load_ushort v1, v1, s[4:5]
	s_waitcnt vmcnt(0)
	v_fma_mix_f32 v0, s3, v1, v0 op_sel_hi:[0,1,0]
.LBB465_29:
	v_cvt_f16_f32_e32 v1, v0
	s_or_b64 s[6:7], s[6:7], exec
.LBB465_30:
	s_or_b64 exec, exec, s[0:1]
.LBB465_31:
	s_and_saveexec_b64 s[0:1], s[6:7]
	s_cbranch_execz .LBB465_33
; %bb.32:
	s_lshl_b64 s[0:1], s[8:9], 1
	s_add_u32 s0, s24, s0
	s_addc_u32 s1, s25, s1
	v_mov_b32_e32 v0, 0
	global_store_short v0, v1, s[0:1]
.LBB465_33:
	s_endpgm
	.section	.rodata,"a",@progbits
	.p2align	6, 0x0
	.amdhsa_kernel _ZL32rocblas_gemvt_warp_reduce_kernelILb1ELi1024ElPKDF16_PKfKPDF16_EviiT3_lPKT2_lT1_lS9_lSA_lS6_lPT4_lSA_li
		.amdhsa_group_segment_fixed_size 256
		.amdhsa_private_segment_fixed_size 0
		.amdhsa_kernarg_size 140
		.amdhsa_user_sgpr_count 2
		.amdhsa_user_sgpr_dispatch_ptr 0
		.amdhsa_user_sgpr_queue_ptr 0
		.amdhsa_user_sgpr_kernarg_segment_ptr 1
		.amdhsa_user_sgpr_dispatch_id 0
		.amdhsa_user_sgpr_kernarg_preload_length 0
		.amdhsa_user_sgpr_kernarg_preload_offset 0
		.amdhsa_user_sgpr_private_segment_size 0
		.amdhsa_uses_dynamic_stack 0
		.amdhsa_enable_private_segment 0
		.amdhsa_system_sgpr_workgroup_id_x 1
		.amdhsa_system_sgpr_workgroup_id_y 0
		.amdhsa_system_sgpr_workgroup_id_z 1
		.amdhsa_system_sgpr_workgroup_info 0
		.amdhsa_system_vgpr_workitem_id 0
		.amdhsa_next_free_vgpr 11
		.amdhsa_next_free_sgpr 31
		.amdhsa_accum_offset 12
		.amdhsa_reserve_vcc 1
		.amdhsa_float_round_mode_32 0
		.amdhsa_float_round_mode_16_64 0
		.amdhsa_float_denorm_mode_32 3
		.amdhsa_float_denorm_mode_16_64 3
		.amdhsa_dx10_clamp 1
		.amdhsa_ieee_mode 1
		.amdhsa_fp16_overflow 0
		.amdhsa_tg_split 0
		.amdhsa_exception_fp_ieee_invalid_op 0
		.amdhsa_exception_fp_denorm_src 0
		.amdhsa_exception_fp_ieee_div_zero 0
		.amdhsa_exception_fp_ieee_overflow 0
		.amdhsa_exception_fp_ieee_underflow 0
		.amdhsa_exception_fp_ieee_inexact 0
		.amdhsa_exception_int_div_zero 0
	.end_amdhsa_kernel
	.section	.text._ZL32rocblas_gemvt_warp_reduce_kernelILb1ELi1024ElPKDF16_PKfKPDF16_EviiT3_lPKT2_lT1_lS9_lSA_lS6_lPT4_lSA_li,"axG",@progbits,_ZL32rocblas_gemvt_warp_reduce_kernelILb1ELi1024ElPKDF16_PKfKPDF16_EviiT3_lPKT2_lT1_lS9_lSA_lS6_lPT4_lSA_li,comdat
.Lfunc_end465:
	.size	_ZL32rocblas_gemvt_warp_reduce_kernelILb1ELi1024ElPKDF16_PKfKPDF16_EviiT3_lPKT2_lT1_lS9_lSA_lS6_lPT4_lSA_li, .Lfunc_end465-_ZL32rocblas_gemvt_warp_reduce_kernelILb1ELi1024ElPKDF16_PKfKPDF16_EviiT3_lPKT2_lT1_lS9_lSA_lS6_lPT4_lSA_li
                                        ; -- End function
	.section	.AMDGPU.csdata,"",@progbits
; Kernel info:
; codeLenInByte = 1484
; NumSgprs: 37
; NumVgprs: 11
; NumAgprs: 0
; TotalNumVgprs: 11
; ScratchSize: 0
; MemoryBound: 0
; FloatMode: 240
; IeeeMode: 1
; LDSByteSize: 256 bytes/workgroup (compile time only)
; SGPRBlocks: 4
; VGPRBlocks: 1
; NumSGPRsForWavesPerEU: 37
; NumVGPRsForWavesPerEU: 11
; AccumOffset: 12
; Occupancy: 8
; WaveLimiterHint : 1
; COMPUTE_PGM_RSRC2:SCRATCH_EN: 0
; COMPUTE_PGM_RSRC2:USER_SGPR: 2
; COMPUTE_PGM_RSRC2:TRAP_HANDLER: 0
; COMPUTE_PGM_RSRC2:TGID_X_EN: 1
; COMPUTE_PGM_RSRC2:TGID_Y_EN: 0
; COMPUTE_PGM_RSRC2:TGID_Z_EN: 1
; COMPUTE_PGM_RSRC2:TIDIG_COMP_CNT: 0
; COMPUTE_PGM_RSRC3_GFX90A:ACCUM_OFFSET: 2
; COMPUTE_PGM_RSRC3_GFX90A:TG_SPLIT: 0
	.section	.text._ZL32rocblas_gemvt_warp_reduce_kernelILb1ELi1024EiPKDF16_fKPDF16_EviiT3_lPKT2_lT1_lS7_lS8_lS4_lPT4_lS8_li,"axG",@progbits,_ZL32rocblas_gemvt_warp_reduce_kernelILb1ELi1024EiPKDF16_fKPDF16_EviiT3_lPKT2_lT1_lS7_lS8_lS4_lPT4_lS8_li,comdat
	.globl	_ZL32rocblas_gemvt_warp_reduce_kernelILb1ELi1024EiPKDF16_fKPDF16_EviiT3_lPKT2_lT1_lS7_lS8_lS4_lPT4_lS8_li ; -- Begin function _ZL32rocblas_gemvt_warp_reduce_kernelILb1ELi1024EiPKDF16_fKPDF16_EviiT3_lPKT2_lT1_lS7_lS8_lS4_lPT4_lS8_li
	.p2align	8
	.type	_ZL32rocblas_gemvt_warp_reduce_kernelILb1ELi1024EiPKDF16_fKPDF16_EviiT3_lPKT2_lT1_lS7_lS8_lS4_lPT4_lS8_li,@function
_ZL32rocblas_gemvt_warp_reduce_kernelILb1ELi1024EiPKDF16_fKPDF16_EviiT3_lPKT2_lT1_lS7_lS8_lS4_lPT4_lS8_li: ; @_ZL32rocblas_gemvt_warp_reduce_kernelILb1ELi1024EiPKDF16_fKPDF16_EviiT3_lPKT2_lT1_lS7_lS8_lS4_lPT4_lS8_li
; %bb.0:
	s_mov_b32 s12, s3
	s_load_dword s18, s[0:1], 0x8
	s_load_dword s3, s[0:1], 0x58
	s_waitcnt lgkmcnt(0)
	v_cmp_eq_f32_e64 s[4:5], s18, 0
	v_cmp_eq_f32_e64 s[6:7], s3, 1.0
	s_and_b64 s[6:7], s[4:5], s[6:7]
	s_and_b64 vcc, exec, s[6:7]
	s_cbranch_vccnz .LBB466_35
; %bb.1:
	v_cmp_neq_f32_e64 s[8:9], s18, 0
	s_mov_b32 s13, 0
	s_and_b64 vcc, exec, s[8:9]
	s_cbranch_vccnz .LBB466_3
; %bb.2:
	s_mov_b64 s[10:11], 0
	s_cbranch_execz .LBB466_4
	s_branch .LBB466_5
.LBB466_3:
                                        ; implicit-def: $sgpr10_sgpr11
.LBB466_4:
	s_load_dwordx4 s[20:23], s[0:1], 0x18
	s_lshl_b64 s[6:7], s[12:13], 3
	s_waitcnt lgkmcnt(0)
	s_add_u32 s6, s20, s6
	s_addc_u32 s7, s21, s7
	s_load_dwordx2 s[6:7], s[6:7], 0x0
	s_lshl_b64 s[10:11], s[22:23], 1
	s_waitcnt lgkmcnt(0)
	s_add_u32 s10, s6, s10
	s_addc_u32 s11, s7, s11
.LBB466_5:
	s_mov_b64 s[6:7], 0
	s_andn2_b64 vcc, exec, s[8:9]
	s_mov_b64 s[8:9], 0
	s_cbranch_vccnz .LBB466_7
; %bb.6:
	s_load_dwordx4 s[20:23], s[0:1], 0x38
	s_lshl_b64 s[8:9], s[12:13], 3
	s_waitcnt lgkmcnt(0)
	s_add_u32 s8, s20, s8
	s_addc_u32 s9, s21, s9
	s_load_dwordx2 s[8:9], s[8:9], 0x0
	s_lshl_b64 s[14:15], s[22:23], 1
	s_waitcnt lgkmcnt(0)
	s_add_u32 s8, s8, s14
	s_addc_u32 s9, s9, s15
.LBB466_7:
	s_load_dwordx4 s[24:27], s[0:1], 0x68
	s_load_dword s21, s[0:1], 0x78
	s_lshl_b64 s[12:13], s[12:13], 3
	s_waitcnt lgkmcnt(0)
	s_add_u32 s12, s24, s12
	s_addc_u32 s13, s25, s13
	s_load_dwordx2 s[12:13], s[12:13], 0x0
	s_lshl_b64 s[14:15], s[26:27], 1
	s_waitcnt lgkmcnt(0)
	s_add_u32 s19, s12, s14
	s_addc_u32 s20, s13, s15
	s_andn2_b64 vcc, exec, s[4:5]
	v_cmp_eq_u32_e64 s[4:5], 0, v0
	s_cbranch_vccnz .LBB466_11
; %bb.8:
	s_mov_b64 s[14:15], 0
                                        ; implicit-def: $vgpr1
                                        ; implicit-def: $sgpr12_sgpr13
	s_and_saveexec_b64 s[16:17], s[4:5]
	s_cbranch_execz .LBB466_12
; %bb.9:
	v_cmp_eq_f32_e64 s[4:5], s3, 0
	s_mul_i32 s12, s2, s21
	s_ashr_i32 s13, s12, 31
	s_and_b64 vcc, exec, s[4:5]
	s_cbranch_vccnz .LBB466_13
; %bb.10:
	s_lshl_b64 s[4:5], s[12:13], 1
	s_add_u32 s4, s19, s4
	s_addc_u32 s5, s20, s5
	v_mov_b32_e32 v1, 0
	global_load_ushort v1, v1, s[4:5]
	s_waitcnt vmcnt(0)
	v_fma_mixlo_f16 v1, v1, s3, 0 op_sel_hi:[1,0,0]
	s_mov_b64 s[6:7], exec
	s_or_b64 exec, exec, s[16:17]
	s_and_b64 vcc, exec, s[14:15]
	s_cbranch_vccz .LBB466_33
	s_branch .LBB466_14
.LBB466_11:
                                        ; implicit-def: $vgpr1
                                        ; implicit-def: $sgpr12_sgpr13
	s_cbranch_execnz .LBB466_14
	s_branch .LBB466_33
.LBB466_12:
	s_or_b64 exec, exec, s[16:17]
	s_and_b64 vcc, exec, s[14:15]
	s_cbranch_vccnz .LBB466_14
	s_branch .LBB466_33
.LBB466_13:
	v_mov_b32_e32 v1, 0
	s_mov_b64 s[6:7], exec
	s_or_b64 exec, exec, s[16:17]
	s_and_b64 vcc, exec, s[14:15]
	s_cbranch_vccz .LBB466_33
.LBB466_14:
	s_load_dword s15, s[0:1], 0x0
	s_load_dword s4, s[0:1], 0x28
	;; [unrolled: 1-line block ×3, first 2 shown]
	v_mov_b32_e32 v3, 0
	s_waitcnt lgkmcnt(0)
	v_cmp_gt_i32_e32 vcc, s15, v0
	s_mul_i32 s0, s2, s4
	s_ashr_i32 s1, s0, 31
	s_lshl_b64 s[0:1], s[0:1], 1
	v_cndmask_b32_e32 v1, 0, v0, vcc
	s_add_u32 s0, s0, s10
	v_lshlrev_b32_e32 v2, 1, v1
	s_addc_u32 s1, s1, s11
	v_lshl_add_u64 v[4:5], s[0:1], 0, v[2:3]
	s_ashr_i32 s0, s15, 31
	s_lshr_b32 s0, s0, 22
	s_add_i32 s0, s15, s0
	s_and_b32 s0, s0, 0xfffffc00
	v_cmp_gt_i32_e32 vcc, s0, v0
	s_and_saveexec_b64 s[4:5], vcc
	s_cbranch_execz .LBB466_18
; %bb.15:
	v_mul_lo_u32 v6, v0, s14
	s_lshl_b32 s1, s14, 10
	s_mov_b64 s[10:11], 0
	v_mov_b32_e32 v3, 0
	s_mov_b64 s[12:13], 0x800
	v_mov_b64_e32 v[8:9], v[4:5]
	v_mov_b32_e32 v1, v0
.LBB466_16:                             ; =>This Inner Loop Header: Depth=1
	v_ashrrev_i32_e32 v7, 31, v6
	v_lshl_add_u64 v[10:11], v[6:7], 1, s[8:9]
	flat_load_ushort v2, v[8:9]
	flat_load_ushort v7, v[10:11]
	v_add_u32_e32 v1, 0x400, v1
	v_cmp_le_i32_e32 vcc, s0, v1
	v_lshl_add_u64 v[8:9], v[8:9], 0, s[12:13]
	v_add_u32_e32 v6, s1, v6
	s_or_b64 s[10:11], vcc, s[10:11]
	s_waitcnt vmcnt(0) lgkmcnt(0)
	v_mul_f16_e32 v2, v2, v7
	v_cvt_f32_f16_e32 v2, v2
	v_add_f32_e32 v3, v3, v2
	s_andn2_b64 exec, exec, s[10:11]
	s_cbranch_execnz .LBB466_16
; %bb.17:
	s_or_b64 exec, exec, s[10:11]
.LBB466_18:
	s_or_b64 exec, exec, s[4:5]
	v_or_b32_e32 v1, s0, v0
	v_cmp_gt_i32_e32 vcc, s15, v1
	s_and_saveexec_b64 s[4:5], vcc
	s_cbranch_execz .LBB466_20
; %bb.19:
	s_ashr_i32 s1, s0, 31
	v_lshl_add_u64 v[4:5], s[0:1], 1, v[4:5]
	flat_load_ushort v2, v[4:5]
	v_mul_lo_u32 v4, v1, s14
	v_ashrrev_i32_e32 v5, 31, v4
	v_lshl_add_u64 v[4:5], v[4:5], 1, s[8:9]
	flat_load_ushort v1, v[4:5]
	s_waitcnt vmcnt(0) lgkmcnt(0)
	v_mul_f16_e32 v1, v2, v1
	v_cvt_f32_f16_e32 v1, v1
	v_add_f32_e32 v3, v3, v1
.LBB466_20:
	s_or_b64 exec, exec, s[4:5]
	v_and_b32_e32 v2, 63, v0
	v_cmp_gt_u32_e32 vcc, 64, v0
	v_lshlrev_b32_e32 v1, 2, v2
	s_and_saveexec_b64 s[0:1], vcc
	s_cbranch_execz .LBB466_22
; %bb.21:
	v_mov_b32_e32 v4, 0
	ds_write_b32 v1, v4
.LBB466_22:
	s_or_b64 exec, exec, s[0:1]
	v_mbcnt_lo_u32_b32 v4, -1, 0
	v_mbcnt_hi_u32_b32 v6, -1, v4
	v_and_b32_e32 v7, 63, v6
	v_cmp_gt_u32_e64 s[0:1], 32, v7
	s_waitcnt lgkmcnt(0)
	s_barrier
	v_cndmask_b32_e64 v4, 0, 1, s[0:1]
	v_lshlrev_b32_e32 v4, 5, v4
	v_add_lshl_u32 v4, v4, v6, 2
	ds_bpermute_b32 v4, v4, v3
	v_cmp_gt_u32_e64 s[0:1], 48, v7
	s_waitcnt lgkmcnt(0)
	v_add_f32_e32 v3, v3, v4
	v_cndmask_b32_e64 v5, 0, 1, s[0:1]
	v_lshlrev_b32_e32 v5, 4, v5
	v_add_lshl_u32 v4, v5, v6, 2
	ds_bpermute_b32 v4, v4, v3
	v_cmp_gt_u32_e64 s[0:1], 56, v7
	s_waitcnt lgkmcnt(0)
	v_add_f32_e32 v4, v3, v4
	;; [unrolled: 7-line block ×4, first 2 shown]
	v_cndmask_b32_e64 v9, 0, 1, s[0:1]
	v_lshlrev_b32_e32 v9, 1, v9
	v_add_lshl_u32 v5, v9, v6, 2
	ds_bpermute_b32 v9, v5, v8
	v_cmp_ne_u32_e64 s[0:1], 63, v7
	s_waitcnt lgkmcnt(0)
	v_add_f32_e32 v7, v8, v9
	v_addc_co_u32_e64 v6, s[0:1], 0, v6, s[0:1]
	v_lshlrev_b32_e32 v6, 2, v6
	ds_bpermute_b32 v8, v6, v7
	v_cmp_eq_u32_e64 s[0:1], 0, v2
	s_and_saveexec_b64 s[4:5], s[0:1]
	s_cbranch_execz .LBB466_24
; %bb.23:
	v_lshrrev_b32_e32 v2, 4, v0
	v_and_b32_e32 v2, 60, v2
	s_waitcnt lgkmcnt(0)
	v_add_f32_e32 v7, v7, v8
	ds_write_b32 v2, v7
.LBB466_24:
	s_or_b64 exec, exec, s[4:5]
	v_cmp_gt_u32_e64 s[0:1], 16, v0
	v_mov_b32_e32 v2, 0
	s_waitcnt lgkmcnt(0)
	s_barrier
	s_and_saveexec_b64 s[4:5], s[0:1]
	s_cbranch_execz .LBB466_26
; %bb.25:
	ds_read_b32 v2, v1
	s_or_b64 exec, exec, s[4:5]
	s_and_saveexec_b64 s[0:1], vcc
	s_cbranch_execz .LBB466_28
	s_branch .LBB466_27
.LBB466_26:
	s_or_b64 exec, exec, s[4:5]
	s_and_saveexec_b64 s[0:1], vcc
	s_cbranch_execz .LBB466_28
.LBB466_27:
	s_waitcnt lgkmcnt(0)
	ds_bpermute_b32 v1, v3, v2
	s_waitcnt lgkmcnt(0)
	v_add_f32_e32 v1, v2, v1
	ds_bpermute_b32 v2, v4, v1
	s_waitcnt lgkmcnt(0)
	v_add_f32_e32 v1, v1, v2
	;; [unrolled: 3-line block ×4, first 2 shown]
.LBB466_28:
	s_or_b64 exec, exec, s[0:1]
	v_cmp_eq_u32_e32 vcc, 0, v0
                                        ; implicit-def: $vgpr1
                                        ; implicit-def: $sgpr12_sgpr13
	s_and_saveexec_b64 s[0:1], vcc
	s_cbranch_execz .LBB466_32
; %bb.29:
	v_cmp_eq_f32_e64 s[4:5], s3, 0
	s_mul_i32 s12, s2, s21
	s_waitcnt lgkmcnt(0)
	v_mul_f32_e32 v0, s18, v2
	s_ashr_i32 s13, s12, 31
	s_and_b64 vcc, exec, s[4:5]
	s_cbranch_vccnz .LBB466_31
; %bb.30:
	s_lshl_b64 s[4:5], s[12:13], 1
	s_add_u32 s4, s19, s4
	s_addc_u32 s5, s20, s5
	v_mov_b32_e32 v1, 0
	global_load_ushort v1, v1, s[4:5]
	s_waitcnt vmcnt(0)
	v_fma_mix_f32 v0, v1, s3, v0 op_sel_hi:[1,0,0]
.LBB466_31:
	s_nop 0
	v_cvt_f16_f32_e32 v1, v0
	s_or_b64 s[6:7], s[6:7], exec
.LBB466_32:
	s_or_b64 exec, exec, s[0:1]
.LBB466_33:
	s_and_saveexec_b64 s[0:1], s[6:7]
	s_cbranch_execz .LBB466_35
; %bb.34:
	s_lshl_b64 s[0:1], s[12:13], 1
	s_add_u32 s0, s19, s0
	s_addc_u32 s1, s20, s1
	v_mov_b32_e32 v0, 0
	global_store_short v0, v1, s[0:1]
.LBB466_35:
	s_endpgm
	.section	.rodata,"a",@progbits
	.p2align	6, 0x0
	.amdhsa_kernel _ZL32rocblas_gemvt_warp_reduce_kernelILb1ELi1024EiPKDF16_fKPDF16_EviiT3_lPKT2_lT1_lS7_lS8_lS4_lPT4_lS8_li
		.amdhsa_group_segment_fixed_size 256
		.amdhsa_private_segment_fixed_size 0
		.amdhsa_kernarg_size 140
		.amdhsa_user_sgpr_count 2
		.amdhsa_user_sgpr_dispatch_ptr 0
		.amdhsa_user_sgpr_queue_ptr 0
		.amdhsa_user_sgpr_kernarg_segment_ptr 1
		.amdhsa_user_sgpr_dispatch_id 0
		.amdhsa_user_sgpr_kernarg_preload_length 0
		.amdhsa_user_sgpr_kernarg_preload_offset 0
		.amdhsa_user_sgpr_private_segment_size 0
		.amdhsa_uses_dynamic_stack 0
		.amdhsa_enable_private_segment 0
		.amdhsa_system_sgpr_workgroup_id_x 1
		.amdhsa_system_sgpr_workgroup_id_y 0
		.amdhsa_system_sgpr_workgroup_id_z 1
		.amdhsa_system_sgpr_workgroup_info 0
		.amdhsa_system_vgpr_workitem_id 0
		.amdhsa_next_free_vgpr 12
		.amdhsa_next_free_sgpr 28
		.amdhsa_accum_offset 12
		.amdhsa_reserve_vcc 1
		.amdhsa_float_round_mode_32 0
		.amdhsa_float_round_mode_16_64 0
		.amdhsa_float_denorm_mode_32 3
		.amdhsa_float_denorm_mode_16_64 3
		.amdhsa_dx10_clamp 1
		.amdhsa_ieee_mode 1
		.amdhsa_fp16_overflow 0
		.amdhsa_tg_split 0
		.amdhsa_exception_fp_ieee_invalid_op 0
		.amdhsa_exception_fp_denorm_src 0
		.amdhsa_exception_fp_ieee_div_zero 0
		.amdhsa_exception_fp_ieee_overflow 0
		.amdhsa_exception_fp_ieee_underflow 0
		.amdhsa_exception_fp_ieee_inexact 0
		.amdhsa_exception_int_div_zero 0
	.end_amdhsa_kernel
	.section	.text._ZL32rocblas_gemvt_warp_reduce_kernelILb1ELi1024EiPKDF16_fKPDF16_EviiT3_lPKT2_lT1_lS7_lS8_lS4_lPT4_lS8_li,"axG",@progbits,_ZL32rocblas_gemvt_warp_reduce_kernelILb1ELi1024EiPKDF16_fKPDF16_EviiT3_lPKT2_lT1_lS7_lS8_lS4_lPT4_lS8_li,comdat
.Lfunc_end466:
	.size	_ZL32rocblas_gemvt_warp_reduce_kernelILb1ELi1024EiPKDF16_fKPDF16_EviiT3_lPKT2_lT1_lS7_lS8_lS4_lPT4_lS8_li, .Lfunc_end466-_ZL32rocblas_gemvt_warp_reduce_kernelILb1ELi1024EiPKDF16_fKPDF16_EviiT3_lPKT2_lT1_lS7_lS8_lS4_lPT4_lS8_li
                                        ; -- End function
	.section	.AMDGPU.csdata,"",@progbits
; Kernel info:
; codeLenInByte = 1340
; NumSgprs: 34
; NumVgprs: 12
; NumAgprs: 0
; TotalNumVgprs: 12
; ScratchSize: 0
; MemoryBound: 0
; FloatMode: 240
; IeeeMode: 1
; LDSByteSize: 256 bytes/workgroup (compile time only)
; SGPRBlocks: 4
; VGPRBlocks: 1
; NumSGPRsForWavesPerEU: 34
; NumVGPRsForWavesPerEU: 12
; AccumOffset: 12
; Occupancy: 8
; WaveLimiterHint : 1
; COMPUTE_PGM_RSRC2:SCRATCH_EN: 0
; COMPUTE_PGM_RSRC2:USER_SGPR: 2
; COMPUTE_PGM_RSRC2:TRAP_HANDLER: 0
; COMPUTE_PGM_RSRC2:TGID_X_EN: 1
; COMPUTE_PGM_RSRC2:TGID_Y_EN: 0
; COMPUTE_PGM_RSRC2:TGID_Z_EN: 1
; COMPUTE_PGM_RSRC2:TIDIG_COMP_CNT: 0
; COMPUTE_PGM_RSRC3_GFX90A:ACCUM_OFFSET: 2
; COMPUTE_PGM_RSRC3_GFX90A:TG_SPLIT: 0
	.section	.text._ZL32rocblas_gemvt_warp_reduce_kernelILb1ELi1024ElPKDF16_fKPDF16_EviiT3_lPKT2_lT1_lS7_lS8_lS4_lPT4_lS8_li,"axG",@progbits,_ZL32rocblas_gemvt_warp_reduce_kernelILb1ELi1024ElPKDF16_fKPDF16_EviiT3_lPKT2_lT1_lS7_lS8_lS4_lPT4_lS8_li,comdat
	.globl	_ZL32rocblas_gemvt_warp_reduce_kernelILb1ELi1024ElPKDF16_fKPDF16_EviiT3_lPKT2_lT1_lS7_lS8_lS4_lPT4_lS8_li ; -- Begin function _ZL32rocblas_gemvt_warp_reduce_kernelILb1ELi1024ElPKDF16_fKPDF16_EviiT3_lPKT2_lT1_lS7_lS8_lS4_lPT4_lS8_li
	.p2align	8
	.type	_ZL32rocblas_gemvt_warp_reduce_kernelILb1ELi1024ElPKDF16_fKPDF16_EviiT3_lPKT2_lT1_lS7_lS8_lS4_lPT4_lS8_li,@function
_ZL32rocblas_gemvt_warp_reduce_kernelILb1ELi1024ElPKDF16_fKPDF16_EviiT3_lPKT2_lT1_lS7_lS8_lS4_lPT4_lS8_li: ; @_ZL32rocblas_gemvt_warp_reduce_kernelILb1ELi1024ElPKDF16_fKPDF16_EviiT3_lPKT2_lT1_lS7_lS8_lS4_lPT4_lS8_li
; %bb.0:
	s_mov_b32 s20, s3
	s_load_dword s24, s[0:1], 0x8
	s_load_dword s3, s[0:1], 0x58
	s_waitcnt lgkmcnt(0)
	v_cmp_eq_f32_e64 s[18:19], s24, 0
	v_cmp_eq_f32_e64 s[4:5], s3, 1.0
	s_and_b64 s[4:5], s[18:19], s[4:5]
	s_and_b64 vcc, exec, s[4:5]
	s_cbranch_vccnz .LBB467_35
; %bb.1:
	s_load_dwordx4 s[4:7], s[0:1], 0x18
	s_load_dwordx2 s[14:15], s[0:1], 0x28
	v_cmp_neq_f32_e64 s[12:13], s24, 0
	s_mov_b32 s21, 0
	s_and_b64 vcc, exec, s[12:13]
	s_cbranch_vccnz .LBB467_3
; %bb.2:
	s_mov_b64 s[16:17], 0
	s_cbranch_execz .LBB467_4
	s_branch .LBB467_5
.LBB467_3:
                                        ; implicit-def: $sgpr16_sgpr17
.LBB467_4:
	s_lshl_b64 s[8:9], s[20:21], 3
	s_waitcnt lgkmcnt(0)
	s_add_u32 s4, s4, s8
	s_addc_u32 s5, s5, s9
	s_load_dwordx2 s[4:5], s[4:5], 0x0
	s_lshl_b64 s[6:7], s[6:7], 1
	s_waitcnt lgkmcnt(0)
	s_add_u32 s16, s4, s6
	s_addc_u32 s17, s5, s7
.LBB467_5:
	s_waitcnt lgkmcnt(0)
	s_load_dwordx4 s[4:7], s[0:1], 0x38
	s_load_dwordx2 s[10:11], s[0:1], 0x48
	s_mov_b64 s[8:9], 0
	s_andn2_b64 vcc, exec, s[12:13]
	s_mov_b64 s[12:13], 0
	s_cbranch_vccnz .LBB467_7
; %bb.6:
	s_lshl_b64 s[12:13], s[20:21], 3
	s_waitcnt lgkmcnt(0)
	s_add_u32 s4, s4, s12
	s_addc_u32 s5, s5, s13
	s_load_dwordx2 s[4:5], s[4:5], 0x0
	s_lshl_b64 s[6:7], s[6:7], 1
	s_waitcnt lgkmcnt(0)
	s_add_u32 s12, s4, s6
	s_addc_u32 s13, s5, s7
.LBB467_7:
	s_load_dwordx4 s[28:31], s[0:1], 0x68
	s_waitcnt lgkmcnt(0)
	s_load_dwordx2 s[6:7], s[0:1], 0x78
	s_lshl_b64 s[4:5], s[20:21], 3
	s_add_u32 s4, s28, s4
	s_addc_u32 s5, s29, s5
	s_load_dwordx2 s[4:5], s[4:5], 0x0
	s_lshl_b64 s[20:21], s[30:31], 1
	s_waitcnt lgkmcnt(0)
	s_add_u32 s25, s4, s20
	s_addc_u32 s26, s5, s21
	s_andn2_b64 vcc, exec, s[18:19]
	v_cmp_eq_u32_e64 s[4:5], 0, v0
	s_cbranch_vccnz .LBB467_11
; %bb.8:
	s_mov_b64 s[20:21], 0
                                        ; implicit-def: $vgpr1
                                        ; implicit-def: $sgpr18_sgpr19
	s_and_saveexec_b64 s[22:23], s[4:5]
	s_cbranch_execz .LBB467_12
; %bb.9:
	s_ashr_i32 s8, s2, 31
	s_mul_i32 s9, s2, s7
	s_mul_hi_u32 s18, s2, s6
	v_cmp_eq_f32_e64 s[4:5], s3, 0
	s_add_i32 s9, s18, s9
	s_mul_i32 s8, s8, s6
	s_add_i32 s19, s9, s8
	s_mul_i32 s18, s2, s6
	s_and_b64 vcc, exec, s[4:5]
	s_cbranch_vccnz .LBB467_13
; %bb.10:
	s_lshl_b64 s[4:5], s[18:19], 1
	s_add_u32 s4, s25, s4
	s_addc_u32 s5, s26, s5
	v_mov_b32_e32 v1, 0
	global_load_ushort v1, v1, s[4:5]
	s_waitcnt vmcnt(0)
	v_fma_mixlo_f16 v1, v1, s3, 0 op_sel_hi:[1,0,0]
	s_mov_b64 s[8:9], exec
	s_or_b64 exec, exec, s[22:23]
	s_and_b64 vcc, exec, s[20:21]
	s_cbranch_vccz .LBB467_33
	s_branch .LBB467_14
.LBB467_11:
                                        ; implicit-def: $vgpr1
                                        ; implicit-def: $sgpr18_sgpr19
	s_cbranch_execnz .LBB467_14
	s_branch .LBB467_33
.LBB467_12:
	s_or_b64 exec, exec, s[22:23]
	s_and_b64 vcc, exec, s[20:21]
	s_cbranch_vccnz .LBB467_14
	s_branch .LBB467_33
.LBB467_13:
	v_mov_b32_e32 v1, 0
	s_mov_b64 s[8:9], exec
	s_or_b64 exec, exec, s[22:23]
	s_and_b64 vcc, exec, s[20:21]
	s_cbranch_vccz .LBB467_33
.LBB467_14:
	s_load_dword s1, s[0:1], 0x0
	s_ashr_i32 s20, s2, 31
	s_mul_i32 s0, s2, s15
	s_mul_hi_u32 s4, s2, s14
	s_add_i32 s0, s4, s0
	s_mul_i32 s4, s20, s14
	s_add_i32 s5, s0, s4
	s_mul_i32 s4, s2, s14
	s_lshl_b64 s[4:5], s[4:5], 1
	s_add_u32 s4, s4, s16
	s_addc_u32 s5, s5, s17
	s_waitcnt lgkmcnt(0)
	s_ashr_i32 s0, s1, 31
	v_cmp_gt_i32_e32 vcc, s1, v0
	s_lshr_b32 s0, s0, 22
	s_add_i32 s0, s1, s0
	v_cndmask_b32_e32 v1, 0, v0, vcc
	v_mov_b32_e32 v3, 0
	v_lshlrev_b32_e32 v2, 1, v1
	s_and_b32 s0, s0, 0xfffffc00
	v_lshl_add_u64 v[4:5], s[4:5], 0, v[2:3]
	v_cmp_gt_i32_e32 vcc, s0, v0
	s_and_saveexec_b64 s[4:5], vcc
	s_cbranch_execz .LBB467_18
; %bb.15:
	v_mad_u64_u32 v[2:3], s[14:15], s10, v0, 0
	v_mov_b32_e32 v6, v3
	v_mad_u64_u32 v[6:7], s[14:15], s11, v0, v[6:7]
	v_mov_b32_e32 v3, v6
	v_lshl_add_u64 v[6:7], v[2:3], 1, s[12:13]
	s_lshl_b64 s[16:17], s[10:11], 11
	s_mov_b64 s[14:15], 0
	v_mov_b32_e32 v3, 0
	s_mov_b64 s[18:19], 0x800
	v_mov_b64_e32 v[8:9], v[4:5]
	v_mov_b32_e32 v1, v0
.LBB467_16:                             ; =>This Inner Loop Header: Depth=1
	flat_load_ushort v2, v[8:9]
	flat_load_ushort v10, v[6:7]
	v_add_u32_e32 v1, 0x400, v1
	v_cmp_le_i32_e32 vcc, s0, v1
	v_lshl_add_u64 v[8:9], v[8:9], 0, s[18:19]
	v_lshl_add_u64 v[6:7], v[6:7], 0, s[16:17]
	s_or_b64 s[14:15], vcc, s[14:15]
	s_waitcnt vmcnt(0) lgkmcnt(0)
	v_mul_f16_e32 v2, v2, v10
	v_cvt_f32_f16_e32 v2, v2
	v_add_f32_e32 v3, v3, v2
	s_andn2_b64 exec, exec, s[14:15]
	s_cbranch_execnz .LBB467_16
; %bb.17:
	s_or_b64 exec, exec, s[14:15]
.LBB467_18:
	s_or_b64 exec, exec, s[4:5]
	v_or_b32_e32 v1, s0, v0
	v_cmp_gt_i32_e32 vcc, s1, v1
	s_and_saveexec_b64 s[4:5], vcc
	s_cbranch_execz .LBB467_20
; %bb.19:
	s_ashr_i32 s1, s0, 31
	v_lshl_add_u64 v[4:5], s[0:1], 1, v[4:5]
	flat_load_ushort v2, v[4:5]
	v_ashrrev_i32_e32 v4, 31, v1
	v_mul_lo_u32 v6, v1, s11
	v_mul_lo_u32 v7, v4, s10
	v_mad_u64_u32 v[4:5], s[0:1], v1, s10, 0
	v_add3_u32 v5, v5, v6, v7
	v_lshl_add_u64 v[4:5], v[4:5], 1, s[12:13]
	flat_load_ushort v1, v[4:5]
	s_waitcnt vmcnt(0) lgkmcnt(0)
	v_mul_f16_e32 v1, v2, v1
	v_cvt_f32_f16_e32 v1, v1
	v_add_f32_e32 v3, v3, v1
.LBB467_20:
	s_or_b64 exec, exec, s[4:5]
	v_and_b32_e32 v2, 63, v0
	v_cmp_gt_u32_e32 vcc, 64, v0
	v_lshlrev_b32_e32 v1, 2, v2
	s_and_saveexec_b64 s[0:1], vcc
	s_cbranch_execz .LBB467_22
; %bb.21:
	v_mov_b32_e32 v4, 0
	ds_write_b32 v1, v4
.LBB467_22:
	s_or_b64 exec, exec, s[0:1]
	v_mbcnt_lo_u32_b32 v4, -1, 0
	v_mbcnt_hi_u32_b32 v6, -1, v4
	v_and_b32_e32 v7, 63, v6
	v_cmp_gt_u32_e64 s[0:1], 32, v7
	s_waitcnt lgkmcnt(0)
	s_barrier
	v_cndmask_b32_e64 v4, 0, 1, s[0:1]
	v_lshlrev_b32_e32 v4, 5, v4
	v_add_lshl_u32 v4, v4, v6, 2
	ds_bpermute_b32 v4, v4, v3
	v_cmp_gt_u32_e64 s[0:1], 48, v7
	s_waitcnt lgkmcnt(0)
	v_add_f32_e32 v3, v3, v4
	v_cndmask_b32_e64 v5, 0, 1, s[0:1]
	v_lshlrev_b32_e32 v5, 4, v5
	v_add_lshl_u32 v4, v5, v6, 2
	ds_bpermute_b32 v4, v4, v3
	v_cmp_gt_u32_e64 s[0:1], 56, v7
	s_waitcnt lgkmcnt(0)
	v_add_f32_e32 v4, v3, v4
	;; [unrolled: 7-line block ×4, first 2 shown]
	v_cndmask_b32_e64 v9, 0, 1, s[0:1]
	v_lshlrev_b32_e32 v9, 1, v9
	v_add_lshl_u32 v5, v9, v6, 2
	ds_bpermute_b32 v9, v5, v8
	v_cmp_ne_u32_e64 s[0:1], 63, v7
	s_waitcnt lgkmcnt(0)
	v_add_f32_e32 v7, v8, v9
	v_addc_co_u32_e64 v6, s[0:1], 0, v6, s[0:1]
	v_lshlrev_b32_e32 v6, 2, v6
	ds_bpermute_b32 v8, v6, v7
	v_cmp_eq_u32_e64 s[0:1], 0, v2
	s_and_saveexec_b64 s[4:5], s[0:1]
	s_cbranch_execz .LBB467_24
; %bb.23:
	v_lshrrev_b32_e32 v2, 4, v0
	v_and_b32_e32 v2, 60, v2
	s_waitcnt lgkmcnt(0)
	v_add_f32_e32 v7, v7, v8
	ds_write_b32 v2, v7
.LBB467_24:
	s_or_b64 exec, exec, s[4:5]
	v_cmp_gt_u32_e64 s[0:1], 16, v0
	v_mov_b32_e32 v2, 0
	s_waitcnt lgkmcnt(0)
	s_barrier
	s_and_saveexec_b64 s[4:5], s[0:1]
	s_cbranch_execz .LBB467_26
; %bb.25:
	ds_read_b32 v2, v1
	s_or_b64 exec, exec, s[4:5]
	s_and_saveexec_b64 s[0:1], vcc
	s_cbranch_execz .LBB467_28
	s_branch .LBB467_27
.LBB467_26:
	s_or_b64 exec, exec, s[4:5]
	s_and_saveexec_b64 s[0:1], vcc
	s_cbranch_execz .LBB467_28
.LBB467_27:
	s_waitcnt lgkmcnt(0)
	ds_bpermute_b32 v1, v3, v2
	s_waitcnt lgkmcnt(0)
	v_add_f32_e32 v1, v2, v1
	ds_bpermute_b32 v2, v4, v1
	s_waitcnt lgkmcnt(0)
	v_add_f32_e32 v1, v1, v2
	;; [unrolled: 3-line block ×4, first 2 shown]
.LBB467_28:
	s_or_b64 exec, exec, s[0:1]
	v_cmp_eq_u32_e32 vcc, 0, v0
                                        ; implicit-def: $vgpr1
                                        ; implicit-def: $sgpr18_sgpr19
	s_and_saveexec_b64 s[0:1], vcc
	s_cbranch_execz .LBB467_32
; %bb.29:
	s_mul_i32 s7, s2, s7
	s_mul_hi_u32 s10, s2, s6
	v_cmp_eq_f32_e64 s[4:5], s3, 0
	s_add_i32 s7, s10, s7
	s_mul_i32 s10, s20, s6
	s_waitcnt lgkmcnt(0)
	v_mul_f32_e32 v0, s24, v2
	s_add_i32 s19, s7, s10
	s_mul_i32 s18, s2, s6
	s_and_b64 vcc, exec, s[4:5]
	s_cbranch_vccnz .LBB467_31
; %bb.30:
	s_lshl_b64 s[4:5], s[18:19], 1
	s_add_u32 s4, s25, s4
	s_addc_u32 s5, s26, s5
	v_mov_b32_e32 v1, 0
	global_load_ushort v1, v1, s[4:5]
	s_waitcnt vmcnt(0)
	v_fma_mix_f32 v0, v1, s3, v0 op_sel_hi:[1,0,0]
.LBB467_31:
	s_nop 0
	v_cvt_f16_f32_e32 v1, v0
	s_or_b64 s[8:9], s[8:9], exec
.LBB467_32:
	s_or_b64 exec, exec, s[0:1]
.LBB467_33:
	s_and_saveexec_b64 s[0:1], s[8:9]
	s_cbranch_execz .LBB467_35
; %bb.34:
	s_lshl_b64 s[0:1], s[18:19], 1
	s_add_u32 s0, s25, s0
	s_addc_u32 s1, s26, s1
	v_mov_b32_e32 v0, 0
	global_store_short v0, v1, s[0:1]
.LBB467_35:
	s_endpgm
	.section	.rodata,"a",@progbits
	.p2align	6, 0x0
	.amdhsa_kernel _ZL32rocblas_gemvt_warp_reduce_kernelILb1ELi1024ElPKDF16_fKPDF16_EviiT3_lPKT2_lT1_lS7_lS8_lS4_lPT4_lS8_li
		.amdhsa_group_segment_fixed_size 256
		.amdhsa_private_segment_fixed_size 0
		.amdhsa_kernarg_size 140
		.amdhsa_user_sgpr_count 2
		.amdhsa_user_sgpr_dispatch_ptr 0
		.amdhsa_user_sgpr_queue_ptr 0
		.amdhsa_user_sgpr_kernarg_segment_ptr 1
		.amdhsa_user_sgpr_dispatch_id 0
		.amdhsa_user_sgpr_kernarg_preload_length 0
		.amdhsa_user_sgpr_kernarg_preload_offset 0
		.amdhsa_user_sgpr_private_segment_size 0
		.amdhsa_uses_dynamic_stack 0
		.amdhsa_enable_private_segment 0
		.amdhsa_system_sgpr_workgroup_id_x 1
		.amdhsa_system_sgpr_workgroup_id_y 0
		.amdhsa_system_sgpr_workgroup_id_z 1
		.amdhsa_system_sgpr_workgroup_info 0
		.amdhsa_system_vgpr_workitem_id 0
		.amdhsa_next_free_vgpr 11
		.amdhsa_next_free_sgpr 32
		.amdhsa_accum_offset 12
		.amdhsa_reserve_vcc 1
		.amdhsa_float_round_mode_32 0
		.amdhsa_float_round_mode_16_64 0
		.amdhsa_float_denorm_mode_32 3
		.amdhsa_float_denorm_mode_16_64 3
		.amdhsa_dx10_clamp 1
		.amdhsa_ieee_mode 1
		.amdhsa_fp16_overflow 0
		.amdhsa_tg_split 0
		.amdhsa_exception_fp_ieee_invalid_op 0
		.amdhsa_exception_fp_denorm_src 0
		.amdhsa_exception_fp_ieee_div_zero 0
		.amdhsa_exception_fp_ieee_overflow 0
		.amdhsa_exception_fp_ieee_underflow 0
		.amdhsa_exception_fp_ieee_inexact 0
		.amdhsa_exception_int_div_zero 0
	.end_amdhsa_kernel
	.section	.text._ZL32rocblas_gemvt_warp_reduce_kernelILb1ELi1024ElPKDF16_fKPDF16_EviiT3_lPKT2_lT1_lS7_lS8_lS4_lPT4_lS8_li,"axG",@progbits,_ZL32rocblas_gemvt_warp_reduce_kernelILb1ELi1024ElPKDF16_fKPDF16_EviiT3_lPKT2_lT1_lS7_lS8_lS4_lPT4_lS8_li,comdat
.Lfunc_end467:
	.size	_ZL32rocblas_gemvt_warp_reduce_kernelILb1ELi1024ElPKDF16_fKPDF16_EviiT3_lPKT2_lT1_lS7_lS8_lS4_lPT4_lS8_li, .Lfunc_end467-_ZL32rocblas_gemvt_warp_reduce_kernelILb1ELi1024ElPKDF16_fKPDF16_EviiT3_lPKT2_lT1_lS7_lS8_lS4_lPT4_lS8_li
                                        ; -- End function
	.section	.AMDGPU.csdata,"",@progbits
; Kernel info:
; codeLenInByte = 1440
; NumSgprs: 38
; NumVgprs: 11
; NumAgprs: 0
; TotalNumVgprs: 11
; ScratchSize: 0
; MemoryBound: 0
; FloatMode: 240
; IeeeMode: 1
; LDSByteSize: 256 bytes/workgroup (compile time only)
; SGPRBlocks: 4
; VGPRBlocks: 1
; NumSGPRsForWavesPerEU: 38
; NumVGPRsForWavesPerEU: 11
; AccumOffset: 12
; Occupancy: 8
; WaveLimiterHint : 1
; COMPUTE_PGM_RSRC2:SCRATCH_EN: 0
; COMPUTE_PGM_RSRC2:USER_SGPR: 2
; COMPUTE_PGM_RSRC2:TRAP_HANDLER: 0
; COMPUTE_PGM_RSRC2:TGID_X_EN: 1
; COMPUTE_PGM_RSRC2:TGID_Y_EN: 0
; COMPUTE_PGM_RSRC2:TGID_Z_EN: 1
; COMPUTE_PGM_RSRC2:TIDIG_COMP_CNT: 0
; COMPUTE_PGM_RSRC3_GFX90A:ACCUM_OFFSET: 2
; COMPUTE_PGM_RSRC3_GFX90A:TG_SPLIT: 0
	.section	.text._ZL34rocblas_gemvn_sm_mn_batched_kernelILi32ELi24EDF16_PKffEviiT2_lPKT1_lilS5_lilS2_lPT3_lili,"axG",@progbits,_ZL34rocblas_gemvn_sm_mn_batched_kernelILi32ELi24EDF16_PKffEviiT2_lPKT1_lilS5_lilS2_lPT3_lili,comdat
	.globl	_ZL34rocblas_gemvn_sm_mn_batched_kernelILi32ELi24EDF16_PKffEviiT2_lPKT1_lilS5_lilS2_lPT3_lili ; -- Begin function _ZL34rocblas_gemvn_sm_mn_batched_kernelILi32ELi24EDF16_PKffEviiT2_lPKT1_lilS5_lilS2_lPT3_lili
	.p2align	8
	.type	_ZL34rocblas_gemvn_sm_mn_batched_kernelILi32ELi24EDF16_PKffEviiT2_lPKT1_lilS5_lilS2_lPT3_lili,@function
_ZL34rocblas_gemvn_sm_mn_batched_kernelILi32ELi24EDF16_PKffEviiT2_lPKT1_lilS5_lilS2_lPT3_lili: ; @_ZL34rocblas_gemvn_sm_mn_batched_kernelILi32ELi24EDF16_PKffEviiT2_lPKT1_lilS5_lilS2_lPT3_lili
; %bb.0:
	s_load_dword s3, s[0:1], 0x9c
	s_load_dword s4, s[0:1], 0x88
	v_bfe_u32 v7, v0, 10, 10
	s_waitcnt lgkmcnt(0)
	s_lshr_b32 s3, s3, 16
	s_mul_i32 s2, s2, s3
	v_add_u32_e32 v4, s2, v7
	v_cmp_gt_i32_e32 vcc, s4, v4
	s_and_saveexec_b64 s[2:3], vcc
	s_cbranch_execz .LBB468_117
; %bb.1:
	s_load_dwordx8 s[4:11], s[0:1], 0x8
	s_load_dwordx8 s[12:19], s[0:1], 0x50
	s_waitcnt lgkmcnt(0)
	v_mad_u64_u32 v[10:11], s[2:3], v4, s6, 0
	v_mov_b32_e32 v6, v11
	v_mad_u64_u32 v[12:13], s[2:3], v4, s7, v[6:7]
	v_mov_b32_e32 v2, s4
	v_mov_b32_e32 v3, s5
	;; [unrolled: 1-line block ×3, first 2 shown]
	v_lshl_add_u64 v[2:3], v[10:11], 2, v[2:3]
	global_load_dword v1, v[2:3], off
	v_mad_u64_u32 v[2:3], s[2:3], v4, s16, 0
	v_mov_b32_e32 v6, v3
	v_mad_u64_u32 v[10:11], s[2:3], v4, s17, v[6:7]
	v_mov_b32_e32 v8, s14
	v_mov_b32_e32 v9, s15
	;; [unrolled: 1-line block ×3, first 2 shown]
	v_lshl_add_u64 v[2:3], v[2:3], 2, v[8:9]
	global_load_dword v5, v[2:3], off
	s_waitcnt vmcnt(1)
	v_cmp_neq_f32_e32 vcc, 0, v1
	s_waitcnt vmcnt(0)
	v_cmp_neq_f32_e64 s[2:3], 1.0, v5
	s_or_b64 s[2:3], vcc, s[2:3]
	s_and_b64 exec, exec, s[2:3]
	s_cbranch_execz .LBB468_117
; %bb.2:
	s_load_dwordx2 s[2:3], s[0:1], 0x80
	s_load_dword s33, s[0:1], 0x78
	s_load_dwordx2 s[4:5], s[0:1], 0x70
	s_load_dwordx2 s[14:15], s[0:1], 0x0
	v_cmp_eq_f32_e32 vcc, 0, v1
	s_waitcnt lgkmcnt(0)
	v_mad_u64_u32 v[2:3], s[6:7], v4, s2, 0
	v_mov_b32_e32 v6, v3
	v_mad_u64_u32 v[8:9], s[2:3], v4, s3, v[6:7]
	s_lshl_b64 s[2:3], s[4:5], 2
	s_add_u32 s2, s2, s18
	v_mov_b32_e32 v3, v8
	s_addc_u32 s3, s3, s19
	v_lshl_add_u64 v[2:3], v[2:3], 2, s[2:3]
	v_and_b32_e32 v6, 0x3ff, v0
	s_and_saveexec_b64 s[2:3], vcc
	s_xor_b64 s[4:5], exec, s[2:3]
	s_cbranch_execz .LBB468_12
; %bb.3:
	v_cmp_eq_f32_e64 s[2:3], 0, v5
	v_cmp_gt_i32_e32 vcc, s14, v6
	s_and_saveexec_b64 s[6:7], s[2:3]
	s_xor_b64 s[2:3], exec, s[6:7]
	s_cbranch_execz .LBB468_7
; %bb.4:
	s_and_saveexec_b64 s[6:7], vcc
	s_cbranch_execz .LBB468_6
; %bb.5:
	v_mad_i64_i32 v[0:1], s[16:17], s33, v6, 0
	v_lshl_add_u64 v[0:1], v[0:1], 2, v[2:3]
	v_mov_b32_e32 v2, 0
	global_store_dword v[0:1], v2, off
.LBB468_6:
	s_or_b64 exec, exec, s[6:7]
                                        ; implicit-def: $vgpr6
                                        ; implicit-def: $vgpr2_vgpr3
                                        ; implicit-def: $vgpr5
.LBB468_7:
	s_andn2_saveexec_b64 s[2:3], s[2:3]
	s_cbranch_execz .LBB468_11
; %bb.8:
	s_and_saveexec_b64 s[6:7], vcc
	s_cbranch_execz .LBB468_10
; %bb.9:
	v_mad_i64_i32 v[0:1], s[16:17], s33, v6, 0
	v_lshl_add_u64 v[0:1], v[0:1], 2, v[2:3]
	global_load_dword v2, v[0:1], off
	s_waitcnt vmcnt(0)
	v_mul_f32_e32 v2, v5, v2
	global_store_dword v[0:1], v2, off
.LBB468_10:
	s_or_b64 exec, exec, s[6:7]
.LBB468_11:
	s_or_b64 exec, exec, s[2:3]
                                        ; implicit-def: $vgpr6
                                        ; implicit-def: $vgpr2_vgpr3
                                        ; implicit-def: $vgpr7
                                        ; implicit-def: $vgpr4
                                        ; implicit-def: $vgpr1
                                        ; implicit-def: $vgpr5
.LBB468_12:
	s_andn2_saveexec_b64 s[2:3], s[4:5]
	s_cbranch_execz .LBB468_117
; %bb.13:
	s_load_dwordx4 s[4:7], s[0:1], 0x30
	s_load_dwordx2 s[16:17], s[0:1], 0x40
	v_lshlrev_b32_e32 v7, 7, v7
	v_cmp_gt_i32_e32 vcc, s15, v6
	s_and_saveexec_b64 s[2:3], vcc
	s_cbranch_execz .LBB468_15
; %bb.14:
	v_mad_u64_u32 v[8:9], s[18:19], v4, s12, 0
	v_mov_b32_e32 v0, v9
	v_mad_u64_u32 v[10:11], s[12:13], v4, s13, v[0:1]
	s_waitcnt lgkmcnt(0)
	s_lshl_b64 s[12:13], s[16:17], 1
	s_load_dword s16, s[0:1], 0x48
	s_add_u32 s6, s12, s6
	v_mov_b32_e32 v9, v10
	s_addc_u32 s7, s13, s7
	v_lshl_add_u64 v[8:9], v[8:9], 1, s[6:7]
	s_waitcnt lgkmcnt(0)
	v_mad_i64_i32 v[10:11], s[6:7], s16, v6, 0
	v_lshl_add_u64 v[8:9], v[10:11], 1, v[8:9]
	global_load_ushort v0, v[8:9], off
	s_waitcnt vmcnt(0)
	v_cvt_f32_f16_e32 v0, v0
	v_mul_f32_e32 v0, v1, v0
	v_lshl_add_u32 v1, v6, 2, v7
	ds_write_b32 v1, v0
.LBB468_15:
	s_or_b64 exec, exec, s[2:3]
	v_cmp_gt_i32_e32 vcc, s14, v6
	s_waitcnt lgkmcnt(0)
	s_barrier
	s_and_saveexec_b64 s[2:3], vcc
	s_cbranch_execz .LBB468_117
; %bb.16:
	v_cmp_neq_f32_e32 vcc, 0, v5
	v_mov_b32_e32 v1, 0
	v_mov_b32_e32 v8, 0
	s_and_saveexec_b64 s[2:3], vcc
	s_cbranch_execz .LBB468_18
; %bb.17:
	v_mad_i64_i32 v[8:9], s[6:7], s33, v6, 0
	v_lshl_add_u64 v[8:9], v[8:9], 2, v[2:3]
	global_load_dword v0, v[8:9], off
	s_waitcnt vmcnt(0)
	v_mul_f32_e32 v8, v5, v0
.LBB468_18:
	s_or_b64 exec, exec, s[2:3]
	v_mad_u64_u32 v[10:11], s[2:3], v4, s4, 0
	v_mov_b32_e32 v0, v11
	v_mad_u64_u32 v[4:5], s[2:3], v4, s5, v[0:1]
	s_lshl_b64 s[2:3], s[10:11], 1
	s_add_u32 s2, s2, s8
	v_mov_b32_e32 v11, v4
	s_addc_u32 s3, s3, s9
	v_lshl_add_u64 v[4:5], v[10:11], 1, s[2:3]
	v_lshlrev_b32_e32 v0, 1, v6
	s_cmp_gt_i32 s15, 0
	s_cselect_b64 s[2:3], -1, 0
	s_cmp_lt_i32 s15, 1
	v_lshl_add_u64 v[4:5], v[4:5], 0, v[0:1]
	s_cbranch_scc1 .LBB468_20
; %bb.19:
	global_load_ushort v0, v[4:5], off
	s_waitcnt vmcnt(0)
	v_cvt_f32_f16_e32 v1, v0
.LBB468_20:
	s_load_dword s36, s[0:1], 0x28
	v_mov_b32_e32 v0, 0
	v_mov_b32_e32 v15, 0
	s_waitcnt lgkmcnt(0)
	s_ashr_i32 s37, s36, 31
	s_cmp_gt_i32 s15, 1
	s_cselect_b64 s[0:1], -1, 0
	s_cmp_lt_i32 s15, 2
	s_cbranch_scc1 .LBB468_22
; %bb.21:
	v_lshl_add_u64 v[10:11], s[36:37], 1, v[4:5]
	global_load_ushort v9, v[10:11], off
	s_waitcnt vmcnt(0)
	v_cvt_f32_f16_e32 v15, v9
.LBB468_22:
	s_cmp_gt_i32 s15, 2
	s_cselect_b64 s[4:5], -1, 0
	s_cmp_lt_i32 s15, 3
	s_cbranch_scc1 .LBB468_24
; %bb.23:
	v_lshl_add_u64 v[10:11], s[36:37], 2, v[4:5]
	global_load_ushort v0, v[10:11], off
	s_waitcnt vmcnt(0)
	v_cvt_f32_f16_e32 v0, v0
.LBB468_24:
	s_cmp_gt_i32 s15, 3
	s_cselect_b64 s[6:7], -1, 0
	s_cmp_lt_i32 s15, 4
	v_mov_b32_e32 v9, 0
	v_mov_b32_e32 v16, 0
	s_cbranch_scc1 .LBB468_26
; %bb.25:
	v_mad_i64_i32 v[10:11], s[8:9], s36, 6, v[4:5]
	global_load_ushort v10, v[10:11], off
	s_waitcnt vmcnt(0)
	v_cvt_f32_f16_e32 v16, v10
.LBB468_26:
	s_cmp_gt_i32 s15, 4
	s_cselect_b64 s[8:9], -1, 0
	s_cmp_lt_i32 s15, 5
	s_cbranch_scc1 .LBB468_28
; %bb.27:
	v_lshl_add_u64 v[10:11], s[36:37], 3, v[4:5]
	global_load_ushort v9, v[10:11], off
	s_waitcnt vmcnt(0)
	v_cvt_f32_f16_e32 v9, v9
.LBB468_28:
	s_cmp_gt_i32 s15, 5
	s_cselect_b64 s[10:11], -1, 0
	s_cmp_lt_i32 s15, 6
	v_mov_b32_e32 v10, 0
	v_mov_b32_e32 v18, 0
	s_cbranch_scc1 .LBB468_30
; %bb.29:
	v_mad_i64_i32 v[12:13], s[12:13], s36, 10, v[4:5]
	global_load_ushort v11, v[12:13], off
	s_waitcnt vmcnt(0)
	v_cvt_f32_f16_e32 v18, v11
.LBB468_30:
	s_cmp_gt_i32 s15, 6
	s_cselect_b64 s[12:13], -1, 0
	s_cmp_lt_i32 s15, 7
	s_cbranch_scc1 .LBB468_32
; %bb.31:
	v_mad_i64_i32 v[10:11], s[16:17], s36, 12, v[4:5]
	global_load_ushort v10, v[10:11], off
	s_waitcnt vmcnt(0)
	v_cvt_f32_f16_e32 v10, v10
.LBB468_32:
	s_cmp_gt_i32 s15, 7
	s_cselect_b64 s[16:17], -1, 0
	s_cmp_lt_i32 s15, 8
	v_mov_b32_e32 v11, 0
	v_mov_b32_e32 v20, 0
	s_cbranch_scc1 .LBB468_34
; %bb.33:
	v_mad_i64_i32 v[12:13], s[18:19], s36, 14, v[4:5]
	global_load_ushort v12, v[12:13], off
	s_waitcnt vmcnt(0)
	v_cvt_f32_f16_e32 v20, v12
.LBB468_34:
	s_cmp_gt_i32 s15, 8
	s_cselect_b64 s[18:19], -1, 0
	s_cmp_lt_i32 s15, 9
	s_cbranch_scc1 .LBB468_36
; %bb.35:
	v_lshl_add_u64 v[12:13], s[36:37], 4, v[4:5]
	global_load_ushort v11, v[12:13], off
	s_waitcnt vmcnt(0)
	v_cvt_f32_f16_e32 v11, v11
.LBB468_36:
	s_cmp_gt_i32 s15, 9
	s_cselect_b64 s[20:21], -1, 0
	s_cmp_lt_i32 s15, 10
	v_mov_b32_e32 v12, 0
	v_mov_b32_e32 v22, 0
	s_cbranch_scc1 .LBB468_38
; %bb.37:
	v_mad_i64_i32 v[22:23], s[22:23], s36, 18, v[4:5]
	global_load_ushort v13, v[22:23], off
	s_waitcnt vmcnt(0)
	v_cvt_f32_f16_e32 v22, v13
.LBB468_38:
	s_cmp_gt_i32 s15, 10
	s_cselect_b64 s[22:23], -1, 0
	s_cmp_lt_i32 s15, 11
	s_cbranch_scc1 .LBB468_40
; %bb.39:
	v_mad_i64_i32 v[12:13], s[24:25], s36, 20, v[4:5]
	global_load_ushort v12, v[12:13], off
	s_waitcnt vmcnt(0)
	v_cvt_f32_f16_e32 v12, v12
.LBB468_40:
	s_cmp_gt_i32 s15, 11
	s_cselect_b64 s[24:25], -1, 0
	s_cmp_lt_i32 s15, 12
	v_mov_b32_e32 v13, 0
	v_mov_b32_e32 v24, 0
	s_cbranch_scc1 .LBB468_42
; %bb.41:
	v_mad_i64_i32 v[24:25], s[26:27], s36, 22, v[4:5]
	global_load_ushort v14, v[24:25], off
	s_waitcnt vmcnt(0)
	v_cvt_f32_f16_e32 v24, v14
.LBB468_42:
	s_cmp_gt_i32 s15, 12
	s_cselect_b64 s[26:27], -1, 0
	s_cmp_lt_i32 s15, 13
	s_cbranch_scc1 .LBB468_44
; %bb.43:
	v_mad_i64_i32 v[26:27], s[28:29], s36, 24, v[4:5]
	global_load_ushort v13, v[26:27], off
	s_waitcnt vmcnt(0)
	v_cvt_f32_f16_e32 v13, v13
.LBB468_44:
	;; [unrolled: 22-line block ×3, first 2 shown]
	s_cmp_gt_i32 s15, 15
	s_cselect_b64 s[34:35], -1, 0
	s_cmp_lt_i32 s15, 16
	v_mov_b32_e32 v17, 0
	v_mov_b32_e32 v28, 0
	s_cbranch_scc1 .LBB468_50
; %bb.49:
	v_mad_i64_i32 v[28:29], s[38:39], s36, 30, v[4:5]
	global_load_ushort v19, v[28:29], off
	s_waitcnt vmcnt(0)
	v_cvt_f32_f16_e32 v28, v19
.LBB468_50:
	s_cmp_gt_i32 s15, 16
	s_cselect_b64 s[38:39], -1, 0
	s_cmp_lt_i32 s15, 17
	s_cbranch_scc1 .LBB468_52
; %bb.51:
	s_lshl_b64 s[40:41], s[36:37], 5
	v_lshl_add_u64 v[30:31], v[4:5], 0, s[40:41]
	global_load_ushort v17, v[30:31], off
	s_waitcnt vmcnt(0)
	v_cvt_f32_f16_e32 v17, v17
.LBB468_52:
	s_cmp_gt_i32 s15, 17
	s_cselect_b64 s[40:41], -1, 0
	s_cmp_lt_i32 s15, 18
	v_mov_b32_e32 v19, 0
	v_mov_b32_e32 v31, 0
	s_cbranch_scc1 .LBB468_54
; %bb.53:
	v_mad_i64_i32 v[30:31], s[42:43], s36, 34, v[4:5]
	global_load_ushort v21, v[30:31], off
	s_waitcnt vmcnt(0)
	v_cvt_f32_f16_e32 v31, v21
.LBB468_54:
	s_cmp_gt_i32 s15, 18
	s_cselect_b64 s[42:43], -1, 0
	s_cmp_lt_i32 s15, 19
	s_cbranch_scc1 .LBB468_56
; %bb.55:
	v_mad_i64_i32 v[32:33], s[44:45], s36, 36, v[4:5]
	global_load_ushort v19, v[32:33], off
	s_waitcnt vmcnt(0)
	v_cvt_f32_f16_e32 v19, v19
.LBB468_56:
	s_cmp_gt_i32 s15, 19
	s_cselect_b64 s[44:45], -1, 0
	s_cmp_lt_i32 s15, 20
	v_mov_b32_e32 v21, 0
	v_mov_b32_e32 v32, 0
	s_cbranch_scc1 .LBB468_58
; %bb.57:
	v_mad_i64_i32 v[32:33], s[46:47], s36, 38, v[4:5]
	global_load_ushort v23, v[32:33], off
	s_waitcnt vmcnt(0)
	v_cvt_f32_f16_e32 v32, v23
.LBB468_58:
	s_cmp_gt_i32 s15, 20
	s_cselect_b64 s[46:47], -1, 0
	s_cmp_lt_i32 s15, 21
	s_cbranch_scc1 .LBB468_60
; %bb.59:
	v_mad_i64_i32 v[34:35], s[48:49], s36, 40, v[4:5]
	global_load_ushort v21, v[34:35], off
	s_waitcnt vmcnt(0)
	v_cvt_f32_f16_e32 v21, v21
.LBB468_60:
	;; [unrolled: 22-line block ×7, first 2 shown]
	s_cmp_gt_i32 s15, 31
	s_cselect_b64 s[68:69], -1, 0
	s_cmp_lt_i32 s15, 32
	v_mov_b32_e32 v36, 0
	v_mov_b32_e32 v39, 0
	s_cbranch_scc1 .LBB468_82
; %bb.81:
	v_mad_i64_i32 v[4:5], s[14:15], s36, 62, v[4:5]
	global_load_ushort v4, v[4:5], off
	s_waitcnt vmcnt(0)
	v_cvt_f32_f16_e32 v39, v4
.LBB468_82:
	s_andn2_b64 vcc, exec, s[2:3]
	s_cbranch_vccnz .LBB468_84
; %bb.83:
	ds_read_b32 v4, v7
	s_waitcnt lgkmcnt(0)
	v_mul_f32_e32 v36, v1, v4
.LBB468_84:
	s_andn2_b64 vcc, exec, s[0:1]
	v_mov_b32_e32 v1, 0
	v_mov_b32_e32 v4, 0
	s_cbranch_vccz .LBB468_118
; %bb.85:
	s_andn2_b64 vcc, exec, s[4:5]
	s_cbranch_vccz .LBB468_119
.LBB468_86:
	s_andn2_b64 vcc, exec, s[6:7]
	v_mov_b32_e32 v0, 0
	v_mov_b32_e32 v5, 0
	s_cbranch_vccz .LBB468_120
.LBB468_87:
	s_andn2_b64 vcc, exec, s[8:9]
	s_cbranch_vccz .LBB468_121
.LBB468_88:
	s_andn2_b64 vcc, exec, s[10:11]
	v_mov_b32_e32 v9, 0
	v_mov_b32_e32 v15, 0
	s_cbranch_vccz .LBB468_122
.LBB468_89:
	s_andn2_b64 vcc, exec, s[12:13]
	s_cbranch_vccz .LBB468_123
.LBB468_90:
	s_andn2_b64 vcc, exec, s[16:17]
	v_mov_b32_e32 v10, 0
	v_mov_b32_e32 v16, 0
	s_cbranch_vccz .LBB468_124
.LBB468_91:
	s_andn2_b64 vcc, exec, s[18:19]
	s_cbranch_vccz .LBB468_125
.LBB468_92:
	s_andn2_b64 vcc, exec, s[20:21]
	v_mov_b32_e32 v11, 0
	v_mov_b32_e32 v18, 0
	s_cbranch_vccz .LBB468_126
.LBB468_93:
	s_andn2_b64 vcc, exec, s[22:23]
	s_cbranch_vccz .LBB468_127
.LBB468_94:
	s_andn2_b64 vcc, exec, s[24:25]
	v_mov_b32_e32 v12, 0
	v_mov_b32_e32 v20, 0
	s_cbranch_vccz .LBB468_128
.LBB468_95:
	s_andn2_b64 vcc, exec, s[26:27]
	s_cbranch_vccz .LBB468_129
.LBB468_96:
	s_andn2_b64 vcc, exec, s[28:29]
	v_mov_b32_e32 v13, 0
	v_mov_b32_e32 v22, 0
	s_cbranch_vccz .LBB468_130
.LBB468_97:
	s_andn2_b64 vcc, exec, s[30:31]
	s_cbranch_vccz .LBB468_131
.LBB468_98:
	s_andn2_b64 vcc, exec, s[34:35]
	v_mov_b32_e32 v14, 0
	v_mov_b32_e32 v24, 0
	s_cbranch_vccz .LBB468_132
.LBB468_99:
	s_andn2_b64 vcc, exec, s[38:39]
	s_cbranch_vccz .LBB468_133
.LBB468_100:
	s_andn2_b64 vcc, exec, s[40:41]
	v_mov_b32_e32 v17, 0
	v_mov_b32_e32 v26, 0
	s_cbranch_vccz .LBB468_134
.LBB468_101:
	s_andn2_b64 vcc, exec, s[42:43]
	s_cbranch_vccz .LBB468_135
.LBB468_102:
	s_andn2_b64 vcc, exec, s[44:45]
	v_mov_b32_e32 v19, 0
	v_mov_b32_e32 v28, 0
	s_cbranch_vccz .LBB468_136
.LBB468_103:
	s_andn2_b64 vcc, exec, s[46:47]
	s_cbranch_vccz .LBB468_137
.LBB468_104:
	s_andn2_b64 vcc, exec, s[48:49]
	v_mov_b32_e32 v21, 0
	v_mov_b32_e32 v31, 0
	s_cbranch_vccz .LBB468_138
.LBB468_105:
	s_andn2_b64 vcc, exec, s[50:51]
	s_cbranch_vccz .LBB468_139
.LBB468_106:
	s_andn2_b64 vcc, exec, s[52:53]
	v_mov_b32_e32 v23, 0
	v_mov_b32_e32 v32, 0
	s_cbranch_vccz .LBB468_140
.LBB468_107:
	s_andn2_b64 vcc, exec, s[54:55]
	s_cbranch_vccz .LBB468_141
.LBB468_108:
	s_andn2_b64 vcc, exec, s[56:57]
	v_mov_b32_e32 v25, 0
	v_mov_b32_e32 v33, 0
	s_cbranch_vccz .LBB468_142
.LBB468_109:
	s_andn2_b64 vcc, exec, s[58:59]
	s_cbranch_vccz .LBB468_143
.LBB468_110:
	s_andn2_b64 vcc, exec, s[60:61]
	v_mov_b32_e32 v27, 0
	v_mov_b32_e32 v34, 0
	s_cbranch_vccz .LBB468_144
.LBB468_111:
	s_andn2_b64 vcc, exec, s[62:63]
	s_cbranch_vccz .LBB468_145
.LBB468_112:
	s_andn2_b64 vcc, exec, s[64:65]
	v_mov_b32_e32 v29, 0
	v_mov_b32_e32 v35, 0
	s_cbranch_vccz .LBB468_146
.LBB468_113:
	s_andn2_b64 vcc, exec, s[66:67]
	s_cbranch_vccz .LBB468_147
.LBB468_114:
	s_andn2_b64 vcc, exec, s[68:69]
	v_mov_b32_e32 v30, 0
	s_cbranch_vccnz .LBB468_116
.LBB468_115:
	ds_read_b32 v7, v7 offset:124
	s_waitcnt lgkmcnt(0)
	v_mul_f32_e32 v30, v39, v7
.LBB468_116:
	v_add_f32_e32 v7, v8, v36
	v_add_f32_e32 v4, v7, v4
	v_add_f32_e32 v1, v4, v1
	v_add_f32_e32 v1, v1, v5
	v_add_f32_e32 v0, v1, v0
	v_add_f32_e32 v0, v0, v15
	v_add_f32_e32 v0, v0, v9
	v_add_f32_e32 v0, v0, v16
	v_add_f32_e32 v0, v0, v10
	v_add_f32_e32 v0, v0, v18
	v_add_f32_e32 v0, v0, v11
	v_add_f32_e32 v0, v0, v20
	v_add_f32_e32 v0, v0, v12
	v_add_f32_e32 v0, v0, v22
	v_add_f32_e32 v0, v0, v13
	v_add_f32_e32 v0, v0, v24
	v_add_f32_e32 v0, v0, v14
	v_add_f32_e32 v0, v0, v26
	v_add_f32_e32 v0, v0, v17
	v_add_f32_e32 v0, v0, v28
	v_add_f32_e32 v0, v0, v19
	v_add_f32_e32 v0, v0, v31
	v_add_f32_e32 v0, v0, v21
	v_add_f32_e32 v0, v0, v32
	v_add_f32_e32 v0, v0, v23
	v_add_f32_e32 v0, v0, v33
	v_add_f32_e32 v0, v0, v25
	v_add_f32_e32 v0, v0, v34
	v_add_f32_e32 v0, v0, v27
	v_add_f32_e32 v0, v0, v35
	v_add_f32_e32 v0, v0, v29
	v_add_f32_e32 v4, v0, v30
	v_mad_i64_i32 v[0:1], s[0:1], s33, v6, 0
	v_lshl_add_u64 v[0:1], v[0:1], 2, v[2:3]
	global_store_dword v[0:1], v4, off
.LBB468_117:
	s_endpgm
.LBB468_118:
	ds_read_b32 v4, v7 offset:4
	s_waitcnt lgkmcnt(0)
	v_mul_f32_e32 v4, v15, v4
	s_andn2_b64 vcc, exec, s[4:5]
	s_cbranch_vccnz .LBB468_86
.LBB468_119:
	ds_read_b32 v1, v7 offset:8
	s_waitcnt lgkmcnt(0)
	v_mul_f32_e32 v1, v0, v1
	s_andn2_b64 vcc, exec, s[6:7]
	v_mov_b32_e32 v0, 0
	v_mov_b32_e32 v5, 0
	s_cbranch_vccnz .LBB468_87
.LBB468_120:
	ds_read_b32 v5, v7 offset:12
	s_waitcnt lgkmcnt(0)
	v_mul_f32_e32 v5, v16, v5
	s_andn2_b64 vcc, exec, s[8:9]
	s_cbranch_vccnz .LBB468_88
.LBB468_121:
	ds_read_b32 v0, v7 offset:16
	s_waitcnt lgkmcnt(0)
	v_mul_f32_e32 v0, v9, v0
	s_andn2_b64 vcc, exec, s[10:11]
	v_mov_b32_e32 v9, 0
	v_mov_b32_e32 v15, 0
	s_cbranch_vccnz .LBB468_89
.LBB468_122:
	ds_read_b32 v15, v7 offset:20
	s_waitcnt lgkmcnt(0)
	v_mul_f32_e32 v15, v18, v15
	s_andn2_b64 vcc, exec, s[12:13]
	s_cbranch_vccnz .LBB468_90
.LBB468_123:
	ds_read_b32 v9, v7 offset:24
	s_waitcnt lgkmcnt(0)
	v_mul_f32_e32 v9, v10, v9
	s_andn2_b64 vcc, exec, s[16:17]
	v_mov_b32_e32 v10, 0
	v_mov_b32_e32 v16, 0
	s_cbranch_vccnz .LBB468_91
.LBB468_124:
	ds_read_b32 v16, v7 offset:28
	s_waitcnt lgkmcnt(0)
	v_mul_f32_e32 v16, v20, v16
	s_andn2_b64 vcc, exec, s[18:19]
	s_cbranch_vccnz .LBB468_92
.LBB468_125:
	ds_read_b32 v10, v7 offset:32
	s_waitcnt lgkmcnt(0)
	v_mul_f32_e32 v10, v11, v10
	s_andn2_b64 vcc, exec, s[20:21]
	v_mov_b32_e32 v11, 0
	v_mov_b32_e32 v18, 0
	s_cbranch_vccnz .LBB468_93
.LBB468_126:
	ds_read_b32 v18, v7 offset:36
	s_waitcnt lgkmcnt(0)
	v_mul_f32_e32 v18, v22, v18
	s_andn2_b64 vcc, exec, s[22:23]
	s_cbranch_vccnz .LBB468_94
.LBB468_127:
	ds_read_b32 v11, v7 offset:40
	s_waitcnt lgkmcnt(0)
	v_mul_f32_e32 v11, v12, v11
	s_andn2_b64 vcc, exec, s[24:25]
	v_mov_b32_e32 v12, 0
	v_mov_b32_e32 v20, 0
	s_cbranch_vccnz .LBB468_95
.LBB468_128:
	ds_read_b32 v20, v7 offset:44
	s_waitcnt lgkmcnt(0)
	v_mul_f32_e32 v20, v24, v20
	s_andn2_b64 vcc, exec, s[26:27]
	s_cbranch_vccnz .LBB468_96
.LBB468_129:
	ds_read_b32 v12, v7 offset:48
	s_waitcnt lgkmcnt(0)
	v_mul_f32_e32 v12, v13, v12
	s_andn2_b64 vcc, exec, s[28:29]
	v_mov_b32_e32 v13, 0
	v_mov_b32_e32 v22, 0
	s_cbranch_vccnz .LBB468_97
.LBB468_130:
	ds_read_b32 v22, v7 offset:52
	s_waitcnt lgkmcnt(0)
	v_mul_f32_e32 v22, v26, v22
	s_andn2_b64 vcc, exec, s[30:31]
	s_cbranch_vccnz .LBB468_98
.LBB468_131:
	ds_read_b32 v13, v7 offset:56
	s_waitcnt lgkmcnt(0)
	v_mul_f32_e32 v13, v14, v13
	s_andn2_b64 vcc, exec, s[34:35]
	v_mov_b32_e32 v14, 0
	v_mov_b32_e32 v24, 0
	s_cbranch_vccnz .LBB468_99
.LBB468_132:
	ds_read_b32 v24, v7 offset:60
	s_waitcnt lgkmcnt(0)
	v_mul_f32_e32 v24, v28, v24
	s_andn2_b64 vcc, exec, s[38:39]
	s_cbranch_vccnz .LBB468_100
.LBB468_133:
	ds_read_b32 v14, v7 offset:64
	s_waitcnt lgkmcnt(0)
	v_mul_f32_e32 v14, v17, v14
	s_andn2_b64 vcc, exec, s[40:41]
	v_mov_b32_e32 v17, 0
	v_mov_b32_e32 v26, 0
	s_cbranch_vccnz .LBB468_101
.LBB468_134:
	ds_read_b32 v26, v7 offset:68
	s_waitcnt lgkmcnt(0)
	v_mul_f32_e32 v26, v31, v26
	s_andn2_b64 vcc, exec, s[42:43]
	s_cbranch_vccnz .LBB468_102
.LBB468_135:
	ds_read_b32 v17, v7 offset:72
	s_waitcnt lgkmcnt(0)
	v_mul_f32_e32 v17, v19, v17
	s_andn2_b64 vcc, exec, s[44:45]
	v_mov_b32_e32 v19, 0
	v_mov_b32_e32 v28, 0
	s_cbranch_vccnz .LBB468_103
.LBB468_136:
	ds_read_b32 v28, v7 offset:76
	s_waitcnt lgkmcnt(0)
	v_mul_f32_e32 v28, v32, v28
	s_andn2_b64 vcc, exec, s[46:47]
	s_cbranch_vccnz .LBB468_104
.LBB468_137:
	ds_read_b32 v19, v7 offset:80
	s_waitcnt lgkmcnt(0)
	v_mul_f32_e32 v19, v21, v19
	s_andn2_b64 vcc, exec, s[48:49]
	v_mov_b32_e32 v21, 0
	v_mov_b32_e32 v31, 0
	s_cbranch_vccnz .LBB468_105
.LBB468_138:
	ds_read_b32 v31, v7 offset:84
	s_waitcnt lgkmcnt(0)
	v_mul_f32_e32 v31, v33, v31
	s_andn2_b64 vcc, exec, s[50:51]
	s_cbranch_vccnz .LBB468_106
.LBB468_139:
	ds_read_b32 v21, v7 offset:88
	s_waitcnt lgkmcnt(0)
	v_mul_f32_e32 v21, v23, v21
	s_andn2_b64 vcc, exec, s[52:53]
	v_mov_b32_e32 v23, 0
	v_mov_b32_e32 v32, 0
	s_cbranch_vccnz .LBB468_107
.LBB468_140:
	ds_read_b32 v32, v7 offset:92
	s_waitcnt lgkmcnt(0)
	v_mul_f32_e32 v32, v34, v32
	s_andn2_b64 vcc, exec, s[54:55]
	s_cbranch_vccnz .LBB468_108
.LBB468_141:
	ds_read_b32 v23, v7 offset:96
	s_waitcnt lgkmcnt(0)
	v_mul_f32_e32 v23, v25, v23
	s_andn2_b64 vcc, exec, s[56:57]
	v_mov_b32_e32 v25, 0
	v_mov_b32_e32 v33, 0
	s_cbranch_vccnz .LBB468_109
.LBB468_142:
	ds_read_b32 v33, v7 offset:100
	s_waitcnt lgkmcnt(0)
	v_mul_f32_e32 v33, v35, v33
	s_andn2_b64 vcc, exec, s[58:59]
	s_cbranch_vccnz .LBB468_110
.LBB468_143:
	ds_read_b32 v25, v7 offset:104
	s_waitcnt lgkmcnt(0)
	v_mul_f32_e32 v25, v27, v25
	s_andn2_b64 vcc, exec, s[60:61]
	v_mov_b32_e32 v27, 0
	v_mov_b32_e32 v34, 0
	s_cbranch_vccnz .LBB468_111
.LBB468_144:
	ds_read_b32 v34, v7 offset:108
	s_waitcnt lgkmcnt(0)
	v_mul_f32_e32 v34, v37, v34
	s_andn2_b64 vcc, exec, s[62:63]
	s_cbranch_vccnz .LBB468_112
.LBB468_145:
	ds_read_b32 v27, v7 offset:112
	s_waitcnt lgkmcnt(0)
	v_mul_f32_e32 v27, v29, v27
	s_andn2_b64 vcc, exec, s[64:65]
	v_mov_b32_e32 v29, 0
	v_mov_b32_e32 v35, 0
	s_cbranch_vccnz .LBB468_113
.LBB468_146:
	ds_read_b32 v35, v7 offset:116
	s_waitcnt lgkmcnt(0)
	v_mul_f32_e32 v35, v38, v35
	s_andn2_b64 vcc, exec, s[66:67]
	s_cbranch_vccnz .LBB468_114
.LBB468_147:
	ds_read_b32 v29, v7 offset:120
	s_waitcnt lgkmcnt(0)
	v_mul_f32_e32 v29, v30, v29
	s_andn2_b64 vcc, exec, s[68:69]
	v_mov_b32_e32 v30, 0
	s_cbranch_vccz .LBB468_115
	s_branch .LBB468_116
	.section	.rodata,"a",@progbits
	.p2align	6, 0x0
	.amdhsa_kernel _ZL34rocblas_gemvn_sm_mn_batched_kernelILi32ELi24EDF16_PKffEviiT2_lPKT1_lilS5_lilS2_lPT3_lili
		.amdhsa_group_segment_fixed_size 3072
		.amdhsa_private_segment_fixed_size 0
		.amdhsa_kernarg_size 400
		.amdhsa_user_sgpr_count 2
		.amdhsa_user_sgpr_dispatch_ptr 0
		.amdhsa_user_sgpr_queue_ptr 0
		.amdhsa_user_sgpr_kernarg_segment_ptr 1
		.amdhsa_user_sgpr_dispatch_id 0
		.amdhsa_user_sgpr_kernarg_preload_length 0
		.amdhsa_user_sgpr_kernarg_preload_offset 0
		.amdhsa_user_sgpr_private_segment_size 0
		.amdhsa_uses_dynamic_stack 0
		.amdhsa_enable_private_segment 0
		.amdhsa_system_sgpr_workgroup_id_x 1
		.amdhsa_system_sgpr_workgroup_id_y 0
		.amdhsa_system_sgpr_workgroup_id_z 0
		.amdhsa_system_sgpr_workgroup_info 0
		.amdhsa_system_vgpr_workitem_id 1
		.amdhsa_next_free_vgpr 42
		.amdhsa_next_free_sgpr 70
		.amdhsa_accum_offset 44
		.amdhsa_reserve_vcc 1
		.amdhsa_float_round_mode_32 0
		.amdhsa_float_round_mode_16_64 0
		.amdhsa_float_denorm_mode_32 3
		.amdhsa_float_denorm_mode_16_64 3
		.amdhsa_dx10_clamp 1
		.amdhsa_ieee_mode 1
		.amdhsa_fp16_overflow 0
		.amdhsa_tg_split 0
		.amdhsa_exception_fp_ieee_invalid_op 0
		.amdhsa_exception_fp_denorm_src 0
		.amdhsa_exception_fp_ieee_div_zero 0
		.amdhsa_exception_fp_ieee_overflow 0
		.amdhsa_exception_fp_ieee_underflow 0
		.amdhsa_exception_fp_ieee_inexact 0
		.amdhsa_exception_int_div_zero 0
	.end_amdhsa_kernel
	.section	.text._ZL34rocblas_gemvn_sm_mn_batched_kernelILi32ELi24EDF16_PKffEviiT2_lPKT1_lilS5_lilS2_lPT3_lili,"axG",@progbits,_ZL34rocblas_gemvn_sm_mn_batched_kernelILi32ELi24EDF16_PKffEviiT2_lPKT1_lilS5_lilS2_lPT3_lili,comdat
.Lfunc_end468:
	.size	_ZL34rocblas_gemvn_sm_mn_batched_kernelILi32ELi24EDF16_PKffEviiT2_lPKT1_lilS5_lilS2_lPT3_lili, .Lfunc_end468-_ZL34rocblas_gemvn_sm_mn_batched_kernelILi32ELi24EDF16_PKffEviiT2_lPKT1_lilS5_lilS2_lPT3_lili
                                        ; -- End function
	.section	.AMDGPU.csdata,"",@progbits
; Kernel info:
; codeLenInByte = 3548
; NumSgprs: 76
; NumVgprs: 42
; NumAgprs: 0
; TotalNumVgprs: 42
; ScratchSize: 0
; MemoryBound: 0
; FloatMode: 240
; IeeeMode: 1
; LDSByteSize: 3072 bytes/workgroup (compile time only)
; SGPRBlocks: 9
; VGPRBlocks: 5
; NumSGPRsForWavesPerEU: 76
; NumVGPRsForWavesPerEU: 42
; AccumOffset: 44
; Occupancy: 6
; WaveLimiterHint : 1
; COMPUTE_PGM_RSRC2:SCRATCH_EN: 0
; COMPUTE_PGM_RSRC2:USER_SGPR: 2
; COMPUTE_PGM_RSRC2:TRAP_HANDLER: 0
; COMPUTE_PGM_RSRC2:TGID_X_EN: 1
; COMPUTE_PGM_RSRC2:TGID_Y_EN: 0
; COMPUTE_PGM_RSRC2:TGID_Z_EN: 0
; COMPUTE_PGM_RSRC2:TIDIG_COMP_CNT: 1
; COMPUTE_PGM_RSRC3_GFX90A:ACCUM_OFFSET: 10
; COMPUTE_PGM_RSRC3_GFX90A:TG_SPLIT: 0
	.section	.text._ZL34rocblas_gemvn_sm_mn_batched_kernelILi32ELi24EDF16_ffEviiT2_lPKT1_lilS3_lilS0_lPT3_lili,"axG",@progbits,_ZL34rocblas_gemvn_sm_mn_batched_kernelILi32ELi24EDF16_ffEviiT2_lPKT1_lilS3_lilS0_lPT3_lili,comdat
	.globl	_ZL34rocblas_gemvn_sm_mn_batched_kernelILi32ELi24EDF16_ffEviiT2_lPKT1_lilS3_lilS0_lPT3_lili ; -- Begin function _ZL34rocblas_gemvn_sm_mn_batched_kernelILi32ELi24EDF16_ffEviiT2_lPKT1_lilS3_lilS0_lPT3_lili
	.p2align	8
	.type	_ZL34rocblas_gemvn_sm_mn_batched_kernelILi32ELi24EDF16_ffEviiT2_lPKT1_lilS3_lilS0_lPT3_lili,@function
_ZL34rocblas_gemvn_sm_mn_batched_kernelILi32ELi24EDF16_ffEviiT2_lPKT1_lilS3_lilS0_lPT3_lili: ; @_ZL34rocblas_gemvn_sm_mn_batched_kernelILi32ELi24EDF16_ffEviiT2_lPKT1_lilS3_lilS0_lPT3_lili
; %bb.0:
	s_load_dword s3, s[0:1], 0x9c
	s_load_dword s4, s[0:1], 0x88
	v_bfe_u32 v1, v0, 10, 10
	s_waitcnt lgkmcnt(0)
	s_lshr_b32 s3, s3, 16
	s_mul_i32 s2, s2, s3
	v_add_u32_e32 v4, s2, v1
	v_cmp_gt_i32_e32 vcc, s4, v4
	s_and_saveexec_b64 s[2:3], vcc
	s_cbranch_execz .LBB469_8
; %bb.1:
	s_load_dwordx4 s[4:7], s[0:1], 0x0
	s_waitcnt lgkmcnt(0)
	s_load_dword s7, s[0:1], 0x58
	v_cmp_eq_f32_e64 s[2:3], s6, 0
	s_waitcnt lgkmcnt(0)
	v_cmp_eq_f32_e64 s[8:9], s7, 1.0
	s_and_b64 s[2:3], s[2:3], s[8:9]
	s_and_b64 vcc, exec, s[2:3]
	s_cbranch_vccnz .LBB469_8
; %bb.2:
	s_load_dwordx2 s[2:3], s[0:1], 0x80
	s_load_dwordx4 s[8:11], s[0:1], 0x68
	s_load_dword s33, s[0:1], 0x78
	s_waitcnt lgkmcnt(0)
	v_mad_u64_u32 v[2:3], s[12:13], v4, s2, 0
	v_mov_b32_e32 v6, v3
	v_mad_u64_u32 v[6:7], s[2:3], v4, s3, v[6:7]
	s_lshl_b64 s[2:3], s[10:11], 2
	s_add_u32 s2, s2, s8
	v_mov_b32_e32 v3, v6
	s_addc_u32 s3, s3, s9
	v_lshl_add_u64 v[2:3], v[2:3], 2, s[2:3]
	v_and_b32_e32 v6, 0x3ff, v0
	v_cmp_neq_f32_e64 s[2:3], s6, 0
	s_and_b64 vcc, exec, s[2:3]
	v_cmp_gt_i32_e64 s[2:3], s4, v6
	s_cbranch_vccnz .LBB469_7
; %bb.3:
	v_cmp_eq_f32_e64 s[8:9], s7, 0
	s_and_b64 vcc, exec, s[8:9]
	s_cbranch_vccz .LBB469_9
; %bb.4:
	s_and_saveexec_b64 s[8:9], s[2:3]
	s_cbranch_execz .LBB469_6
; %bb.5:
	v_mad_i64_i32 v[8:9], s[10:11], s33, v6, 0
	v_lshl_add_u64 v[8:9], v[8:9], 2, v[2:3]
	v_mov_b32_e32 v0, 0
	global_store_dword v[8:9], v0, off
.LBB469_6:
	s_or_b64 exec, exec, s[8:9]
	s_cbranch_execz .LBB469_10
	s_branch .LBB469_13
.LBB469_7:
	s_branch .LBB469_14
.LBB469_8:
	s_endpgm
.LBB469_9:
.LBB469_10:
	s_and_saveexec_b64 s[8:9], s[2:3]
	s_cbranch_execz .LBB469_12
; %bb.11:
	v_mad_i64_i32 v[8:9], s[2:3], s33, v6, 0
	v_lshl_add_u64 v[8:9], v[8:9], 2, v[2:3]
	global_load_dword v0, v[8:9], off
	s_waitcnt vmcnt(0)
	v_mul_f32_e32 v0, s7, v0
	global_store_dword v[8:9], v0, off
.LBB469_12:
	s_or_b64 exec, exec, s[8:9]
.LBB469_13:
	s_cbranch_execnz .LBB469_8
.LBB469_14:
	s_load_dwordx4 s[8:11], s[0:1], 0x30
	s_load_dwordx2 s[12:13], s[0:1], 0x40
	v_lshlrev_b32_e32 v7, 7, v1
	v_cmp_gt_i32_e32 vcc, s5, v6
	s_and_saveexec_b64 s[2:3], vcc
	s_cbranch_execz .LBB469_16
; %bb.15:
	s_load_dwordx2 s[14:15], s[0:1], 0x50
	s_load_dword s18, s[0:1], 0x48
	s_waitcnt lgkmcnt(0)
	s_lshl_b64 s[12:13], s[12:13], 1
	s_add_u32 s10, s12, s10
	s_addc_u32 s11, s13, s11
	v_mad_u64_u32 v[0:1], s[16:17], v4, s14, 0
	v_mov_b32_e32 v8, v1
	v_mad_u64_u32 v[8:9], s[14:15], v4, s15, v[8:9]
	v_mov_b32_e32 v1, v8
	v_lshl_add_u64 v[0:1], v[0:1], 1, s[10:11]
	v_mad_i64_i32 v[8:9], s[10:11], s18, v6, 0
	v_lshl_add_u64 v[0:1], v[8:9], 1, v[0:1]
	global_load_ushort v0, v[0:1], off
	v_lshl_add_u32 v1, v6, 2, v7
	s_waitcnt vmcnt(0)
	v_cvt_f32_f16_e32 v0, v0
	v_mul_f32_e32 v0, s6, v0
	ds_write_b32 v1, v0
.LBB469_16:
	s_or_b64 exec, exec, s[2:3]
	v_cmp_gt_i32_e32 vcc, s4, v6
	s_waitcnt lgkmcnt(0)
	s_barrier
	s_and_b64 exec, exec, vcc
	s_cbranch_execz .LBB469_8
; %bb.17:
	v_cmp_eq_f32_e64 s[2:3], s7, 0
	v_mov_b32_e32 v8, 0
	v_mov_b32_e32 v1, 0
	s_and_b64 vcc, exec, s[2:3]
	s_cbranch_vccnz .LBB469_19
; %bb.18:
	v_mad_i64_i32 v[8:9], s[2:3], s33, v6, 0
	v_lshl_add_u64 v[8:9], v[8:9], 2, v[2:3]
	global_load_dword v0, v[8:9], off
	s_waitcnt vmcnt(0)
	v_mul_f32_e32 v8, s7, v0
.LBB469_19:
	s_load_dwordx4 s[12:15], s[0:1], 0x18
	v_mad_u64_u32 v[10:11], s[2:3], v4, s8, 0
	v_mov_b32_e32 v0, v11
	v_mad_u64_u32 v[4:5], s[2:3], v4, s9, v[0:1]
	s_waitcnt lgkmcnt(0)
	s_lshl_b64 s[2:3], s[14:15], 1
	s_add_u32 s2, s2, s12
	v_mov_b32_e32 v11, v4
	s_addc_u32 s3, s3, s13
	v_lshl_add_u64 v[4:5], v[10:11], 1, s[2:3]
	v_lshlrev_b32_e32 v0, 1, v6
	s_cmp_gt_i32 s5, 0
	s_cselect_b64 s[2:3], -1, 0
	s_cmp_lt_i32 s5, 1
	v_lshl_add_u64 v[4:5], v[4:5], 0, v[0:1]
	s_cbranch_scc1 .LBB469_21
; %bb.20:
	global_load_ushort v0, v[4:5], off
	s_waitcnt vmcnt(0)
	v_cvt_f32_f16_e32 v1, v0
.LBB469_21:
	s_load_dword s36, s[0:1], 0x28
	v_mov_b32_e32 v0, 0
	v_mov_b32_e32 v15, 0
	s_waitcnt lgkmcnt(0)
	s_ashr_i32 s37, s36, 31
	s_cmp_gt_i32 s5, 1
	s_cselect_b64 s[0:1], -1, 0
	s_cmp_lt_i32 s5, 2
	s_cbranch_scc1 .LBB469_23
; %bb.22:
	v_lshl_add_u64 v[10:11], s[36:37], 1, v[4:5]
	global_load_ushort v9, v[10:11], off
	s_waitcnt vmcnt(0)
	v_cvt_f32_f16_e32 v15, v9
.LBB469_23:
	s_cmp_gt_i32 s5, 2
	s_cselect_b64 s[6:7], -1, 0
	s_cmp_lt_i32 s5, 3
	s_cbranch_scc1 .LBB469_25
; %bb.24:
	v_lshl_add_u64 v[10:11], s[36:37], 2, v[4:5]
	global_load_ushort v0, v[10:11], off
	s_waitcnt vmcnt(0)
	v_cvt_f32_f16_e32 v0, v0
.LBB469_25:
	s_cmp_gt_i32 s5, 3
	s_cselect_b64 s[8:9], -1, 0
	s_cmp_lt_i32 s5, 4
	v_mov_b32_e32 v9, 0
	v_mov_b32_e32 v16, 0
	s_cbranch_scc1 .LBB469_27
; %bb.26:
	v_mad_i64_i32 v[10:11], s[10:11], s36, 6, v[4:5]
	global_load_ushort v10, v[10:11], off
	s_waitcnt vmcnt(0)
	v_cvt_f32_f16_e32 v16, v10
.LBB469_27:
	s_cmp_gt_i32 s5, 4
	s_cselect_b64 s[10:11], -1, 0
	s_cmp_lt_i32 s5, 5
	s_cbranch_scc1 .LBB469_29
; %bb.28:
	v_lshl_add_u64 v[10:11], s[36:37], 3, v[4:5]
	global_load_ushort v9, v[10:11], off
	s_waitcnt vmcnt(0)
	v_cvt_f32_f16_e32 v9, v9
.LBB469_29:
	s_cmp_gt_i32 s5, 5
	s_cselect_b64 s[12:13], -1, 0
	s_cmp_lt_i32 s5, 6
	v_mov_b32_e32 v10, 0
	v_mov_b32_e32 v18, 0
	s_cbranch_scc1 .LBB469_31
; %bb.30:
	v_mad_i64_i32 v[12:13], s[14:15], s36, 10, v[4:5]
	global_load_ushort v11, v[12:13], off
	s_waitcnt vmcnt(0)
	v_cvt_f32_f16_e32 v18, v11
.LBB469_31:
	s_cmp_gt_i32 s5, 6
	s_cselect_b64 s[14:15], -1, 0
	s_cmp_lt_i32 s5, 7
	s_cbranch_scc1 .LBB469_33
; %bb.32:
	v_mad_i64_i32 v[10:11], s[16:17], s36, 12, v[4:5]
	global_load_ushort v10, v[10:11], off
	s_waitcnt vmcnt(0)
	v_cvt_f32_f16_e32 v10, v10
.LBB469_33:
	s_cmp_gt_i32 s5, 7
	s_cselect_b64 s[16:17], -1, 0
	s_cmp_lt_i32 s5, 8
	v_mov_b32_e32 v11, 0
	v_mov_b32_e32 v20, 0
	s_cbranch_scc1 .LBB469_35
; %bb.34:
	v_mad_i64_i32 v[12:13], s[18:19], s36, 14, v[4:5]
	global_load_ushort v12, v[12:13], off
	s_waitcnt vmcnt(0)
	v_cvt_f32_f16_e32 v20, v12
.LBB469_35:
	s_cmp_gt_i32 s5, 8
	s_cselect_b64 s[18:19], -1, 0
	s_cmp_lt_i32 s5, 9
	s_cbranch_scc1 .LBB469_37
; %bb.36:
	v_lshl_add_u64 v[12:13], s[36:37], 4, v[4:5]
	global_load_ushort v11, v[12:13], off
	s_waitcnt vmcnt(0)
	v_cvt_f32_f16_e32 v11, v11
.LBB469_37:
	s_cmp_gt_i32 s5, 9
	s_cselect_b64 s[20:21], -1, 0
	s_cmp_lt_i32 s5, 10
	v_mov_b32_e32 v12, 0
	v_mov_b32_e32 v22, 0
	s_cbranch_scc1 .LBB469_39
; %bb.38:
	v_mad_i64_i32 v[22:23], s[22:23], s36, 18, v[4:5]
	global_load_ushort v13, v[22:23], off
	s_waitcnt vmcnt(0)
	v_cvt_f32_f16_e32 v22, v13
.LBB469_39:
	s_cmp_gt_i32 s5, 10
	s_cselect_b64 s[22:23], -1, 0
	s_cmp_lt_i32 s5, 11
	s_cbranch_scc1 .LBB469_41
; %bb.40:
	v_mad_i64_i32 v[12:13], s[24:25], s36, 20, v[4:5]
	global_load_ushort v12, v[12:13], off
	s_waitcnt vmcnt(0)
	v_cvt_f32_f16_e32 v12, v12
.LBB469_41:
	s_cmp_gt_i32 s5, 11
	s_cselect_b64 s[24:25], -1, 0
	s_cmp_lt_i32 s5, 12
	v_mov_b32_e32 v13, 0
	v_mov_b32_e32 v24, 0
	s_cbranch_scc1 .LBB469_43
; %bb.42:
	v_mad_i64_i32 v[24:25], s[26:27], s36, 22, v[4:5]
	global_load_ushort v14, v[24:25], off
	s_waitcnt vmcnt(0)
	v_cvt_f32_f16_e32 v24, v14
.LBB469_43:
	s_cmp_gt_i32 s5, 12
	s_cselect_b64 s[26:27], -1, 0
	s_cmp_lt_i32 s5, 13
	s_cbranch_scc1 .LBB469_45
; %bb.44:
	v_mad_i64_i32 v[26:27], s[28:29], s36, 24, v[4:5]
	global_load_ushort v13, v[26:27], off
	s_waitcnt vmcnt(0)
	v_cvt_f32_f16_e32 v13, v13
.LBB469_45:
	;; [unrolled: 22-line block ×3, first 2 shown]
	s_cmp_gt_i32 s5, 15
	s_cselect_b64 s[34:35], -1, 0
	s_cmp_lt_i32 s5, 16
	v_mov_b32_e32 v17, 0
	v_mov_b32_e32 v28, 0
	s_cbranch_scc1 .LBB469_51
; %bb.50:
	v_mad_i64_i32 v[28:29], s[38:39], s36, 30, v[4:5]
	global_load_ushort v19, v[28:29], off
	s_waitcnt vmcnt(0)
	v_cvt_f32_f16_e32 v28, v19
.LBB469_51:
	s_cmp_gt_i32 s5, 16
	s_cselect_b64 s[38:39], -1, 0
	s_cmp_lt_i32 s5, 17
	s_cbranch_scc1 .LBB469_53
; %bb.52:
	s_lshl_b64 s[40:41], s[36:37], 5
	v_lshl_add_u64 v[30:31], v[4:5], 0, s[40:41]
	global_load_ushort v17, v[30:31], off
	s_waitcnt vmcnt(0)
	v_cvt_f32_f16_e32 v17, v17
.LBB469_53:
	s_cmp_gt_i32 s5, 17
	s_cselect_b64 s[40:41], -1, 0
	s_cmp_lt_i32 s5, 18
	v_mov_b32_e32 v19, 0
	v_mov_b32_e32 v31, 0
	s_cbranch_scc1 .LBB469_55
; %bb.54:
	v_mad_i64_i32 v[30:31], s[42:43], s36, 34, v[4:5]
	global_load_ushort v21, v[30:31], off
	s_waitcnt vmcnt(0)
	v_cvt_f32_f16_e32 v31, v21
.LBB469_55:
	s_cmp_gt_i32 s5, 18
	s_cselect_b64 s[42:43], -1, 0
	s_cmp_lt_i32 s5, 19
	s_cbranch_scc1 .LBB469_57
; %bb.56:
	v_mad_i64_i32 v[32:33], s[44:45], s36, 36, v[4:5]
	global_load_ushort v19, v[32:33], off
	s_waitcnt vmcnt(0)
	v_cvt_f32_f16_e32 v19, v19
.LBB469_57:
	s_cmp_gt_i32 s5, 19
	s_cselect_b64 s[44:45], -1, 0
	s_cmp_lt_i32 s5, 20
	v_mov_b32_e32 v21, 0
	v_mov_b32_e32 v32, 0
	s_cbranch_scc1 .LBB469_59
; %bb.58:
	v_mad_i64_i32 v[32:33], s[46:47], s36, 38, v[4:5]
	global_load_ushort v23, v[32:33], off
	s_waitcnt vmcnt(0)
	v_cvt_f32_f16_e32 v32, v23
.LBB469_59:
	s_cmp_gt_i32 s5, 20
	s_cselect_b64 s[46:47], -1, 0
	s_cmp_lt_i32 s5, 21
	s_cbranch_scc1 .LBB469_61
; %bb.60:
	v_mad_i64_i32 v[34:35], s[48:49], s36, 40, v[4:5]
	global_load_ushort v21, v[34:35], off
	s_waitcnt vmcnt(0)
	v_cvt_f32_f16_e32 v21, v21
.LBB469_61:
	;; [unrolled: 22-line block ×7, first 2 shown]
	s_cmp_gt_i32 s5, 31
	s_cselect_b64 s[68:69], -1, 0
	s_cmp_lt_i32 s5, 32
	v_mov_b32_e32 v36, 0
	v_mov_b32_e32 v39, 0
	s_cbranch_scc1 .LBB469_83
; %bb.82:
	v_mad_i64_i32 v[4:5], s[4:5], s36, 62, v[4:5]
	global_load_ushort v4, v[4:5], off
	s_waitcnt vmcnt(0)
	v_cvt_f32_f16_e32 v39, v4
.LBB469_83:
	s_andn2_b64 vcc, exec, s[2:3]
	s_cbranch_vccnz .LBB469_85
; %bb.84:
	ds_read_b32 v4, v7
	s_waitcnt lgkmcnt(0)
	v_mul_f32_e32 v36, v1, v4
.LBB469_85:
	s_andn2_b64 vcc, exec, s[0:1]
	v_mov_b32_e32 v1, 0
	v_mov_b32_e32 v4, 0
	s_cbranch_vccz .LBB469_118
; %bb.86:
	s_andn2_b64 vcc, exec, s[6:7]
	s_cbranch_vccz .LBB469_119
.LBB469_87:
	s_andn2_b64 vcc, exec, s[8:9]
	v_mov_b32_e32 v0, 0
	v_mov_b32_e32 v5, 0
	s_cbranch_vccz .LBB469_120
.LBB469_88:
	s_andn2_b64 vcc, exec, s[10:11]
	s_cbranch_vccz .LBB469_121
.LBB469_89:
	s_andn2_b64 vcc, exec, s[12:13]
	v_mov_b32_e32 v9, 0
	v_mov_b32_e32 v15, 0
	s_cbranch_vccz .LBB469_122
.LBB469_90:
	s_andn2_b64 vcc, exec, s[14:15]
	s_cbranch_vccz .LBB469_123
.LBB469_91:
	s_andn2_b64 vcc, exec, s[16:17]
	v_mov_b32_e32 v10, 0
	v_mov_b32_e32 v16, 0
	s_cbranch_vccz .LBB469_124
.LBB469_92:
	s_andn2_b64 vcc, exec, s[18:19]
	s_cbranch_vccz .LBB469_125
.LBB469_93:
	s_andn2_b64 vcc, exec, s[20:21]
	v_mov_b32_e32 v11, 0
	v_mov_b32_e32 v18, 0
	s_cbranch_vccz .LBB469_126
.LBB469_94:
	s_andn2_b64 vcc, exec, s[22:23]
	s_cbranch_vccz .LBB469_127
.LBB469_95:
	s_andn2_b64 vcc, exec, s[24:25]
	v_mov_b32_e32 v12, 0
	v_mov_b32_e32 v20, 0
	s_cbranch_vccz .LBB469_128
.LBB469_96:
	s_andn2_b64 vcc, exec, s[26:27]
	s_cbranch_vccz .LBB469_129
.LBB469_97:
	s_andn2_b64 vcc, exec, s[28:29]
	v_mov_b32_e32 v13, 0
	v_mov_b32_e32 v22, 0
	s_cbranch_vccz .LBB469_130
.LBB469_98:
	s_andn2_b64 vcc, exec, s[30:31]
	s_cbranch_vccz .LBB469_131
.LBB469_99:
	s_andn2_b64 vcc, exec, s[34:35]
	v_mov_b32_e32 v14, 0
	v_mov_b32_e32 v24, 0
	s_cbranch_vccz .LBB469_132
.LBB469_100:
	s_andn2_b64 vcc, exec, s[38:39]
	s_cbranch_vccz .LBB469_133
.LBB469_101:
	s_andn2_b64 vcc, exec, s[40:41]
	v_mov_b32_e32 v17, 0
	v_mov_b32_e32 v26, 0
	s_cbranch_vccz .LBB469_134
.LBB469_102:
	s_andn2_b64 vcc, exec, s[42:43]
	s_cbranch_vccz .LBB469_135
.LBB469_103:
	s_andn2_b64 vcc, exec, s[44:45]
	v_mov_b32_e32 v19, 0
	v_mov_b32_e32 v28, 0
	s_cbranch_vccz .LBB469_136
.LBB469_104:
	s_andn2_b64 vcc, exec, s[46:47]
	s_cbranch_vccz .LBB469_137
.LBB469_105:
	s_andn2_b64 vcc, exec, s[48:49]
	v_mov_b32_e32 v21, 0
	v_mov_b32_e32 v31, 0
	s_cbranch_vccz .LBB469_138
.LBB469_106:
	s_andn2_b64 vcc, exec, s[50:51]
	s_cbranch_vccz .LBB469_139
.LBB469_107:
	s_andn2_b64 vcc, exec, s[52:53]
	v_mov_b32_e32 v23, 0
	v_mov_b32_e32 v32, 0
	s_cbranch_vccz .LBB469_140
.LBB469_108:
	s_andn2_b64 vcc, exec, s[54:55]
	s_cbranch_vccz .LBB469_141
.LBB469_109:
	s_andn2_b64 vcc, exec, s[56:57]
	v_mov_b32_e32 v25, 0
	v_mov_b32_e32 v33, 0
	s_cbranch_vccz .LBB469_142
.LBB469_110:
	s_andn2_b64 vcc, exec, s[58:59]
	s_cbranch_vccz .LBB469_143
.LBB469_111:
	s_andn2_b64 vcc, exec, s[60:61]
	v_mov_b32_e32 v27, 0
	v_mov_b32_e32 v34, 0
	s_cbranch_vccz .LBB469_144
.LBB469_112:
	s_andn2_b64 vcc, exec, s[62:63]
	s_cbranch_vccz .LBB469_145
.LBB469_113:
	s_andn2_b64 vcc, exec, s[64:65]
	v_mov_b32_e32 v29, 0
	v_mov_b32_e32 v35, 0
	s_cbranch_vccz .LBB469_146
.LBB469_114:
	s_andn2_b64 vcc, exec, s[66:67]
	s_cbranch_vccz .LBB469_147
.LBB469_115:
	s_andn2_b64 vcc, exec, s[68:69]
	v_mov_b32_e32 v30, 0
	s_cbranch_vccnz .LBB469_117
.LBB469_116:
	ds_read_b32 v7, v7 offset:124
	s_waitcnt lgkmcnt(0)
	v_mul_f32_e32 v30, v39, v7
.LBB469_117:
	v_add_f32_e32 v7, v8, v36
	v_add_f32_e32 v4, v7, v4
	;; [unrolled: 1-line block ×32, first 2 shown]
	v_mad_i64_i32 v[0:1], s[0:1], s33, v6, 0
	v_lshl_add_u64 v[0:1], v[0:1], 2, v[2:3]
	global_store_dword v[0:1], v4, off
	s_endpgm
.LBB469_118:
	ds_read_b32 v4, v7 offset:4
	s_waitcnt lgkmcnt(0)
	v_mul_f32_e32 v4, v15, v4
	s_andn2_b64 vcc, exec, s[6:7]
	s_cbranch_vccnz .LBB469_87
.LBB469_119:
	ds_read_b32 v1, v7 offset:8
	s_waitcnt lgkmcnt(0)
	v_mul_f32_e32 v1, v0, v1
	s_andn2_b64 vcc, exec, s[8:9]
	v_mov_b32_e32 v0, 0
	v_mov_b32_e32 v5, 0
	s_cbranch_vccnz .LBB469_88
.LBB469_120:
	ds_read_b32 v5, v7 offset:12
	s_waitcnt lgkmcnt(0)
	v_mul_f32_e32 v5, v16, v5
	s_andn2_b64 vcc, exec, s[10:11]
	s_cbranch_vccnz .LBB469_89
.LBB469_121:
	ds_read_b32 v0, v7 offset:16
	s_waitcnt lgkmcnt(0)
	v_mul_f32_e32 v0, v9, v0
	s_andn2_b64 vcc, exec, s[12:13]
	v_mov_b32_e32 v9, 0
	v_mov_b32_e32 v15, 0
	s_cbranch_vccnz .LBB469_90
.LBB469_122:
	ds_read_b32 v15, v7 offset:20
	s_waitcnt lgkmcnt(0)
	v_mul_f32_e32 v15, v18, v15
	s_andn2_b64 vcc, exec, s[14:15]
	s_cbranch_vccnz .LBB469_91
.LBB469_123:
	ds_read_b32 v9, v7 offset:24
	s_waitcnt lgkmcnt(0)
	v_mul_f32_e32 v9, v10, v9
	s_andn2_b64 vcc, exec, s[16:17]
	v_mov_b32_e32 v10, 0
	v_mov_b32_e32 v16, 0
	s_cbranch_vccnz .LBB469_92
.LBB469_124:
	ds_read_b32 v16, v7 offset:28
	s_waitcnt lgkmcnt(0)
	v_mul_f32_e32 v16, v20, v16
	s_andn2_b64 vcc, exec, s[18:19]
	s_cbranch_vccnz .LBB469_93
.LBB469_125:
	ds_read_b32 v10, v7 offset:32
	s_waitcnt lgkmcnt(0)
	v_mul_f32_e32 v10, v11, v10
	s_andn2_b64 vcc, exec, s[20:21]
	v_mov_b32_e32 v11, 0
	v_mov_b32_e32 v18, 0
	s_cbranch_vccnz .LBB469_94
.LBB469_126:
	ds_read_b32 v18, v7 offset:36
	s_waitcnt lgkmcnt(0)
	v_mul_f32_e32 v18, v22, v18
	s_andn2_b64 vcc, exec, s[22:23]
	s_cbranch_vccnz .LBB469_95
.LBB469_127:
	ds_read_b32 v11, v7 offset:40
	s_waitcnt lgkmcnt(0)
	v_mul_f32_e32 v11, v12, v11
	s_andn2_b64 vcc, exec, s[24:25]
	v_mov_b32_e32 v12, 0
	v_mov_b32_e32 v20, 0
	s_cbranch_vccnz .LBB469_96
.LBB469_128:
	ds_read_b32 v20, v7 offset:44
	s_waitcnt lgkmcnt(0)
	v_mul_f32_e32 v20, v24, v20
	s_andn2_b64 vcc, exec, s[26:27]
	s_cbranch_vccnz .LBB469_97
.LBB469_129:
	ds_read_b32 v12, v7 offset:48
	s_waitcnt lgkmcnt(0)
	v_mul_f32_e32 v12, v13, v12
	s_andn2_b64 vcc, exec, s[28:29]
	v_mov_b32_e32 v13, 0
	v_mov_b32_e32 v22, 0
	s_cbranch_vccnz .LBB469_98
.LBB469_130:
	ds_read_b32 v22, v7 offset:52
	s_waitcnt lgkmcnt(0)
	v_mul_f32_e32 v22, v26, v22
	s_andn2_b64 vcc, exec, s[30:31]
	s_cbranch_vccnz .LBB469_99
.LBB469_131:
	ds_read_b32 v13, v7 offset:56
	s_waitcnt lgkmcnt(0)
	v_mul_f32_e32 v13, v14, v13
	s_andn2_b64 vcc, exec, s[34:35]
	v_mov_b32_e32 v14, 0
	v_mov_b32_e32 v24, 0
	s_cbranch_vccnz .LBB469_100
.LBB469_132:
	ds_read_b32 v24, v7 offset:60
	s_waitcnt lgkmcnt(0)
	v_mul_f32_e32 v24, v28, v24
	s_andn2_b64 vcc, exec, s[38:39]
	s_cbranch_vccnz .LBB469_101
.LBB469_133:
	ds_read_b32 v14, v7 offset:64
	s_waitcnt lgkmcnt(0)
	v_mul_f32_e32 v14, v17, v14
	s_andn2_b64 vcc, exec, s[40:41]
	v_mov_b32_e32 v17, 0
	v_mov_b32_e32 v26, 0
	s_cbranch_vccnz .LBB469_102
.LBB469_134:
	ds_read_b32 v26, v7 offset:68
	s_waitcnt lgkmcnt(0)
	v_mul_f32_e32 v26, v31, v26
	s_andn2_b64 vcc, exec, s[42:43]
	s_cbranch_vccnz .LBB469_103
.LBB469_135:
	ds_read_b32 v17, v7 offset:72
	s_waitcnt lgkmcnt(0)
	v_mul_f32_e32 v17, v19, v17
	s_andn2_b64 vcc, exec, s[44:45]
	v_mov_b32_e32 v19, 0
	v_mov_b32_e32 v28, 0
	s_cbranch_vccnz .LBB469_104
.LBB469_136:
	ds_read_b32 v28, v7 offset:76
	s_waitcnt lgkmcnt(0)
	v_mul_f32_e32 v28, v32, v28
	s_andn2_b64 vcc, exec, s[46:47]
	s_cbranch_vccnz .LBB469_105
.LBB469_137:
	ds_read_b32 v19, v7 offset:80
	s_waitcnt lgkmcnt(0)
	v_mul_f32_e32 v19, v21, v19
	s_andn2_b64 vcc, exec, s[48:49]
	v_mov_b32_e32 v21, 0
	v_mov_b32_e32 v31, 0
	s_cbranch_vccnz .LBB469_106
.LBB469_138:
	ds_read_b32 v31, v7 offset:84
	s_waitcnt lgkmcnt(0)
	v_mul_f32_e32 v31, v33, v31
	s_andn2_b64 vcc, exec, s[50:51]
	s_cbranch_vccnz .LBB469_107
.LBB469_139:
	ds_read_b32 v21, v7 offset:88
	s_waitcnt lgkmcnt(0)
	v_mul_f32_e32 v21, v23, v21
	s_andn2_b64 vcc, exec, s[52:53]
	v_mov_b32_e32 v23, 0
	v_mov_b32_e32 v32, 0
	s_cbranch_vccnz .LBB469_108
.LBB469_140:
	ds_read_b32 v32, v7 offset:92
	s_waitcnt lgkmcnt(0)
	v_mul_f32_e32 v32, v34, v32
	s_andn2_b64 vcc, exec, s[54:55]
	s_cbranch_vccnz .LBB469_109
.LBB469_141:
	ds_read_b32 v23, v7 offset:96
	s_waitcnt lgkmcnt(0)
	v_mul_f32_e32 v23, v25, v23
	s_andn2_b64 vcc, exec, s[56:57]
	v_mov_b32_e32 v25, 0
	v_mov_b32_e32 v33, 0
	s_cbranch_vccnz .LBB469_110
.LBB469_142:
	ds_read_b32 v33, v7 offset:100
	s_waitcnt lgkmcnt(0)
	v_mul_f32_e32 v33, v35, v33
	s_andn2_b64 vcc, exec, s[58:59]
	s_cbranch_vccnz .LBB469_111
.LBB469_143:
	ds_read_b32 v25, v7 offset:104
	s_waitcnt lgkmcnt(0)
	v_mul_f32_e32 v25, v27, v25
	s_andn2_b64 vcc, exec, s[60:61]
	v_mov_b32_e32 v27, 0
	v_mov_b32_e32 v34, 0
	s_cbranch_vccnz .LBB469_112
.LBB469_144:
	ds_read_b32 v34, v7 offset:108
	s_waitcnt lgkmcnt(0)
	v_mul_f32_e32 v34, v37, v34
	s_andn2_b64 vcc, exec, s[62:63]
	s_cbranch_vccnz .LBB469_113
.LBB469_145:
	ds_read_b32 v27, v7 offset:112
	s_waitcnt lgkmcnt(0)
	v_mul_f32_e32 v27, v29, v27
	s_andn2_b64 vcc, exec, s[64:65]
	v_mov_b32_e32 v29, 0
	v_mov_b32_e32 v35, 0
	s_cbranch_vccnz .LBB469_114
.LBB469_146:
	ds_read_b32 v35, v7 offset:116
	s_waitcnt lgkmcnt(0)
	v_mul_f32_e32 v35, v38, v35
	s_andn2_b64 vcc, exec, s[66:67]
	s_cbranch_vccnz .LBB469_115
.LBB469_147:
	ds_read_b32 v29, v7 offset:120
	s_waitcnt lgkmcnt(0)
	v_mul_f32_e32 v29, v30, v29
	s_andn2_b64 vcc, exec, s[68:69]
	v_mov_b32_e32 v30, 0
	s_cbranch_vccz .LBB469_116
	s_branch .LBB469_117
	.section	.rodata,"a",@progbits
	.p2align	6, 0x0
	.amdhsa_kernel _ZL34rocblas_gemvn_sm_mn_batched_kernelILi32ELi24EDF16_ffEviiT2_lPKT1_lilS3_lilS0_lPT3_lili
		.amdhsa_group_segment_fixed_size 3072
		.amdhsa_private_segment_fixed_size 0
		.amdhsa_kernarg_size 400
		.amdhsa_user_sgpr_count 2
		.amdhsa_user_sgpr_dispatch_ptr 0
		.amdhsa_user_sgpr_queue_ptr 0
		.amdhsa_user_sgpr_kernarg_segment_ptr 1
		.amdhsa_user_sgpr_dispatch_id 0
		.amdhsa_user_sgpr_kernarg_preload_length 0
		.amdhsa_user_sgpr_kernarg_preload_offset 0
		.amdhsa_user_sgpr_private_segment_size 0
		.amdhsa_uses_dynamic_stack 0
		.amdhsa_enable_private_segment 0
		.amdhsa_system_sgpr_workgroup_id_x 1
		.amdhsa_system_sgpr_workgroup_id_y 0
		.amdhsa_system_sgpr_workgroup_id_z 0
		.amdhsa_system_sgpr_workgroup_info 0
		.amdhsa_system_vgpr_workitem_id 1
		.amdhsa_next_free_vgpr 42
		.amdhsa_next_free_sgpr 70
		.amdhsa_accum_offset 44
		.amdhsa_reserve_vcc 1
		.amdhsa_float_round_mode_32 0
		.amdhsa_float_round_mode_16_64 0
		.amdhsa_float_denorm_mode_32 3
		.amdhsa_float_denorm_mode_16_64 3
		.amdhsa_dx10_clamp 1
		.amdhsa_ieee_mode 1
		.amdhsa_fp16_overflow 0
		.amdhsa_tg_split 0
		.amdhsa_exception_fp_ieee_invalid_op 0
		.amdhsa_exception_fp_denorm_src 0
		.amdhsa_exception_fp_ieee_div_zero 0
		.amdhsa_exception_fp_ieee_overflow 0
		.amdhsa_exception_fp_ieee_underflow 0
		.amdhsa_exception_fp_ieee_inexact 0
		.amdhsa_exception_int_div_zero 0
	.end_amdhsa_kernel
	.section	.text._ZL34rocblas_gemvn_sm_mn_batched_kernelILi32ELi24EDF16_ffEviiT2_lPKT1_lilS3_lilS0_lPT3_lili,"axG",@progbits,_ZL34rocblas_gemvn_sm_mn_batched_kernelILi32ELi24EDF16_ffEviiT2_lPKT1_lilS3_lilS0_lPT3_lili,comdat
.Lfunc_end469:
	.size	_ZL34rocblas_gemvn_sm_mn_batched_kernelILi32ELi24EDF16_ffEviiT2_lPKT1_lilS3_lilS0_lPT3_lili, .Lfunc_end469-_ZL34rocblas_gemvn_sm_mn_batched_kernelILi32ELi24EDF16_ffEviiT2_lPKT1_lilS3_lilS0_lPT3_lili
                                        ; -- End function
	.section	.AMDGPU.csdata,"",@progbits
; Kernel info:
; codeLenInByte = 3460
; NumSgprs: 76
; NumVgprs: 42
; NumAgprs: 0
; TotalNumVgprs: 42
; ScratchSize: 0
; MemoryBound: 0
; FloatMode: 240
; IeeeMode: 1
; LDSByteSize: 3072 bytes/workgroup (compile time only)
; SGPRBlocks: 9
; VGPRBlocks: 5
; NumSGPRsForWavesPerEU: 76
; NumVGPRsForWavesPerEU: 42
; AccumOffset: 44
; Occupancy: 6
; WaveLimiterHint : 1
; COMPUTE_PGM_RSRC2:SCRATCH_EN: 0
; COMPUTE_PGM_RSRC2:USER_SGPR: 2
; COMPUTE_PGM_RSRC2:TRAP_HANDLER: 0
; COMPUTE_PGM_RSRC2:TGID_X_EN: 1
; COMPUTE_PGM_RSRC2:TGID_Y_EN: 0
; COMPUTE_PGM_RSRC2:TGID_Z_EN: 0
; COMPUTE_PGM_RSRC2:TIDIG_COMP_CNT: 1
; COMPUTE_PGM_RSRC3_GFX90A:ACCUM_OFFSET: 10
; COMPUTE_PGM_RSRC3_GFX90A:TG_SPLIT: 0
	.section	.text._ZL20rocblas_gemvn_kernelILi64ELi4EiDF16_PKffEviiT3_lPKT2_lT1_lS5_lS6_lS2_lPT4_lS6_li,"axG",@progbits,_ZL20rocblas_gemvn_kernelILi64ELi4EiDF16_PKffEviiT3_lPKT2_lT1_lS5_lS6_lS2_lPT4_lS6_li,comdat
	.globl	_ZL20rocblas_gemvn_kernelILi64ELi4EiDF16_PKffEviiT3_lPKT2_lT1_lS5_lS6_lS2_lPT4_lS6_li ; -- Begin function _ZL20rocblas_gemvn_kernelILi64ELi4EiDF16_PKffEviiT3_lPKT2_lT1_lS5_lS6_lS2_lPT4_lS6_li
	.p2align	8
	.type	_ZL20rocblas_gemvn_kernelILi64ELi4EiDF16_PKffEviiT3_lPKT2_lT1_lS5_lS6_lS2_lPT4_lS6_li,@function
_ZL20rocblas_gemvn_kernelILi64ELi4EiDF16_PKffEviiT3_lPKT2_lT1_lS5_lS6_lS2_lPT4_lS6_li: ; @_ZL20rocblas_gemvn_kernelILi64ELi4EiDF16_PKffEviiT3_lPKT2_lT1_lS5_lS6_lS2_lPT4_lS6_li
; %bb.0:
	s_load_dwordx2 s[4:5], s[0:1], 0x9c
	s_waitcnt lgkmcnt(0)
	s_lshr_b32 s6, s4, 16
	s_and_b32 s4, s4, 0xffff
	s_and_b32 s5, s5, 0xffff
	s_mul_i32 s4, s6, s4
	s_mul_i32 s4, s4, s5
	s_cmpk_lg_i32 s4, 0x100
	s_cbranch_scc1 .LBB470_50
; %bb.1:
	s_load_dwordx8 s[12:19], s[0:1], 0x8
	s_load_dwordx8 s[4:11], s[0:1], 0x50
	s_waitcnt lgkmcnt(0)
	s_mul_i32 s15, s3, s15
	s_mul_hi_u32 s20, s3, s14
	s_mul_i32 s14, s3, s14
	s_add_i32 s15, s20, s15
	s_lshl_b64 s[14:15], s[14:15], 2
	s_add_u32 s12, s12, s14
	s_addc_u32 s13, s13, s15
	s_mul_i32 s9, s3, s9
	s_load_dword s29, s[12:13], 0x0
	s_mul_hi_u32 s12, s3, s8
	s_add_i32 s9, s12, s9
	s_mul_i32 s8, s3, s8
	s_lshl_b64 s[8:9], s[8:9], 2
	s_add_u32 s6, s6, s8
	s_addc_u32 s7, s7, s9
	s_load_dword s28, s[6:7], 0x0
	s_waitcnt lgkmcnt(0)
	v_cmp_eq_f32_e64 s[6:7], s29, 0
	v_cmp_eq_f32_e64 s[8:9], s28, 1.0
	s_and_b64 s[6:7], s[6:7], s[8:9]
	s_and_b64 vcc, exec, s[6:7]
	s_cbranch_vccnz .LBB470_50
; %bb.2:
	s_load_dwordx2 s[6:7], s[0:1], 0x80
	s_load_dword s30, s[0:1], 0x78
	s_load_dwordx2 s[8:9], s[0:1], 0x70
	s_load_dwordx2 s[12:13], s[0:1], 0x0
	v_and_b32_e32 v2, 0x3ff, v0
	s_waitcnt lgkmcnt(0)
	s_mul_i32 s7, s3, s7
	s_mul_hi_u32 s14, s3, s6
	s_add_i32 s7, s14, s7
	s_mul_i32 s6, s3, s6
	s_lshl_b64 s[6:7], s[6:7], 2
	s_add_u32 s10, s10, s6
	s_addc_u32 s11, s11, s7
	s_lshl_b64 s[6:7], s[8:9], 2
	s_add_u32 s8, s10, s6
	s_addc_u32 s9, s11, s7
	v_bfe_u32 v14, v0, 10, 10
	v_cmp_neq_f32_e64 s[6:7], s29, 0
	v_lshl_add_u32 v3, v14, 6, v2
	s_and_b64 vcc, exec, s[6:7]
	s_cbranch_vccnz .LBB470_9
; %bb.3:
	s_movk_i32 s6, 0x100
	v_cmp_gt_u32_e32 vcc, s6, v3
	s_mov_b64 s[6:7], 0
	s_mov_b64 s[10:11], 0
                                        ; implicit-def: $vgpr1
                                        ; implicit-def: $vgpr4_vgpr5
	s_and_saveexec_b64 s[14:15], vcc
	s_cbranch_execz .LBB470_10
; %bb.4:
	v_lshl_or_b32 v0, s2, 8, v3
	v_mov_b32_e32 v1, 0
	s_ashr_i32 s11, s12, 31
	s_mov_b32 s10, s12
	v_cmp_gt_i64_e32 vcc, s[10:11], v[0:1]
	s_mov_b64 s[20:21], 0
                                        ; implicit-def: $vgpr4_vgpr5
	s_and_saveexec_b64 s[10:11], vcc
	s_cbranch_execz .LBB470_8
; %bb.5:
	v_mad_u64_u32 v[4:5], s[22:23], s30, v0, 0
	s_ashr_i32 s24, s30, 31
	v_mov_b32_e32 v6, v5
	v_cmp_eq_f32_e64 s[20:21], s28, 0
	v_mad_u64_u32 v[6:7], s[22:23], s24, v0, v[6:7]
	v_mov_b32_e32 v5, v6
	s_and_b64 vcc, exec, s[20:21]
	s_cbranch_vccnz .LBB470_7
; %bb.6:
	v_lshl_add_u64 v[0:1], v[4:5], 2, s[8:9]
	global_load_dword v0, v[0:1], off
	s_waitcnt vmcnt(0)
	v_mul_f32_e32 v1, s28, v0
.LBB470_7:
	s_mov_b64 s[20:21], exec
.LBB470_8:
	s_or_b64 exec, exec, s[10:11]
	s_and_b64 s[10:11], s[20:21], exec
	s_or_b64 exec, exec, s[14:15]
	s_and_b64 vcc, exec, s[6:7]
	s_cbranch_vccnz .LBB470_11
	s_branch .LBB470_48
.LBB470_9:
	s_mov_b64 s[10:11], 0
                                        ; implicit-def: $vgpr1
                                        ; implicit-def: $vgpr4_vgpr5
	s_cbranch_execnz .LBB470_11
	s_branch .LBB470_48
.LBB470_10:
	s_or_b64 exec, exec, s[14:15]
	s_and_b64 vcc, exec, s[6:7]
	s_cbranch_vccz .LBB470_48
.LBB470_11:
	s_load_dwordx4 s[20:23], s[0:1], 0x30
	s_load_dword s33, s[0:1], 0x28
	s_load_dwordx2 s[6:7], s[0:1], 0x40
	s_load_dword s34, s[0:1], 0x48
	v_lshlrev_b32_e32 v20, 2, v14
	s_waitcnt lgkmcnt(0)
	s_mul_i32 s0, s3, s21
	s_mul_hi_u32 s1, s3, s20
	s_add_i32 s1, s1, s0
	s_mul_i32 s0, s3, s20
	s_lshl_b64 s[0:1], s[0:1], 1
	s_add_u32 s14, s16, s0
	s_addc_u32 s15, s17, s1
	s_lshl_b64 s[0:1], s[18:19], 1
	s_add_u32 s14, s14, s0
	s_addc_u32 s15, s15, s1
	s_mul_i32 s0, s3, s5
	s_mul_hi_u32 s1, s3, s4
	s_add_i32 s1, s1, s0
	s_mul_i32 s0, s3, s4
	s_lshl_b64 s[0:1], s[0:1], 1
	s_add_u32 s3, s22, s0
	s_addc_u32 s4, s23, s1
	s_lshl_b64 s[0:1], s[6:7], 1
	s_add_u32 s16, s3, s0
	s_addc_u32 s17, s4, s1
	s_ashr_i32 s0, s13, 31
	s_lshr_b32 s0, s0, 28
	s_add_i32 s0, s13, s0
	s_lshl_b32 s31, s2, 8
	s_and_b32 s35, s0, -16
	v_add_u32_e32 v16, s31, v2
	v_cmp_gt_i32_e32 vcc, s35, v20
	v_mov_b32_e32 v19, 0
	v_mov_b32_e32 v18, 0
	v_mov_b32_e32 v17, 0
	v_mov_b32_e32 v15, 0
	s_and_saveexec_b64 s[18:19], vcc
	s_cbranch_execz .LBB470_23
; %bb.12:
	v_add_u32_e32 v0, 64, v16
	v_cmp_gt_i32_e64 s[0:1], s12, v0
	v_add_u32_e32 v0, 0x80, v16
	v_cmp_gt_i32_e64 s[2:3], s12, v0
	;; [unrolled: 2-line block ×3, first 2 shown]
	v_mul_lo_u32 v0, s33, v20
	v_add_u32_e32 v6, 2, v20
	v_add_u32_e32 v7, 3, v20
	v_add3_u32 v21, v0, s33, v2
	v_mad_u64_u32 v[0:1], s[6:7], s33, v6, v[2:3]
	v_mad_u64_u32 v[4:5], s[6:7], s33, v7, v[2:3]
	v_mul_lo_u32 v1, v14, s33
	v_mul_lo_u32 v5, s34, v20
	;; [unrolled: 1-line block ×4, first 2 shown]
	v_cmp_gt_i32_e32 vcc, s12, v16
	s_lshl_b32 s36, s33, 4
	v_lshl_add_u32 v1, v1, 2, v2
	v_add_u32_e32 v5, s34, v5
	s_lshl_b32 s37, s34, 4
	v_mul_lo_u32 v23, s34, v7
	v_lshlrev_b32_e32 v24, 2, v6
	s_mov_b32 s38, 0
	s_mov_b64 s[20:21], 0
	v_mov_b32_e32 v19, 0
	v_mov_b32_e32 v18, 0
	;; [unrolled: 1-line block ×4, first 2 shown]
	s_branch .LBB470_17
.LBB470_13:                             ;   in Loop: Header=BB470_17 Depth=1
	s_or_b64 exec, exec, s[26:27]
	s_waitcnt vmcnt(3)
	v_fma_mix_f32 v6, v37, v41, v17 op_sel_hi:[0,1,0]
	s_waitcnt vmcnt(2)
	v_fma_mix_f32 v6, v38, v42, v6 op_sel_hi:[0,1,0]
	s_waitcnt vmcnt(1)
	v_fma_mix_f32 v6, v39, v43, v6 op_sel_hi:[0,1,0]
	s_waitcnt vmcnt(0)
	v_fma_mix_f32 v17, v40, v44, v6 op_sel_hi:[0,1,0]
.LBB470_14:                             ;   in Loop: Header=BB470_17 Depth=1
	s_or_b64 exec, exec, s[24:25]
	s_waitcnt vmcnt(3)
	v_fma_mix_f32 v6, v37, v33, v18 op_sel_hi:[0,1,0]
	s_waitcnt vmcnt(2)
	v_fma_mix_f32 v6, v38, v34, v6 op_sel_hi:[0,1,0]
	;; [unrolled: 2-line block ×4, first 2 shown]
.LBB470_15:                             ;   in Loop: Header=BB470_17 Depth=1
	s_or_b64 exec, exec, s[22:23]
	s_waitcnt vmcnt(3)
	v_fma_mix_f32 v6, v25, v29, v19 op_sel_hi:[1,1,0]
	s_waitcnt vmcnt(2)
	v_fma_mix_f32 v6, v26, v30, v6 op_sel_hi:[1,1,0]
	;; [unrolled: 2-line block ×4, first 2 shown]
.LBB470_16:                             ;   in Loop: Header=BB470_17 Depth=1
	s_or_b64 exec, exec, s[6:7]
	v_add_u32_e32 v20, 16, v20
	s_add_i32 s38, s38, s37
	v_cmp_le_i32_e64 s[6:7], s35, v20
	v_add_u32_e32 v21, s36, v21
	v_add_u32_e32 v0, s36, v0
	v_add_u32_e32 v4, s36, v4
	s_or_b64 s[20:21], s[6:7], s[20:21]
	v_add_u32_e32 v1, s36, v1
	s_andn2_b64 exec, exec, s[20:21]
	s_cbranch_execz .LBB470_22
.LBB470_17:                             ; =>This Inner Loop Header: Depth=1
	s_and_saveexec_b64 s[6:7], vcc
	s_cbranch_execz .LBB470_16
; %bb.18:                               ;   in Loop: Header=BB470_17 Depth=1
	v_add_u32_e32 v6, s38, v24
	v_ashrrev_i32_e32 v7, 31, v6
	v_add_u32_e32 v8, s38, v5
	v_add_u32_e32 v10, s38, v22
	v_add_u32_e32 v12, s38, v23
	v_lshl_add_u64 v[6:7], v[6:7], 1, s[16:17]
	v_ashrrev_i32_e32 v9, 31, v8
	v_ashrrev_i32_e32 v11, 31, v10
	;; [unrolled: 1-line block ×3, first 2 shown]
	v_lshl_add_u64 v[8:9], v[8:9], 1, s[16:17]
	v_lshl_add_u64 v[10:11], v[10:11], 1, s[16:17]
	;; [unrolled: 1-line block ×3, first 2 shown]
	global_load_ushort v25, v[6:7], off
	global_load_ushort v26, v[8:9], off
	;; [unrolled: 1-line block ×4, first 2 shown]
	v_add_u32_e32 v6, s31, v1
	v_ashrrev_i32_e32 v7, 31, v6
	v_add_u32_e32 v8, s31, v21
	v_add_u32_e32 v10, s31, v0
	;; [unrolled: 1-line block ×3, first 2 shown]
	v_lshl_add_u64 v[6:7], v[6:7], 1, s[14:15]
	v_ashrrev_i32_e32 v9, 31, v8
	v_ashrrev_i32_e32 v11, 31, v10
	;; [unrolled: 1-line block ×3, first 2 shown]
	v_lshl_add_u64 v[8:9], v[8:9], 1, s[14:15]
	v_lshl_add_u64 v[10:11], v[10:11], 1, s[14:15]
	v_lshl_add_u64 v[12:13], v[12:13], 1, s[14:15]
	global_load_ushort v29, v[6:7], off
	global_load_ushort v30, v[8:9], off
	;; [unrolled: 1-line block ×4, first 2 shown]
	s_and_saveexec_b64 s[22:23], s[0:1]
	s_cbranch_execz .LBB470_15
; %bb.19:                               ;   in Loop: Header=BB470_17 Depth=1
	global_load_ushort v33, v[6:7], off offset:128
	global_load_ushort v34, v[8:9], off offset:128
	;; [unrolled: 1-line block ×4, first 2 shown]
	s_waitcnt vmcnt(11)
	v_cvt_f32_f16_e32 v37, v25
	s_waitcnt vmcnt(10)
	v_cvt_f32_f16_e32 v38, v26
	;; [unrolled: 2-line block ×4, first 2 shown]
	s_and_saveexec_b64 s[24:25], s[2:3]
	s_cbranch_execz .LBB470_14
; %bb.20:                               ;   in Loop: Header=BB470_17 Depth=1
	global_load_ushort v41, v[6:7], off offset:256
	global_load_ushort v42, v[8:9], off offset:256
	global_load_ushort v43, v[10:11], off offset:256
	global_load_ushort v44, v[12:13], off offset:256
	s_and_saveexec_b64 s[26:27], s[4:5]
	s_cbranch_execz .LBB470_13
; %bb.21:                               ;   in Loop: Header=BB470_17 Depth=1
	global_load_ushort v45, v[6:7], off offset:384
	global_load_ushort v46, v[8:9], off offset:384
	;; [unrolled: 1-line block ×4, first 2 shown]
	s_waitcnt vmcnt(3)
	v_fma_mix_f32 v6, v37, v45, v15 op_sel_hi:[0,1,0]
	s_waitcnt vmcnt(2)
	v_fma_mix_f32 v6, v38, v46, v6 op_sel_hi:[0,1,0]
	;; [unrolled: 2-line block ×4, first 2 shown]
	s_branch .LBB470_13
.LBB470_22:
	s_or_b64 exec, exec, s[20:21]
.LBB470_23:
	s_or_b64 exec, exec, s[18:19]
	s_sub_i32 s0, s13, s35
	s_cmp_lt_i32 s0, 1
	s_cbranch_scc1 .LBB470_41
; %bb.24:
	v_cmp_gt_i32_e32 vcc, s13, v20
	v_mov_b32_e32 v10, 0
	v_or_b32_e32 v4, 1, v20
	v_mov_b32_e32 v11, 0
	v_mov_b32_e32 v12, 0
	v_mov_b32_e32 v13, 0
	s_and_saveexec_b64 s[2:3], vcc
	s_cbranch_execz .LBB470_32
; %bb.25:
	v_mul_lo_u32 v0, v20, s34
	v_ashrrev_i32_e32 v1, 31, v0
	v_lshl_add_u64 v[0:1], v[0:1], 1, s[16:17]
	global_load_ushort v0, v[0:1], off
	v_cmp_gt_i32_e64 s[0:1], s13, v4
	v_mov_b32_e32 v12, 0
	v_mov_b32_e32 v11, 0
	;; [unrolled: 1-line block ×3, first 2 shown]
	s_and_saveexec_b64 s[4:5], s[0:1]
	s_cbranch_execz .LBB470_31
; %bb.26:
	v_mul_lo_u32 v6, v4, s34
	v_ashrrev_i32_e32 v7, 31, v6
	v_lshl_add_u64 v[6:7], v[6:7], 1, s[16:17]
	global_load_ushort v1, v[6:7], off
	v_or_b32_e32 v5, 2, v20
	v_cmp_gt_i32_e64 s[0:1], s13, v5
	v_mov_b32_e32 v11, 0
	v_mov_b32_e32 v10, 0
	s_and_saveexec_b64 s[6:7], s[0:1]
	s_cbranch_execz .LBB470_30
; %bb.27:
	v_mul_lo_u32 v6, v5, s34
	v_ashrrev_i32_e32 v7, 31, v6
	v_lshl_add_u64 v[6:7], v[6:7], 1, s[16:17]
	global_load_ushort v5, v[6:7], off
	v_or_b32_e32 v6, 3, v20
	v_cmp_gt_i32_e64 s[0:1], s13, v6
	v_mov_b32_e32 v10, 0
	s_and_saveexec_b64 s[18:19], s[0:1]
	s_cbranch_execz .LBB470_29
; %bb.28:
	v_mul_lo_u32 v6, v6, s34
	v_ashrrev_i32_e32 v7, 31, v6
	v_lshl_add_u64 v[6:7], v[6:7], 1, s[16:17]
	global_load_ushort v6, v[6:7], off
	s_waitcnt vmcnt(0)
	v_cvt_f32_f16_e32 v10, v6
.LBB470_29:
	s_or_b64 exec, exec, s[18:19]
	s_waitcnt vmcnt(0)
	v_cvt_f32_f16_e32 v11, v5
.LBB470_30:
	s_or_b64 exec, exec, s[6:7]
	s_waitcnt vmcnt(0)
	v_cvt_f32_f16_e32 v12, v1
.LBB470_31:
	s_or_b64 exec, exec, s[4:5]
	s_waitcnt vmcnt(0)
	v_cvt_f32_f16_e32 v13, v0
.LBB470_32:
	s_or_b64 exec, exec, s[2:3]
	v_cmp_gt_i32_e64 s[0:1], s12, v16
	s_and_saveexec_b64 s[2:3], s[0:1]
	s_cbranch_execz .LBB470_40
; %bb.33:
	v_mul_lo_u32 v0, v20, s33
	v_cndmask_b32_e32 v0, 0, v0, vcc
	v_mul_lo_u32 v5, v4, s33
	v_cmp_gt_i32_e32 vcc, s13, v4
	v_or_b32_e32 v6, 2, v20
	v_mul_lo_u32 v7, v6, s33
	v_cndmask_b32_e32 v4, 0, v5, vcc
	v_cmp_gt_i32_e32 vcc, s13, v6
	v_or_b32_e32 v8, 3, v20
	v_mul_lo_u32 v9, v8, s33
	v_cndmask_b32_e32 v6, 0, v7, vcc
	v_cmp_gt_i32_e32 vcc, s13, v8
	v_add_u32_e32 v0, v0, v16
	v_ashrrev_i32_e32 v1, 31, v0
	v_cndmask_b32_e32 v8, 0, v9, vcc
	v_add_u32_e32 v4, v4, v16
	v_add_u32_e32 v6, v6, v16
	;; [unrolled: 1-line block ×3, first 2 shown]
	v_lshl_add_u64 v[0:1], v[0:1], 1, s[14:15]
	v_ashrrev_i32_e32 v5, 31, v4
	v_ashrrev_i32_e32 v7, 31, v6
	;; [unrolled: 1-line block ×3, first 2 shown]
	v_lshl_add_u64 v[4:5], v[4:5], 1, s[14:15]
	v_lshl_add_u64 v[6:7], v[6:7], 1, s[14:15]
	global_load_ushort v21, v[0:1], off
	global_load_ushort v22, v[4:5], off
	;; [unrolled: 1-line block ×3, first 2 shown]
	v_lshl_add_u64 v[8:9], v[8:9], 1, s[14:15]
	global_load_ushort v20, v[8:9], off
	v_add_u32_e32 v24, 64, v16
	v_cmp_gt_i32_e32 vcc, s12, v24
	s_waitcnt vmcnt(3)
	v_fma_mix_f32 v19, v13, v21, v19 op_sel_hi:[0,1,0]
	s_waitcnt vmcnt(2)
	v_fma_mix_f32 v19, v12, v22, v19 op_sel_hi:[0,1,0]
	s_waitcnt vmcnt(1)
	v_fma_mix_f32 v19, v11, v23, v19 op_sel_hi:[0,1,0]
	s_and_saveexec_b64 s[0:1], vcc
	s_cbranch_execz .LBB470_39
; %bb.34:
	global_load_ushort v22, v[0:1], off offset:128
	global_load_ushort v23, v[4:5], off offset:128
	global_load_ushort v24, v[6:7], off offset:128
	global_load_ushort v21, v[8:9], off offset:128
	v_add_u32_e32 v25, 0x80, v16
	v_cmp_gt_i32_e32 vcc, s12, v25
	s_waitcnt vmcnt(3)
	v_fma_mix_f32 v18, v13, v22, v18 op_sel_hi:[0,1,0]
	s_waitcnt vmcnt(2)
	v_fma_mix_f32 v18, v12, v23, v18 op_sel_hi:[0,1,0]
	s_waitcnt vmcnt(1)
	v_fma_mix_f32 v18, v11, v24, v18 op_sel_hi:[0,1,0]
	s_and_saveexec_b64 s[4:5], vcc
	s_cbranch_execz .LBB470_38
; %bb.35:
	global_load_ushort v23, v[0:1], off offset:256
	global_load_ushort v24, v[4:5], off offset:256
	global_load_ushort v25, v[6:7], off offset:256
	global_load_ushort v22, v[8:9], off offset:256
	;; [unrolled: 15-line block ×3, first 2 shown]
	s_waitcnt vmcnt(3)
	v_fma_mix_f32 v0, v13, v17, v15 op_sel_hi:[0,1,0]
	s_waitcnt vmcnt(2)
	v_fma_mix_f32 v0, v12, v23, v0 op_sel_hi:[0,1,0]
	;; [unrolled: 2-line block ×4, first 2 shown]
.LBB470_37:
	s_or_b64 exec, exec, s[6:7]
	s_waitcnt vmcnt(0)
	v_fma_mix_f32 v17, v10, v22, v16 op_sel_hi:[0,1,0]
.LBB470_38:
	s_or_b64 exec, exec, s[4:5]
	s_waitcnt vmcnt(0)
	v_fma_mix_f32 v18, v10, v21, v18 op_sel_hi:[0,1,0]
.LBB470_39:
	s_or_b64 exec, exec, s[0:1]
	s_waitcnt vmcnt(0)
	v_fma_mix_f32 v19, v10, v20, v19 op_sel_hi:[0,1,0]
.LBB470_40:
	s_or_b64 exec, exec, s[2:3]
.LBB470_41:
	v_lshlrev_b32_e32 v0, 8, v14
	s_movk_i32 s0, 0x100
	v_add_lshl_u32 v0, v0, v2, 2
	v_cmp_gt_u32_e32 vcc, s0, v3
	ds_write2st64_b32 v0, v19, v18 offset1:1
	ds_write2st64_b32 v0, v17, v15 offset0:2 offset1:3
	s_waitcnt lgkmcnt(0)
	s_barrier
	s_waitcnt lgkmcnt(0)
                                        ; implicit-def: $vgpr1
                                        ; implicit-def: $vgpr4_vgpr5
	s_and_saveexec_b64 s[0:1], vcc
	s_cbranch_execz .LBB470_47
; %bb.42:
	v_lshlrev_b32_e32 v1, 2, v3
	ds_read2st64_b32 v[4:5], v1 offset1:4
	ds_read2st64_b32 v[6:7], v1 offset0:8 offset1:12
	v_or_b32_e32 v0, s31, v3
	v_cmp_gt_i32_e32 vcc, s12, v0
	s_mov_b64 s[4:5], s[10:11]
	s_waitcnt lgkmcnt(1)
	v_add_f32_e32 v2, v4, v5
	s_waitcnt lgkmcnt(0)
	v_add_f32_e32 v2, v6, v2
	v_add_f32_e32 v2, v7, v2
	ds_write_b32 v1, v2
                                        ; implicit-def: $vgpr1
                                        ; implicit-def: $vgpr4_vgpr5
	s_and_saveexec_b64 s[2:3], vcc
	s_cbranch_execz .LBB470_46
; %bb.43:
	v_cmp_eq_f32_e64 s[4:5], s28, 0
	v_mul_lo_u32 v4, v0, s30
	v_mul_f32_e32 v1, s29, v2
	v_ashrrev_i32_e32 v5, 31, v4
	s_and_b64 vcc, exec, s[4:5]
	s_cbranch_vccnz .LBB470_45
; %bb.44:
	v_lshl_add_u64 v[2:3], v[4:5], 2, s[8:9]
	global_load_dword v0, v[2:3], off
	s_waitcnt vmcnt(0)
	v_fmac_f32_e32 v1, s28, v0
.LBB470_45:
	s_or_b64 s[4:5], s[10:11], exec
.LBB470_46:
	s_or_b64 exec, exec, s[2:3]
	s_andn2_b64 s[2:3], s[10:11], exec
	s_and_b64 s[4:5], s[4:5], exec
	s_or_b64 s[10:11], s[2:3], s[4:5]
.LBB470_47:
	s_or_b64 exec, exec, s[0:1]
.LBB470_48:
	s_and_saveexec_b64 s[0:1], s[10:11]
	s_cbranch_execz .LBB470_50
; %bb.49:
	v_lshl_add_u64 v[2:3], v[4:5], 2, s[8:9]
	global_store_dword v[2:3], v1, off
.LBB470_50:
	s_endpgm
	.section	.rodata,"a",@progbits
	.p2align	6, 0x0
	.amdhsa_kernel _ZL20rocblas_gemvn_kernelILi64ELi4EiDF16_PKffEviiT3_lPKT2_lT1_lS5_lS6_lS2_lPT4_lS6_li
		.amdhsa_group_segment_fixed_size 4096
		.amdhsa_private_segment_fixed_size 0
		.amdhsa_kernarg_size 400
		.amdhsa_user_sgpr_count 2
		.amdhsa_user_sgpr_dispatch_ptr 0
		.amdhsa_user_sgpr_queue_ptr 0
		.amdhsa_user_sgpr_kernarg_segment_ptr 1
		.amdhsa_user_sgpr_dispatch_id 0
		.amdhsa_user_sgpr_kernarg_preload_length 0
		.amdhsa_user_sgpr_kernarg_preload_offset 0
		.amdhsa_user_sgpr_private_segment_size 0
		.amdhsa_uses_dynamic_stack 0
		.amdhsa_enable_private_segment 0
		.amdhsa_system_sgpr_workgroup_id_x 1
		.amdhsa_system_sgpr_workgroup_id_y 0
		.amdhsa_system_sgpr_workgroup_id_z 1
		.amdhsa_system_sgpr_workgroup_info 0
		.amdhsa_system_vgpr_workitem_id 1
		.amdhsa_next_free_vgpr 49
		.amdhsa_next_free_sgpr 39
		.amdhsa_accum_offset 52
		.amdhsa_reserve_vcc 1
		.amdhsa_float_round_mode_32 0
		.amdhsa_float_round_mode_16_64 0
		.amdhsa_float_denorm_mode_32 3
		.amdhsa_float_denorm_mode_16_64 3
		.amdhsa_dx10_clamp 1
		.amdhsa_ieee_mode 1
		.amdhsa_fp16_overflow 0
		.amdhsa_tg_split 0
		.amdhsa_exception_fp_ieee_invalid_op 0
		.amdhsa_exception_fp_denorm_src 0
		.amdhsa_exception_fp_ieee_div_zero 0
		.amdhsa_exception_fp_ieee_overflow 0
		.amdhsa_exception_fp_ieee_underflow 0
		.amdhsa_exception_fp_ieee_inexact 0
		.amdhsa_exception_int_div_zero 0
	.end_amdhsa_kernel
	.section	.text._ZL20rocblas_gemvn_kernelILi64ELi4EiDF16_PKffEviiT3_lPKT2_lT1_lS5_lS6_lS2_lPT4_lS6_li,"axG",@progbits,_ZL20rocblas_gemvn_kernelILi64ELi4EiDF16_PKffEviiT3_lPKT2_lT1_lS5_lS6_lS2_lPT4_lS6_li,comdat
.Lfunc_end470:
	.size	_ZL20rocblas_gemvn_kernelILi64ELi4EiDF16_PKffEviiT3_lPKT2_lT1_lS5_lS6_lS2_lPT4_lS6_li, .Lfunc_end470-_ZL20rocblas_gemvn_kernelILi64ELi4EiDF16_PKffEviiT3_lPKT2_lT1_lS5_lS6_lS2_lPT4_lS6_li
                                        ; -- End function
	.section	.AMDGPU.csdata,"",@progbits
; Kernel info:
; codeLenInByte = 2492
; NumSgprs: 45
; NumVgprs: 49
; NumAgprs: 0
; TotalNumVgprs: 49
; ScratchSize: 0
; MemoryBound: 0
; FloatMode: 240
; IeeeMode: 1
; LDSByteSize: 4096 bytes/workgroup (compile time only)
; SGPRBlocks: 5
; VGPRBlocks: 6
; NumSGPRsForWavesPerEU: 45
; NumVGPRsForWavesPerEU: 49
; AccumOffset: 52
; Occupancy: 8
; WaveLimiterHint : 1
; COMPUTE_PGM_RSRC2:SCRATCH_EN: 0
; COMPUTE_PGM_RSRC2:USER_SGPR: 2
; COMPUTE_PGM_RSRC2:TRAP_HANDLER: 0
; COMPUTE_PGM_RSRC2:TGID_X_EN: 1
; COMPUTE_PGM_RSRC2:TGID_Y_EN: 0
; COMPUTE_PGM_RSRC2:TGID_Z_EN: 1
; COMPUTE_PGM_RSRC2:TIDIG_COMP_CNT: 1
; COMPUTE_PGM_RSRC3_GFX90A:ACCUM_OFFSET: 12
; COMPUTE_PGM_RSRC3_GFX90A:TG_SPLIT: 0
	.section	.text._ZL20rocblas_gemvn_kernelILi64ELi4ElDF16_PKffEviiT3_lPKT2_lT1_lS5_lS6_lS2_lPT4_lS6_li,"axG",@progbits,_ZL20rocblas_gemvn_kernelILi64ELi4ElDF16_PKffEviiT3_lPKT2_lT1_lS5_lS6_lS2_lPT4_lS6_li,comdat
	.globl	_ZL20rocblas_gemvn_kernelILi64ELi4ElDF16_PKffEviiT3_lPKT2_lT1_lS5_lS6_lS2_lPT4_lS6_li ; -- Begin function _ZL20rocblas_gemvn_kernelILi64ELi4ElDF16_PKffEviiT3_lPKT2_lT1_lS5_lS6_lS2_lPT4_lS6_li
	.p2align	8
	.type	_ZL20rocblas_gemvn_kernelILi64ELi4ElDF16_PKffEviiT3_lPKT2_lT1_lS5_lS6_lS2_lPT4_lS6_li,@function
_ZL20rocblas_gemvn_kernelILi64ELi4ElDF16_PKffEviiT3_lPKT2_lT1_lS5_lS6_lS2_lPT4_lS6_li: ; @_ZL20rocblas_gemvn_kernelILi64ELi4ElDF16_PKffEviiT3_lPKT2_lT1_lS5_lS6_lS2_lPT4_lS6_li
; %bb.0:
	s_load_dwordx2 s[4:5], s[0:1], 0x9c
	s_waitcnt lgkmcnt(0)
	s_lshr_b32 s6, s4, 16
	s_and_b32 s4, s4, 0xffff
	s_and_b32 s5, s5, 0xffff
	s_mul_i32 s4, s6, s4
	s_mul_i32 s4, s4, s5
	s_cmpk_lg_i32 s4, 0x100
	s_cbranch_scc1 .LBB471_50
; %bb.1:
	s_load_dwordx16 s[36:51], s[0:1], 0x8
	s_load_dwordx16 s[8:23], s[0:1], 0x48
	s_waitcnt lgkmcnt(0)
	s_mul_i32 s5, s3, s39
	s_mul_hi_u32 s6, s3, s38
	s_mul_i32 s4, s3, s38
	s_add_i32 s5, s6, s5
	s_lshl_b64 s[4:5], s[4:5], 2
	s_add_u32 s4, s36, s4
	s_addc_u32 s5, s37, s5
	s_mul_i32 s7, s3, s15
	s_load_dword s52, s[4:5], 0x0
	s_mul_hi_u32 s4, s3, s14
	s_add_i32 s5, s4, s7
	s_mul_i32 s4, s3, s14
	s_lshl_b64 s[4:5], s[4:5], 2
	s_add_u32 s4, s12, s4
	s_addc_u32 s5, s13, s5
	s_load_dword s33, s[4:5], 0x0
	s_waitcnt lgkmcnt(0)
	v_cmp_eq_f32_e64 s[4:5], s52, 0
	v_cmp_eq_f32_e64 s[6:7], s33, 1.0
	s_and_b64 s[4:5], s[4:5], s[6:7]
	s_and_b64 vcc, exec, s[4:5]
	s_cbranch_vccnz .LBB471_50
; %bb.2:
	s_load_dwordx2 s[14:15], s[0:1], 0x0
	s_mul_i32 s0, s3, s23
	s_mul_hi_u32 s1, s3, s22
	s_add_i32 s1, s1, s0
	s_mul_i32 s0, s3, s22
	s_lshl_b64 s[0:1], s[0:1], 2
	s_add_u32 s4, s16, s0
	s_addc_u32 s5, s17, s1
	s_lshl_b64 s[0:1], s[18:19], 2
	s_add_u32 s12, s4, s0
	s_addc_u32 s13, s5, s1
	v_and_b32_e32 v29, 0x3ff, v0
	v_bfe_u32 v30, v0, 10, 10
	v_cmp_neq_f32_e64 s[0:1], s52, 0
	v_lshl_add_u32 v28, v30, 6, v29
	s_and_b64 vcc, exec, s[0:1]
	s_cbranch_vccnz .LBB471_9
; %bb.3:
	s_movk_i32 s0, 0x100
	v_cmp_gt_u32_e32 vcc, s0, v28
	s_mov_b64 s[0:1], 0
	s_mov_b64 s[16:17], 0
                                        ; implicit-def: $vgpr1
                                        ; implicit-def: $vgpr2_vgpr3
	s_and_saveexec_b64 s[4:5], vcc
	s_cbranch_execz .LBB471_10
; %bb.4:
	v_lshl_or_b32 v0, s2, 8, v28
	v_mov_b32_e32 v1, 0
	s_waitcnt lgkmcnt(0)
	s_ashr_i32 s7, s14, 31
	s_mov_b32 s6, s14
	v_cmp_gt_i64_e32 vcc, s[6:7], v[0:1]
                                        ; implicit-def: $vgpr2_vgpr3
	s_and_saveexec_b64 s[6:7], vcc
	s_cbranch_execz .LBB471_8
; %bb.5:
	v_mad_u64_u32 v[2:3], s[18:19], v0, s20, 0
	v_mov_b32_e32 v4, v3
	v_cmp_eq_f32_e64 s[16:17], s33, 0
	v_mad_u64_u32 v[4:5], s[18:19], v0, s21, v[4:5]
	v_mov_b32_e32 v3, v4
	s_and_b64 vcc, exec, s[16:17]
	s_cbranch_vccnz .LBB471_7
; %bb.6:
	v_lshl_add_u64 v[0:1], v[2:3], 2, s[12:13]
	global_load_dword v0, v[0:1], off
	s_waitcnt vmcnt(0)
	v_mul_f32_e32 v1, s33, v0
.LBB471_7:
	s_mov_b64 s[16:17], exec
.LBB471_8:
	s_or_b64 exec, exec, s[6:7]
	s_and_b64 s[16:17], s[16:17], exec
	s_or_b64 exec, exec, s[4:5]
	s_and_b64 vcc, exec, s[0:1]
	s_cbranch_vccnz .LBB471_11
	s_branch .LBB471_48
.LBB471_9:
	s_mov_b64 s[16:17], 0
                                        ; implicit-def: $vgpr1
                                        ; implicit-def: $vgpr2_vgpr3
	s_cbranch_execnz .LBB471_11
	s_branch .LBB471_48
.LBB471_10:
	s_or_b64 exec, exec, s[4:5]
	s_and_b64 vcc, exec, s[0:1]
	s_cbranch_vccz .LBB471_48
.LBB471_11:
	s_mul_i32 s0, s3, s47
	s_mul_hi_u32 s1, s3, s46
	s_add_i32 s19, s1, s0
	s_mul_i32 s0, s3, s11
	s_mul_hi_u32 s1, s3, s10
	s_add_i32 s11, s1, s0
	s_waitcnt lgkmcnt(0)
	s_ashr_i32 s0, s15, 31
	s_lshr_b32 s0, s0, 28
	s_add_i32 s0, s15, s0
	s_mul_i32 s18, s3, s46
	s_lshl_b32 s46, s2, 8
	s_and_b32 s47, s0, -16
	v_lshlrev_b32_e32 v33, 2, v30
	s_mul_i32 s10, s3, s10
	v_add_u32_e32 v0, s46, v29
	v_cmp_gt_i32_e32 vcc, s47, v33
	v_mov_b32_e32 v35, 0
	v_mov_b32_e32 v34, 0
	;; [unrolled: 1-line block ×4, first 2 shown]
	s_and_saveexec_b64 s[22:23], vcc
	s_cbranch_execz .LBB471_23
; %bb.12:
	v_add_u32_e32 v2, 64, v0
	v_cmp_gt_i32_e64 s[0:1], s14, v2
	v_add_u32_e32 v2, 0x80, v0
	v_cmp_gt_i32_e64 s[2:3], s14, v2
	v_add_u32_e32 v2, 0xc0, v0
	v_cmp_gt_i32_e64 s[4:5], s14, v2
	v_mad_u64_u32 v[2:3], s[6:7], s8, v30, 0
	v_mov_b32_e32 v4, v3
	v_ashrrev_i32_e32 v1, 31, v0
	v_mad_u64_u32 v[4:5], s[6:7], s9, v30, v[4:5]
	v_mov_b32_e32 v3, v4
	v_lshlrev_b64 v[4:5], 1, v[0:1]
	v_lshlrev_b32_e32 v1, 2, v30
	v_or_b32_e32 v11, 3, v1
	v_mad_u64_u32 v[6:7], s[28:29], s44, v11, 0
	v_mov_b32_e32 v8, v7
	v_mad_u64_u32 v[8:9], s[28:29], s45, v11, v[8:9]
	v_mov_b32_e32 v7, v8
	v_mad_u64_u32 v[8:9], s[34:35], s8, v11, 0
	v_mov_b32_e32 v10, v9
	v_mad_u64_u32 v[10:11], s[34:35], s9, v11, v[10:11]
	v_mov_b32_e32 v9, v10
	v_mad_u64_u32 v[10:11], s[34:35], s44, v30, 0
	v_mov_b32_e32 v12, v11
	v_mad_u64_u32 v[12:13], s[34:35], s45, v30, v[12:13]
	v_or_b32_e32 v17, 2, v1
	v_mov_b32_e32 v11, v12
	v_mad_u64_u32 v[12:13], s[34:35], s44, v17, 0
	v_mov_b32_e32 v14, v13
	v_mad_u64_u32 v[14:15], s[34:35], s45, v17, v[14:15]
	;; [unrolled: 2-line block ×4, first 2 shown]
	v_mov_b32_e32 v15, v16
	v_mov_b64_e32 v[16:17], s[8:9]
	v_mad_u64_u32 v[16:17], s[34:35], s8, v1, v[16:17]
	s_lshl_b64 s[24:25], s[50:51], 1
	s_lshl_b64 s[6:7], s[10:11], 1
	v_mov_b32_e32 v18, v17
	s_add_u32 s6, s48, s6
	v_mad_u64_u32 v[18:19], s[34:35], s9, v1, v[18:19]
	s_addc_u32 s7, s49, s7
	s_lshl_b64 s[26:27], s[8:9], 5
	s_lshl_b64 s[28:29], s[18:19], 1
	;; [unrolled: 1-line block ×3, first 2 shown]
	v_mov_b32_e32 v17, v18
	v_mov_b64_e32 v[18:19], s[44:45]
	v_lshl_add_u64 v[2:3], v[2:3], 3, s[6:7]
	s_add_u32 s30, s40, s30
	v_lshl_add_u64 v[8:9], v[8:9], 1, s[6:7]
	v_lshl_add_u64 v[14:15], v[14:15], 1, s[6:7]
	;; [unrolled: 1-line block ×3, first 2 shown]
	v_mad_u64_u32 v[18:19], s[6:7], s44, v1, v[18:19]
	s_addc_u32 s31, s41, s31
	v_mov_b32_e32 v20, v19
	s_add_u32 s30, s30, s28
	v_mad_u64_u32 v[20:21], s[6:7], s45, v1, v[20:21]
	s_addc_u32 s31, s31, s29
	v_mov_b32_e32 v19, v20
	v_cmp_gt_i32_e32 vcc, s14, v0
	v_lshl_add_u64 v[6:7], v[6:7], 1, s[30:31]
	s_lshl_b64 s[28:29], s[44:45], 5
	v_lshl_add_u64 v[10:11], v[10:11], 3, s[30:31]
	v_lshl_add_u64 v[12:13], v[12:13], 1, s[30:31]
	;; [unrolled: 1-line block ×3, first 2 shown]
	s_mov_b64 s[30:31], 0
	v_mov_b32_e32 v35, 0
	v_mov_b32_e32 v34, 0
	;; [unrolled: 1-line block ×4, first 2 shown]
	s_branch .LBB471_17
.LBB471_13:                             ;   in Loop: Header=BB471_17 Depth=1
	s_or_b64 exec, exec, s[38:39]
	s_waitcnt vmcnt(3)
	v_fma_mix_f32 v20, v47, v51, v32 op_sel_hi:[0,1,0]
	s_waitcnt vmcnt(2)
	v_fma_mix_f32 v20, v48, v52, v20 op_sel_hi:[0,1,0]
	s_waitcnt vmcnt(1)
	v_fma_mix_f32 v20, v49, v53, v20 op_sel_hi:[0,1,0]
	s_waitcnt vmcnt(0)
	v_fma_mix_f32 v32, v50, v54, v20 op_sel_hi:[0,1,0]
.LBB471_14:                             ;   in Loop: Header=BB471_17 Depth=1
	s_or_b64 exec, exec, s[36:37]
	s_waitcnt vmcnt(3)
	v_fma_mix_f32 v20, v47, v43, v34 op_sel_hi:[0,1,0]
	s_waitcnt vmcnt(2)
	v_fma_mix_f32 v20, v48, v44, v20 op_sel_hi:[0,1,0]
	;; [unrolled: 2-line block ×4, first 2 shown]
.LBB471_15:                             ;   in Loop: Header=BB471_17 Depth=1
	s_or_b64 exec, exec, s[34:35]
	s_waitcnt vmcnt(3)
	v_fma_mix_f32 v1, v1, v39, v35 op_sel_hi:[1,1,0]
	s_waitcnt vmcnt(2)
	v_fma_mix_f32 v1, v36, v40, v1 op_sel_hi:[1,1,0]
	;; [unrolled: 2-line block ×4, first 2 shown]
.LBB471_16:                             ;   in Loop: Header=BB471_17 Depth=1
	s_or_b64 exec, exec, s[6:7]
	v_add_u32_e32 v33, 16, v33
	v_cmp_le_i32_e64 s[6:7], s47, v33
	v_lshl_add_u64 v[2:3], v[2:3], 0, s[26:27]
	v_lshl_add_u64 v[6:7], v[6:7], 0, s[28:29]
	;; [unrolled: 1-line block ×7, first 2 shown]
	s_or_b64 s[30:31], s[6:7], s[30:31]
	v_lshl_add_u64 v[18:19], v[18:19], 0, s[28:29]
	s_andn2_b64 exec, exec, s[30:31]
	s_cbranch_execz .LBB471_22
.LBB471_17:                             ; =>This Inner Loop Header: Depth=1
	s_and_saveexec_b64 s[6:7], vcc
	s_cbranch_execz .LBB471_16
; %bb.18:                               ;   in Loop: Header=BB471_17 Depth=1
	v_lshl_add_u64 v[20:21], v[2:3], 0, s[24:25]
	global_load_ushort v1, v[20:21], off
	v_lshl_add_u64 v[20:21], v[16:17], 0, s[24:25]
	global_load_ushort v36, v[20:21], off
	;; [unrolled: 2-line block ×4, first 2 shown]
	v_lshl_add_u64 v[20:21], v[10:11], 0, v[4:5]
	v_lshl_add_u64 v[22:23], v[18:19], 0, v[4:5]
	;; [unrolled: 1-line block ×4, first 2 shown]
	global_load_ushort v39, v[20:21], off
	global_load_ushort v40, v[22:23], off
	;; [unrolled: 1-line block ×4, first 2 shown]
	s_and_saveexec_b64 s[34:35], s[0:1]
	s_cbranch_execz .LBB471_15
; %bb.19:                               ;   in Loop: Header=BB471_17 Depth=1
	global_load_ushort v43, v[20:21], off offset:128
	global_load_ushort v44, v[22:23], off offset:128
	;; [unrolled: 1-line block ×4, first 2 shown]
	s_waitcnt vmcnt(11)
	v_cvt_f32_f16_e32 v47, v1
	s_waitcnt vmcnt(10)
	v_cvt_f32_f16_e32 v48, v36
	;; [unrolled: 2-line block ×4, first 2 shown]
	s_and_saveexec_b64 s[36:37], s[2:3]
	s_cbranch_execz .LBB471_14
; %bb.20:                               ;   in Loop: Header=BB471_17 Depth=1
	global_load_ushort v51, v[20:21], off offset:256
	global_load_ushort v52, v[22:23], off offset:256
	;; [unrolled: 1-line block ×4, first 2 shown]
	s_and_saveexec_b64 s[38:39], s[4:5]
	s_cbranch_execz .LBB471_13
; %bb.21:                               ;   in Loop: Header=BB471_17 Depth=1
	global_load_ushort v20, v[20:21], off offset:384
	s_nop 0
	global_load_ushort v21, v[22:23], off offset:384
	s_nop 0
	global_load_ushort v22, v[24:25], off offset:384
	global_load_ushort v23, v[26:27], off offset:384
	s_waitcnt vmcnt(3)
	v_fma_mix_f32 v20, v47, v20, v31 op_sel_hi:[0,1,0]
	s_waitcnt vmcnt(2)
	v_fma_mix_f32 v20, v48, v21, v20 op_sel_hi:[0,1,0]
	;; [unrolled: 2-line block ×4, first 2 shown]
	s_branch .LBB471_13
.LBB471_22:
	s_or_b64 exec, exec, s[30:31]
.LBB471_23:
	s_or_b64 exec, exec, s[22:23]
	s_sub_i32 s0, s15, s47
	s_cmp_lt_i32 s0, 1
	s_cbranch_scc1 .LBB471_41
; %bb.24:
	v_cmp_gt_i32_e32 vcc, s15, v33
	v_mov_b32_e32 v10, 0
	v_or_b32_e32 v4, 1, v33
	v_mov_b32_e32 v11, 0
	v_mov_b32_e32 v12, 0
	;; [unrolled: 1-line block ×3, first 2 shown]
	s_and_saveexec_b64 s[2:3], vcc
	s_cbranch_execz .LBB471_32
; %bb.25:
	s_lshl_b64 s[0:1], s[10:11], 1
	s_add_u32 s4, s48, s0
	s_addc_u32 s5, s49, s1
	s_lshl_b64 s[0:1], s[50:51], 1
	s_add_u32 s6, s4, s0
	s_addc_u32 s7, s5, s1
	v_mad_u64_u32 v[2:3], s[0:1], v33, s8, 0
	v_mov_b32_e32 v6, v3
	v_mad_u64_u32 v[6:7], s[0:1], v33, s9, v[6:7]
	v_mov_b32_e32 v3, v6
	v_lshl_add_u64 v[2:3], v[2:3], 1, s[6:7]
	global_load_ushort v1, v[2:3], off
	v_cmp_gt_i32_e64 s[0:1], s15, v4
	v_mov_b32_e32 v12, 0
	v_mov_b32_e32 v11, 0
	;; [unrolled: 1-line block ×3, first 2 shown]
	s_and_saveexec_b64 s[4:5], s[0:1]
	s_cbranch_execz .LBB471_31
; %bb.26:
	v_mad_u64_u32 v[2:3], s[0:1], v4, s8, 0
	v_mov_b32_e32 v6, v3
	v_mad_u64_u32 v[6:7], s[0:1], v4, s9, v[6:7]
	v_mov_b32_e32 v3, v6
	v_lshl_add_u64 v[2:3], v[2:3], 1, s[6:7]
	global_load_ushort v2, v[2:3], off
	v_or_b32_e32 v3, 2, v33
	v_cmp_gt_i32_e64 s[0:1], s15, v3
	v_mov_b32_e32 v11, 0
	v_mov_b32_e32 v10, 0
	s_and_saveexec_b64 s[10:11], s[0:1]
	s_cbranch_execz .LBB471_30
; %bb.27:
	v_mad_u64_u32 v[6:7], s[0:1], v3, s8, 0
	v_mov_b32_e32 v8, v7
	v_mad_u64_u32 v[8:9], s[0:1], v3, s9, v[8:9]
	v_mov_b32_e32 v7, v8
	v_lshl_add_u64 v[6:7], v[6:7], 1, s[6:7]
	global_load_ushort v3, v[6:7], off
	v_or_b32_e32 v5, 3, v33
	v_cmp_gt_i32_e64 s[0:1], s15, v5
	v_mov_b32_e32 v10, 0
	s_and_saveexec_b64 s[22:23], s[0:1]
	s_cbranch_execz .LBB471_29
; %bb.28:
	v_mad_u64_u32 v[6:7], s[0:1], v5, s8, 0
	v_mov_b32_e32 v8, v7
	v_mad_u64_u32 v[8:9], s[0:1], v5, s9, v[8:9]
	v_mov_b32_e32 v7, v8
	v_lshl_add_u64 v[6:7], v[6:7], 1, s[6:7]
	global_load_ushort v5, v[6:7], off
	s_waitcnt vmcnt(0)
	v_cvt_f32_f16_e32 v10, v5
.LBB471_29:
	s_or_b64 exec, exec, s[22:23]
	s_waitcnt vmcnt(0)
	v_cvt_f32_f16_e32 v11, v3
.LBB471_30:
	s_or_b64 exec, exec, s[10:11]
	s_waitcnt vmcnt(0)
	v_cvt_f32_f16_e32 v12, v2
.LBB471_31:
	s_or_b64 exec, exec, s[4:5]
	s_waitcnt vmcnt(0)
	v_cvt_f32_f16_e32 v13, v1
.LBB471_32:
	s_or_b64 exec, exec, s[2:3]
	v_cmp_gt_i32_e64 s[0:1], s14, v0
	s_and_saveexec_b64 s[2:3], s[0:1]
	s_cbranch_execz .LBB471_40
; %bb.33:
	s_lshl_b64 s[0:1], s[18:19], 1
	s_add_u32 s4, s40, s0
	s_addc_u32 s5, s41, s1
	s_lshl_b64 s[0:1], s[42:43], 1
	s_add_u32 s0, s4, s0
	s_addc_u32 s1, s5, s1
	v_mad_u64_u32 v[2:3], s[4:5], v33, s44, 0
	v_mov_b32_e32 v6, v3
	v_mad_u64_u32 v[6:7], s[4:5], v33, s45, v[6:7]
	v_ashrrev_i32_e32 v1, 31, v0
	v_cndmask_b32_e32 v3, 0, v6, vcc
	v_mad_u64_u32 v[6:7], s[4:5], v4, s44, 0
	v_cndmask_b32_e32 v2, 0, v2, vcc
	v_lshlrev_b64 v[8:9], 1, v[0:1]
	v_mov_b32_e32 v14, v7
	v_cmp_gt_i32_e32 vcc, s15, v4
	v_or_b32_e32 v1, 2, v33
	v_mad_u64_u32 v[14:15], s[4:5], v4, s45, v[14:15]
	v_cndmask_b32_e32 v4, 0, v6, vcc
	v_mad_u64_u32 v[6:7], s[4:5], v1, s44, 0
	v_cndmask_b32_e32 v5, 0, v14, vcc
	v_mov_b32_e32 v14, v7
	v_mad_u64_u32 v[14:15], s[4:5], v1, s45, v[14:15]
	v_cmp_gt_i32_e32 vcc, s15, v1
	v_or_b32_e32 v1, 3, v33
	v_lshl_add_u64 v[2:3], v[2:3], 1, s[0:1]
	v_cndmask_b32_e32 v7, 0, v14, vcc
	v_mad_u64_u32 v[14:15], s[4:5], v1, s44, 0
	v_mov_b32_e32 v16, v15
	v_cndmask_b32_e32 v6, 0, v6, vcc
	v_mad_u64_u32 v[16:17], s[4:5], v1, s45, v[16:17]
	v_cmp_gt_i32_e32 vcc, s15, v1
	v_lshl_add_u64 v[2:3], v[2:3], 0, v[8:9]
	v_lshl_add_u64 v[4:5], v[4:5], 1, s[0:1]
	v_cndmask_b32_e32 v14, 0, v14, vcc
	v_cndmask_b32_e32 v15, 0, v16, vcc
	v_lshl_add_u64 v[6:7], v[6:7], 1, s[0:1]
	v_lshl_add_u64 v[14:15], v[14:15], 1, s[0:1]
	;; [unrolled: 1-line block ×4, first 2 shown]
	global_load_ushort v16, v[2:3], off
	global_load_ushort v17, v[4:5], off
	;; [unrolled: 1-line block ×3, first 2 shown]
	v_lshl_add_u64 v[8:9], v[14:15], 0, v[8:9]
	global_load_ushort v1, v[8:9], off
	v_add_u32_e32 v15, 64, v0
	v_cmp_gt_i32_e32 vcc, s14, v15
	s_waitcnt vmcnt(3)
	v_fma_mix_f32 v14, v13, v16, v35 op_sel_hi:[0,1,0]
	s_waitcnt vmcnt(2)
	v_fma_mix_f32 v14, v12, v17, v14 op_sel_hi:[0,1,0]
	s_waitcnt vmcnt(1)
	v_fma_mix_f32 v14, v11, v18, v14 op_sel_hi:[0,1,0]
	s_and_saveexec_b64 s[0:1], vcc
	s_cbranch_execz .LBB471_39
; %bb.34:
	global_load_ushort v16, v[2:3], off offset:128
	global_load_ushort v17, v[4:5], off offset:128
	global_load_ushort v18, v[6:7], off offset:128
	global_load_ushort v15, v[8:9], off offset:128
	v_add_u32_e32 v19, 0x80, v0
	v_cmp_gt_i32_e32 vcc, s14, v19
	s_waitcnt vmcnt(3)
	v_fma_mix_f32 v16, v13, v16, v34 op_sel_hi:[0,1,0]
	s_waitcnt vmcnt(2)
	v_fma_mix_f32 v16, v12, v17, v16 op_sel_hi:[0,1,0]
	s_waitcnt vmcnt(1)
	v_fma_mix_f32 v16, v11, v18, v16 op_sel_hi:[0,1,0]
	s_and_saveexec_b64 s[4:5], vcc
	s_cbranch_execz .LBB471_38
; %bb.35:
	global_load_ushort v18, v[2:3], off offset:256
	global_load_ushort v19, v[4:5], off offset:256
	global_load_ushort v20, v[6:7], off offset:256
	global_load_ushort v17, v[8:9], off offset:256
	v_add_u32_e32 v21, 0xc0, v0
	v_cmp_gt_i32_e32 vcc, s14, v21
	s_waitcnt vmcnt(3)
	v_fma_mix_f32 v0, v13, v18, v32 op_sel_hi:[0,1,0]
	s_waitcnt vmcnt(2)
	v_fma_mix_f32 v0, v12, v19, v0 op_sel_hi:[0,1,0]
	s_waitcnt vmcnt(1)
	v_fma_mix_f32 v0, v11, v20, v0 op_sel_hi:[0,1,0]
	s_and_saveexec_b64 s[6:7], vcc
	s_cbranch_execz .LBB471_37
; %bb.36:
	global_load_ushort v18, v[2:3], off offset:384
	global_load_ushort v19, v[4:5], off offset:384
	global_load_ushort v20, v[6:7], off offset:384
	global_load_ushort v21, v[8:9], off offset:384
	s_waitcnt vmcnt(3)
	v_fma_mix_f32 v2, v13, v18, v31 op_sel_hi:[0,1,0]
	s_waitcnt vmcnt(2)
	v_fma_mix_f32 v2, v12, v19, v2 op_sel_hi:[0,1,0]
	;; [unrolled: 2-line block ×4, first 2 shown]
.LBB471_37:
	s_or_b64 exec, exec, s[6:7]
	s_waitcnt vmcnt(0)
	v_fma_mix_f32 v32, v10, v17, v0 op_sel_hi:[0,1,0]
.LBB471_38:
	s_or_b64 exec, exec, s[4:5]
	s_waitcnt vmcnt(0)
	v_fma_mix_f32 v34, v10, v15, v16 op_sel_hi:[0,1,0]
.LBB471_39:
	s_or_b64 exec, exec, s[0:1]
	s_waitcnt vmcnt(0)
	v_fma_mix_f32 v35, v10, v1, v14 op_sel_hi:[0,1,0]
.LBB471_40:
	s_or_b64 exec, exec, s[2:3]
.LBB471_41:
	v_lshlrev_b32_e32 v0, 8, v30
	s_movk_i32 s0, 0x100
	v_add_lshl_u32 v0, v0, v29, 2
	v_cmp_gt_u32_e32 vcc, s0, v28
	ds_write2st64_b32 v0, v35, v34 offset1:1
	ds_write2st64_b32 v0, v32, v31 offset0:2 offset1:3
	s_waitcnt lgkmcnt(0)
	s_barrier
	s_waitcnt lgkmcnt(0)
                                        ; implicit-def: $vgpr1
                                        ; implicit-def: $vgpr2_vgpr3
	s_and_saveexec_b64 s[0:1], vcc
	s_cbranch_execz .LBB471_47
; %bb.42:
	v_lshlrev_b32_e32 v1, 2, v28
	ds_read2st64_b32 v[2:3], v1 offset1:4
	ds_read2st64_b32 v[4:5], v1 offset0:8 offset1:12
	v_or_b32_e32 v0, s46, v28
	v_cmp_gt_i32_e32 vcc, s14, v0
	s_mov_b64 s[4:5], s[16:17]
	s_waitcnt lgkmcnt(1)
	v_add_f32_e32 v2, v2, v3
	s_waitcnt lgkmcnt(0)
	v_add_f32_e32 v2, v4, v2
	v_add_f32_e32 v4, v5, v2
	ds_write_b32 v1, v4
                                        ; implicit-def: $vgpr1
                                        ; implicit-def: $vgpr2_vgpr3
	s_and_saveexec_b64 s[2:3], vcc
	s_cbranch_execz .LBB471_46
; %bb.43:
	v_ashrrev_i32_e32 v2, 31, v0
	v_cmp_eq_f32_e64 s[4:5], s33, 0
	v_mul_f32_e32 v1, s52, v4
	v_mul_lo_u32 v4, v0, s21
	v_mul_lo_u32 v5, v2, s20
	v_mad_u64_u32 v[2:3], s[6:7], v0, s20, 0
	v_add3_u32 v3, v3, v4, v5
	s_and_b64 vcc, exec, s[4:5]
	s_cbranch_vccnz .LBB471_45
; %bb.44:
	v_lshl_add_u64 v[4:5], v[2:3], 2, s[12:13]
	global_load_dword v0, v[4:5], off
	s_waitcnt vmcnt(0)
	v_fmac_f32_e32 v1, s33, v0
.LBB471_45:
	s_or_b64 s[4:5], s[16:17], exec
.LBB471_46:
	s_or_b64 exec, exec, s[2:3]
	s_andn2_b64 s[2:3], s[16:17], exec
	s_and_b64 s[4:5], s[4:5], exec
	s_or_b64 s[16:17], s[2:3], s[4:5]
.LBB471_47:
	s_or_b64 exec, exec, s[0:1]
.LBB471_48:
	s_and_saveexec_b64 s[0:1], s[16:17]
	s_cbranch_execz .LBB471_50
; %bb.49:
	v_lshl_add_u64 v[2:3], v[2:3], 2, s[12:13]
	global_store_dword v[2:3], v1, off
.LBB471_50:
	s_endpgm
	.section	.rodata,"a",@progbits
	.p2align	6, 0x0
	.amdhsa_kernel _ZL20rocblas_gemvn_kernelILi64ELi4ElDF16_PKffEviiT3_lPKT2_lT1_lS5_lS6_lS2_lPT4_lS6_li
		.amdhsa_group_segment_fixed_size 4096
		.amdhsa_private_segment_fixed_size 0
		.amdhsa_kernarg_size 400
		.amdhsa_user_sgpr_count 2
		.amdhsa_user_sgpr_dispatch_ptr 0
		.amdhsa_user_sgpr_queue_ptr 0
		.amdhsa_user_sgpr_kernarg_segment_ptr 1
		.amdhsa_user_sgpr_dispatch_id 0
		.amdhsa_user_sgpr_kernarg_preload_length 0
		.amdhsa_user_sgpr_kernarg_preload_offset 0
		.amdhsa_user_sgpr_private_segment_size 0
		.amdhsa_uses_dynamic_stack 0
		.amdhsa_enable_private_segment 0
		.amdhsa_system_sgpr_workgroup_id_x 1
		.amdhsa_system_sgpr_workgroup_id_y 0
		.amdhsa_system_sgpr_workgroup_id_z 1
		.amdhsa_system_sgpr_workgroup_info 0
		.amdhsa_system_vgpr_workitem_id 1
		.amdhsa_next_free_vgpr 55
		.amdhsa_next_free_sgpr 53
		.amdhsa_accum_offset 56
		.amdhsa_reserve_vcc 1
		.amdhsa_float_round_mode_32 0
		.amdhsa_float_round_mode_16_64 0
		.amdhsa_float_denorm_mode_32 3
		.amdhsa_float_denorm_mode_16_64 3
		.amdhsa_dx10_clamp 1
		.amdhsa_ieee_mode 1
		.amdhsa_fp16_overflow 0
		.amdhsa_tg_split 0
		.amdhsa_exception_fp_ieee_invalid_op 0
		.amdhsa_exception_fp_denorm_src 0
		.amdhsa_exception_fp_ieee_div_zero 0
		.amdhsa_exception_fp_ieee_overflow 0
		.amdhsa_exception_fp_ieee_underflow 0
		.amdhsa_exception_fp_ieee_inexact 0
		.amdhsa_exception_int_div_zero 0
	.end_amdhsa_kernel
	.section	.text._ZL20rocblas_gemvn_kernelILi64ELi4ElDF16_PKffEviiT3_lPKT2_lT1_lS5_lS6_lS2_lPT4_lS6_li,"axG",@progbits,_ZL20rocblas_gemvn_kernelILi64ELi4ElDF16_PKffEviiT3_lPKT2_lT1_lS5_lS6_lS2_lPT4_lS6_li,comdat
.Lfunc_end471:
	.size	_ZL20rocblas_gemvn_kernelILi64ELi4ElDF16_PKffEviiT3_lPKT2_lT1_lS5_lS6_lS2_lPT4_lS6_li, .Lfunc_end471-_ZL20rocblas_gemvn_kernelILi64ELi4ElDF16_PKffEviiT3_lPKT2_lT1_lS5_lS6_lS2_lPT4_lS6_li
                                        ; -- End function
	.section	.AMDGPU.csdata,"",@progbits
; Kernel info:
; codeLenInByte = 2792
; NumSgprs: 59
; NumVgprs: 55
; NumAgprs: 0
; TotalNumVgprs: 55
; ScratchSize: 0
; MemoryBound: 0
; FloatMode: 240
; IeeeMode: 1
; LDSByteSize: 4096 bytes/workgroup (compile time only)
; SGPRBlocks: 7
; VGPRBlocks: 6
; NumSGPRsForWavesPerEU: 59
; NumVGPRsForWavesPerEU: 55
; AccumOffset: 56
; Occupancy: 8
; WaveLimiterHint : 0
; COMPUTE_PGM_RSRC2:SCRATCH_EN: 0
; COMPUTE_PGM_RSRC2:USER_SGPR: 2
; COMPUTE_PGM_RSRC2:TRAP_HANDLER: 0
; COMPUTE_PGM_RSRC2:TGID_X_EN: 1
; COMPUTE_PGM_RSRC2:TGID_Y_EN: 0
; COMPUTE_PGM_RSRC2:TGID_Z_EN: 1
; COMPUTE_PGM_RSRC2:TIDIG_COMP_CNT: 1
; COMPUTE_PGM_RSRC3_GFX90A:ACCUM_OFFSET: 13
; COMPUTE_PGM_RSRC3_GFX90A:TG_SPLIT: 0
	.section	.text._ZL20rocblas_gemvn_kernelILi64ELi4EiDF16_ffEviiT3_lPKT2_lT1_lS3_lS4_lS0_lPT4_lS4_li,"axG",@progbits,_ZL20rocblas_gemvn_kernelILi64ELi4EiDF16_ffEviiT3_lPKT2_lT1_lS3_lS4_lS0_lPT4_lS4_li,comdat
	.globl	_ZL20rocblas_gemvn_kernelILi64ELi4EiDF16_ffEviiT3_lPKT2_lT1_lS3_lS4_lS0_lPT4_lS4_li ; -- Begin function _ZL20rocblas_gemvn_kernelILi64ELi4EiDF16_ffEviiT3_lPKT2_lT1_lS3_lS4_lS0_lPT4_lS4_li
	.p2align	8
	.type	_ZL20rocblas_gemvn_kernelILi64ELi4EiDF16_ffEviiT3_lPKT2_lT1_lS3_lS4_lS0_lPT4_lS4_li,@function
_ZL20rocblas_gemvn_kernelILi64ELi4EiDF16_ffEviiT3_lPKT2_lT1_lS3_lS4_lS0_lPT4_lS4_li: ; @_ZL20rocblas_gemvn_kernelILi64ELi4EiDF16_ffEviiT3_lPKT2_lT1_lS3_lS4_lS0_lPT4_lS4_li
; %bb.0:
	s_load_dwordx2 s[4:5], s[0:1], 0x9c
	s_waitcnt lgkmcnt(0)
	s_lshr_b32 s6, s4, 16
	s_and_b32 s4, s4, 0xffff
	s_and_b32 s5, s5, 0xffff
	s_mul_i32 s4, s6, s4
	s_mul_i32 s4, s4, s5
	s_cmpk_lg_i32 s4, 0x100
	s_cbranch_scc1 .LBB472_50
; %bb.1:
	s_load_dwordx4 s[8:11], s[0:1], 0x0
	s_waitcnt lgkmcnt(0)
	s_load_dword s11, s[0:1], 0x58
	v_cmp_eq_f32_e64 s[4:5], s10, 0
	s_waitcnt lgkmcnt(0)
	v_cmp_eq_f32_e64 s[6:7], s11, 1.0
	s_and_b64 s[4:5], s[4:5], s[6:7]
	s_and_b64 vcc, exec, s[4:5]
	s_cbranch_vccnz .LBB472_50
; %bb.2:
	s_load_dwordx2 s[12:13], s[0:1], 0x80
	s_load_dwordx4 s[4:7], s[0:1], 0x68
	s_load_dword s30, s[0:1], 0x78
	v_and_b32_e32 v2, 0x3ff, v0
	v_bfe_u32 v14, v0, 10, 10
	s_waitcnt lgkmcnt(0)
	s_mul_i32 s13, s3, s13
	s_mul_hi_u32 s14, s3, s12
	s_mul_i32 s12, s3, s12
	s_add_i32 s13, s14, s13
	s_lshl_b64 s[12:13], s[12:13], 2
	s_add_u32 s12, s4, s12
	s_addc_u32 s13, s5, s13
	s_lshl_b64 s[4:5], s[6:7], 2
	s_add_u32 s12, s12, s4
	s_addc_u32 s13, s13, s5
	v_cmp_neq_f32_e64 s[4:5], s10, 0
	v_lshl_add_u32 v3, v14, 6, v2
	s_and_b64 vcc, exec, s[4:5]
	s_cbranch_vccnz .LBB472_9
; %bb.3:
	s_movk_i32 s4, 0x100
	v_cmp_gt_u32_e32 vcc, s4, v3
	s_mov_b64 s[4:5], 0
	s_mov_b64 s[14:15], 0
                                        ; implicit-def: $vgpr1
                                        ; implicit-def: $vgpr4_vgpr5
	s_and_saveexec_b64 s[6:7], vcc
	s_cbranch_execz .LBB472_10
; %bb.4:
	v_lshl_or_b32 v0, s2, 8, v3
	v_mov_b32_e32 v1, 0
	s_ashr_i32 s15, s8, 31
	s_mov_b32 s14, s8
	v_cmp_gt_i64_e32 vcc, s[14:15], v[0:1]
	s_mov_b64 s[16:17], 0
                                        ; implicit-def: $vgpr4_vgpr5
	s_and_saveexec_b64 s[14:15], vcc
	s_cbranch_execz .LBB472_8
; %bb.5:
	v_mad_u64_u32 v[4:5], s[18:19], s30, v0, 0
	s_ashr_i32 s20, s30, 31
	v_mov_b32_e32 v6, v5
	v_cmp_eq_f32_e64 s[16:17], s11, 0
	v_mad_u64_u32 v[6:7], s[18:19], s20, v0, v[6:7]
	v_mov_b32_e32 v5, v6
	s_and_b64 vcc, exec, s[16:17]
	s_cbranch_vccnz .LBB472_7
; %bb.6:
	v_lshl_add_u64 v[0:1], v[4:5], 2, s[12:13]
	global_load_dword v0, v[0:1], off
	s_waitcnt vmcnt(0)
	v_mul_f32_e32 v1, s11, v0
.LBB472_7:
	s_mov_b64 s[16:17], exec
.LBB472_8:
	s_or_b64 exec, exec, s[14:15]
	s_and_b64 s[14:15], s[16:17], exec
	s_or_b64 exec, exec, s[6:7]
	s_and_b64 vcc, exec, s[4:5]
	s_cbranch_vccnz .LBB472_11
	s_branch .LBB472_48
.LBB472_9:
	s_mov_b64 s[14:15], 0
                                        ; implicit-def: $vgpr1
                                        ; implicit-def: $vgpr4_vgpr5
	s_cbranch_execnz .LBB472_11
	s_branch .LBB472_48
.LBB472_10:
	s_or_b64 exec, exec, s[6:7]
	s_and_b64 vcc, exec, s[4:5]
	s_cbranch_vccz .LBB472_48
.LBB472_11:
	s_load_dwordx4 s[4:7], s[0:1], 0x30
	s_load_dwordx4 s[16:19], s[0:1], 0x18
	s_load_dword s33, s[0:1], 0x28
	s_load_dwordx2 s[20:21], s[0:1], 0x40
	s_load_dword s34, s[0:1], 0x48
	s_load_dwordx2 s[22:23], s[0:1], 0x50
	s_waitcnt lgkmcnt(0)
	s_mul_i32 s0, s3, s5
	s_mul_hi_u32 s1, s3, s4
	s_add_i32 s1, s1, s0
	s_mul_i32 s0, s3, s4
	s_lshl_b64 s[0:1], s[0:1], 1
	s_add_u32 s4, s16, s0
	s_addc_u32 s5, s17, s1
	s_lshl_b64 s[0:1], s[18:19], 1
	s_add_u32 s16, s4, s0
	s_addc_u32 s17, s5, s1
	s_mul_i32 s0, s3, s23
	s_mul_hi_u32 s1, s3, s22
	s_add_i32 s1, s1, s0
	s_mul_i32 s0, s3, s22
	s_lshl_b64 s[0:1], s[0:1], 1
	s_add_u32 s3, s6, s0
	s_addc_u32 s4, s7, s1
	s_lshl_b64 s[0:1], s[20:21], 1
	s_add_u32 s18, s3, s0
	s_addc_u32 s19, s4, s1
	s_ashr_i32 s0, s9, 31
	s_lshr_b32 s0, s0, 28
	s_add_i32 s0, s9, s0
	s_lshl_b32 s31, s2, 8
	s_and_b32 s35, s0, -16
	v_lshlrev_b32_e32 v20, 2, v14
	v_add_u32_e32 v16, s31, v2
	v_cmp_gt_i32_e32 vcc, s35, v20
	v_mov_b32_e32 v19, 0
	v_mov_b32_e32 v18, 0
	;; [unrolled: 1-line block ×4, first 2 shown]
	s_and_saveexec_b64 s[20:21], vcc
	s_cbranch_execz .LBB472_23
; %bb.12:
	v_add_u32_e32 v0, 64, v16
	v_cmp_gt_i32_e64 s[0:1], s8, v0
	v_add_u32_e32 v0, 0x80, v16
	v_cmp_gt_i32_e64 s[2:3], s8, v0
	;; [unrolled: 2-line block ×3, first 2 shown]
	v_mul_lo_u32 v0, s33, v20
	v_add_u32_e32 v6, 2, v20
	v_add_u32_e32 v7, 3, v20
	v_add3_u32 v21, v0, s33, v2
	v_mad_u64_u32 v[0:1], s[6:7], s33, v6, v[2:3]
	v_mad_u64_u32 v[4:5], s[6:7], s33, v7, v[2:3]
	v_mul_lo_u32 v1, v14, s33
	v_mul_lo_u32 v5, s34, v20
	;; [unrolled: 1-line block ×4, first 2 shown]
	v_cmp_gt_i32_e32 vcc, s8, v16
	s_lshl_b32 s36, s33, 4
	v_lshl_add_u32 v1, v1, 2, v2
	v_add_u32_e32 v5, s34, v5
	s_lshl_b32 s37, s34, 4
	v_mul_lo_u32 v23, s34, v7
	v_lshlrev_b32_e32 v24, 2, v6
	s_mov_b32 s38, 0
	s_mov_b64 s[22:23], 0
	v_mov_b32_e32 v19, 0
	v_mov_b32_e32 v18, 0
	;; [unrolled: 1-line block ×4, first 2 shown]
	s_branch .LBB472_17
.LBB472_13:                             ;   in Loop: Header=BB472_17 Depth=1
	s_or_b64 exec, exec, s[28:29]
	s_waitcnt vmcnt(3)
	v_fma_mix_f32 v6, v37, v41, v17 op_sel_hi:[0,1,0]
	s_waitcnt vmcnt(2)
	v_fma_mix_f32 v6, v38, v42, v6 op_sel_hi:[0,1,0]
	s_waitcnt vmcnt(1)
	v_fma_mix_f32 v6, v39, v43, v6 op_sel_hi:[0,1,0]
	s_waitcnt vmcnt(0)
	v_fma_mix_f32 v17, v40, v44, v6 op_sel_hi:[0,1,0]
.LBB472_14:                             ;   in Loop: Header=BB472_17 Depth=1
	s_or_b64 exec, exec, s[26:27]
	s_waitcnt vmcnt(3)
	v_fma_mix_f32 v6, v37, v33, v18 op_sel_hi:[0,1,0]
	s_waitcnt vmcnt(2)
	v_fma_mix_f32 v6, v38, v34, v6 op_sel_hi:[0,1,0]
	;; [unrolled: 2-line block ×4, first 2 shown]
.LBB472_15:                             ;   in Loop: Header=BB472_17 Depth=1
	s_or_b64 exec, exec, s[24:25]
	s_waitcnt vmcnt(3)
	v_fma_mix_f32 v6, v25, v29, v19 op_sel_hi:[1,1,0]
	s_waitcnt vmcnt(2)
	v_fma_mix_f32 v6, v26, v30, v6 op_sel_hi:[1,1,0]
	;; [unrolled: 2-line block ×4, first 2 shown]
.LBB472_16:                             ;   in Loop: Header=BB472_17 Depth=1
	s_or_b64 exec, exec, s[6:7]
	v_add_u32_e32 v20, 16, v20
	s_add_i32 s38, s38, s37
	v_cmp_le_i32_e64 s[6:7], s35, v20
	v_add_u32_e32 v21, s36, v21
	v_add_u32_e32 v0, s36, v0
	;; [unrolled: 1-line block ×3, first 2 shown]
	s_or_b64 s[22:23], s[6:7], s[22:23]
	v_add_u32_e32 v1, s36, v1
	s_andn2_b64 exec, exec, s[22:23]
	s_cbranch_execz .LBB472_22
.LBB472_17:                             ; =>This Inner Loop Header: Depth=1
	s_and_saveexec_b64 s[6:7], vcc
	s_cbranch_execz .LBB472_16
; %bb.18:                               ;   in Loop: Header=BB472_17 Depth=1
	v_add_u32_e32 v6, s38, v24
	v_ashrrev_i32_e32 v7, 31, v6
	v_add_u32_e32 v8, s38, v5
	v_add_u32_e32 v10, s38, v22
	;; [unrolled: 1-line block ×3, first 2 shown]
	v_lshl_add_u64 v[6:7], v[6:7], 1, s[18:19]
	v_ashrrev_i32_e32 v9, 31, v8
	v_ashrrev_i32_e32 v11, 31, v10
	;; [unrolled: 1-line block ×3, first 2 shown]
	v_lshl_add_u64 v[8:9], v[8:9], 1, s[18:19]
	v_lshl_add_u64 v[10:11], v[10:11], 1, s[18:19]
	;; [unrolled: 1-line block ×3, first 2 shown]
	global_load_ushort v25, v[6:7], off
	global_load_ushort v26, v[8:9], off
	;; [unrolled: 1-line block ×4, first 2 shown]
	v_add_u32_e32 v6, s31, v1
	v_ashrrev_i32_e32 v7, 31, v6
	v_add_u32_e32 v8, s31, v21
	v_add_u32_e32 v10, s31, v0
	;; [unrolled: 1-line block ×3, first 2 shown]
	v_lshl_add_u64 v[6:7], v[6:7], 1, s[16:17]
	v_ashrrev_i32_e32 v9, 31, v8
	v_ashrrev_i32_e32 v11, 31, v10
	;; [unrolled: 1-line block ×3, first 2 shown]
	v_lshl_add_u64 v[8:9], v[8:9], 1, s[16:17]
	v_lshl_add_u64 v[10:11], v[10:11], 1, s[16:17]
	;; [unrolled: 1-line block ×3, first 2 shown]
	global_load_ushort v29, v[6:7], off
	global_load_ushort v30, v[8:9], off
	;; [unrolled: 1-line block ×4, first 2 shown]
	s_and_saveexec_b64 s[24:25], s[0:1]
	s_cbranch_execz .LBB472_15
; %bb.19:                               ;   in Loop: Header=BB472_17 Depth=1
	global_load_ushort v33, v[6:7], off offset:128
	global_load_ushort v34, v[8:9], off offset:128
	;; [unrolled: 1-line block ×4, first 2 shown]
	s_waitcnt vmcnt(11)
	v_cvt_f32_f16_e32 v37, v25
	s_waitcnt vmcnt(10)
	v_cvt_f32_f16_e32 v38, v26
	;; [unrolled: 2-line block ×4, first 2 shown]
	s_and_saveexec_b64 s[26:27], s[2:3]
	s_cbranch_execz .LBB472_14
; %bb.20:                               ;   in Loop: Header=BB472_17 Depth=1
	global_load_ushort v41, v[6:7], off offset:256
	global_load_ushort v42, v[8:9], off offset:256
	;; [unrolled: 1-line block ×4, first 2 shown]
	s_and_saveexec_b64 s[28:29], s[4:5]
	s_cbranch_execz .LBB472_13
; %bb.21:                               ;   in Loop: Header=BB472_17 Depth=1
	global_load_ushort v45, v[6:7], off offset:384
	global_load_ushort v46, v[8:9], off offset:384
	;; [unrolled: 1-line block ×4, first 2 shown]
	s_waitcnt vmcnt(3)
	v_fma_mix_f32 v6, v37, v45, v15 op_sel_hi:[0,1,0]
	s_waitcnt vmcnt(2)
	v_fma_mix_f32 v6, v38, v46, v6 op_sel_hi:[0,1,0]
	;; [unrolled: 2-line block ×4, first 2 shown]
	s_branch .LBB472_13
.LBB472_22:
	s_or_b64 exec, exec, s[22:23]
.LBB472_23:
	s_or_b64 exec, exec, s[20:21]
	s_sub_i32 s0, s9, s35
	s_cmp_lt_i32 s0, 1
	s_cbranch_scc1 .LBB472_41
; %bb.24:
	v_cmp_gt_i32_e32 vcc, s9, v20
	v_mov_b32_e32 v10, 0
	v_or_b32_e32 v4, 1, v20
	v_mov_b32_e32 v11, 0
	v_mov_b32_e32 v12, 0
	;; [unrolled: 1-line block ×3, first 2 shown]
	s_and_saveexec_b64 s[2:3], vcc
	s_cbranch_execz .LBB472_32
; %bb.25:
	v_mul_lo_u32 v0, v20, s34
	v_ashrrev_i32_e32 v1, 31, v0
	v_lshl_add_u64 v[0:1], v[0:1], 1, s[18:19]
	global_load_ushort v0, v[0:1], off
	v_cmp_gt_i32_e64 s[0:1], s9, v4
	v_mov_b32_e32 v12, 0
	v_mov_b32_e32 v11, 0
	;; [unrolled: 1-line block ×3, first 2 shown]
	s_and_saveexec_b64 s[4:5], s[0:1]
	s_cbranch_execz .LBB472_31
; %bb.26:
	v_mul_lo_u32 v6, v4, s34
	v_ashrrev_i32_e32 v7, 31, v6
	v_lshl_add_u64 v[6:7], v[6:7], 1, s[18:19]
	global_load_ushort v1, v[6:7], off
	v_or_b32_e32 v5, 2, v20
	v_cmp_gt_i32_e64 s[0:1], s9, v5
	v_mov_b32_e32 v11, 0
	v_mov_b32_e32 v10, 0
	s_and_saveexec_b64 s[6:7], s[0:1]
	s_cbranch_execz .LBB472_30
; %bb.27:
	v_mul_lo_u32 v6, v5, s34
	v_ashrrev_i32_e32 v7, 31, v6
	v_lshl_add_u64 v[6:7], v[6:7], 1, s[18:19]
	global_load_ushort v5, v[6:7], off
	v_or_b32_e32 v6, 3, v20
	v_cmp_gt_i32_e64 s[0:1], s9, v6
	v_mov_b32_e32 v10, 0
	s_and_saveexec_b64 s[20:21], s[0:1]
	s_cbranch_execz .LBB472_29
; %bb.28:
	v_mul_lo_u32 v6, v6, s34
	v_ashrrev_i32_e32 v7, 31, v6
	v_lshl_add_u64 v[6:7], v[6:7], 1, s[18:19]
	global_load_ushort v6, v[6:7], off
	s_waitcnt vmcnt(0)
	v_cvt_f32_f16_e32 v10, v6
.LBB472_29:
	s_or_b64 exec, exec, s[20:21]
	s_waitcnt vmcnt(0)
	v_cvt_f32_f16_e32 v11, v5
.LBB472_30:
	s_or_b64 exec, exec, s[6:7]
	s_waitcnt vmcnt(0)
	v_cvt_f32_f16_e32 v12, v1
.LBB472_31:
	s_or_b64 exec, exec, s[4:5]
	s_waitcnt vmcnt(0)
	v_cvt_f32_f16_e32 v13, v0
.LBB472_32:
	s_or_b64 exec, exec, s[2:3]
	v_cmp_gt_i32_e64 s[0:1], s8, v16
	s_and_saveexec_b64 s[2:3], s[0:1]
	s_cbranch_execz .LBB472_40
; %bb.33:
	v_mul_lo_u32 v0, v20, s33
	v_cndmask_b32_e32 v0, 0, v0, vcc
	v_mul_lo_u32 v5, v4, s33
	v_cmp_gt_i32_e32 vcc, s9, v4
	v_or_b32_e32 v6, 2, v20
	v_mul_lo_u32 v7, v6, s33
	v_cndmask_b32_e32 v4, 0, v5, vcc
	v_cmp_gt_i32_e32 vcc, s9, v6
	v_or_b32_e32 v8, 3, v20
	v_mul_lo_u32 v9, v8, s33
	v_cndmask_b32_e32 v6, 0, v7, vcc
	v_cmp_gt_i32_e32 vcc, s9, v8
	v_add_u32_e32 v0, v0, v16
	v_ashrrev_i32_e32 v1, 31, v0
	v_cndmask_b32_e32 v8, 0, v9, vcc
	v_add_u32_e32 v4, v4, v16
	v_add_u32_e32 v6, v6, v16
	;; [unrolled: 1-line block ×3, first 2 shown]
	v_lshl_add_u64 v[0:1], v[0:1], 1, s[16:17]
	v_ashrrev_i32_e32 v5, 31, v4
	v_ashrrev_i32_e32 v7, 31, v6
	;; [unrolled: 1-line block ×3, first 2 shown]
	v_lshl_add_u64 v[4:5], v[4:5], 1, s[16:17]
	v_lshl_add_u64 v[6:7], v[6:7], 1, s[16:17]
	global_load_ushort v21, v[0:1], off
	global_load_ushort v22, v[4:5], off
	;; [unrolled: 1-line block ×3, first 2 shown]
	v_lshl_add_u64 v[8:9], v[8:9], 1, s[16:17]
	global_load_ushort v20, v[8:9], off
	v_add_u32_e32 v24, 64, v16
	v_cmp_gt_i32_e32 vcc, s8, v24
	s_waitcnt vmcnt(3)
	v_fma_mix_f32 v19, v13, v21, v19 op_sel_hi:[0,1,0]
	s_waitcnt vmcnt(2)
	v_fma_mix_f32 v19, v12, v22, v19 op_sel_hi:[0,1,0]
	s_waitcnt vmcnt(1)
	v_fma_mix_f32 v19, v11, v23, v19 op_sel_hi:[0,1,0]
	s_and_saveexec_b64 s[0:1], vcc
	s_cbranch_execz .LBB472_39
; %bb.34:
	global_load_ushort v22, v[0:1], off offset:128
	global_load_ushort v23, v[4:5], off offset:128
	global_load_ushort v24, v[6:7], off offset:128
	global_load_ushort v21, v[8:9], off offset:128
	v_add_u32_e32 v25, 0x80, v16
	v_cmp_gt_i32_e32 vcc, s8, v25
	s_waitcnt vmcnt(3)
	v_fma_mix_f32 v18, v13, v22, v18 op_sel_hi:[0,1,0]
	s_waitcnt vmcnt(2)
	v_fma_mix_f32 v18, v12, v23, v18 op_sel_hi:[0,1,0]
	s_waitcnt vmcnt(1)
	v_fma_mix_f32 v18, v11, v24, v18 op_sel_hi:[0,1,0]
	s_and_saveexec_b64 s[4:5], vcc
	s_cbranch_execz .LBB472_38
; %bb.35:
	global_load_ushort v23, v[0:1], off offset:256
	global_load_ushort v24, v[4:5], off offset:256
	global_load_ushort v25, v[6:7], off offset:256
	global_load_ushort v22, v[8:9], off offset:256
	;; [unrolled: 15-line block ×3, first 2 shown]
	s_waitcnt vmcnt(3)
	v_fma_mix_f32 v0, v13, v17, v15 op_sel_hi:[0,1,0]
	s_waitcnt vmcnt(2)
	v_fma_mix_f32 v0, v12, v23, v0 op_sel_hi:[0,1,0]
	;; [unrolled: 2-line block ×4, first 2 shown]
.LBB472_37:
	s_or_b64 exec, exec, s[6:7]
	s_waitcnt vmcnt(0)
	v_fma_mix_f32 v17, v10, v22, v16 op_sel_hi:[0,1,0]
.LBB472_38:
	s_or_b64 exec, exec, s[4:5]
	s_waitcnt vmcnt(0)
	v_fma_mix_f32 v18, v10, v21, v18 op_sel_hi:[0,1,0]
.LBB472_39:
	s_or_b64 exec, exec, s[0:1]
	s_waitcnt vmcnt(0)
	v_fma_mix_f32 v19, v10, v20, v19 op_sel_hi:[0,1,0]
.LBB472_40:
	s_or_b64 exec, exec, s[2:3]
.LBB472_41:
	v_lshlrev_b32_e32 v0, 8, v14
	s_movk_i32 s0, 0x100
	v_add_lshl_u32 v0, v0, v2, 2
	v_cmp_gt_u32_e32 vcc, s0, v3
	ds_write2st64_b32 v0, v19, v18 offset1:1
	ds_write2st64_b32 v0, v17, v15 offset0:2 offset1:3
	s_waitcnt lgkmcnt(0)
	s_barrier
	s_waitcnt lgkmcnt(0)
                                        ; implicit-def: $vgpr1
                                        ; implicit-def: $vgpr4_vgpr5
	s_and_saveexec_b64 s[0:1], vcc
	s_cbranch_execz .LBB472_47
; %bb.42:
	v_lshlrev_b32_e32 v1, 2, v3
	ds_read2st64_b32 v[4:5], v1 offset1:4
	ds_read2st64_b32 v[6:7], v1 offset0:8 offset1:12
	v_or_b32_e32 v0, s31, v3
	v_cmp_gt_i32_e32 vcc, s8, v0
	s_mov_b64 s[4:5], s[14:15]
	s_waitcnt lgkmcnt(1)
	v_add_f32_e32 v2, v4, v5
	s_waitcnt lgkmcnt(0)
	v_add_f32_e32 v2, v6, v2
	v_add_f32_e32 v2, v7, v2
	ds_write_b32 v1, v2
                                        ; implicit-def: $vgpr1
                                        ; implicit-def: $vgpr4_vgpr5
	s_and_saveexec_b64 s[2:3], vcc
	s_cbranch_execz .LBB472_46
; %bb.43:
	v_cmp_eq_f32_e64 s[4:5], s11, 0
	v_mul_lo_u32 v4, v0, s30
	v_mul_f32_e32 v1, s10, v2
	v_ashrrev_i32_e32 v5, 31, v4
	s_and_b64 vcc, exec, s[4:5]
	s_cbranch_vccnz .LBB472_45
; %bb.44:
	v_lshl_add_u64 v[2:3], v[4:5], 2, s[12:13]
	global_load_dword v0, v[2:3], off
	s_waitcnt vmcnt(0)
	v_fmac_f32_e32 v1, s11, v0
.LBB472_45:
	s_or_b64 s[4:5], s[14:15], exec
.LBB472_46:
	s_or_b64 exec, exec, s[2:3]
	s_andn2_b64 s[2:3], s[14:15], exec
	s_and_b64 s[4:5], s[4:5], exec
	s_or_b64 s[14:15], s[2:3], s[4:5]
.LBB472_47:
	s_or_b64 exec, exec, s[0:1]
.LBB472_48:
	s_and_saveexec_b64 s[0:1], s[14:15]
	s_cbranch_execz .LBB472_50
; %bb.49:
	v_lshl_add_u64 v[2:3], v[4:5], 2, s[12:13]
	global_store_dword v[2:3], v1, off
.LBB472_50:
	s_endpgm
	.section	.rodata,"a",@progbits
	.p2align	6, 0x0
	.amdhsa_kernel _ZL20rocblas_gemvn_kernelILi64ELi4EiDF16_ffEviiT3_lPKT2_lT1_lS3_lS4_lS0_lPT4_lS4_li
		.amdhsa_group_segment_fixed_size 4096
		.amdhsa_private_segment_fixed_size 0
		.amdhsa_kernarg_size 400
		.amdhsa_user_sgpr_count 2
		.amdhsa_user_sgpr_dispatch_ptr 0
		.amdhsa_user_sgpr_queue_ptr 0
		.amdhsa_user_sgpr_kernarg_segment_ptr 1
		.amdhsa_user_sgpr_dispatch_id 0
		.amdhsa_user_sgpr_kernarg_preload_length 0
		.amdhsa_user_sgpr_kernarg_preload_offset 0
		.amdhsa_user_sgpr_private_segment_size 0
		.amdhsa_uses_dynamic_stack 0
		.amdhsa_enable_private_segment 0
		.amdhsa_system_sgpr_workgroup_id_x 1
		.amdhsa_system_sgpr_workgroup_id_y 0
		.amdhsa_system_sgpr_workgroup_id_z 1
		.amdhsa_system_sgpr_workgroup_info 0
		.amdhsa_system_vgpr_workitem_id 1
		.amdhsa_next_free_vgpr 49
		.amdhsa_next_free_sgpr 39
		.amdhsa_accum_offset 52
		.amdhsa_reserve_vcc 1
		.amdhsa_float_round_mode_32 0
		.amdhsa_float_round_mode_16_64 0
		.amdhsa_float_denorm_mode_32 3
		.amdhsa_float_denorm_mode_16_64 3
		.amdhsa_dx10_clamp 1
		.amdhsa_ieee_mode 1
		.amdhsa_fp16_overflow 0
		.amdhsa_tg_split 0
		.amdhsa_exception_fp_ieee_invalid_op 0
		.amdhsa_exception_fp_denorm_src 0
		.amdhsa_exception_fp_ieee_div_zero 0
		.amdhsa_exception_fp_ieee_overflow 0
		.amdhsa_exception_fp_ieee_underflow 0
		.amdhsa_exception_fp_ieee_inexact 0
		.amdhsa_exception_int_div_zero 0
	.end_amdhsa_kernel
	.section	.text._ZL20rocblas_gemvn_kernelILi64ELi4EiDF16_ffEviiT3_lPKT2_lT1_lS3_lS4_lS0_lPT4_lS4_li,"axG",@progbits,_ZL20rocblas_gemvn_kernelILi64ELi4EiDF16_ffEviiT3_lPKT2_lT1_lS3_lS4_lS0_lPT4_lS4_li,comdat
.Lfunc_end472:
	.size	_ZL20rocblas_gemvn_kernelILi64ELi4EiDF16_ffEviiT3_lPKT2_lT1_lS3_lS4_lS0_lPT4_lS4_li, .Lfunc_end472-_ZL20rocblas_gemvn_kernelILi64ELi4EiDF16_ffEviiT3_lPKT2_lT1_lS3_lS4_lS0_lPT4_lS4_li
                                        ; -- End function
	.section	.AMDGPU.csdata,"",@progbits
; Kernel info:
; codeLenInByte = 2428
; NumSgprs: 45
; NumVgprs: 49
; NumAgprs: 0
; TotalNumVgprs: 49
; ScratchSize: 0
; MemoryBound: 0
; FloatMode: 240
; IeeeMode: 1
; LDSByteSize: 4096 bytes/workgroup (compile time only)
; SGPRBlocks: 5
; VGPRBlocks: 6
; NumSGPRsForWavesPerEU: 45
; NumVGPRsForWavesPerEU: 49
; AccumOffset: 52
; Occupancy: 8
; WaveLimiterHint : 1
; COMPUTE_PGM_RSRC2:SCRATCH_EN: 0
; COMPUTE_PGM_RSRC2:USER_SGPR: 2
; COMPUTE_PGM_RSRC2:TRAP_HANDLER: 0
; COMPUTE_PGM_RSRC2:TGID_X_EN: 1
; COMPUTE_PGM_RSRC2:TGID_Y_EN: 0
; COMPUTE_PGM_RSRC2:TGID_Z_EN: 1
; COMPUTE_PGM_RSRC2:TIDIG_COMP_CNT: 1
; COMPUTE_PGM_RSRC3_GFX90A:ACCUM_OFFSET: 12
; COMPUTE_PGM_RSRC3_GFX90A:TG_SPLIT: 0
	.section	.text._ZL20rocblas_gemvn_kernelILi64ELi4ElDF16_ffEviiT3_lPKT2_lT1_lS3_lS4_lS0_lPT4_lS4_li,"axG",@progbits,_ZL20rocblas_gemvn_kernelILi64ELi4ElDF16_ffEviiT3_lPKT2_lT1_lS3_lS4_lS0_lPT4_lS4_li,comdat
	.globl	_ZL20rocblas_gemvn_kernelILi64ELi4ElDF16_ffEviiT3_lPKT2_lT1_lS3_lS4_lS0_lPT4_lS4_li ; -- Begin function _ZL20rocblas_gemvn_kernelILi64ELi4ElDF16_ffEviiT3_lPKT2_lT1_lS3_lS4_lS0_lPT4_lS4_li
	.p2align	8
	.type	_ZL20rocblas_gemvn_kernelILi64ELi4ElDF16_ffEviiT3_lPKT2_lT1_lS3_lS4_lS0_lPT4_lS4_li,@function
_ZL20rocblas_gemvn_kernelILi64ELi4ElDF16_ffEviiT3_lPKT2_lT1_lS3_lS4_lS0_lPT4_lS4_li: ; @_ZL20rocblas_gemvn_kernelILi64ELi4ElDF16_ffEviiT3_lPKT2_lT1_lS3_lS4_lS0_lPT4_lS4_li
; %bb.0:
	s_load_dwordx2 s[4:5], s[0:1], 0x9c
	s_waitcnt lgkmcnt(0)
	s_lshr_b32 s6, s4, 16
	s_and_b32 s4, s4, 0xffff
	s_and_b32 s5, s5, 0xffff
	s_mul_i32 s4, s6, s4
	s_mul_i32 s4, s4, s5
	s_cmpk_lg_i32 s4, 0x100
	s_cbranch_scc1 .LBB473_50
; %bb.1:
	s_load_dwordx4 s[28:31], s[0:1], 0x0
	s_waitcnt lgkmcnt(0)
	s_load_dword s31, s[0:1], 0x58
	v_cmp_eq_f32_e64 s[4:5], s30, 0
	s_waitcnt lgkmcnt(0)
	v_cmp_eq_f32_e64 s[6:7], s31, 1.0
	s_and_b64 s[4:5], s[4:5], s[6:7]
	s_and_b64 vcc, exec, s[4:5]
	s_cbranch_vccnz .LBB473_50
; %bb.2:
	s_load_dwordx8 s[20:27], s[0:1], 0x68
	v_and_b32_e32 v29, 0x3ff, v0
	v_bfe_u32 v30, v0, 10, 10
	v_lshl_add_u32 v28, v30, 6, v29
	s_waitcnt lgkmcnt(0)
	s_mul_i32 s5, s3, s27
	s_mul_hi_u32 s6, s3, s26
	s_mul_i32 s4, s3, s26
	s_add_i32 s5, s6, s5
	s_lshl_b64 s[4:5], s[4:5], 2
	s_add_u32 s6, s20, s4
	s_addc_u32 s7, s21, s5
	s_lshl_b64 s[4:5], s[22:23], 2
	s_add_u32 s26, s6, s4
	s_addc_u32 s27, s7, s5
	v_cmp_neq_f32_e64 s[4:5], s30, 0
	s_and_b64 vcc, exec, s[4:5]
	s_cbranch_vccnz .LBB473_9
; %bb.3:
	s_movk_i32 s4, 0x100
	v_cmp_gt_u32_e32 vcc, s4, v28
	s_mov_b64 s[4:5], 0
	s_mov_b64 s[34:35], 0
                                        ; implicit-def: $vgpr1
                                        ; implicit-def: $vgpr2_vgpr3
	s_and_saveexec_b64 s[6:7], vcc
	s_cbranch_execz .LBB473_10
; %bb.4:
	v_lshl_or_b32 v0, s2, 8, v28
	v_mov_b32_e32 v1, 0
	s_ashr_i32 s9, s28, 31
	s_mov_b32 s8, s28
	v_cmp_gt_i64_e32 vcc, s[8:9], v[0:1]
	s_mov_b64 s[10:11], 0
                                        ; implicit-def: $vgpr2_vgpr3
	s_and_saveexec_b64 s[8:9], vcc
	s_cbranch_execz .LBB473_8
; %bb.5:
	v_mad_u64_u32 v[2:3], s[12:13], v0, s24, 0
	v_mov_b32_e32 v4, v3
	v_cmp_eq_f32_e64 s[10:11], s31, 0
	v_mad_u64_u32 v[4:5], s[12:13], v0, s25, v[4:5]
	v_mov_b32_e32 v3, v4
	s_and_b64 vcc, exec, s[10:11]
	s_cbranch_vccnz .LBB473_7
; %bb.6:
	v_lshl_add_u64 v[0:1], v[2:3], 2, s[26:27]
	global_load_dword v0, v[0:1], off
	s_waitcnt vmcnt(0)
	v_mul_f32_e32 v1, s31, v0
.LBB473_7:
	s_mov_b64 s[10:11], exec
.LBB473_8:
	s_or_b64 exec, exec, s[8:9]
	s_and_b64 s[34:35], s[10:11], exec
	s_or_b64 exec, exec, s[6:7]
	s_and_b64 vcc, exec, s[4:5]
	s_cbranch_vccnz .LBB473_11
	s_branch .LBB473_48
.LBB473_9:
	s_mov_b64 s[34:35], 0
                                        ; implicit-def: $vgpr1
                                        ; implicit-def: $vgpr2_vgpr3
	s_cbranch_execnz .LBB473_11
	s_branch .LBB473_48
.LBB473_10:
	s_or_b64 exec, exec, s[6:7]
	s_and_b64 vcc, exec, s[4:5]
	s_cbranch_vccz .LBB473_48
.LBB473_11:
	s_load_dwordx16 s[8:23], s[0:1], 0x18
	s_lshl_b32 s33, s2, 8
	v_lshlrev_b32_e32 v33, 2, v30
	v_add_u32_e32 v0, s33, v29
	v_mov_b32_e32 v35, 0
	s_waitcnt lgkmcnt(0)
	s_mul_i32 s0, s3, s15
	s_mul_hi_u32 s1, s3, s14
	s_add_i32 s15, s1, s0
	s_ashr_i32 s0, s29, 31
	s_lshr_b32 s0, s0, 28
	s_add_i32 s0, s29, s0
	s_mul_i32 s4, s3, s23
	s_mul_hi_u32 s5, s3, s22
	s_and_b32 s52, s0, -16
	s_mul_i32 s14, s3, s14
	s_add_i32 s23, s5, s4
	s_mul_i32 s22, s3, s22
	v_cmp_gt_i32_e32 vcc, s52, v33
	v_mov_b32_e32 v34, 0
	v_mov_b32_e32 v32, 0
	v_mov_b32_e32 v31, 0
	s_and_saveexec_b64 s[36:37], vcc
	s_cbranch_execz .LBB473_23
; %bb.12:
	v_add_u32_e32 v2, 64, v0
	v_cmp_gt_i32_e64 s[0:1], s28, v2
	v_add_u32_e32 v2, 0x80, v0
	v_cmp_gt_i32_e64 s[2:3], s28, v2
	;; [unrolled: 2-line block ×3, first 2 shown]
	v_mad_u64_u32 v[2:3], s[6:7], s20, v30, 0
	v_mov_b32_e32 v4, v3
	v_ashrrev_i32_e32 v1, 31, v0
	v_mad_u64_u32 v[4:5], s[6:7], s21, v30, v[4:5]
	v_mov_b32_e32 v3, v4
	v_lshlrev_b64 v[4:5], 1, v[0:1]
	v_lshlrev_b32_e32 v1, 2, v30
	v_or_b32_e32 v11, 3, v1
	v_mad_u64_u32 v[6:7], s[42:43], s12, v11, 0
	v_mov_b32_e32 v8, v7
	v_mad_u64_u32 v[8:9], s[42:43], s13, v11, v[8:9]
	v_mov_b32_e32 v7, v8
	;; [unrolled: 2-line block ×5, first 2 shown]
	v_mad_u64_u32 v[12:13], s[46:47], s13, v30, v[12:13]
	v_or_b32_e32 v17, 2, v1
	v_mov_b32_e32 v11, v12
	v_mad_u64_u32 v[12:13], s[46:47], s12, v17, 0
	v_mov_b32_e32 v14, v13
	v_mad_u64_u32 v[14:15], s[46:47], s13, v17, v[14:15]
	;; [unrolled: 2-line block ×4, first 2 shown]
	v_mov_b32_e32 v15, v16
	v_mov_b64_e32 v[16:17], s[20:21]
	v_mad_u64_u32 v[16:17], s[46:47], s20, v1, v[16:17]
	s_lshl_b64 s[38:39], s[18:19], 1
	s_lshl_b64 s[6:7], s[22:23], 1
	v_mov_b32_e32 v18, v17
	s_add_u32 s6, s16, s6
	v_mad_u64_u32 v[18:19], s[46:47], s21, v1, v[18:19]
	s_addc_u32 s7, s17, s7
	s_lshl_b64 s[40:41], s[20:21], 5
	s_lshl_b64 s[42:43], s[14:15], 1
	;; [unrolled: 1-line block ×3, first 2 shown]
	v_mov_b32_e32 v17, v18
	v_mov_b64_e32 v[18:19], s[12:13]
	v_lshl_add_u64 v[2:3], v[2:3], 3, s[6:7]
	s_add_u32 s44, s8, s44
	v_lshl_add_u64 v[8:9], v[8:9], 1, s[6:7]
	v_lshl_add_u64 v[14:15], v[14:15], 1, s[6:7]
	;; [unrolled: 1-line block ×3, first 2 shown]
	v_mad_u64_u32 v[18:19], s[6:7], s12, v1, v[18:19]
	s_addc_u32 s45, s9, s45
	v_mov_b32_e32 v20, v19
	s_add_u32 s44, s44, s42
	v_mad_u64_u32 v[20:21], s[6:7], s13, v1, v[20:21]
	s_addc_u32 s45, s45, s43
	v_mov_b32_e32 v19, v20
	v_cmp_gt_i32_e32 vcc, s28, v0
	v_lshl_add_u64 v[6:7], v[6:7], 1, s[44:45]
	s_lshl_b64 s[42:43], s[12:13], 5
	v_lshl_add_u64 v[10:11], v[10:11], 3, s[44:45]
	v_lshl_add_u64 v[12:13], v[12:13], 1, s[44:45]
	;; [unrolled: 1-line block ×3, first 2 shown]
	s_mov_b64 s[44:45], 0
	v_mov_b32_e32 v35, 0
	v_mov_b32_e32 v34, 0
	;; [unrolled: 1-line block ×4, first 2 shown]
	s_branch .LBB473_17
.LBB473_13:                             ;   in Loop: Header=BB473_17 Depth=1
	s_or_b64 exec, exec, s[50:51]
	s_waitcnt vmcnt(3)
	v_fma_mix_f32 v20, v47, v51, v32 op_sel_hi:[0,1,0]
	s_waitcnt vmcnt(2)
	v_fma_mix_f32 v20, v48, v52, v20 op_sel_hi:[0,1,0]
	;; [unrolled: 2-line block ×4, first 2 shown]
.LBB473_14:                             ;   in Loop: Header=BB473_17 Depth=1
	s_or_b64 exec, exec, s[48:49]
	s_waitcnt vmcnt(3)
	v_fma_mix_f32 v20, v47, v43, v34 op_sel_hi:[0,1,0]
	s_waitcnt vmcnt(2)
	v_fma_mix_f32 v20, v48, v44, v20 op_sel_hi:[0,1,0]
	;; [unrolled: 2-line block ×4, first 2 shown]
.LBB473_15:                             ;   in Loop: Header=BB473_17 Depth=1
	s_or_b64 exec, exec, s[46:47]
	s_waitcnt vmcnt(3)
	v_fma_mix_f32 v1, v1, v39, v35 op_sel_hi:[1,1,0]
	s_waitcnt vmcnt(2)
	v_fma_mix_f32 v1, v36, v40, v1 op_sel_hi:[1,1,0]
	;; [unrolled: 2-line block ×4, first 2 shown]
.LBB473_16:                             ;   in Loop: Header=BB473_17 Depth=1
	s_or_b64 exec, exec, s[6:7]
	v_add_u32_e32 v33, 16, v33
	v_cmp_le_i32_e64 s[6:7], s52, v33
	v_lshl_add_u64 v[2:3], v[2:3], 0, s[40:41]
	v_lshl_add_u64 v[6:7], v[6:7], 0, s[42:43]
	;; [unrolled: 1-line block ×7, first 2 shown]
	s_or_b64 s[44:45], s[6:7], s[44:45]
	v_lshl_add_u64 v[18:19], v[18:19], 0, s[42:43]
	s_andn2_b64 exec, exec, s[44:45]
	s_cbranch_execz .LBB473_22
.LBB473_17:                             ; =>This Inner Loop Header: Depth=1
	s_and_saveexec_b64 s[6:7], vcc
	s_cbranch_execz .LBB473_16
; %bb.18:                               ;   in Loop: Header=BB473_17 Depth=1
	v_lshl_add_u64 v[20:21], v[2:3], 0, s[38:39]
	global_load_ushort v1, v[20:21], off
	v_lshl_add_u64 v[20:21], v[16:17], 0, s[38:39]
	global_load_ushort v36, v[20:21], off
	;; [unrolled: 2-line block ×4, first 2 shown]
	v_lshl_add_u64 v[20:21], v[10:11], 0, v[4:5]
	v_lshl_add_u64 v[22:23], v[18:19], 0, v[4:5]
	;; [unrolled: 1-line block ×4, first 2 shown]
	global_load_ushort v39, v[20:21], off
	global_load_ushort v40, v[22:23], off
	;; [unrolled: 1-line block ×4, first 2 shown]
	s_and_saveexec_b64 s[46:47], s[0:1]
	s_cbranch_execz .LBB473_15
; %bb.19:                               ;   in Loop: Header=BB473_17 Depth=1
	global_load_ushort v43, v[20:21], off offset:128
	global_load_ushort v44, v[22:23], off offset:128
	;; [unrolled: 1-line block ×4, first 2 shown]
	s_waitcnt vmcnt(11)
	v_cvt_f32_f16_e32 v47, v1
	s_waitcnt vmcnt(10)
	v_cvt_f32_f16_e32 v48, v36
	;; [unrolled: 2-line block ×4, first 2 shown]
	s_and_saveexec_b64 s[48:49], s[2:3]
	s_cbranch_execz .LBB473_14
; %bb.20:                               ;   in Loop: Header=BB473_17 Depth=1
	global_load_ushort v51, v[20:21], off offset:256
	global_load_ushort v52, v[22:23], off offset:256
	;; [unrolled: 1-line block ×4, first 2 shown]
	s_and_saveexec_b64 s[50:51], s[4:5]
	s_cbranch_execz .LBB473_13
; %bb.21:                               ;   in Loop: Header=BB473_17 Depth=1
	global_load_ushort v20, v[20:21], off offset:384
	s_nop 0
	global_load_ushort v21, v[22:23], off offset:384
	s_nop 0
	global_load_ushort v22, v[24:25], off offset:384
	global_load_ushort v23, v[26:27], off offset:384
	s_waitcnt vmcnt(3)
	v_fma_mix_f32 v20, v47, v20, v31 op_sel_hi:[0,1,0]
	s_waitcnt vmcnt(2)
	v_fma_mix_f32 v20, v48, v21, v20 op_sel_hi:[0,1,0]
	;; [unrolled: 2-line block ×4, first 2 shown]
	s_branch .LBB473_13
.LBB473_22:
	s_or_b64 exec, exec, s[44:45]
.LBB473_23:
	s_or_b64 exec, exec, s[36:37]
	s_sub_i32 s0, s29, s52
	s_cmp_lt_i32 s0, 1
	s_cbranch_scc1 .LBB473_41
; %bb.24:
	v_cmp_gt_i32_e32 vcc, s29, v33
	v_mov_b32_e32 v10, 0
	v_or_b32_e32 v4, 1, v33
	v_mov_b32_e32 v11, 0
	v_mov_b32_e32 v12, 0
	;; [unrolled: 1-line block ×3, first 2 shown]
	s_and_saveexec_b64 s[2:3], vcc
	s_cbranch_execz .LBB473_32
; %bb.25:
	s_lshl_b64 s[0:1], s[22:23], 1
	s_add_u32 s4, s16, s0
	s_addc_u32 s5, s17, s1
	s_lshl_b64 s[0:1], s[18:19], 1
	s_add_u32 s6, s4, s0
	s_addc_u32 s7, s5, s1
	v_mad_u64_u32 v[2:3], s[0:1], v33, s20, 0
	v_mov_b32_e32 v6, v3
	v_mad_u64_u32 v[6:7], s[0:1], v33, s21, v[6:7]
	v_mov_b32_e32 v3, v6
	v_lshl_add_u64 v[2:3], v[2:3], 1, s[6:7]
	global_load_ushort v1, v[2:3], off
	v_cmp_gt_i32_e64 s[0:1], s29, v4
	v_mov_b32_e32 v12, 0
	v_mov_b32_e32 v11, 0
	;; [unrolled: 1-line block ×3, first 2 shown]
	s_and_saveexec_b64 s[4:5], s[0:1]
	s_cbranch_execz .LBB473_31
; %bb.26:
	v_mad_u64_u32 v[2:3], s[0:1], v4, s20, 0
	v_mov_b32_e32 v6, v3
	v_mad_u64_u32 v[6:7], s[0:1], v4, s21, v[6:7]
	v_mov_b32_e32 v3, v6
	v_lshl_add_u64 v[2:3], v[2:3], 1, s[6:7]
	global_load_ushort v2, v[2:3], off
	v_or_b32_e32 v3, 2, v33
	v_cmp_gt_i32_e64 s[0:1], s29, v3
	v_mov_b32_e32 v11, 0
	v_mov_b32_e32 v10, 0
	s_and_saveexec_b64 s[16:17], s[0:1]
	s_cbranch_execz .LBB473_30
; %bb.27:
	v_mad_u64_u32 v[6:7], s[0:1], v3, s20, 0
	v_mov_b32_e32 v8, v7
	v_mad_u64_u32 v[8:9], s[0:1], v3, s21, v[8:9]
	v_mov_b32_e32 v7, v8
	v_lshl_add_u64 v[6:7], v[6:7], 1, s[6:7]
	global_load_ushort v3, v[6:7], off
	v_or_b32_e32 v5, 3, v33
	v_cmp_gt_i32_e64 s[0:1], s29, v5
	v_mov_b32_e32 v10, 0
	s_and_saveexec_b64 s[18:19], s[0:1]
	s_cbranch_execz .LBB473_29
; %bb.28:
	v_mad_u64_u32 v[6:7], s[0:1], v5, s20, 0
	v_mov_b32_e32 v8, v7
	v_mad_u64_u32 v[8:9], s[0:1], v5, s21, v[8:9]
	v_mov_b32_e32 v7, v8
	v_lshl_add_u64 v[6:7], v[6:7], 1, s[6:7]
	global_load_ushort v5, v[6:7], off
	s_waitcnt vmcnt(0)
	v_cvt_f32_f16_e32 v10, v5
.LBB473_29:
	s_or_b64 exec, exec, s[18:19]
	s_waitcnt vmcnt(0)
	v_cvt_f32_f16_e32 v11, v3
.LBB473_30:
	s_or_b64 exec, exec, s[16:17]
	s_waitcnt vmcnt(0)
	v_cvt_f32_f16_e32 v12, v2
.LBB473_31:
	s_or_b64 exec, exec, s[4:5]
	s_waitcnt vmcnt(0)
	v_cvt_f32_f16_e32 v13, v1
.LBB473_32:
	s_or_b64 exec, exec, s[2:3]
	v_cmp_gt_i32_e64 s[0:1], s28, v0
	s_and_saveexec_b64 s[2:3], s[0:1]
	s_cbranch_execz .LBB473_40
; %bb.33:
	s_lshl_b64 s[0:1], s[14:15], 1
	s_add_u32 s4, s8, s0
	s_addc_u32 s5, s9, s1
	s_lshl_b64 s[0:1], s[10:11], 1
	s_add_u32 s0, s4, s0
	s_addc_u32 s1, s5, s1
	v_mad_u64_u32 v[2:3], s[4:5], v33, s12, 0
	v_mov_b32_e32 v6, v3
	v_mad_u64_u32 v[6:7], s[4:5], v33, s13, v[6:7]
	v_ashrrev_i32_e32 v1, 31, v0
	v_cndmask_b32_e32 v3, 0, v6, vcc
	v_mad_u64_u32 v[6:7], s[4:5], v4, s12, 0
	v_cndmask_b32_e32 v2, 0, v2, vcc
	v_lshlrev_b64 v[8:9], 1, v[0:1]
	v_mov_b32_e32 v14, v7
	v_cmp_gt_i32_e32 vcc, s29, v4
	v_or_b32_e32 v1, 2, v33
	v_mad_u64_u32 v[14:15], s[4:5], v4, s13, v[14:15]
	v_cndmask_b32_e32 v4, 0, v6, vcc
	v_mad_u64_u32 v[6:7], s[4:5], v1, s12, 0
	v_cndmask_b32_e32 v5, 0, v14, vcc
	v_mov_b32_e32 v14, v7
	v_mad_u64_u32 v[14:15], s[4:5], v1, s13, v[14:15]
	v_cmp_gt_i32_e32 vcc, s29, v1
	v_or_b32_e32 v1, 3, v33
	v_lshl_add_u64 v[2:3], v[2:3], 1, s[0:1]
	v_cndmask_b32_e32 v7, 0, v14, vcc
	v_mad_u64_u32 v[14:15], s[4:5], v1, s12, 0
	v_mov_b32_e32 v16, v15
	v_cndmask_b32_e32 v6, 0, v6, vcc
	v_mad_u64_u32 v[16:17], s[4:5], v1, s13, v[16:17]
	v_cmp_gt_i32_e32 vcc, s29, v1
	v_lshl_add_u64 v[2:3], v[2:3], 0, v[8:9]
	v_lshl_add_u64 v[4:5], v[4:5], 1, s[0:1]
	v_cndmask_b32_e32 v14, 0, v14, vcc
	v_cndmask_b32_e32 v15, 0, v16, vcc
	v_lshl_add_u64 v[6:7], v[6:7], 1, s[0:1]
	v_lshl_add_u64 v[14:15], v[14:15], 1, s[0:1]
	;; [unrolled: 1-line block ×4, first 2 shown]
	global_load_ushort v16, v[2:3], off
	global_load_ushort v17, v[4:5], off
	;; [unrolled: 1-line block ×3, first 2 shown]
	v_lshl_add_u64 v[8:9], v[14:15], 0, v[8:9]
	global_load_ushort v1, v[8:9], off
	v_add_u32_e32 v15, 64, v0
	v_cmp_gt_i32_e32 vcc, s28, v15
	s_waitcnt vmcnt(3)
	v_fma_mix_f32 v14, v13, v16, v35 op_sel_hi:[0,1,0]
	s_waitcnt vmcnt(2)
	v_fma_mix_f32 v14, v12, v17, v14 op_sel_hi:[0,1,0]
	s_waitcnt vmcnt(1)
	v_fma_mix_f32 v14, v11, v18, v14 op_sel_hi:[0,1,0]
	s_and_saveexec_b64 s[0:1], vcc
	s_cbranch_execz .LBB473_39
; %bb.34:
	global_load_ushort v16, v[2:3], off offset:128
	global_load_ushort v17, v[4:5], off offset:128
	global_load_ushort v18, v[6:7], off offset:128
	global_load_ushort v15, v[8:9], off offset:128
	v_add_u32_e32 v19, 0x80, v0
	v_cmp_gt_i32_e32 vcc, s28, v19
	s_waitcnt vmcnt(3)
	v_fma_mix_f32 v16, v13, v16, v34 op_sel_hi:[0,1,0]
	s_waitcnt vmcnt(2)
	v_fma_mix_f32 v16, v12, v17, v16 op_sel_hi:[0,1,0]
	s_waitcnt vmcnt(1)
	v_fma_mix_f32 v16, v11, v18, v16 op_sel_hi:[0,1,0]
	s_and_saveexec_b64 s[4:5], vcc
	s_cbranch_execz .LBB473_38
; %bb.35:
	global_load_ushort v18, v[2:3], off offset:256
	global_load_ushort v19, v[4:5], off offset:256
	global_load_ushort v20, v[6:7], off offset:256
	global_load_ushort v17, v[8:9], off offset:256
	;; [unrolled: 15-line block ×3, first 2 shown]
	s_waitcnt vmcnt(3)
	v_fma_mix_f32 v2, v13, v18, v31 op_sel_hi:[0,1,0]
	s_waitcnt vmcnt(2)
	v_fma_mix_f32 v2, v12, v19, v2 op_sel_hi:[0,1,0]
	;; [unrolled: 2-line block ×4, first 2 shown]
.LBB473_37:
	s_or_b64 exec, exec, s[6:7]
	s_waitcnt vmcnt(0)
	v_fma_mix_f32 v32, v10, v17, v0 op_sel_hi:[0,1,0]
.LBB473_38:
	s_or_b64 exec, exec, s[4:5]
	s_waitcnt vmcnt(0)
	v_fma_mix_f32 v34, v10, v15, v16 op_sel_hi:[0,1,0]
.LBB473_39:
	s_or_b64 exec, exec, s[0:1]
	s_waitcnt vmcnt(0)
	v_fma_mix_f32 v35, v10, v1, v14 op_sel_hi:[0,1,0]
.LBB473_40:
	s_or_b64 exec, exec, s[2:3]
.LBB473_41:
	v_lshlrev_b32_e32 v0, 8, v30
	s_movk_i32 s0, 0x100
	v_add_lshl_u32 v0, v0, v29, 2
	v_cmp_gt_u32_e32 vcc, s0, v28
	ds_write2st64_b32 v0, v35, v34 offset1:1
	ds_write2st64_b32 v0, v32, v31 offset0:2 offset1:3
	s_waitcnt lgkmcnt(0)
	s_barrier
	s_waitcnt lgkmcnt(0)
                                        ; implicit-def: $vgpr1
                                        ; implicit-def: $vgpr2_vgpr3
	s_and_saveexec_b64 s[0:1], vcc
	s_cbranch_execz .LBB473_47
; %bb.42:
	v_lshlrev_b32_e32 v1, 2, v28
	ds_read2st64_b32 v[2:3], v1 offset1:4
	ds_read2st64_b32 v[4:5], v1 offset0:8 offset1:12
	v_or_b32_e32 v0, s33, v28
	v_cmp_gt_i32_e32 vcc, s28, v0
	s_mov_b64 s[4:5], s[34:35]
	s_waitcnt lgkmcnt(1)
	v_add_f32_e32 v2, v2, v3
	s_waitcnt lgkmcnt(0)
	v_add_f32_e32 v2, v4, v2
	v_add_f32_e32 v4, v5, v2
	ds_write_b32 v1, v4
                                        ; implicit-def: $vgpr1
                                        ; implicit-def: $vgpr2_vgpr3
	s_and_saveexec_b64 s[2:3], vcc
	s_cbranch_execz .LBB473_46
; %bb.43:
	v_ashrrev_i32_e32 v2, 31, v0
	v_cmp_eq_f32_e64 s[4:5], s31, 0
	v_mul_f32_e32 v1, s30, v4
	v_mul_lo_u32 v4, v0, s25
	v_mul_lo_u32 v5, v2, s24
	v_mad_u64_u32 v[2:3], s[6:7], v0, s24, 0
	v_add3_u32 v3, v3, v4, v5
	s_and_b64 vcc, exec, s[4:5]
	s_cbranch_vccnz .LBB473_45
; %bb.44:
	v_lshl_add_u64 v[4:5], v[2:3], 2, s[26:27]
	global_load_dword v0, v[4:5], off
	s_waitcnt vmcnt(0)
	v_fmac_f32_e32 v1, s31, v0
.LBB473_45:
	s_or_b64 s[4:5], s[34:35], exec
.LBB473_46:
	s_or_b64 exec, exec, s[2:3]
	s_andn2_b64 s[2:3], s[34:35], exec
	s_and_b64 s[4:5], s[4:5], exec
	s_or_b64 s[34:35], s[2:3], s[4:5]
.LBB473_47:
	s_or_b64 exec, exec, s[0:1]
.LBB473_48:
	s_and_saveexec_b64 s[0:1], s[34:35]
	s_cbranch_execz .LBB473_50
; %bb.49:
	v_lshl_add_u64 v[2:3], v[2:3], 2, s[26:27]
	global_store_dword v[2:3], v1, off
.LBB473_50:
	s_endpgm
	.section	.rodata,"a",@progbits
	.p2align	6, 0x0
	.amdhsa_kernel _ZL20rocblas_gemvn_kernelILi64ELi4ElDF16_ffEviiT3_lPKT2_lT1_lS3_lS4_lS0_lPT4_lS4_li
		.amdhsa_group_segment_fixed_size 4096
		.amdhsa_private_segment_fixed_size 0
		.amdhsa_kernarg_size 400
		.amdhsa_user_sgpr_count 2
		.amdhsa_user_sgpr_dispatch_ptr 0
		.amdhsa_user_sgpr_queue_ptr 0
		.amdhsa_user_sgpr_kernarg_segment_ptr 1
		.amdhsa_user_sgpr_dispatch_id 0
		.amdhsa_user_sgpr_kernarg_preload_length 0
		.amdhsa_user_sgpr_kernarg_preload_offset 0
		.amdhsa_user_sgpr_private_segment_size 0
		.amdhsa_uses_dynamic_stack 0
		.amdhsa_enable_private_segment 0
		.amdhsa_system_sgpr_workgroup_id_x 1
		.amdhsa_system_sgpr_workgroup_id_y 0
		.amdhsa_system_sgpr_workgroup_id_z 1
		.amdhsa_system_sgpr_workgroup_info 0
		.amdhsa_system_vgpr_workitem_id 1
		.amdhsa_next_free_vgpr 55
		.amdhsa_next_free_sgpr 53
		.amdhsa_accum_offset 56
		.amdhsa_reserve_vcc 1
		.amdhsa_float_round_mode_32 0
		.amdhsa_float_round_mode_16_64 0
		.amdhsa_float_denorm_mode_32 3
		.amdhsa_float_denorm_mode_16_64 3
		.amdhsa_dx10_clamp 1
		.amdhsa_ieee_mode 1
		.amdhsa_fp16_overflow 0
		.amdhsa_tg_split 0
		.amdhsa_exception_fp_ieee_invalid_op 0
		.amdhsa_exception_fp_denorm_src 0
		.amdhsa_exception_fp_ieee_div_zero 0
		.amdhsa_exception_fp_ieee_overflow 0
		.amdhsa_exception_fp_ieee_underflow 0
		.amdhsa_exception_fp_ieee_inexact 0
		.amdhsa_exception_int_div_zero 0
	.end_amdhsa_kernel
	.section	.text._ZL20rocblas_gemvn_kernelILi64ELi4ElDF16_ffEviiT3_lPKT2_lT1_lS3_lS4_lS0_lPT4_lS4_li,"axG",@progbits,_ZL20rocblas_gemvn_kernelILi64ELi4ElDF16_ffEviiT3_lPKT2_lT1_lS3_lS4_lS0_lPT4_lS4_li,comdat
.Lfunc_end473:
	.size	_ZL20rocblas_gemvn_kernelILi64ELi4ElDF16_ffEviiT3_lPKT2_lT1_lS3_lS4_lS0_lPT4_lS4_li, .Lfunc_end473-_ZL20rocblas_gemvn_kernelILi64ELi4ElDF16_ffEviiT3_lPKT2_lT1_lS3_lS4_lS0_lPT4_lS4_li
                                        ; -- End function
	.section	.AMDGPU.csdata,"",@progbits
; Kernel info:
; codeLenInByte = 2732
; NumSgprs: 59
; NumVgprs: 55
; NumAgprs: 0
; TotalNumVgprs: 55
; ScratchSize: 0
; MemoryBound: 0
; FloatMode: 240
; IeeeMode: 1
; LDSByteSize: 4096 bytes/workgroup (compile time only)
; SGPRBlocks: 7
; VGPRBlocks: 6
; NumSGPRsForWavesPerEU: 59
; NumVGPRsForWavesPerEU: 55
; AccumOffset: 56
; Occupancy: 8
; WaveLimiterHint : 1
; COMPUTE_PGM_RSRC2:SCRATCH_EN: 0
; COMPUTE_PGM_RSRC2:USER_SGPR: 2
; COMPUTE_PGM_RSRC2:TRAP_HANDLER: 0
; COMPUTE_PGM_RSRC2:TGID_X_EN: 1
; COMPUTE_PGM_RSRC2:TGID_Y_EN: 0
; COMPUTE_PGM_RSRC2:TGID_Z_EN: 1
; COMPUTE_PGM_RSRC2:TIDIG_COMP_CNT: 1
; COMPUTE_PGM_RSRC3_GFX90A:ACCUM_OFFSET: 13
; COMPUTE_PGM_RSRC3_GFX90A:TG_SPLIT: 0
	.section	.text._ZL20rocblas_gemvn_kernelILi32ELi16EiDF16_PKffEviiT3_lPKT2_lT1_lS5_lS6_lS2_lPT4_lS6_li,"axG",@progbits,_ZL20rocblas_gemvn_kernelILi32ELi16EiDF16_PKffEviiT3_lPKT2_lT1_lS5_lS6_lS2_lPT4_lS6_li,comdat
	.globl	_ZL20rocblas_gemvn_kernelILi32ELi16EiDF16_PKffEviiT3_lPKT2_lT1_lS5_lS6_lS2_lPT4_lS6_li ; -- Begin function _ZL20rocblas_gemvn_kernelILi32ELi16EiDF16_PKffEviiT3_lPKT2_lT1_lS5_lS6_lS2_lPT4_lS6_li
	.p2align	8
	.type	_ZL20rocblas_gemvn_kernelILi32ELi16EiDF16_PKffEviiT3_lPKT2_lT1_lS5_lS6_lS2_lPT4_lS6_li,@function
_ZL20rocblas_gemvn_kernelILi32ELi16EiDF16_PKffEviiT3_lPKT2_lT1_lS5_lS6_lS2_lPT4_lS6_li: ; @_ZL20rocblas_gemvn_kernelILi32ELi16EiDF16_PKffEviiT3_lPKT2_lT1_lS5_lS6_lS2_lPT4_lS6_li
; %bb.0:
	s_load_dwordx2 s[4:5], s[0:1], 0x9c
	s_waitcnt lgkmcnt(0)
	s_lshr_b32 s6, s4, 16
	s_and_b32 s4, s4, 0xffff
	s_and_b32 s5, s5, 0xffff
	s_mul_i32 s4, s6, s4
	s_mul_i32 s4, s4, s5
	s_cmpk_lg_i32 s4, 0x200
	s_cbranch_scc1 .LBB474_50
; %bb.1:
	s_load_dwordx8 s[12:19], s[0:1], 0x8
	s_load_dwordx8 s[4:11], s[0:1], 0x50
	s_waitcnt lgkmcnt(0)
	s_mul_i32 s15, s3, s15
	s_mul_hi_u32 s20, s3, s14
	s_mul_i32 s14, s3, s14
	s_add_i32 s15, s20, s15
	s_lshl_b64 s[14:15], s[14:15], 2
	s_add_u32 s12, s12, s14
	s_addc_u32 s13, s13, s15
	s_mul_i32 s9, s3, s9
	s_load_dword s29, s[12:13], 0x0
	s_mul_hi_u32 s12, s3, s8
	s_add_i32 s9, s12, s9
	s_mul_i32 s8, s3, s8
	s_lshl_b64 s[8:9], s[8:9], 2
	s_add_u32 s6, s6, s8
	s_addc_u32 s7, s7, s9
	s_load_dword s28, s[6:7], 0x0
	s_waitcnt lgkmcnt(0)
	v_cmp_eq_f32_e64 s[6:7], s29, 0
	v_cmp_eq_f32_e64 s[8:9], s28, 1.0
	s_and_b64 s[6:7], s[6:7], s[8:9]
	s_and_b64 vcc, exec, s[6:7]
	s_cbranch_vccnz .LBB474_50
; %bb.2:
	s_load_dwordx2 s[6:7], s[0:1], 0x80
	s_load_dword s30, s[0:1], 0x78
	s_load_dwordx2 s[8:9], s[0:1], 0x70
	s_load_dwordx2 s[12:13], s[0:1], 0x0
	v_and_b32_e32 v2, 0x3ff, v0
	s_waitcnt lgkmcnt(0)
	s_mul_i32 s7, s3, s7
	s_mul_hi_u32 s14, s3, s6
	s_add_i32 s7, s14, s7
	s_mul_i32 s6, s3, s6
	s_lshl_b64 s[6:7], s[6:7], 2
	s_add_u32 s10, s10, s6
	s_addc_u32 s11, s11, s7
	s_lshl_b64 s[6:7], s[8:9], 2
	s_add_u32 s8, s10, s6
	s_addc_u32 s9, s11, s7
	v_bfe_u32 v14, v0, 10, 10
	v_cmp_neq_f32_e64 s[6:7], s29, 0
	v_lshl_add_u32 v3, v14, 5, v2
	s_and_b64 vcc, exec, s[6:7]
	s_cbranch_vccnz .LBB474_9
; %bb.3:
	s_movk_i32 s6, 0x80
	v_cmp_gt_u32_e32 vcc, s6, v3
	s_mov_b64 s[6:7], 0
	s_mov_b64 s[10:11], 0
                                        ; implicit-def: $vgpr1
                                        ; implicit-def: $vgpr4_vgpr5
	s_and_saveexec_b64 s[14:15], vcc
	s_cbranch_execz .LBB474_10
; %bb.4:
	v_lshl_or_b32 v0, s2, 7, v3
	v_mov_b32_e32 v1, 0
	s_ashr_i32 s11, s12, 31
	s_mov_b32 s10, s12
	v_cmp_gt_i64_e32 vcc, s[10:11], v[0:1]
	s_mov_b64 s[20:21], 0
                                        ; implicit-def: $vgpr4_vgpr5
	s_and_saveexec_b64 s[10:11], vcc
	s_cbranch_execz .LBB474_8
; %bb.5:
	v_mad_u64_u32 v[4:5], s[22:23], s30, v0, 0
	s_ashr_i32 s24, s30, 31
	v_mov_b32_e32 v6, v5
	v_cmp_eq_f32_e64 s[20:21], s28, 0
	v_mad_u64_u32 v[6:7], s[22:23], s24, v0, v[6:7]
	v_mov_b32_e32 v5, v6
	s_and_b64 vcc, exec, s[20:21]
	s_cbranch_vccnz .LBB474_7
; %bb.6:
	v_lshl_add_u64 v[0:1], v[4:5], 2, s[8:9]
	global_load_dword v0, v[0:1], off
	s_waitcnt vmcnt(0)
	v_mul_f32_e32 v1, s28, v0
.LBB474_7:
	s_mov_b64 s[20:21], exec
.LBB474_8:
	s_or_b64 exec, exec, s[10:11]
	s_and_b64 s[10:11], s[20:21], exec
	s_or_b64 exec, exec, s[14:15]
	s_and_b64 vcc, exec, s[6:7]
	s_cbranch_vccnz .LBB474_11
	s_branch .LBB474_48
.LBB474_9:
	s_mov_b64 s[10:11], 0
                                        ; implicit-def: $vgpr1
                                        ; implicit-def: $vgpr4_vgpr5
	s_cbranch_execnz .LBB474_11
	s_branch .LBB474_48
.LBB474_10:
	s_or_b64 exec, exec, s[14:15]
	s_and_b64 vcc, exec, s[6:7]
	s_cbranch_vccz .LBB474_48
.LBB474_11:
	s_load_dwordx4 s[20:23], s[0:1], 0x30
	s_load_dword s33, s[0:1], 0x28
	s_load_dwordx2 s[6:7], s[0:1], 0x40
	s_load_dword s34, s[0:1], 0x48
	v_lshlrev_b32_e32 v20, 2, v14
	s_waitcnt lgkmcnt(0)
	s_mul_i32 s0, s3, s21
	s_mul_hi_u32 s1, s3, s20
	s_add_i32 s1, s1, s0
	s_mul_i32 s0, s3, s20
	s_lshl_b64 s[0:1], s[0:1], 1
	s_add_u32 s14, s16, s0
	s_addc_u32 s15, s17, s1
	s_lshl_b64 s[0:1], s[18:19], 1
	s_add_u32 s14, s14, s0
	s_addc_u32 s15, s15, s1
	s_mul_i32 s0, s3, s5
	s_mul_hi_u32 s1, s3, s4
	s_add_i32 s1, s1, s0
	s_mul_i32 s0, s3, s4
	s_lshl_b64 s[0:1], s[0:1], 1
	s_add_u32 s3, s22, s0
	s_addc_u32 s4, s23, s1
	s_lshl_b64 s[0:1], s[6:7], 1
	s_add_u32 s16, s3, s0
	s_addc_u32 s17, s4, s1
	s_ashr_i32 s0, s13, 31
	s_lshr_b32 s0, s0, 26
	s_add_i32 s35, s13, s0
	s_lshl_b32 s31, s2, 7
	s_andn2_b32 s35, s35, 63
	v_add_u32_e32 v16, s31, v2
	v_cmp_gt_i32_e32 vcc, s35, v20
	v_mov_b32_e32 v19, 0
	v_mov_b32_e32 v18, 0
	;; [unrolled: 1-line block ×4, first 2 shown]
	s_and_saveexec_b64 s[18:19], vcc
	s_cbranch_execz .LBB474_23
; %bb.12:
	v_add_u32_e32 v0, 32, v16
	v_cmp_gt_i32_e64 s[0:1], s12, v0
	v_add_u32_e32 v0, 64, v16
	v_cmp_gt_i32_e64 s[2:3], s12, v0
	;; [unrolled: 2-line block ×3, first 2 shown]
	v_mul_lo_u32 v0, s33, v20
	v_add_u32_e32 v6, 2, v20
	v_add_u32_e32 v7, 3, v20
	v_add3_u32 v21, v0, s33, v2
	v_mad_u64_u32 v[0:1], s[6:7], s33, v6, v[2:3]
	v_mad_u64_u32 v[4:5], s[6:7], s33, v7, v[2:3]
	v_mul_lo_u32 v1, v14, s33
	v_mul_lo_u32 v5, s34, v20
	;; [unrolled: 1-line block ×4, first 2 shown]
	v_cmp_gt_i32_e32 vcc, s12, v16
	s_lshl_b32 s36, s33, 6
	v_lshl_add_u32 v1, v1, 2, v2
	v_add_u32_e32 v5, s34, v5
	s_lshl_b32 s37, s34, 6
	v_mul_lo_u32 v23, s34, v7
	v_lshlrev_b32_e32 v24, 2, v6
	s_mov_b32 s38, 0
	s_mov_b64 s[20:21], 0
	v_mov_b32_e32 v19, 0
	v_mov_b32_e32 v18, 0
	;; [unrolled: 1-line block ×4, first 2 shown]
	s_branch .LBB474_17
.LBB474_13:                             ;   in Loop: Header=BB474_17 Depth=1
	s_or_b64 exec, exec, s[26:27]
	s_waitcnt vmcnt(3)
	v_fma_mix_f32 v6, v37, v41, v17 op_sel_hi:[0,1,0]
	s_waitcnt vmcnt(2)
	v_fma_mix_f32 v6, v38, v42, v6 op_sel_hi:[0,1,0]
	;; [unrolled: 2-line block ×4, first 2 shown]
.LBB474_14:                             ;   in Loop: Header=BB474_17 Depth=1
	s_or_b64 exec, exec, s[24:25]
	s_waitcnt vmcnt(3)
	v_fma_mix_f32 v6, v37, v33, v18 op_sel_hi:[0,1,0]
	s_waitcnt vmcnt(2)
	v_fma_mix_f32 v6, v38, v34, v6 op_sel_hi:[0,1,0]
	;; [unrolled: 2-line block ×4, first 2 shown]
.LBB474_15:                             ;   in Loop: Header=BB474_17 Depth=1
	s_or_b64 exec, exec, s[22:23]
	s_waitcnt vmcnt(3)
	v_fma_mix_f32 v6, v25, v29, v19 op_sel_hi:[1,1,0]
	s_waitcnt vmcnt(2)
	v_fma_mix_f32 v6, v26, v30, v6 op_sel_hi:[1,1,0]
	;; [unrolled: 2-line block ×4, first 2 shown]
.LBB474_16:                             ;   in Loop: Header=BB474_17 Depth=1
	s_or_b64 exec, exec, s[6:7]
	v_add_u32_e32 v20, 64, v20
	s_add_i32 s38, s38, s37
	v_cmp_le_i32_e64 s[6:7], s35, v20
	v_add_u32_e32 v21, s36, v21
	v_add_u32_e32 v0, s36, v0
	;; [unrolled: 1-line block ×3, first 2 shown]
	s_or_b64 s[20:21], s[6:7], s[20:21]
	v_add_u32_e32 v1, s36, v1
	s_andn2_b64 exec, exec, s[20:21]
	s_cbranch_execz .LBB474_22
.LBB474_17:                             ; =>This Inner Loop Header: Depth=1
	s_and_saveexec_b64 s[6:7], vcc
	s_cbranch_execz .LBB474_16
; %bb.18:                               ;   in Loop: Header=BB474_17 Depth=1
	v_add_u32_e32 v6, s38, v24
	v_ashrrev_i32_e32 v7, 31, v6
	v_add_u32_e32 v8, s38, v5
	v_add_u32_e32 v10, s38, v22
	;; [unrolled: 1-line block ×3, first 2 shown]
	v_lshl_add_u64 v[6:7], v[6:7], 1, s[16:17]
	v_ashrrev_i32_e32 v9, 31, v8
	v_ashrrev_i32_e32 v11, 31, v10
	;; [unrolled: 1-line block ×3, first 2 shown]
	v_lshl_add_u64 v[8:9], v[8:9], 1, s[16:17]
	v_lshl_add_u64 v[10:11], v[10:11], 1, s[16:17]
	v_lshl_add_u64 v[12:13], v[12:13], 1, s[16:17]
	global_load_ushort v25, v[6:7], off
	global_load_ushort v26, v[8:9], off
	;; [unrolled: 1-line block ×4, first 2 shown]
	v_add_u32_e32 v6, s31, v1
	v_ashrrev_i32_e32 v7, 31, v6
	v_add_u32_e32 v8, s31, v21
	v_add_u32_e32 v10, s31, v0
	;; [unrolled: 1-line block ×3, first 2 shown]
	v_lshl_add_u64 v[6:7], v[6:7], 1, s[14:15]
	v_ashrrev_i32_e32 v9, 31, v8
	v_ashrrev_i32_e32 v11, 31, v10
	;; [unrolled: 1-line block ×3, first 2 shown]
	v_lshl_add_u64 v[8:9], v[8:9], 1, s[14:15]
	v_lshl_add_u64 v[10:11], v[10:11], 1, s[14:15]
	;; [unrolled: 1-line block ×3, first 2 shown]
	global_load_ushort v29, v[6:7], off
	global_load_ushort v30, v[8:9], off
	;; [unrolled: 1-line block ×4, first 2 shown]
	s_and_saveexec_b64 s[22:23], s[0:1]
	s_cbranch_execz .LBB474_15
; %bb.19:                               ;   in Loop: Header=BB474_17 Depth=1
	global_load_ushort v33, v[6:7], off offset:64
	global_load_ushort v34, v[8:9], off offset:64
	global_load_ushort v35, v[10:11], off offset:64
	global_load_ushort v36, v[12:13], off offset:64
	s_waitcnt vmcnt(11)
	v_cvt_f32_f16_e32 v37, v25
	s_waitcnt vmcnt(10)
	v_cvt_f32_f16_e32 v38, v26
	;; [unrolled: 2-line block ×4, first 2 shown]
	s_and_saveexec_b64 s[24:25], s[2:3]
	s_cbranch_execz .LBB474_14
; %bb.20:                               ;   in Loop: Header=BB474_17 Depth=1
	global_load_ushort v41, v[6:7], off offset:128
	global_load_ushort v42, v[8:9], off offset:128
	global_load_ushort v43, v[10:11], off offset:128
	global_load_ushort v44, v[12:13], off offset:128
	s_and_saveexec_b64 s[26:27], s[4:5]
	s_cbranch_execz .LBB474_13
; %bb.21:                               ;   in Loop: Header=BB474_17 Depth=1
	global_load_ushort v45, v[6:7], off offset:192
	global_load_ushort v46, v[8:9], off offset:192
	;; [unrolled: 1-line block ×4, first 2 shown]
	s_waitcnt vmcnt(3)
	v_fma_mix_f32 v6, v37, v45, v15 op_sel_hi:[0,1,0]
	s_waitcnt vmcnt(2)
	v_fma_mix_f32 v6, v38, v46, v6 op_sel_hi:[0,1,0]
	;; [unrolled: 2-line block ×4, first 2 shown]
	s_branch .LBB474_13
.LBB474_22:
	s_or_b64 exec, exec, s[20:21]
.LBB474_23:
	s_or_b64 exec, exec, s[18:19]
	s_sub_i32 s0, s13, s35
	s_cmp_lt_i32 s0, 1
	s_cbranch_scc1 .LBB474_41
; %bb.24:
	v_cmp_gt_i32_e32 vcc, s13, v20
	v_mov_b32_e32 v10, 0
	v_or_b32_e32 v4, 1, v20
	v_mov_b32_e32 v11, 0
	v_mov_b32_e32 v12, 0
	v_mov_b32_e32 v13, 0
	s_and_saveexec_b64 s[2:3], vcc
	s_cbranch_execz .LBB474_32
; %bb.25:
	v_mul_lo_u32 v0, v20, s34
	v_ashrrev_i32_e32 v1, 31, v0
	v_lshl_add_u64 v[0:1], v[0:1], 1, s[16:17]
	global_load_ushort v0, v[0:1], off
	v_cmp_gt_i32_e64 s[0:1], s13, v4
	v_mov_b32_e32 v12, 0
	v_mov_b32_e32 v11, 0
	;; [unrolled: 1-line block ×3, first 2 shown]
	s_and_saveexec_b64 s[4:5], s[0:1]
	s_cbranch_execz .LBB474_31
; %bb.26:
	v_mul_lo_u32 v6, v4, s34
	v_ashrrev_i32_e32 v7, 31, v6
	v_lshl_add_u64 v[6:7], v[6:7], 1, s[16:17]
	global_load_ushort v1, v[6:7], off
	v_or_b32_e32 v5, 2, v20
	v_cmp_gt_i32_e64 s[0:1], s13, v5
	v_mov_b32_e32 v11, 0
	v_mov_b32_e32 v10, 0
	s_and_saveexec_b64 s[6:7], s[0:1]
	s_cbranch_execz .LBB474_30
; %bb.27:
	v_mul_lo_u32 v6, v5, s34
	v_ashrrev_i32_e32 v7, 31, v6
	v_lshl_add_u64 v[6:7], v[6:7], 1, s[16:17]
	global_load_ushort v5, v[6:7], off
	v_or_b32_e32 v6, 3, v20
	v_cmp_gt_i32_e64 s[0:1], s13, v6
	v_mov_b32_e32 v10, 0
	s_and_saveexec_b64 s[18:19], s[0:1]
	s_cbranch_execz .LBB474_29
; %bb.28:
	v_mul_lo_u32 v6, v6, s34
	v_ashrrev_i32_e32 v7, 31, v6
	v_lshl_add_u64 v[6:7], v[6:7], 1, s[16:17]
	global_load_ushort v6, v[6:7], off
	s_waitcnt vmcnt(0)
	v_cvt_f32_f16_e32 v10, v6
.LBB474_29:
	s_or_b64 exec, exec, s[18:19]
	s_waitcnt vmcnt(0)
	v_cvt_f32_f16_e32 v11, v5
.LBB474_30:
	s_or_b64 exec, exec, s[6:7]
	s_waitcnt vmcnt(0)
	v_cvt_f32_f16_e32 v12, v1
.LBB474_31:
	s_or_b64 exec, exec, s[4:5]
	s_waitcnt vmcnt(0)
	v_cvt_f32_f16_e32 v13, v0
.LBB474_32:
	s_or_b64 exec, exec, s[2:3]
	v_cmp_gt_i32_e64 s[0:1], s12, v16
	s_and_saveexec_b64 s[2:3], s[0:1]
	s_cbranch_execz .LBB474_40
; %bb.33:
	v_mul_lo_u32 v0, v20, s33
	v_cndmask_b32_e32 v0, 0, v0, vcc
	v_mul_lo_u32 v5, v4, s33
	v_cmp_gt_i32_e32 vcc, s13, v4
	v_or_b32_e32 v6, 2, v20
	v_mul_lo_u32 v7, v6, s33
	v_cndmask_b32_e32 v4, 0, v5, vcc
	v_cmp_gt_i32_e32 vcc, s13, v6
	v_or_b32_e32 v8, 3, v20
	v_mul_lo_u32 v9, v8, s33
	v_cndmask_b32_e32 v6, 0, v7, vcc
	v_cmp_gt_i32_e32 vcc, s13, v8
	v_add_u32_e32 v0, v0, v16
	v_ashrrev_i32_e32 v1, 31, v0
	v_cndmask_b32_e32 v8, 0, v9, vcc
	v_add_u32_e32 v4, v4, v16
	v_add_u32_e32 v6, v6, v16
	;; [unrolled: 1-line block ×3, first 2 shown]
	v_lshl_add_u64 v[0:1], v[0:1], 1, s[14:15]
	v_ashrrev_i32_e32 v5, 31, v4
	v_ashrrev_i32_e32 v7, 31, v6
	;; [unrolled: 1-line block ×3, first 2 shown]
	v_lshl_add_u64 v[4:5], v[4:5], 1, s[14:15]
	v_lshl_add_u64 v[6:7], v[6:7], 1, s[14:15]
	global_load_ushort v21, v[0:1], off
	global_load_ushort v22, v[4:5], off
	;; [unrolled: 1-line block ×3, first 2 shown]
	v_lshl_add_u64 v[8:9], v[8:9], 1, s[14:15]
	global_load_ushort v20, v[8:9], off
	v_add_u32_e32 v24, 32, v16
	v_cmp_gt_i32_e32 vcc, s12, v24
	s_waitcnt vmcnt(3)
	v_fma_mix_f32 v19, v13, v21, v19 op_sel_hi:[0,1,0]
	s_waitcnt vmcnt(2)
	v_fma_mix_f32 v19, v12, v22, v19 op_sel_hi:[0,1,0]
	s_waitcnt vmcnt(1)
	v_fma_mix_f32 v19, v11, v23, v19 op_sel_hi:[0,1,0]
	s_and_saveexec_b64 s[0:1], vcc
	s_cbranch_execz .LBB474_39
; %bb.34:
	global_load_ushort v22, v[0:1], off offset:64
	global_load_ushort v23, v[4:5], off offset:64
	global_load_ushort v24, v[6:7], off offset:64
	global_load_ushort v21, v[8:9], off offset:64
	v_add_u32_e32 v25, 64, v16
	v_cmp_gt_i32_e32 vcc, s12, v25
	s_waitcnt vmcnt(3)
	v_fma_mix_f32 v18, v13, v22, v18 op_sel_hi:[0,1,0]
	s_waitcnt vmcnt(2)
	v_fma_mix_f32 v18, v12, v23, v18 op_sel_hi:[0,1,0]
	s_waitcnt vmcnt(1)
	v_fma_mix_f32 v18, v11, v24, v18 op_sel_hi:[0,1,0]
	s_and_saveexec_b64 s[4:5], vcc
	s_cbranch_execz .LBB474_38
; %bb.35:
	global_load_ushort v23, v[0:1], off offset:128
	global_load_ushort v24, v[4:5], off offset:128
	global_load_ushort v25, v[6:7], off offset:128
	global_load_ushort v22, v[8:9], off offset:128
	;; [unrolled: 15-line block ×3, first 2 shown]
	s_waitcnt vmcnt(3)
	v_fma_mix_f32 v0, v13, v17, v15 op_sel_hi:[0,1,0]
	s_waitcnt vmcnt(2)
	v_fma_mix_f32 v0, v12, v23, v0 op_sel_hi:[0,1,0]
	s_waitcnt vmcnt(1)
	v_fma_mix_f32 v0, v11, v24, v0 op_sel_hi:[0,1,0]
	s_waitcnt vmcnt(0)
	v_fma_mix_f32 v15, v10, v25, v0 op_sel_hi:[0,1,0]
.LBB474_37:
	s_or_b64 exec, exec, s[6:7]
	s_waitcnt vmcnt(0)
	v_fma_mix_f32 v17, v10, v22, v16 op_sel_hi:[0,1,0]
.LBB474_38:
	s_or_b64 exec, exec, s[4:5]
	s_waitcnt vmcnt(0)
	v_fma_mix_f32 v18, v10, v21, v18 op_sel_hi:[0,1,0]
.LBB474_39:
	s_or_b64 exec, exec, s[0:1]
	s_waitcnt vmcnt(0)
	v_fma_mix_f32 v19, v10, v20, v19 op_sel_hi:[0,1,0]
.LBB474_40:
	s_or_b64 exec, exec, s[2:3]
.LBB474_41:
	v_lshlrev_b32_e32 v0, 7, v14
	s_movk_i32 s0, 0x80
	v_add_lshl_u32 v0, v0, v2, 2
	v_cmp_gt_u32_e32 vcc, s0, v3
	ds_write2_b32 v0, v19, v18 offset1:32
	ds_write2_b32 v0, v17, v15 offset0:64 offset1:96
	s_waitcnt lgkmcnt(0)
	s_barrier
	s_waitcnt lgkmcnt(0)
                                        ; implicit-def: $vgpr1
                                        ; implicit-def: $vgpr4_vgpr5
	s_and_saveexec_b64 s[0:1], vcc
	s_cbranch_execz .LBB474_47
; %bb.42:
	v_lshlrev_b32_e32 v2, 2, v3
	ds_read2st64_b32 v[0:1], v2 offset1:2
	ds_read2st64_b32 v[4:5], v2 offset0:4 offset1:6
	ds_read2st64_b32 v[6:7], v2 offset0:8 offset1:10
	ds_read2st64_b32 v[8:9], v2 offset0:12 offset1:14
	ds_read2st64_b32 v[10:11], v2 offset0:16 offset1:18
	s_waitcnt lgkmcnt(4)
	v_add_f32_e32 v0, v0, v1
	s_waitcnt lgkmcnt(3)
	v_add_f32_e32 v0, v4, v0
	v_add_f32_e32 v0, v5, v0
	s_waitcnt lgkmcnt(2)
	v_add_f32_e32 v0, v6, v0
	;; [unrolled: 3-line block ×3, first 2 shown]
	v_add_f32_e32 v4, v9, v0
	ds_read2st64_b32 v[0:1], v2 offset0:20 offset1:22
	s_waitcnt lgkmcnt(1)
	v_add_f32_e32 v6, v10, v4
	ds_read2st64_b32 v[4:5], v2 offset0:24 offset1:26
	v_add_f32_e32 v8, v11, v6
	ds_read2st64_b32 v[6:7], v2 offset0:28 offset1:30
	s_waitcnt lgkmcnt(2)
	v_add_f32_e32 v0, v0, v8
	v_add_f32_e32 v0, v1, v0
	s_waitcnt lgkmcnt(1)
	v_add_f32_e32 v0, v4, v0
	v_add_f32_e32 v0, v5, v0
	;; [unrolled: 3-line block ×3, first 2 shown]
	ds_write_b32 v2, v0
	v_or_b32_e32 v2, s31, v3
	v_cmp_gt_i32_e32 vcc, s12, v2
	s_mov_b64 s[4:5], s[10:11]
                                        ; implicit-def: $vgpr1
                                        ; implicit-def: $vgpr4_vgpr5
	s_and_saveexec_b64 s[2:3], vcc
	s_cbranch_execz .LBB474_46
; %bb.43:
	v_cmp_eq_f32_e64 s[4:5], s28, 0
	v_mul_lo_u32 v4, v2, s30
	v_mul_f32_e32 v1, s29, v0
	v_ashrrev_i32_e32 v5, 31, v4
	s_and_b64 vcc, exec, s[4:5]
	s_cbranch_vccnz .LBB474_45
; %bb.44:
	v_lshl_add_u64 v[2:3], v[4:5], 2, s[8:9]
	global_load_dword v0, v[2:3], off
	s_waitcnt vmcnt(0)
	v_fmac_f32_e32 v1, s28, v0
.LBB474_45:
	s_or_b64 s[4:5], s[10:11], exec
.LBB474_46:
	s_or_b64 exec, exec, s[2:3]
	s_andn2_b64 s[2:3], s[10:11], exec
	s_and_b64 s[4:5], s[4:5], exec
	s_or_b64 s[10:11], s[2:3], s[4:5]
.LBB474_47:
	s_or_b64 exec, exec, s[0:1]
.LBB474_48:
	s_and_saveexec_b64 s[0:1], s[10:11]
	s_cbranch_execz .LBB474_50
; %bb.49:
	v_lshl_add_u64 v[2:3], v[4:5], 2, s[8:9]
	global_store_dword v[2:3], v1, off
.LBB474_50:
	s_endpgm
	.section	.rodata,"a",@progbits
	.p2align	6, 0x0
	.amdhsa_kernel _ZL20rocblas_gemvn_kernelILi32ELi16EiDF16_PKffEviiT3_lPKT2_lT1_lS5_lS6_lS2_lPT4_lS6_li
		.amdhsa_group_segment_fixed_size 8192
		.amdhsa_private_segment_fixed_size 0
		.amdhsa_kernarg_size 400
		.amdhsa_user_sgpr_count 2
		.amdhsa_user_sgpr_dispatch_ptr 0
		.amdhsa_user_sgpr_queue_ptr 0
		.amdhsa_user_sgpr_kernarg_segment_ptr 1
		.amdhsa_user_sgpr_dispatch_id 0
		.amdhsa_user_sgpr_kernarg_preload_length 0
		.amdhsa_user_sgpr_kernarg_preload_offset 0
		.amdhsa_user_sgpr_private_segment_size 0
		.amdhsa_uses_dynamic_stack 0
		.amdhsa_enable_private_segment 0
		.amdhsa_system_sgpr_workgroup_id_x 1
		.amdhsa_system_sgpr_workgroup_id_y 0
		.amdhsa_system_sgpr_workgroup_id_z 1
		.amdhsa_system_sgpr_workgroup_info 0
		.amdhsa_system_vgpr_workitem_id 1
		.amdhsa_next_free_vgpr 49
		.amdhsa_next_free_sgpr 39
		.amdhsa_accum_offset 52
		.amdhsa_reserve_vcc 1
		.amdhsa_float_round_mode_32 0
		.amdhsa_float_round_mode_16_64 0
		.amdhsa_float_denorm_mode_32 3
		.amdhsa_float_denorm_mode_16_64 3
		.amdhsa_dx10_clamp 1
		.amdhsa_ieee_mode 1
		.amdhsa_fp16_overflow 0
		.amdhsa_tg_split 0
		.amdhsa_exception_fp_ieee_invalid_op 0
		.amdhsa_exception_fp_denorm_src 0
		.amdhsa_exception_fp_ieee_div_zero 0
		.amdhsa_exception_fp_ieee_overflow 0
		.amdhsa_exception_fp_ieee_underflow 0
		.amdhsa_exception_fp_ieee_inexact 0
		.amdhsa_exception_int_div_zero 0
	.end_amdhsa_kernel
	.section	.text._ZL20rocblas_gemvn_kernelILi32ELi16EiDF16_PKffEviiT3_lPKT2_lT1_lS5_lS6_lS2_lPT4_lS6_li,"axG",@progbits,_ZL20rocblas_gemvn_kernelILi32ELi16EiDF16_PKffEviiT3_lPKT2_lT1_lS5_lS6_lS2_lPT4_lS6_li,comdat
.Lfunc_end474:
	.size	_ZL20rocblas_gemvn_kernelILi32ELi16EiDF16_PKffEviiT3_lPKT2_lT1_lS5_lS6_lS2_lPT4_lS6_li, .Lfunc_end474-_ZL20rocblas_gemvn_kernelILi32ELi16EiDF16_PKffEviiT3_lPKT2_lT1_lS5_lS6_lS2_lPT4_lS6_li
                                        ; -- End function
	.section	.AMDGPU.csdata,"",@progbits
; Kernel info:
; codeLenInByte = 2604
; NumSgprs: 45
; NumVgprs: 49
; NumAgprs: 0
; TotalNumVgprs: 49
; ScratchSize: 0
; MemoryBound: 0
; FloatMode: 240
; IeeeMode: 1
; LDSByteSize: 8192 bytes/workgroup (compile time only)
; SGPRBlocks: 5
; VGPRBlocks: 6
; NumSGPRsForWavesPerEU: 45
; NumVGPRsForWavesPerEU: 49
; AccumOffset: 52
; Occupancy: 8
; WaveLimiterHint : 1
; COMPUTE_PGM_RSRC2:SCRATCH_EN: 0
; COMPUTE_PGM_RSRC2:USER_SGPR: 2
; COMPUTE_PGM_RSRC2:TRAP_HANDLER: 0
; COMPUTE_PGM_RSRC2:TGID_X_EN: 1
; COMPUTE_PGM_RSRC2:TGID_Y_EN: 0
; COMPUTE_PGM_RSRC2:TGID_Z_EN: 1
; COMPUTE_PGM_RSRC2:TIDIG_COMP_CNT: 1
; COMPUTE_PGM_RSRC3_GFX90A:ACCUM_OFFSET: 12
; COMPUTE_PGM_RSRC3_GFX90A:TG_SPLIT: 0
	.section	.text._ZL20rocblas_gemvn_kernelILi32ELi16ElDF16_PKffEviiT3_lPKT2_lT1_lS5_lS6_lS2_lPT4_lS6_li,"axG",@progbits,_ZL20rocblas_gemvn_kernelILi32ELi16ElDF16_PKffEviiT3_lPKT2_lT1_lS5_lS6_lS2_lPT4_lS6_li,comdat
	.globl	_ZL20rocblas_gemvn_kernelILi32ELi16ElDF16_PKffEviiT3_lPKT2_lT1_lS5_lS6_lS2_lPT4_lS6_li ; -- Begin function _ZL20rocblas_gemvn_kernelILi32ELi16ElDF16_PKffEviiT3_lPKT2_lT1_lS5_lS6_lS2_lPT4_lS6_li
	.p2align	8
	.type	_ZL20rocblas_gemvn_kernelILi32ELi16ElDF16_PKffEviiT3_lPKT2_lT1_lS5_lS6_lS2_lPT4_lS6_li,@function
_ZL20rocblas_gemvn_kernelILi32ELi16ElDF16_PKffEviiT3_lPKT2_lT1_lS5_lS6_lS2_lPT4_lS6_li: ; @_ZL20rocblas_gemvn_kernelILi32ELi16ElDF16_PKffEviiT3_lPKT2_lT1_lS5_lS6_lS2_lPT4_lS6_li
; %bb.0:
	s_load_dwordx2 s[4:5], s[0:1], 0x9c
	s_waitcnt lgkmcnt(0)
	s_lshr_b32 s6, s4, 16
	s_and_b32 s4, s4, 0xffff
	s_and_b32 s5, s5, 0xffff
	s_mul_i32 s4, s6, s4
	s_mul_i32 s4, s4, s5
	s_cmpk_lg_i32 s4, 0x200
	s_cbranch_scc1 .LBB475_50
; %bb.1:
	s_load_dwordx16 s[36:51], s[0:1], 0x8
	s_load_dwordx16 s[8:23], s[0:1], 0x48
	s_waitcnt lgkmcnt(0)
	s_mul_i32 s5, s3, s39
	s_mul_hi_u32 s6, s3, s38
	s_mul_i32 s4, s3, s38
	s_add_i32 s5, s6, s5
	s_lshl_b64 s[4:5], s[4:5], 2
	s_add_u32 s4, s36, s4
	s_addc_u32 s5, s37, s5
	s_mul_i32 s7, s3, s15
	s_load_dword s52, s[4:5], 0x0
	s_mul_hi_u32 s4, s3, s14
	s_add_i32 s5, s4, s7
	s_mul_i32 s4, s3, s14
	s_lshl_b64 s[4:5], s[4:5], 2
	s_add_u32 s4, s12, s4
	s_addc_u32 s5, s13, s5
	s_load_dword s33, s[4:5], 0x0
	s_waitcnt lgkmcnt(0)
	v_cmp_eq_f32_e64 s[4:5], s52, 0
	v_cmp_eq_f32_e64 s[6:7], s33, 1.0
	s_and_b64 s[4:5], s[4:5], s[6:7]
	s_and_b64 vcc, exec, s[4:5]
	s_cbranch_vccnz .LBB475_50
; %bb.2:
	s_load_dwordx2 s[14:15], s[0:1], 0x0
	s_mul_i32 s0, s3, s23
	s_mul_hi_u32 s1, s3, s22
	s_add_i32 s1, s1, s0
	s_mul_i32 s0, s3, s22
	s_lshl_b64 s[0:1], s[0:1], 2
	s_add_u32 s4, s16, s0
	s_addc_u32 s5, s17, s1
	s_lshl_b64 s[0:1], s[18:19], 2
	s_add_u32 s12, s4, s0
	s_addc_u32 s13, s5, s1
	v_and_b32_e32 v29, 0x3ff, v0
	v_bfe_u32 v30, v0, 10, 10
	v_cmp_neq_f32_e64 s[0:1], s52, 0
	v_lshl_add_u32 v28, v30, 5, v29
	s_and_b64 vcc, exec, s[0:1]
	s_cbranch_vccnz .LBB475_9
; %bb.3:
	s_movk_i32 s0, 0x80
	v_cmp_gt_u32_e32 vcc, s0, v28
	s_mov_b64 s[0:1], 0
	s_mov_b64 s[16:17], 0
                                        ; implicit-def: $vgpr1
                                        ; implicit-def: $vgpr2_vgpr3
	s_and_saveexec_b64 s[4:5], vcc
	s_cbranch_execz .LBB475_10
; %bb.4:
	v_lshl_or_b32 v0, s2, 7, v28
	v_mov_b32_e32 v1, 0
	s_waitcnt lgkmcnt(0)
	s_ashr_i32 s7, s14, 31
	s_mov_b32 s6, s14
	v_cmp_gt_i64_e32 vcc, s[6:7], v[0:1]
                                        ; implicit-def: $vgpr2_vgpr3
	s_and_saveexec_b64 s[6:7], vcc
	s_cbranch_execz .LBB475_8
; %bb.5:
	v_mad_u64_u32 v[2:3], s[18:19], v0, s20, 0
	v_mov_b32_e32 v4, v3
	v_cmp_eq_f32_e64 s[16:17], s33, 0
	v_mad_u64_u32 v[4:5], s[18:19], v0, s21, v[4:5]
	v_mov_b32_e32 v3, v4
	s_and_b64 vcc, exec, s[16:17]
	s_cbranch_vccnz .LBB475_7
; %bb.6:
	v_lshl_add_u64 v[0:1], v[2:3], 2, s[12:13]
	global_load_dword v0, v[0:1], off
	s_waitcnt vmcnt(0)
	v_mul_f32_e32 v1, s33, v0
.LBB475_7:
	s_mov_b64 s[16:17], exec
.LBB475_8:
	s_or_b64 exec, exec, s[6:7]
	s_and_b64 s[16:17], s[16:17], exec
	s_or_b64 exec, exec, s[4:5]
	s_and_b64 vcc, exec, s[0:1]
	s_cbranch_vccnz .LBB475_11
	s_branch .LBB475_48
.LBB475_9:
	s_mov_b64 s[16:17], 0
                                        ; implicit-def: $vgpr1
                                        ; implicit-def: $vgpr2_vgpr3
	s_cbranch_execnz .LBB475_11
	s_branch .LBB475_48
.LBB475_10:
	s_or_b64 exec, exec, s[4:5]
	s_and_b64 vcc, exec, s[0:1]
	s_cbranch_vccz .LBB475_48
.LBB475_11:
	s_mul_i32 s0, s3, s47
	s_mul_hi_u32 s1, s3, s46
	s_add_i32 s19, s1, s0
	s_mul_i32 s0, s3, s11
	s_mul_hi_u32 s1, s3, s10
	s_add_i32 s11, s1, s0
	s_waitcnt lgkmcnt(0)
	s_ashr_i32 s0, s15, 31
	s_lshr_b32 s0, s0, 26
	s_add_i32 s47, s15, s0
	s_mul_i32 s18, s3, s46
	s_lshl_b32 s46, s2, 7
	s_andn2_b32 s47, s47, 63
	v_lshlrev_b32_e32 v33, 2, v30
	s_mul_i32 s10, s3, s10
	v_add_u32_e32 v0, s46, v29
	v_cmp_gt_i32_e32 vcc, s47, v33
	v_mov_b32_e32 v35, 0
	v_mov_b32_e32 v34, 0
	;; [unrolled: 1-line block ×4, first 2 shown]
	s_and_saveexec_b64 s[22:23], vcc
	s_cbranch_execz .LBB475_23
; %bb.12:
	v_add_u32_e32 v2, 32, v0
	v_cmp_gt_i32_e64 s[0:1], s14, v2
	v_add_u32_e32 v2, 64, v0
	v_cmp_gt_i32_e64 s[2:3], s14, v2
	;; [unrolled: 2-line block ×3, first 2 shown]
	v_mad_u64_u32 v[2:3], s[6:7], s8, v30, 0
	v_mov_b32_e32 v4, v3
	v_ashrrev_i32_e32 v1, 31, v0
	v_mad_u64_u32 v[4:5], s[6:7], s9, v30, v[4:5]
	v_mov_b32_e32 v3, v4
	v_lshlrev_b64 v[4:5], 1, v[0:1]
	v_lshlrev_b32_e32 v1, 2, v30
	v_or_b32_e32 v11, 3, v1
	v_mad_u64_u32 v[6:7], s[28:29], s44, v11, 0
	v_mov_b32_e32 v8, v7
	v_mad_u64_u32 v[8:9], s[28:29], s45, v11, v[8:9]
	v_mov_b32_e32 v7, v8
	;; [unrolled: 2-line block ×5, first 2 shown]
	v_mad_u64_u32 v[12:13], s[34:35], s45, v30, v[12:13]
	v_or_b32_e32 v17, 2, v1
	v_mov_b32_e32 v11, v12
	v_mad_u64_u32 v[12:13], s[34:35], s44, v17, 0
	v_mov_b32_e32 v14, v13
	v_mad_u64_u32 v[14:15], s[34:35], s45, v17, v[14:15]
	;; [unrolled: 2-line block ×4, first 2 shown]
	v_mov_b32_e32 v15, v16
	v_mov_b64_e32 v[16:17], s[8:9]
	v_mad_u64_u32 v[16:17], s[34:35], s8, v1, v[16:17]
	s_lshl_b64 s[24:25], s[50:51], 1
	s_lshl_b64 s[6:7], s[10:11], 1
	v_mov_b32_e32 v18, v17
	s_add_u32 s6, s48, s6
	v_mad_u64_u32 v[18:19], s[34:35], s9, v1, v[18:19]
	s_addc_u32 s7, s49, s7
	s_lshl_b64 s[26:27], s[8:9], 7
	s_lshl_b64 s[28:29], s[18:19], 1
	;; [unrolled: 1-line block ×3, first 2 shown]
	v_mov_b32_e32 v17, v18
	v_mov_b64_e32 v[18:19], s[44:45]
	v_lshl_add_u64 v[2:3], v[2:3], 3, s[6:7]
	s_add_u32 s30, s40, s30
	v_lshl_add_u64 v[8:9], v[8:9], 1, s[6:7]
	v_lshl_add_u64 v[14:15], v[14:15], 1, s[6:7]
	;; [unrolled: 1-line block ×3, first 2 shown]
	v_mad_u64_u32 v[18:19], s[6:7], s44, v1, v[18:19]
	s_addc_u32 s31, s41, s31
	v_mov_b32_e32 v20, v19
	s_add_u32 s30, s30, s28
	v_mad_u64_u32 v[20:21], s[6:7], s45, v1, v[20:21]
	s_addc_u32 s31, s31, s29
	v_mov_b32_e32 v19, v20
	v_cmp_gt_i32_e32 vcc, s14, v0
	v_lshl_add_u64 v[6:7], v[6:7], 1, s[30:31]
	s_lshl_b64 s[28:29], s[44:45], 7
	v_lshl_add_u64 v[10:11], v[10:11], 3, s[30:31]
	v_lshl_add_u64 v[12:13], v[12:13], 1, s[30:31]
	;; [unrolled: 1-line block ×3, first 2 shown]
	s_mov_b64 s[30:31], 0
	v_mov_b32_e32 v35, 0
	v_mov_b32_e32 v34, 0
	;; [unrolled: 1-line block ×4, first 2 shown]
	s_branch .LBB475_17
.LBB475_13:                             ;   in Loop: Header=BB475_17 Depth=1
	s_or_b64 exec, exec, s[38:39]
	s_waitcnt vmcnt(3)
	v_fma_mix_f32 v20, v47, v51, v32 op_sel_hi:[0,1,0]
	s_waitcnt vmcnt(2)
	v_fma_mix_f32 v20, v48, v52, v20 op_sel_hi:[0,1,0]
	;; [unrolled: 2-line block ×4, first 2 shown]
.LBB475_14:                             ;   in Loop: Header=BB475_17 Depth=1
	s_or_b64 exec, exec, s[36:37]
	s_waitcnt vmcnt(3)
	v_fma_mix_f32 v20, v47, v43, v34 op_sel_hi:[0,1,0]
	s_waitcnt vmcnt(2)
	v_fma_mix_f32 v20, v48, v44, v20 op_sel_hi:[0,1,0]
	;; [unrolled: 2-line block ×4, first 2 shown]
.LBB475_15:                             ;   in Loop: Header=BB475_17 Depth=1
	s_or_b64 exec, exec, s[34:35]
	s_waitcnt vmcnt(3)
	v_fma_mix_f32 v1, v1, v39, v35 op_sel_hi:[1,1,0]
	s_waitcnt vmcnt(2)
	v_fma_mix_f32 v1, v36, v40, v1 op_sel_hi:[1,1,0]
	;; [unrolled: 2-line block ×4, first 2 shown]
.LBB475_16:                             ;   in Loop: Header=BB475_17 Depth=1
	s_or_b64 exec, exec, s[6:7]
	v_add_u32_e32 v33, 64, v33
	v_cmp_le_i32_e64 s[6:7], s47, v33
	v_lshl_add_u64 v[2:3], v[2:3], 0, s[26:27]
	v_lshl_add_u64 v[6:7], v[6:7], 0, s[28:29]
	v_lshl_add_u64 v[8:9], v[8:9], 0, s[26:27]
	v_lshl_add_u64 v[10:11], v[10:11], 0, s[28:29]
	v_lshl_add_u64 v[12:13], v[12:13], 0, s[28:29]
	v_lshl_add_u64 v[14:15], v[14:15], 0, s[26:27]
	v_lshl_add_u64 v[16:17], v[16:17], 0, s[26:27]
	s_or_b64 s[30:31], s[6:7], s[30:31]
	v_lshl_add_u64 v[18:19], v[18:19], 0, s[28:29]
	s_andn2_b64 exec, exec, s[30:31]
	s_cbranch_execz .LBB475_22
.LBB475_17:                             ; =>This Inner Loop Header: Depth=1
	s_and_saveexec_b64 s[6:7], vcc
	s_cbranch_execz .LBB475_16
; %bb.18:                               ;   in Loop: Header=BB475_17 Depth=1
	v_lshl_add_u64 v[20:21], v[2:3], 0, s[24:25]
	global_load_ushort v1, v[20:21], off
	v_lshl_add_u64 v[20:21], v[16:17], 0, s[24:25]
	global_load_ushort v36, v[20:21], off
	;; [unrolled: 2-line block ×4, first 2 shown]
	v_lshl_add_u64 v[20:21], v[10:11], 0, v[4:5]
	v_lshl_add_u64 v[22:23], v[18:19], 0, v[4:5]
	;; [unrolled: 1-line block ×4, first 2 shown]
	global_load_ushort v39, v[20:21], off
	global_load_ushort v40, v[22:23], off
	;; [unrolled: 1-line block ×4, first 2 shown]
	s_and_saveexec_b64 s[34:35], s[0:1]
	s_cbranch_execz .LBB475_15
; %bb.19:                               ;   in Loop: Header=BB475_17 Depth=1
	global_load_ushort v43, v[20:21], off offset:64
	global_load_ushort v44, v[22:23], off offset:64
	;; [unrolled: 1-line block ×4, first 2 shown]
	s_waitcnt vmcnt(11)
	v_cvt_f32_f16_e32 v47, v1
	s_waitcnt vmcnt(10)
	v_cvt_f32_f16_e32 v48, v36
	;; [unrolled: 2-line block ×4, first 2 shown]
	s_and_saveexec_b64 s[36:37], s[2:3]
	s_cbranch_execz .LBB475_14
; %bb.20:                               ;   in Loop: Header=BB475_17 Depth=1
	global_load_ushort v51, v[20:21], off offset:128
	global_load_ushort v52, v[22:23], off offset:128
	;; [unrolled: 1-line block ×4, first 2 shown]
	s_and_saveexec_b64 s[38:39], s[4:5]
	s_cbranch_execz .LBB475_13
; %bb.21:                               ;   in Loop: Header=BB475_17 Depth=1
	global_load_ushort v20, v[20:21], off offset:192
	s_nop 0
	global_load_ushort v21, v[22:23], off offset:192
	s_nop 0
	global_load_ushort v22, v[24:25], off offset:192
	global_load_ushort v23, v[26:27], off offset:192
	s_waitcnt vmcnt(3)
	v_fma_mix_f32 v20, v47, v20, v31 op_sel_hi:[0,1,0]
	s_waitcnt vmcnt(2)
	v_fma_mix_f32 v20, v48, v21, v20 op_sel_hi:[0,1,0]
	;; [unrolled: 2-line block ×4, first 2 shown]
	s_branch .LBB475_13
.LBB475_22:
	s_or_b64 exec, exec, s[30:31]
.LBB475_23:
	s_or_b64 exec, exec, s[22:23]
	s_sub_i32 s0, s15, s47
	s_cmp_lt_i32 s0, 1
	s_cbranch_scc1 .LBB475_41
; %bb.24:
	v_cmp_gt_i32_e32 vcc, s15, v33
	v_mov_b32_e32 v10, 0
	v_or_b32_e32 v4, 1, v33
	v_mov_b32_e32 v11, 0
	v_mov_b32_e32 v12, 0
	;; [unrolled: 1-line block ×3, first 2 shown]
	s_and_saveexec_b64 s[2:3], vcc
	s_cbranch_execz .LBB475_32
; %bb.25:
	s_lshl_b64 s[0:1], s[10:11], 1
	s_add_u32 s4, s48, s0
	s_addc_u32 s5, s49, s1
	s_lshl_b64 s[0:1], s[50:51], 1
	s_add_u32 s6, s4, s0
	s_addc_u32 s7, s5, s1
	v_mad_u64_u32 v[2:3], s[0:1], v33, s8, 0
	v_mov_b32_e32 v6, v3
	v_mad_u64_u32 v[6:7], s[0:1], v33, s9, v[6:7]
	v_mov_b32_e32 v3, v6
	v_lshl_add_u64 v[2:3], v[2:3], 1, s[6:7]
	global_load_ushort v1, v[2:3], off
	v_cmp_gt_i32_e64 s[0:1], s15, v4
	v_mov_b32_e32 v12, 0
	v_mov_b32_e32 v11, 0
	v_mov_b32_e32 v10, 0
	s_and_saveexec_b64 s[4:5], s[0:1]
	s_cbranch_execz .LBB475_31
; %bb.26:
	v_mad_u64_u32 v[2:3], s[0:1], v4, s8, 0
	v_mov_b32_e32 v6, v3
	v_mad_u64_u32 v[6:7], s[0:1], v4, s9, v[6:7]
	v_mov_b32_e32 v3, v6
	v_lshl_add_u64 v[2:3], v[2:3], 1, s[6:7]
	global_load_ushort v2, v[2:3], off
	v_or_b32_e32 v3, 2, v33
	v_cmp_gt_i32_e64 s[0:1], s15, v3
	v_mov_b32_e32 v11, 0
	v_mov_b32_e32 v10, 0
	s_and_saveexec_b64 s[10:11], s[0:1]
	s_cbranch_execz .LBB475_30
; %bb.27:
	v_mad_u64_u32 v[6:7], s[0:1], v3, s8, 0
	v_mov_b32_e32 v8, v7
	v_mad_u64_u32 v[8:9], s[0:1], v3, s9, v[8:9]
	v_mov_b32_e32 v7, v8
	v_lshl_add_u64 v[6:7], v[6:7], 1, s[6:7]
	global_load_ushort v3, v[6:7], off
	v_or_b32_e32 v5, 3, v33
	v_cmp_gt_i32_e64 s[0:1], s15, v5
	v_mov_b32_e32 v10, 0
	s_and_saveexec_b64 s[22:23], s[0:1]
	s_cbranch_execz .LBB475_29
; %bb.28:
	v_mad_u64_u32 v[6:7], s[0:1], v5, s8, 0
	v_mov_b32_e32 v8, v7
	v_mad_u64_u32 v[8:9], s[0:1], v5, s9, v[8:9]
	v_mov_b32_e32 v7, v8
	v_lshl_add_u64 v[6:7], v[6:7], 1, s[6:7]
	global_load_ushort v5, v[6:7], off
	s_waitcnt vmcnt(0)
	v_cvt_f32_f16_e32 v10, v5
.LBB475_29:
	s_or_b64 exec, exec, s[22:23]
	s_waitcnt vmcnt(0)
	v_cvt_f32_f16_e32 v11, v3
.LBB475_30:
	s_or_b64 exec, exec, s[10:11]
	s_waitcnt vmcnt(0)
	v_cvt_f32_f16_e32 v12, v2
.LBB475_31:
	s_or_b64 exec, exec, s[4:5]
	s_waitcnt vmcnt(0)
	v_cvt_f32_f16_e32 v13, v1
.LBB475_32:
	s_or_b64 exec, exec, s[2:3]
	v_cmp_gt_i32_e64 s[0:1], s14, v0
	s_and_saveexec_b64 s[2:3], s[0:1]
	s_cbranch_execz .LBB475_40
; %bb.33:
	s_lshl_b64 s[0:1], s[18:19], 1
	s_add_u32 s4, s40, s0
	s_addc_u32 s5, s41, s1
	s_lshl_b64 s[0:1], s[42:43], 1
	s_add_u32 s0, s4, s0
	s_addc_u32 s1, s5, s1
	v_mad_u64_u32 v[2:3], s[4:5], v33, s44, 0
	v_mov_b32_e32 v6, v3
	v_mad_u64_u32 v[6:7], s[4:5], v33, s45, v[6:7]
	v_ashrrev_i32_e32 v1, 31, v0
	v_cndmask_b32_e32 v3, 0, v6, vcc
	v_mad_u64_u32 v[6:7], s[4:5], v4, s44, 0
	v_cndmask_b32_e32 v2, 0, v2, vcc
	v_lshlrev_b64 v[8:9], 1, v[0:1]
	v_mov_b32_e32 v14, v7
	v_cmp_gt_i32_e32 vcc, s15, v4
	v_or_b32_e32 v1, 2, v33
	v_mad_u64_u32 v[14:15], s[4:5], v4, s45, v[14:15]
	v_cndmask_b32_e32 v4, 0, v6, vcc
	v_mad_u64_u32 v[6:7], s[4:5], v1, s44, 0
	v_cndmask_b32_e32 v5, 0, v14, vcc
	v_mov_b32_e32 v14, v7
	v_mad_u64_u32 v[14:15], s[4:5], v1, s45, v[14:15]
	v_cmp_gt_i32_e32 vcc, s15, v1
	v_or_b32_e32 v1, 3, v33
	v_lshl_add_u64 v[2:3], v[2:3], 1, s[0:1]
	v_cndmask_b32_e32 v7, 0, v14, vcc
	v_mad_u64_u32 v[14:15], s[4:5], v1, s44, 0
	v_mov_b32_e32 v16, v15
	v_cndmask_b32_e32 v6, 0, v6, vcc
	v_mad_u64_u32 v[16:17], s[4:5], v1, s45, v[16:17]
	v_cmp_gt_i32_e32 vcc, s15, v1
	v_lshl_add_u64 v[2:3], v[2:3], 0, v[8:9]
	v_lshl_add_u64 v[4:5], v[4:5], 1, s[0:1]
	v_cndmask_b32_e32 v14, 0, v14, vcc
	v_cndmask_b32_e32 v15, 0, v16, vcc
	v_lshl_add_u64 v[6:7], v[6:7], 1, s[0:1]
	v_lshl_add_u64 v[14:15], v[14:15], 1, s[0:1]
	;; [unrolled: 1-line block ×4, first 2 shown]
	global_load_ushort v16, v[2:3], off
	global_load_ushort v17, v[4:5], off
	;; [unrolled: 1-line block ×3, first 2 shown]
	v_lshl_add_u64 v[8:9], v[14:15], 0, v[8:9]
	global_load_ushort v1, v[8:9], off
	v_add_u32_e32 v15, 32, v0
	v_cmp_gt_i32_e32 vcc, s14, v15
	s_waitcnt vmcnt(3)
	v_fma_mix_f32 v14, v13, v16, v35 op_sel_hi:[0,1,0]
	s_waitcnt vmcnt(2)
	v_fma_mix_f32 v14, v12, v17, v14 op_sel_hi:[0,1,0]
	s_waitcnt vmcnt(1)
	v_fma_mix_f32 v14, v11, v18, v14 op_sel_hi:[0,1,0]
	s_and_saveexec_b64 s[0:1], vcc
	s_cbranch_execz .LBB475_39
; %bb.34:
	global_load_ushort v16, v[2:3], off offset:64
	global_load_ushort v17, v[4:5], off offset:64
	global_load_ushort v18, v[6:7], off offset:64
	global_load_ushort v15, v[8:9], off offset:64
	v_add_u32_e32 v19, 64, v0
	v_cmp_gt_i32_e32 vcc, s14, v19
	s_waitcnt vmcnt(3)
	v_fma_mix_f32 v16, v13, v16, v34 op_sel_hi:[0,1,0]
	s_waitcnt vmcnt(2)
	v_fma_mix_f32 v16, v12, v17, v16 op_sel_hi:[0,1,0]
	s_waitcnt vmcnt(1)
	v_fma_mix_f32 v16, v11, v18, v16 op_sel_hi:[0,1,0]
	s_and_saveexec_b64 s[4:5], vcc
	s_cbranch_execz .LBB475_38
; %bb.35:
	global_load_ushort v18, v[2:3], off offset:128
	global_load_ushort v19, v[4:5], off offset:128
	global_load_ushort v20, v[6:7], off offset:128
	global_load_ushort v17, v[8:9], off offset:128
	;; [unrolled: 15-line block ×3, first 2 shown]
	s_waitcnt vmcnt(3)
	v_fma_mix_f32 v2, v13, v18, v31 op_sel_hi:[0,1,0]
	s_waitcnt vmcnt(2)
	v_fma_mix_f32 v2, v12, v19, v2 op_sel_hi:[0,1,0]
	;; [unrolled: 2-line block ×4, first 2 shown]
.LBB475_37:
	s_or_b64 exec, exec, s[6:7]
	s_waitcnt vmcnt(0)
	v_fma_mix_f32 v32, v10, v17, v0 op_sel_hi:[0,1,0]
.LBB475_38:
	s_or_b64 exec, exec, s[4:5]
	s_waitcnt vmcnt(0)
	v_fma_mix_f32 v34, v10, v15, v16 op_sel_hi:[0,1,0]
.LBB475_39:
	s_or_b64 exec, exec, s[0:1]
	s_waitcnt vmcnt(0)
	v_fma_mix_f32 v35, v10, v1, v14 op_sel_hi:[0,1,0]
.LBB475_40:
	s_or_b64 exec, exec, s[2:3]
.LBB475_41:
	v_lshlrev_b32_e32 v0, 7, v30
	s_movk_i32 s0, 0x80
	v_add_lshl_u32 v0, v0, v29, 2
	v_cmp_gt_u32_e32 vcc, s0, v28
	ds_write2_b32 v0, v35, v34 offset1:32
	ds_write2_b32 v0, v32, v31 offset0:64 offset1:96
	s_waitcnt lgkmcnt(0)
	s_barrier
	s_waitcnt lgkmcnt(0)
                                        ; implicit-def: $vgpr1
                                        ; implicit-def: $vgpr2_vgpr3
	s_and_saveexec_b64 s[0:1], vcc
	s_cbranch_execz .LBB475_47
; %bb.42:
	v_lshlrev_b32_e32 v10, 2, v28
	ds_read2st64_b32 v[0:1], v10 offset1:2
	ds_read2st64_b32 v[2:3], v10 offset0:4 offset1:6
	ds_read2st64_b32 v[4:5], v10 offset0:8 offset1:10
	ds_read2st64_b32 v[6:7], v10 offset0:12 offset1:14
	ds_read2st64_b32 v[8:9], v10 offset0:16 offset1:18
	s_waitcnt lgkmcnt(4)
	v_add_f32_e32 v0, v0, v1
	s_waitcnt lgkmcnt(3)
	v_add_f32_e32 v0, v2, v0
	v_add_f32_e32 v0, v3, v0
	s_waitcnt lgkmcnt(2)
	v_add_f32_e32 v0, v4, v0
	v_add_f32_e32 v0, v5, v0
	s_waitcnt lgkmcnt(1)
	v_add_f32_e32 v0, v6, v0
	v_add_f32_e32 v2, v7, v0
	ds_read2st64_b32 v[0:1], v10 offset0:20 offset1:22
	s_waitcnt lgkmcnt(1)
	v_add_f32_e32 v4, v8, v2
	ds_read2st64_b32 v[2:3], v10 offset0:24 offset1:26
	v_add_f32_e32 v6, v9, v4
	ds_read2st64_b32 v[4:5], v10 offset0:28 offset1:30
	s_waitcnt lgkmcnt(2)
	v_add_f32_e32 v0, v0, v6
	v_add_f32_e32 v0, v1, v0
	s_waitcnt lgkmcnt(1)
	v_add_f32_e32 v0, v2, v0
	v_add_f32_e32 v0, v3, v0
	;; [unrolled: 3-line block ×3, first 2 shown]
	v_or_b32_e32 v0, s46, v28
	v_cmp_gt_i32_e32 vcc, s14, v0
	s_mov_b64 s[4:5], s[16:17]
	ds_write_b32 v10, v4
                                        ; implicit-def: $vgpr1
                                        ; implicit-def: $vgpr2_vgpr3
	s_and_saveexec_b64 s[2:3], vcc
	s_cbranch_execz .LBB475_46
; %bb.43:
	v_ashrrev_i32_e32 v2, 31, v0
	v_cmp_eq_f32_e64 s[4:5], s33, 0
	v_mul_f32_e32 v1, s52, v4
	v_mul_lo_u32 v4, v0, s21
	v_mul_lo_u32 v5, v2, s20
	v_mad_u64_u32 v[2:3], s[6:7], v0, s20, 0
	v_add3_u32 v3, v3, v4, v5
	s_and_b64 vcc, exec, s[4:5]
	s_cbranch_vccnz .LBB475_45
; %bb.44:
	v_lshl_add_u64 v[4:5], v[2:3], 2, s[12:13]
	global_load_dword v0, v[4:5], off
	s_waitcnt vmcnt(0)
	v_fmac_f32_e32 v1, s33, v0
.LBB475_45:
	s_or_b64 s[4:5], s[16:17], exec
.LBB475_46:
	s_or_b64 exec, exec, s[2:3]
	s_andn2_b64 s[2:3], s[16:17], exec
	s_and_b64 s[4:5], s[4:5], exec
	s_or_b64 s[16:17], s[2:3], s[4:5]
.LBB475_47:
	s_or_b64 exec, exec, s[0:1]
.LBB475_48:
	s_and_saveexec_b64 s[0:1], s[16:17]
	s_cbranch_execz .LBB475_50
; %bb.49:
	v_lshl_add_u64 v[2:3], v[2:3], 2, s[12:13]
	global_store_dword v[2:3], v1, off
.LBB475_50:
	s_endpgm
	.section	.rodata,"a",@progbits
	.p2align	6, 0x0
	.amdhsa_kernel _ZL20rocblas_gemvn_kernelILi32ELi16ElDF16_PKffEviiT3_lPKT2_lT1_lS5_lS6_lS2_lPT4_lS6_li
		.amdhsa_group_segment_fixed_size 8192
		.amdhsa_private_segment_fixed_size 0
		.amdhsa_kernarg_size 400
		.amdhsa_user_sgpr_count 2
		.amdhsa_user_sgpr_dispatch_ptr 0
		.amdhsa_user_sgpr_queue_ptr 0
		.amdhsa_user_sgpr_kernarg_segment_ptr 1
		.amdhsa_user_sgpr_dispatch_id 0
		.amdhsa_user_sgpr_kernarg_preload_length 0
		.amdhsa_user_sgpr_kernarg_preload_offset 0
		.amdhsa_user_sgpr_private_segment_size 0
		.amdhsa_uses_dynamic_stack 0
		.amdhsa_enable_private_segment 0
		.amdhsa_system_sgpr_workgroup_id_x 1
		.amdhsa_system_sgpr_workgroup_id_y 0
		.amdhsa_system_sgpr_workgroup_id_z 1
		.amdhsa_system_sgpr_workgroup_info 0
		.amdhsa_system_vgpr_workitem_id 1
		.amdhsa_next_free_vgpr 55
		.amdhsa_next_free_sgpr 53
		.amdhsa_accum_offset 56
		.amdhsa_reserve_vcc 1
		.amdhsa_float_round_mode_32 0
		.amdhsa_float_round_mode_16_64 0
		.amdhsa_float_denorm_mode_32 3
		.amdhsa_float_denorm_mode_16_64 3
		.amdhsa_dx10_clamp 1
		.amdhsa_ieee_mode 1
		.amdhsa_fp16_overflow 0
		.amdhsa_tg_split 0
		.amdhsa_exception_fp_ieee_invalid_op 0
		.amdhsa_exception_fp_denorm_src 0
		.amdhsa_exception_fp_ieee_div_zero 0
		.amdhsa_exception_fp_ieee_overflow 0
		.amdhsa_exception_fp_ieee_underflow 0
		.amdhsa_exception_fp_ieee_inexact 0
		.amdhsa_exception_int_div_zero 0
	.end_amdhsa_kernel
	.section	.text._ZL20rocblas_gemvn_kernelILi32ELi16ElDF16_PKffEviiT3_lPKT2_lT1_lS5_lS6_lS2_lPT4_lS6_li,"axG",@progbits,_ZL20rocblas_gemvn_kernelILi32ELi16ElDF16_PKffEviiT3_lPKT2_lT1_lS5_lS6_lS2_lPT4_lS6_li,comdat
.Lfunc_end475:
	.size	_ZL20rocblas_gemvn_kernelILi32ELi16ElDF16_PKffEviiT3_lPKT2_lT1_lS5_lS6_lS2_lPT4_lS6_li, .Lfunc_end475-_ZL20rocblas_gemvn_kernelILi32ELi16ElDF16_PKffEviiT3_lPKT2_lT1_lS5_lS6_lS2_lPT4_lS6_li
                                        ; -- End function
	.section	.AMDGPU.csdata,"",@progbits
; Kernel info:
; codeLenInByte = 2904
; NumSgprs: 59
; NumVgprs: 55
; NumAgprs: 0
; TotalNumVgprs: 55
; ScratchSize: 0
; MemoryBound: 0
; FloatMode: 240
; IeeeMode: 1
; LDSByteSize: 8192 bytes/workgroup (compile time only)
; SGPRBlocks: 7
; VGPRBlocks: 6
; NumSGPRsForWavesPerEU: 59
; NumVGPRsForWavesPerEU: 55
; AccumOffset: 56
; Occupancy: 8
; WaveLimiterHint : 0
; COMPUTE_PGM_RSRC2:SCRATCH_EN: 0
; COMPUTE_PGM_RSRC2:USER_SGPR: 2
; COMPUTE_PGM_RSRC2:TRAP_HANDLER: 0
; COMPUTE_PGM_RSRC2:TGID_X_EN: 1
; COMPUTE_PGM_RSRC2:TGID_Y_EN: 0
; COMPUTE_PGM_RSRC2:TGID_Z_EN: 1
; COMPUTE_PGM_RSRC2:TIDIG_COMP_CNT: 1
; COMPUTE_PGM_RSRC3_GFX90A:ACCUM_OFFSET: 13
; COMPUTE_PGM_RSRC3_GFX90A:TG_SPLIT: 0
	.section	.text._ZL20rocblas_gemvn_kernelILi32ELi16EiDF16_ffEviiT3_lPKT2_lT1_lS3_lS4_lS0_lPT4_lS4_li,"axG",@progbits,_ZL20rocblas_gemvn_kernelILi32ELi16EiDF16_ffEviiT3_lPKT2_lT1_lS3_lS4_lS0_lPT4_lS4_li,comdat
	.globl	_ZL20rocblas_gemvn_kernelILi32ELi16EiDF16_ffEviiT3_lPKT2_lT1_lS3_lS4_lS0_lPT4_lS4_li ; -- Begin function _ZL20rocblas_gemvn_kernelILi32ELi16EiDF16_ffEviiT3_lPKT2_lT1_lS3_lS4_lS0_lPT4_lS4_li
	.p2align	8
	.type	_ZL20rocblas_gemvn_kernelILi32ELi16EiDF16_ffEviiT3_lPKT2_lT1_lS3_lS4_lS0_lPT4_lS4_li,@function
_ZL20rocblas_gemvn_kernelILi32ELi16EiDF16_ffEviiT3_lPKT2_lT1_lS3_lS4_lS0_lPT4_lS4_li: ; @_ZL20rocblas_gemvn_kernelILi32ELi16EiDF16_ffEviiT3_lPKT2_lT1_lS3_lS4_lS0_lPT4_lS4_li
; %bb.0:
	s_load_dwordx2 s[4:5], s[0:1], 0x9c
	s_waitcnt lgkmcnt(0)
	s_lshr_b32 s6, s4, 16
	s_and_b32 s4, s4, 0xffff
	s_and_b32 s5, s5, 0xffff
	s_mul_i32 s4, s6, s4
	s_mul_i32 s4, s4, s5
	s_cmpk_lg_i32 s4, 0x200
	s_cbranch_scc1 .LBB476_50
; %bb.1:
	s_load_dwordx4 s[8:11], s[0:1], 0x0
	s_waitcnt lgkmcnt(0)
	s_load_dword s11, s[0:1], 0x58
	v_cmp_eq_f32_e64 s[4:5], s10, 0
	s_waitcnt lgkmcnt(0)
	v_cmp_eq_f32_e64 s[6:7], s11, 1.0
	s_and_b64 s[4:5], s[4:5], s[6:7]
	s_and_b64 vcc, exec, s[4:5]
	s_cbranch_vccnz .LBB476_50
; %bb.2:
	s_load_dwordx2 s[12:13], s[0:1], 0x80
	s_load_dwordx4 s[4:7], s[0:1], 0x68
	s_load_dword s30, s[0:1], 0x78
	v_and_b32_e32 v2, 0x3ff, v0
	v_bfe_u32 v14, v0, 10, 10
	s_waitcnt lgkmcnt(0)
	s_mul_i32 s13, s3, s13
	s_mul_hi_u32 s14, s3, s12
	s_mul_i32 s12, s3, s12
	s_add_i32 s13, s14, s13
	s_lshl_b64 s[12:13], s[12:13], 2
	s_add_u32 s12, s4, s12
	s_addc_u32 s13, s5, s13
	s_lshl_b64 s[4:5], s[6:7], 2
	s_add_u32 s12, s12, s4
	s_addc_u32 s13, s13, s5
	v_cmp_neq_f32_e64 s[4:5], s10, 0
	v_lshl_add_u32 v3, v14, 5, v2
	s_and_b64 vcc, exec, s[4:5]
	s_cbranch_vccnz .LBB476_9
; %bb.3:
	s_movk_i32 s4, 0x80
	v_cmp_gt_u32_e32 vcc, s4, v3
	s_mov_b64 s[4:5], 0
	s_mov_b64 s[14:15], 0
                                        ; implicit-def: $vgpr1
                                        ; implicit-def: $vgpr4_vgpr5
	s_and_saveexec_b64 s[6:7], vcc
	s_cbranch_execz .LBB476_10
; %bb.4:
	v_lshl_or_b32 v0, s2, 7, v3
	v_mov_b32_e32 v1, 0
	s_ashr_i32 s15, s8, 31
	s_mov_b32 s14, s8
	v_cmp_gt_i64_e32 vcc, s[14:15], v[0:1]
	s_mov_b64 s[16:17], 0
                                        ; implicit-def: $vgpr4_vgpr5
	s_and_saveexec_b64 s[14:15], vcc
	s_cbranch_execz .LBB476_8
; %bb.5:
	v_mad_u64_u32 v[4:5], s[18:19], s30, v0, 0
	s_ashr_i32 s20, s30, 31
	v_mov_b32_e32 v6, v5
	v_cmp_eq_f32_e64 s[16:17], s11, 0
	v_mad_u64_u32 v[6:7], s[18:19], s20, v0, v[6:7]
	v_mov_b32_e32 v5, v6
	s_and_b64 vcc, exec, s[16:17]
	s_cbranch_vccnz .LBB476_7
; %bb.6:
	v_lshl_add_u64 v[0:1], v[4:5], 2, s[12:13]
	global_load_dword v0, v[0:1], off
	s_waitcnt vmcnt(0)
	v_mul_f32_e32 v1, s11, v0
.LBB476_7:
	s_mov_b64 s[16:17], exec
.LBB476_8:
	s_or_b64 exec, exec, s[14:15]
	s_and_b64 s[14:15], s[16:17], exec
	s_or_b64 exec, exec, s[6:7]
	s_and_b64 vcc, exec, s[4:5]
	s_cbranch_vccnz .LBB476_11
	s_branch .LBB476_48
.LBB476_9:
	s_mov_b64 s[14:15], 0
                                        ; implicit-def: $vgpr1
                                        ; implicit-def: $vgpr4_vgpr5
	s_cbranch_execnz .LBB476_11
	s_branch .LBB476_48
.LBB476_10:
	s_or_b64 exec, exec, s[6:7]
	s_and_b64 vcc, exec, s[4:5]
	s_cbranch_vccz .LBB476_48
.LBB476_11:
	s_load_dwordx4 s[4:7], s[0:1], 0x30
	s_load_dwordx4 s[16:19], s[0:1], 0x18
	s_load_dword s33, s[0:1], 0x28
	s_load_dwordx2 s[20:21], s[0:1], 0x40
	s_load_dword s34, s[0:1], 0x48
	s_load_dwordx2 s[22:23], s[0:1], 0x50
	s_waitcnt lgkmcnt(0)
	s_mul_i32 s0, s3, s5
	s_mul_hi_u32 s1, s3, s4
	s_add_i32 s1, s1, s0
	s_mul_i32 s0, s3, s4
	s_lshl_b64 s[0:1], s[0:1], 1
	s_add_u32 s4, s16, s0
	s_addc_u32 s5, s17, s1
	s_lshl_b64 s[0:1], s[18:19], 1
	s_add_u32 s16, s4, s0
	s_addc_u32 s17, s5, s1
	s_mul_i32 s0, s3, s23
	s_mul_hi_u32 s1, s3, s22
	s_add_i32 s1, s1, s0
	s_mul_i32 s0, s3, s22
	s_lshl_b64 s[0:1], s[0:1], 1
	s_add_u32 s3, s6, s0
	s_addc_u32 s4, s7, s1
	s_lshl_b64 s[0:1], s[20:21], 1
	s_add_u32 s18, s3, s0
	s_addc_u32 s19, s4, s1
	s_ashr_i32 s0, s9, 31
	s_lshr_b32 s0, s0, 26
	s_add_i32 s35, s9, s0
	s_lshl_b32 s31, s2, 7
	s_andn2_b32 s35, s35, 63
	v_lshlrev_b32_e32 v20, 2, v14
	v_add_u32_e32 v16, s31, v2
	v_cmp_gt_i32_e32 vcc, s35, v20
	v_mov_b32_e32 v19, 0
	v_mov_b32_e32 v18, 0
	v_mov_b32_e32 v17, 0
	v_mov_b32_e32 v15, 0
	s_and_saveexec_b64 s[20:21], vcc
	s_cbranch_execz .LBB476_23
; %bb.12:
	v_add_u32_e32 v0, 32, v16
	v_cmp_gt_i32_e64 s[0:1], s8, v0
	v_add_u32_e32 v0, 64, v16
	v_cmp_gt_i32_e64 s[2:3], s8, v0
	;; [unrolled: 2-line block ×3, first 2 shown]
	v_mul_lo_u32 v0, s33, v20
	v_add_u32_e32 v6, 2, v20
	v_add_u32_e32 v7, 3, v20
	v_add3_u32 v21, v0, s33, v2
	v_mad_u64_u32 v[0:1], s[6:7], s33, v6, v[2:3]
	v_mad_u64_u32 v[4:5], s[6:7], s33, v7, v[2:3]
	v_mul_lo_u32 v1, v14, s33
	v_mul_lo_u32 v5, s34, v20
	;; [unrolled: 1-line block ×4, first 2 shown]
	v_cmp_gt_i32_e32 vcc, s8, v16
	s_lshl_b32 s36, s33, 6
	v_lshl_add_u32 v1, v1, 2, v2
	v_add_u32_e32 v5, s34, v5
	s_lshl_b32 s37, s34, 6
	v_mul_lo_u32 v23, s34, v7
	v_lshlrev_b32_e32 v24, 2, v6
	s_mov_b32 s38, 0
	s_mov_b64 s[22:23], 0
	v_mov_b32_e32 v19, 0
	v_mov_b32_e32 v18, 0
	;; [unrolled: 1-line block ×4, first 2 shown]
	s_branch .LBB476_17
.LBB476_13:                             ;   in Loop: Header=BB476_17 Depth=1
	s_or_b64 exec, exec, s[28:29]
	s_waitcnt vmcnt(3)
	v_fma_mix_f32 v6, v37, v41, v17 op_sel_hi:[0,1,0]
	s_waitcnt vmcnt(2)
	v_fma_mix_f32 v6, v38, v42, v6 op_sel_hi:[0,1,0]
	;; [unrolled: 2-line block ×4, first 2 shown]
.LBB476_14:                             ;   in Loop: Header=BB476_17 Depth=1
	s_or_b64 exec, exec, s[26:27]
	s_waitcnt vmcnt(3)
	v_fma_mix_f32 v6, v37, v33, v18 op_sel_hi:[0,1,0]
	s_waitcnt vmcnt(2)
	v_fma_mix_f32 v6, v38, v34, v6 op_sel_hi:[0,1,0]
	;; [unrolled: 2-line block ×4, first 2 shown]
.LBB476_15:                             ;   in Loop: Header=BB476_17 Depth=1
	s_or_b64 exec, exec, s[24:25]
	s_waitcnt vmcnt(3)
	v_fma_mix_f32 v6, v25, v29, v19 op_sel_hi:[1,1,0]
	s_waitcnt vmcnt(2)
	v_fma_mix_f32 v6, v26, v30, v6 op_sel_hi:[1,1,0]
	s_waitcnt vmcnt(1)
	v_fma_mix_f32 v6, v27, v31, v6 op_sel_hi:[1,1,0]
	s_waitcnt vmcnt(0)
	v_fma_mix_f32 v19, v28, v32, v6 op_sel_hi:[1,1,0]
.LBB476_16:                             ;   in Loop: Header=BB476_17 Depth=1
	s_or_b64 exec, exec, s[6:7]
	v_add_u32_e32 v20, 64, v20
	s_add_i32 s38, s38, s37
	v_cmp_le_i32_e64 s[6:7], s35, v20
	v_add_u32_e32 v21, s36, v21
	v_add_u32_e32 v0, s36, v0
	;; [unrolled: 1-line block ×3, first 2 shown]
	s_or_b64 s[22:23], s[6:7], s[22:23]
	v_add_u32_e32 v1, s36, v1
	s_andn2_b64 exec, exec, s[22:23]
	s_cbranch_execz .LBB476_22
.LBB476_17:                             ; =>This Inner Loop Header: Depth=1
	s_and_saveexec_b64 s[6:7], vcc
	s_cbranch_execz .LBB476_16
; %bb.18:                               ;   in Loop: Header=BB476_17 Depth=1
	v_add_u32_e32 v6, s38, v24
	v_ashrrev_i32_e32 v7, 31, v6
	v_add_u32_e32 v8, s38, v5
	v_add_u32_e32 v10, s38, v22
	;; [unrolled: 1-line block ×3, first 2 shown]
	v_lshl_add_u64 v[6:7], v[6:7], 1, s[18:19]
	v_ashrrev_i32_e32 v9, 31, v8
	v_ashrrev_i32_e32 v11, 31, v10
	;; [unrolled: 1-line block ×3, first 2 shown]
	v_lshl_add_u64 v[8:9], v[8:9], 1, s[18:19]
	v_lshl_add_u64 v[10:11], v[10:11], 1, s[18:19]
	v_lshl_add_u64 v[12:13], v[12:13], 1, s[18:19]
	global_load_ushort v25, v[6:7], off
	global_load_ushort v26, v[8:9], off
	;; [unrolled: 1-line block ×4, first 2 shown]
	v_add_u32_e32 v6, s31, v1
	v_ashrrev_i32_e32 v7, 31, v6
	v_add_u32_e32 v8, s31, v21
	v_add_u32_e32 v10, s31, v0
	;; [unrolled: 1-line block ×3, first 2 shown]
	v_lshl_add_u64 v[6:7], v[6:7], 1, s[16:17]
	v_ashrrev_i32_e32 v9, 31, v8
	v_ashrrev_i32_e32 v11, 31, v10
	v_ashrrev_i32_e32 v13, 31, v12
	v_lshl_add_u64 v[8:9], v[8:9], 1, s[16:17]
	v_lshl_add_u64 v[10:11], v[10:11], 1, s[16:17]
	;; [unrolled: 1-line block ×3, first 2 shown]
	global_load_ushort v29, v[6:7], off
	global_load_ushort v30, v[8:9], off
	;; [unrolled: 1-line block ×4, first 2 shown]
	s_and_saveexec_b64 s[24:25], s[0:1]
	s_cbranch_execz .LBB476_15
; %bb.19:                               ;   in Loop: Header=BB476_17 Depth=1
	global_load_ushort v33, v[6:7], off offset:64
	global_load_ushort v34, v[8:9], off offset:64
	;; [unrolled: 1-line block ×4, first 2 shown]
	s_waitcnt vmcnt(11)
	v_cvt_f32_f16_e32 v37, v25
	s_waitcnt vmcnt(10)
	v_cvt_f32_f16_e32 v38, v26
	;; [unrolled: 2-line block ×4, first 2 shown]
	s_and_saveexec_b64 s[26:27], s[2:3]
	s_cbranch_execz .LBB476_14
; %bb.20:                               ;   in Loop: Header=BB476_17 Depth=1
	global_load_ushort v41, v[6:7], off offset:128
	global_load_ushort v42, v[8:9], off offset:128
	;; [unrolled: 1-line block ×4, first 2 shown]
	s_and_saveexec_b64 s[28:29], s[4:5]
	s_cbranch_execz .LBB476_13
; %bb.21:                               ;   in Loop: Header=BB476_17 Depth=1
	global_load_ushort v45, v[6:7], off offset:192
	global_load_ushort v46, v[8:9], off offset:192
	;; [unrolled: 1-line block ×4, first 2 shown]
	s_waitcnt vmcnt(3)
	v_fma_mix_f32 v6, v37, v45, v15 op_sel_hi:[0,1,0]
	s_waitcnt vmcnt(2)
	v_fma_mix_f32 v6, v38, v46, v6 op_sel_hi:[0,1,0]
	;; [unrolled: 2-line block ×4, first 2 shown]
	s_branch .LBB476_13
.LBB476_22:
	s_or_b64 exec, exec, s[22:23]
.LBB476_23:
	s_or_b64 exec, exec, s[20:21]
	s_sub_i32 s0, s9, s35
	s_cmp_lt_i32 s0, 1
	s_cbranch_scc1 .LBB476_41
; %bb.24:
	v_cmp_gt_i32_e32 vcc, s9, v20
	v_mov_b32_e32 v10, 0
	v_or_b32_e32 v4, 1, v20
	v_mov_b32_e32 v11, 0
	v_mov_b32_e32 v12, 0
	;; [unrolled: 1-line block ×3, first 2 shown]
	s_and_saveexec_b64 s[2:3], vcc
	s_cbranch_execz .LBB476_32
; %bb.25:
	v_mul_lo_u32 v0, v20, s34
	v_ashrrev_i32_e32 v1, 31, v0
	v_lshl_add_u64 v[0:1], v[0:1], 1, s[18:19]
	global_load_ushort v0, v[0:1], off
	v_cmp_gt_i32_e64 s[0:1], s9, v4
	v_mov_b32_e32 v12, 0
	v_mov_b32_e32 v11, 0
	;; [unrolled: 1-line block ×3, first 2 shown]
	s_and_saveexec_b64 s[4:5], s[0:1]
	s_cbranch_execz .LBB476_31
; %bb.26:
	v_mul_lo_u32 v6, v4, s34
	v_ashrrev_i32_e32 v7, 31, v6
	v_lshl_add_u64 v[6:7], v[6:7], 1, s[18:19]
	global_load_ushort v1, v[6:7], off
	v_or_b32_e32 v5, 2, v20
	v_cmp_gt_i32_e64 s[0:1], s9, v5
	v_mov_b32_e32 v11, 0
	v_mov_b32_e32 v10, 0
	s_and_saveexec_b64 s[6:7], s[0:1]
	s_cbranch_execz .LBB476_30
; %bb.27:
	v_mul_lo_u32 v6, v5, s34
	v_ashrrev_i32_e32 v7, 31, v6
	v_lshl_add_u64 v[6:7], v[6:7], 1, s[18:19]
	global_load_ushort v5, v[6:7], off
	v_or_b32_e32 v6, 3, v20
	v_cmp_gt_i32_e64 s[0:1], s9, v6
	v_mov_b32_e32 v10, 0
	s_and_saveexec_b64 s[20:21], s[0:1]
	s_cbranch_execz .LBB476_29
; %bb.28:
	v_mul_lo_u32 v6, v6, s34
	v_ashrrev_i32_e32 v7, 31, v6
	v_lshl_add_u64 v[6:7], v[6:7], 1, s[18:19]
	global_load_ushort v6, v[6:7], off
	s_waitcnt vmcnt(0)
	v_cvt_f32_f16_e32 v10, v6
.LBB476_29:
	s_or_b64 exec, exec, s[20:21]
	s_waitcnt vmcnt(0)
	v_cvt_f32_f16_e32 v11, v5
.LBB476_30:
	s_or_b64 exec, exec, s[6:7]
	s_waitcnt vmcnt(0)
	v_cvt_f32_f16_e32 v12, v1
.LBB476_31:
	s_or_b64 exec, exec, s[4:5]
	s_waitcnt vmcnt(0)
	v_cvt_f32_f16_e32 v13, v0
.LBB476_32:
	s_or_b64 exec, exec, s[2:3]
	v_cmp_gt_i32_e64 s[0:1], s8, v16
	s_and_saveexec_b64 s[2:3], s[0:1]
	s_cbranch_execz .LBB476_40
; %bb.33:
	v_mul_lo_u32 v0, v20, s33
	v_cndmask_b32_e32 v0, 0, v0, vcc
	v_mul_lo_u32 v5, v4, s33
	v_cmp_gt_i32_e32 vcc, s9, v4
	v_or_b32_e32 v6, 2, v20
	v_mul_lo_u32 v7, v6, s33
	v_cndmask_b32_e32 v4, 0, v5, vcc
	v_cmp_gt_i32_e32 vcc, s9, v6
	v_or_b32_e32 v8, 3, v20
	v_mul_lo_u32 v9, v8, s33
	v_cndmask_b32_e32 v6, 0, v7, vcc
	v_cmp_gt_i32_e32 vcc, s9, v8
	v_add_u32_e32 v0, v0, v16
	v_ashrrev_i32_e32 v1, 31, v0
	v_cndmask_b32_e32 v8, 0, v9, vcc
	v_add_u32_e32 v4, v4, v16
	v_add_u32_e32 v6, v6, v16
	;; [unrolled: 1-line block ×3, first 2 shown]
	v_lshl_add_u64 v[0:1], v[0:1], 1, s[16:17]
	v_ashrrev_i32_e32 v5, 31, v4
	v_ashrrev_i32_e32 v7, 31, v6
	;; [unrolled: 1-line block ×3, first 2 shown]
	v_lshl_add_u64 v[4:5], v[4:5], 1, s[16:17]
	v_lshl_add_u64 v[6:7], v[6:7], 1, s[16:17]
	global_load_ushort v21, v[0:1], off
	global_load_ushort v22, v[4:5], off
	;; [unrolled: 1-line block ×3, first 2 shown]
	v_lshl_add_u64 v[8:9], v[8:9], 1, s[16:17]
	global_load_ushort v20, v[8:9], off
	v_add_u32_e32 v24, 32, v16
	v_cmp_gt_i32_e32 vcc, s8, v24
	s_waitcnt vmcnt(3)
	v_fma_mix_f32 v19, v13, v21, v19 op_sel_hi:[0,1,0]
	s_waitcnt vmcnt(2)
	v_fma_mix_f32 v19, v12, v22, v19 op_sel_hi:[0,1,0]
	s_waitcnt vmcnt(1)
	v_fma_mix_f32 v19, v11, v23, v19 op_sel_hi:[0,1,0]
	s_and_saveexec_b64 s[0:1], vcc
	s_cbranch_execz .LBB476_39
; %bb.34:
	global_load_ushort v22, v[0:1], off offset:64
	global_load_ushort v23, v[4:5], off offset:64
	global_load_ushort v24, v[6:7], off offset:64
	global_load_ushort v21, v[8:9], off offset:64
	v_add_u32_e32 v25, 64, v16
	v_cmp_gt_i32_e32 vcc, s8, v25
	s_waitcnt vmcnt(3)
	v_fma_mix_f32 v18, v13, v22, v18 op_sel_hi:[0,1,0]
	s_waitcnt vmcnt(2)
	v_fma_mix_f32 v18, v12, v23, v18 op_sel_hi:[0,1,0]
	s_waitcnt vmcnt(1)
	v_fma_mix_f32 v18, v11, v24, v18 op_sel_hi:[0,1,0]
	s_and_saveexec_b64 s[4:5], vcc
	s_cbranch_execz .LBB476_38
; %bb.35:
	global_load_ushort v23, v[0:1], off offset:128
	global_load_ushort v24, v[4:5], off offset:128
	global_load_ushort v25, v[6:7], off offset:128
	global_load_ushort v22, v[8:9], off offset:128
	;; [unrolled: 15-line block ×3, first 2 shown]
	s_waitcnt vmcnt(3)
	v_fma_mix_f32 v0, v13, v17, v15 op_sel_hi:[0,1,0]
	s_waitcnt vmcnt(2)
	v_fma_mix_f32 v0, v12, v23, v0 op_sel_hi:[0,1,0]
	;; [unrolled: 2-line block ×4, first 2 shown]
.LBB476_37:
	s_or_b64 exec, exec, s[6:7]
	s_waitcnt vmcnt(0)
	v_fma_mix_f32 v17, v10, v22, v16 op_sel_hi:[0,1,0]
.LBB476_38:
	s_or_b64 exec, exec, s[4:5]
	s_waitcnt vmcnt(0)
	v_fma_mix_f32 v18, v10, v21, v18 op_sel_hi:[0,1,0]
.LBB476_39:
	s_or_b64 exec, exec, s[0:1]
	s_waitcnt vmcnt(0)
	v_fma_mix_f32 v19, v10, v20, v19 op_sel_hi:[0,1,0]
.LBB476_40:
	s_or_b64 exec, exec, s[2:3]
.LBB476_41:
	v_lshlrev_b32_e32 v0, 7, v14
	s_movk_i32 s0, 0x80
	v_add_lshl_u32 v0, v0, v2, 2
	v_cmp_gt_u32_e32 vcc, s0, v3
	ds_write2_b32 v0, v19, v18 offset1:32
	ds_write2_b32 v0, v17, v15 offset0:64 offset1:96
	s_waitcnt lgkmcnt(0)
	s_barrier
	s_waitcnt lgkmcnt(0)
                                        ; implicit-def: $vgpr1
                                        ; implicit-def: $vgpr4_vgpr5
	s_and_saveexec_b64 s[0:1], vcc
	s_cbranch_execz .LBB476_47
; %bb.42:
	v_lshlrev_b32_e32 v2, 2, v3
	ds_read2st64_b32 v[0:1], v2 offset1:2
	ds_read2st64_b32 v[4:5], v2 offset0:4 offset1:6
	ds_read2st64_b32 v[6:7], v2 offset0:8 offset1:10
	;; [unrolled: 1-line block ×4, first 2 shown]
	s_waitcnt lgkmcnt(4)
	v_add_f32_e32 v0, v0, v1
	s_waitcnt lgkmcnt(3)
	v_add_f32_e32 v0, v4, v0
	v_add_f32_e32 v0, v5, v0
	s_waitcnt lgkmcnt(2)
	v_add_f32_e32 v0, v6, v0
	v_add_f32_e32 v0, v7, v0
	s_waitcnt lgkmcnt(1)
	v_add_f32_e32 v0, v8, v0
	v_add_f32_e32 v4, v9, v0
	ds_read2st64_b32 v[0:1], v2 offset0:20 offset1:22
	s_waitcnt lgkmcnt(1)
	v_add_f32_e32 v6, v10, v4
	ds_read2st64_b32 v[4:5], v2 offset0:24 offset1:26
	v_add_f32_e32 v8, v11, v6
	ds_read2st64_b32 v[6:7], v2 offset0:28 offset1:30
	s_waitcnt lgkmcnt(2)
	v_add_f32_e32 v0, v0, v8
	v_add_f32_e32 v0, v1, v0
	s_waitcnt lgkmcnt(1)
	v_add_f32_e32 v0, v4, v0
	v_add_f32_e32 v0, v5, v0
	;; [unrolled: 3-line block ×3, first 2 shown]
	ds_write_b32 v2, v0
	v_or_b32_e32 v2, s31, v3
	v_cmp_gt_i32_e32 vcc, s8, v2
	s_mov_b64 s[4:5], s[14:15]
                                        ; implicit-def: $vgpr1
                                        ; implicit-def: $vgpr4_vgpr5
	s_and_saveexec_b64 s[2:3], vcc
	s_cbranch_execz .LBB476_46
; %bb.43:
	v_cmp_eq_f32_e64 s[4:5], s11, 0
	v_mul_lo_u32 v4, v2, s30
	v_mul_f32_e32 v1, s10, v0
	v_ashrrev_i32_e32 v5, 31, v4
	s_and_b64 vcc, exec, s[4:5]
	s_cbranch_vccnz .LBB476_45
; %bb.44:
	v_lshl_add_u64 v[2:3], v[4:5], 2, s[12:13]
	global_load_dword v0, v[2:3], off
	s_waitcnt vmcnt(0)
	v_fmac_f32_e32 v1, s11, v0
.LBB476_45:
	s_or_b64 s[4:5], s[14:15], exec
.LBB476_46:
	s_or_b64 exec, exec, s[2:3]
	s_andn2_b64 s[2:3], s[14:15], exec
	s_and_b64 s[4:5], s[4:5], exec
	s_or_b64 s[14:15], s[2:3], s[4:5]
.LBB476_47:
	s_or_b64 exec, exec, s[0:1]
.LBB476_48:
	s_and_saveexec_b64 s[0:1], s[14:15]
	s_cbranch_execz .LBB476_50
; %bb.49:
	v_lshl_add_u64 v[2:3], v[4:5], 2, s[12:13]
	global_store_dword v[2:3], v1, off
.LBB476_50:
	s_endpgm
	.section	.rodata,"a",@progbits
	.p2align	6, 0x0
	.amdhsa_kernel _ZL20rocblas_gemvn_kernelILi32ELi16EiDF16_ffEviiT3_lPKT2_lT1_lS3_lS4_lS0_lPT4_lS4_li
		.amdhsa_group_segment_fixed_size 8192
		.amdhsa_private_segment_fixed_size 0
		.amdhsa_kernarg_size 400
		.amdhsa_user_sgpr_count 2
		.amdhsa_user_sgpr_dispatch_ptr 0
		.amdhsa_user_sgpr_queue_ptr 0
		.amdhsa_user_sgpr_kernarg_segment_ptr 1
		.amdhsa_user_sgpr_dispatch_id 0
		.amdhsa_user_sgpr_kernarg_preload_length 0
		.amdhsa_user_sgpr_kernarg_preload_offset 0
		.amdhsa_user_sgpr_private_segment_size 0
		.amdhsa_uses_dynamic_stack 0
		.amdhsa_enable_private_segment 0
		.amdhsa_system_sgpr_workgroup_id_x 1
		.amdhsa_system_sgpr_workgroup_id_y 0
		.amdhsa_system_sgpr_workgroup_id_z 1
		.amdhsa_system_sgpr_workgroup_info 0
		.amdhsa_system_vgpr_workitem_id 1
		.amdhsa_next_free_vgpr 49
		.amdhsa_next_free_sgpr 39
		.amdhsa_accum_offset 52
		.amdhsa_reserve_vcc 1
		.amdhsa_float_round_mode_32 0
		.amdhsa_float_round_mode_16_64 0
		.amdhsa_float_denorm_mode_32 3
		.amdhsa_float_denorm_mode_16_64 3
		.amdhsa_dx10_clamp 1
		.amdhsa_ieee_mode 1
		.amdhsa_fp16_overflow 0
		.amdhsa_tg_split 0
		.amdhsa_exception_fp_ieee_invalid_op 0
		.amdhsa_exception_fp_denorm_src 0
		.amdhsa_exception_fp_ieee_div_zero 0
		.amdhsa_exception_fp_ieee_overflow 0
		.amdhsa_exception_fp_ieee_underflow 0
		.amdhsa_exception_fp_ieee_inexact 0
		.amdhsa_exception_int_div_zero 0
	.end_amdhsa_kernel
	.section	.text._ZL20rocblas_gemvn_kernelILi32ELi16EiDF16_ffEviiT3_lPKT2_lT1_lS3_lS4_lS0_lPT4_lS4_li,"axG",@progbits,_ZL20rocblas_gemvn_kernelILi32ELi16EiDF16_ffEviiT3_lPKT2_lT1_lS3_lS4_lS0_lPT4_lS4_li,comdat
.Lfunc_end476:
	.size	_ZL20rocblas_gemvn_kernelILi32ELi16EiDF16_ffEviiT3_lPKT2_lT1_lS3_lS4_lS0_lPT4_lS4_li, .Lfunc_end476-_ZL20rocblas_gemvn_kernelILi32ELi16EiDF16_ffEviiT3_lPKT2_lT1_lS3_lS4_lS0_lPT4_lS4_li
                                        ; -- End function
	.section	.AMDGPU.csdata,"",@progbits
; Kernel info:
; codeLenInByte = 2540
; NumSgprs: 45
; NumVgprs: 49
; NumAgprs: 0
; TotalNumVgprs: 49
; ScratchSize: 0
; MemoryBound: 0
; FloatMode: 240
; IeeeMode: 1
; LDSByteSize: 8192 bytes/workgroup (compile time only)
; SGPRBlocks: 5
; VGPRBlocks: 6
; NumSGPRsForWavesPerEU: 45
; NumVGPRsForWavesPerEU: 49
; AccumOffset: 52
; Occupancy: 8
; WaveLimiterHint : 1
; COMPUTE_PGM_RSRC2:SCRATCH_EN: 0
; COMPUTE_PGM_RSRC2:USER_SGPR: 2
; COMPUTE_PGM_RSRC2:TRAP_HANDLER: 0
; COMPUTE_PGM_RSRC2:TGID_X_EN: 1
; COMPUTE_PGM_RSRC2:TGID_Y_EN: 0
; COMPUTE_PGM_RSRC2:TGID_Z_EN: 1
; COMPUTE_PGM_RSRC2:TIDIG_COMP_CNT: 1
; COMPUTE_PGM_RSRC3_GFX90A:ACCUM_OFFSET: 12
; COMPUTE_PGM_RSRC3_GFX90A:TG_SPLIT: 0
	.section	.text._ZL20rocblas_gemvn_kernelILi32ELi16ElDF16_ffEviiT3_lPKT2_lT1_lS3_lS4_lS0_lPT4_lS4_li,"axG",@progbits,_ZL20rocblas_gemvn_kernelILi32ELi16ElDF16_ffEviiT3_lPKT2_lT1_lS3_lS4_lS0_lPT4_lS4_li,comdat
	.globl	_ZL20rocblas_gemvn_kernelILi32ELi16ElDF16_ffEviiT3_lPKT2_lT1_lS3_lS4_lS0_lPT4_lS4_li ; -- Begin function _ZL20rocblas_gemvn_kernelILi32ELi16ElDF16_ffEviiT3_lPKT2_lT1_lS3_lS4_lS0_lPT4_lS4_li
	.p2align	8
	.type	_ZL20rocblas_gemvn_kernelILi32ELi16ElDF16_ffEviiT3_lPKT2_lT1_lS3_lS4_lS0_lPT4_lS4_li,@function
_ZL20rocblas_gemvn_kernelILi32ELi16ElDF16_ffEviiT3_lPKT2_lT1_lS3_lS4_lS0_lPT4_lS4_li: ; @_ZL20rocblas_gemvn_kernelILi32ELi16ElDF16_ffEviiT3_lPKT2_lT1_lS3_lS4_lS0_lPT4_lS4_li
; %bb.0:
	s_load_dwordx2 s[4:5], s[0:1], 0x9c
	s_waitcnt lgkmcnt(0)
	s_lshr_b32 s6, s4, 16
	s_and_b32 s4, s4, 0xffff
	s_and_b32 s5, s5, 0xffff
	s_mul_i32 s4, s6, s4
	s_mul_i32 s4, s4, s5
	s_cmpk_lg_i32 s4, 0x200
	s_cbranch_scc1 .LBB477_50
; %bb.1:
	s_load_dwordx4 s[28:31], s[0:1], 0x0
	s_waitcnt lgkmcnt(0)
	s_load_dword s31, s[0:1], 0x58
	v_cmp_eq_f32_e64 s[4:5], s30, 0
	s_waitcnt lgkmcnt(0)
	v_cmp_eq_f32_e64 s[6:7], s31, 1.0
	s_and_b64 s[4:5], s[4:5], s[6:7]
	s_and_b64 vcc, exec, s[4:5]
	s_cbranch_vccnz .LBB477_50
; %bb.2:
	s_load_dwordx8 s[20:27], s[0:1], 0x68
	v_and_b32_e32 v29, 0x3ff, v0
	v_bfe_u32 v30, v0, 10, 10
	v_lshl_add_u32 v28, v30, 5, v29
	s_waitcnt lgkmcnt(0)
	s_mul_i32 s5, s3, s27
	s_mul_hi_u32 s6, s3, s26
	s_mul_i32 s4, s3, s26
	s_add_i32 s5, s6, s5
	s_lshl_b64 s[4:5], s[4:5], 2
	s_add_u32 s6, s20, s4
	s_addc_u32 s7, s21, s5
	s_lshl_b64 s[4:5], s[22:23], 2
	s_add_u32 s26, s6, s4
	s_addc_u32 s27, s7, s5
	v_cmp_neq_f32_e64 s[4:5], s30, 0
	s_and_b64 vcc, exec, s[4:5]
	s_cbranch_vccnz .LBB477_9
; %bb.3:
	s_movk_i32 s4, 0x80
	v_cmp_gt_u32_e32 vcc, s4, v28
	s_mov_b64 s[4:5], 0
	s_mov_b64 s[34:35], 0
                                        ; implicit-def: $vgpr1
                                        ; implicit-def: $vgpr2_vgpr3
	s_and_saveexec_b64 s[6:7], vcc
	s_cbranch_execz .LBB477_10
; %bb.4:
	v_lshl_or_b32 v0, s2, 7, v28
	v_mov_b32_e32 v1, 0
	s_ashr_i32 s9, s28, 31
	s_mov_b32 s8, s28
	v_cmp_gt_i64_e32 vcc, s[8:9], v[0:1]
	s_mov_b64 s[10:11], 0
                                        ; implicit-def: $vgpr2_vgpr3
	s_and_saveexec_b64 s[8:9], vcc
	s_cbranch_execz .LBB477_8
; %bb.5:
	v_mad_u64_u32 v[2:3], s[12:13], v0, s24, 0
	v_mov_b32_e32 v4, v3
	v_cmp_eq_f32_e64 s[10:11], s31, 0
	v_mad_u64_u32 v[4:5], s[12:13], v0, s25, v[4:5]
	v_mov_b32_e32 v3, v4
	s_and_b64 vcc, exec, s[10:11]
	s_cbranch_vccnz .LBB477_7
; %bb.6:
	v_lshl_add_u64 v[0:1], v[2:3], 2, s[26:27]
	global_load_dword v0, v[0:1], off
	s_waitcnt vmcnt(0)
	v_mul_f32_e32 v1, s31, v0
.LBB477_7:
	s_mov_b64 s[10:11], exec
.LBB477_8:
	s_or_b64 exec, exec, s[8:9]
	s_and_b64 s[34:35], s[10:11], exec
	s_or_b64 exec, exec, s[6:7]
	s_and_b64 vcc, exec, s[4:5]
	s_cbranch_vccnz .LBB477_11
	s_branch .LBB477_48
.LBB477_9:
	s_mov_b64 s[34:35], 0
                                        ; implicit-def: $vgpr1
                                        ; implicit-def: $vgpr2_vgpr3
	s_cbranch_execnz .LBB477_11
	s_branch .LBB477_48
.LBB477_10:
	s_or_b64 exec, exec, s[6:7]
	s_and_b64 vcc, exec, s[4:5]
	s_cbranch_vccz .LBB477_48
.LBB477_11:
	s_load_dwordx16 s[8:23], s[0:1], 0x18
	s_lshl_b32 s33, s2, 7
	v_lshlrev_b32_e32 v33, 2, v30
	v_add_u32_e32 v0, s33, v29
	v_mov_b32_e32 v35, 0
	s_waitcnt lgkmcnt(0)
	s_mul_i32 s0, s3, s15
	s_mul_hi_u32 s1, s3, s14
	s_add_i32 s15, s1, s0
	s_ashr_i32 s0, s29, 31
	s_lshr_b32 s0, s0, 26
	s_add_i32 s52, s29, s0
	s_mul_i32 s4, s3, s23
	s_mul_hi_u32 s5, s3, s22
	s_andn2_b32 s52, s52, 63
	s_mul_i32 s14, s3, s14
	s_add_i32 s23, s5, s4
	s_mul_i32 s22, s3, s22
	v_cmp_gt_i32_e32 vcc, s52, v33
	v_mov_b32_e32 v34, 0
	v_mov_b32_e32 v32, 0
	;; [unrolled: 1-line block ×3, first 2 shown]
	s_and_saveexec_b64 s[36:37], vcc
	s_cbranch_execz .LBB477_23
; %bb.12:
	v_add_u32_e32 v2, 32, v0
	v_cmp_gt_i32_e64 s[0:1], s28, v2
	v_add_u32_e32 v2, 64, v0
	v_cmp_gt_i32_e64 s[2:3], s28, v2
	;; [unrolled: 2-line block ×3, first 2 shown]
	v_mad_u64_u32 v[2:3], s[6:7], s20, v30, 0
	v_mov_b32_e32 v4, v3
	v_ashrrev_i32_e32 v1, 31, v0
	v_mad_u64_u32 v[4:5], s[6:7], s21, v30, v[4:5]
	v_mov_b32_e32 v3, v4
	v_lshlrev_b64 v[4:5], 1, v[0:1]
	v_lshlrev_b32_e32 v1, 2, v30
	v_or_b32_e32 v11, 3, v1
	v_mad_u64_u32 v[6:7], s[42:43], s12, v11, 0
	v_mov_b32_e32 v8, v7
	v_mad_u64_u32 v[8:9], s[42:43], s13, v11, v[8:9]
	v_mov_b32_e32 v7, v8
	;; [unrolled: 2-line block ×5, first 2 shown]
	v_mad_u64_u32 v[12:13], s[46:47], s13, v30, v[12:13]
	v_or_b32_e32 v17, 2, v1
	v_mov_b32_e32 v11, v12
	v_mad_u64_u32 v[12:13], s[46:47], s12, v17, 0
	v_mov_b32_e32 v14, v13
	v_mad_u64_u32 v[14:15], s[46:47], s13, v17, v[14:15]
	;; [unrolled: 2-line block ×4, first 2 shown]
	v_mov_b32_e32 v15, v16
	v_mov_b64_e32 v[16:17], s[20:21]
	v_mad_u64_u32 v[16:17], s[46:47], s20, v1, v[16:17]
	s_lshl_b64 s[38:39], s[18:19], 1
	s_lshl_b64 s[6:7], s[22:23], 1
	v_mov_b32_e32 v18, v17
	s_add_u32 s6, s16, s6
	v_mad_u64_u32 v[18:19], s[46:47], s21, v1, v[18:19]
	s_addc_u32 s7, s17, s7
	s_lshl_b64 s[40:41], s[20:21], 7
	s_lshl_b64 s[42:43], s[14:15], 1
	;; [unrolled: 1-line block ×3, first 2 shown]
	v_mov_b32_e32 v17, v18
	v_mov_b64_e32 v[18:19], s[12:13]
	v_lshl_add_u64 v[2:3], v[2:3], 3, s[6:7]
	s_add_u32 s44, s8, s44
	v_lshl_add_u64 v[8:9], v[8:9], 1, s[6:7]
	v_lshl_add_u64 v[14:15], v[14:15], 1, s[6:7]
	;; [unrolled: 1-line block ×3, first 2 shown]
	v_mad_u64_u32 v[18:19], s[6:7], s12, v1, v[18:19]
	s_addc_u32 s45, s9, s45
	v_mov_b32_e32 v20, v19
	s_add_u32 s44, s44, s42
	v_mad_u64_u32 v[20:21], s[6:7], s13, v1, v[20:21]
	s_addc_u32 s45, s45, s43
	v_mov_b32_e32 v19, v20
	v_cmp_gt_i32_e32 vcc, s28, v0
	v_lshl_add_u64 v[6:7], v[6:7], 1, s[44:45]
	s_lshl_b64 s[42:43], s[12:13], 7
	v_lshl_add_u64 v[10:11], v[10:11], 3, s[44:45]
	v_lshl_add_u64 v[12:13], v[12:13], 1, s[44:45]
	;; [unrolled: 1-line block ×3, first 2 shown]
	s_mov_b64 s[44:45], 0
	v_mov_b32_e32 v35, 0
	v_mov_b32_e32 v34, 0
	;; [unrolled: 1-line block ×4, first 2 shown]
	s_branch .LBB477_17
.LBB477_13:                             ;   in Loop: Header=BB477_17 Depth=1
	s_or_b64 exec, exec, s[50:51]
	s_waitcnt vmcnt(3)
	v_fma_mix_f32 v20, v47, v51, v32 op_sel_hi:[0,1,0]
	s_waitcnt vmcnt(2)
	v_fma_mix_f32 v20, v48, v52, v20 op_sel_hi:[0,1,0]
	;; [unrolled: 2-line block ×4, first 2 shown]
.LBB477_14:                             ;   in Loop: Header=BB477_17 Depth=1
	s_or_b64 exec, exec, s[48:49]
	s_waitcnt vmcnt(3)
	v_fma_mix_f32 v20, v47, v43, v34 op_sel_hi:[0,1,0]
	s_waitcnt vmcnt(2)
	v_fma_mix_f32 v20, v48, v44, v20 op_sel_hi:[0,1,0]
	;; [unrolled: 2-line block ×4, first 2 shown]
.LBB477_15:                             ;   in Loop: Header=BB477_17 Depth=1
	s_or_b64 exec, exec, s[46:47]
	s_waitcnt vmcnt(3)
	v_fma_mix_f32 v1, v1, v39, v35 op_sel_hi:[1,1,0]
	s_waitcnt vmcnt(2)
	v_fma_mix_f32 v1, v36, v40, v1 op_sel_hi:[1,1,0]
	;; [unrolled: 2-line block ×4, first 2 shown]
.LBB477_16:                             ;   in Loop: Header=BB477_17 Depth=1
	s_or_b64 exec, exec, s[6:7]
	v_add_u32_e32 v33, 64, v33
	v_cmp_le_i32_e64 s[6:7], s52, v33
	v_lshl_add_u64 v[2:3], v[2:3], 0, s[40:41]
	v_lshl_add_u64 v[6:7], v[6:7], 0, s[42:43]
	;; [unrolled: 1-line block ×7, first 2 shown]
	s_or_b64 s[44:45], s[6:7], s[44:45]
	v_lshl_add_u64 v[18:19], v[18:19], 0, s[42:43]
	s_andn2_b64 exec, exec, s[44:45]
	s_cbranch_execz .LBB477_22
.LBB477_17:                             ; =>This Inner Loop Header: Depth=1
	s_and_saveexec_b64 s[6:7], vcc
	s_cbranch_execz .LBB477_16
; %bb.18:                               ;   in Loop: Header=BB477_17 Depth=1
	v_lshl_add_u64 v[20:21], v[2:3], 0, s[38:39]
	global_load_ushort v1, v[20:21], off
	v_lshl_add_u64 v[20:21], v[16:17], 0, s[38:39]
	global_load_ushort v36, v[20:21], off
	;; [unrolled: 2-line block ×4, first 2 shown]
	v_lshl_add_u64 v[20:21], v[10:11], 0, v[4:5]
	v_lshl_add_u64 v[22:23], v[18:19], 0, v[4:5]
	;; [unrolled: 1-line block ×4, first 2 shown]
	global_load_ushort v39, v[20:21], off
	global_load_ushort v40, v[22:23], off
	;; [unrolled: 1-line block ×4, first 2 shown]
	s_and_saveexec_b64 s[46:47], s[0:1]
	s_cbranch_execz .LBB477_15
; %bb.19:                               ;   in Loop: Header=BB477_17 Depth=1
	global_load_ushort v43, v[20:21], off offset:64
	global_load_ushort v44, v[22:23], off offset:64
	;; [unrolled: 1-line block ×4, first 2 shown]
	s_waitcnt vmcnt(11)
	v_cvt_f32_f16_e32 v47, v1
	s_waitcnt vmcnt(10)
	v_cvt_f32_f16_e32 v48, v36
	;; [unrolled: 2-line block ×4, first 2 shown]
	s_and_saveexec_b64 s[48:49], s[2:3]
	s_cbranch_execz .LBB477_14
; %bb.20:                               ;   in Loop: Header=BB477_17 Depth=1
	global_load_ushort v51, v[20:21], off offset:128
	global_load_ushort v52, v[22:23], off offset:128
	;; [unrolled: 1-line block ×4, first 2 shown]
	s_and_saveexec_b64 s[50:51], s[4:5]
	s_cbranch_execz .LBB477_13
; %bb.21:                               ;   in Loop: Header=BB477_17 Depth=1
	global_load_ushort v20, v[20:21], off offset:192
	s_nop 0
	global_load_ushort v21, v[22:23], off offset:192
	s_nop 0
	global_load_ushort v22, v[24:25], off offset:192
	global_load_ushort v23, v[26:27], off offset:192
	s_waitcnt vmcnt(3)
	v_fma_mix_f32 v20, v47, v20, v31 op_sel_hi:[0,1,0]
	s_waitcnt vmcnt(2)
	v_fma_mix_f32 v20, v48, v21, v20 op_sel_hi:[0,1,0]
	s_waitcnt vmcnt(1)
	v_fma_mix_f32 v20, v49, v22, v20 op_sel_hi:[0,1,0]
	s_waitcnt vmcnt(0)
	v_fma_mix_f32 v31, v50, v23, v20 op_sel_hi:[0,1,0]
	s_branch .LBB477_13
.LBB477_22:
	s_or_b64 exec, exec, s[44:45]
.LBB477_23:
	s_or_b64 exec, exec, s[36:37]
	s_sub_i32 s0, s29, s52
	s_cmp_lt_i32 s0, 1
	s_cbranch_scc1 .LBB477_41
; %bb.24:
	v_cmp_gt_i32_e32 vcc, s29, v33
	v_mov_b32_e32 v10, 0
	v_or_b32_e32 v4, 1, v33
	v_mov_b32_e32 v11, 0
	v_mov_b32_e32 v12, 0
	v_mov_b32_e32 v13, 0
	s_and_saveexec_b64 s[2:3], vcc
	s_cbranch_execz .LBB477_32
; %bb.25:
	s_lshl_b64 s[0:1], s[22:23], 1
	s_add_u32 s4, s16, s0
	s_addc_u32 s5, s17, s1
	s_lshl_b64 s[0:1], s[18:19], 1
	s_add_u32 s6, s4, s0
	s_addc_u32 s7, s5, s1
	v_mad_u64_u32 v[2:3], s[0:1], v33, s20, 0
	v_mov_b32_e32 v6, v3
	v_mad_u64_u32 v[6:7], s[0:1], v33, s21, v[6:7]
	v_mov_b32_e32 v3, v6
	v_lshl_add_u64 v[2:3], v[2:3], 1, s[6:7]
	global_load_ushort v1, v[2:3], off
	v_cmp_gt_i32_e64 s[0:1], s29, v4
	v_mov_b32_e32 v12, 0
	v_mov_b32_e32 v11, 0
	;; [unrolled: 1-line block ×3, first 2 shown]
	s_and_saveexec_b64 s[4:5], s[0:1]
	s_cbranch_execz .LBB477_31
; %bb.26:
	v_mad_u64_u32 v[2:3], s[0:1], v4, s20, 0
	v_mov_b32_e32 v6, v3
	v_mad_u64_u32 v[6:7], s[0:1], v4, s21, v[6:7]
	v_mov_b32_e32 v3, v6
	v_lshl_add_u64 v[2:3], v[2:3], 1, s[6:7]
	global_load_ushort v2, v[2:3], off
	v_or_b32_e32 v3, 2, v33
	v_cmp_gt_i32_e64 s[0:1], s29, v3
	v_mov_b32_e32 v11, 0
	v_mov_b32_e32 v10, 0
	s_and_saveexec_b64 s[16:17], s[0:1]
	s_cbranch_execz .LBB477_30
; %bb.27:
	v_mad_u64_u32 v[6:7], s[0:1], v3, s20, 0
	v_mov_b32_e32 v8, v7
	v_mad_u64_u32 v[8:9], s[0:1], v3, s21, v[8:9]
	v_mov_b32_e32 v7, v8
	v_lshl_add_u64 v[6:7], v[6:7], 1, s[6:7]
	global_load_ushort v3, v[6:7], off
	v_or_b32_e32 v5, 3, v33
	v_cmp_gt_i32_e64 s[0:1], s29, v5
	v_mov_b32_e32 v10, 0
	s_and_saveexec_b64 s[18:19], s[0:1]
	s_cbranch_execz .LBB477_29
; %bb.28:
	v_mad_u64_u32 v[6:7], s[0:1], v5, s20, 0
	v_mov_b32_e32 v8, v7
	v_mad_u64_u32 v[8:9], s[0:1], v5, s21, v[8:9]
	v_mov_b32_e32 v7, v8
	v_lshl_add_u64 v[6:7], v[6:7], 1, s[6:7]
	global_load_ushort v5, v[6:7], off
	s_waitcnt vmcnt(0)
	v_cvt_f32_f16_e32 v10, v5
.LBB477_29:
	s_or_b64 exec, exec, s[18:19]
	s_waitcnt vmcnt(0)
	v_cvt_f32_f16_e32 v11, v3
.LBB477_30:
	s_or_b64 exec, exec, s[16:17]
	s_waitcnt vmcnt(0)
	v_cvt_f32_f16_e32 v12, v2
.LBB477_31:
	s_or_b64 exec, exec, s[4:5]
	s_waitcnt vmcnt(0)
	v_cvt_f32_f16_e32 v13, v1
.LBB477_32:
	s_or_b64 exec, exec, s[2:3]
	v_cmp_gt_i32_e64 s[0:1], s28, v0
	s_and_saveexec_b64 s[2:3], s[0:1]
	s_cbranch_execz .LBB477_40
; %bb.33:
	s_lshl_b64 s[0:1], s[14:15], 1
	s_add_u32 s4, s8, s0
	s_addc_u32 s5, s9, s1
	s_lshl_b64 s[0:1], s[10:11], 1
	s_add_u32 s0, s4, s0
	s_addc_u32 s1, s5, s1
	v_mad_u64_u32 v[2:3], s[4:5], v33, s12, 0
	v_mov_b32_e32 v6, v3
	v_mad_u64_u32 v[6:7], s[4:5], v33, s13, v[6:7]
	v_ashrrev_i32_e32 v1, 31, v0
	v_cndmask_b32_e32 v3, 0, v6, vcc
	v_mad_u64_u32 v[6:7], s[4:5], v4, s12, 0
	v_cndmask_b32_e32 v2, 0, v2, vcc
	v_lshlrev_b64 v[8:9], 1, v[0:1]
	v_mov_b32_e32 v14, v7
	v_cmp_gt_i32_e32 vcc, s29, v4
	v_or_b32_e32 v1, 2, v33
	v_mad_u64_u32 v[14:15], s[4:5], v4, s13, v[14:15]
	v_cndmask_b32_e32 v4, 0, v6, vcc
	v_mad_u64_u32 v[6:7], s[4:5], v1, s12, 0
	v_cndmask_b32_e32 v5, 0, v14, vcc
	v_mov_b32_e32 v14, v7
	v_mad_u64_u32 v[14:15], s[4:5], v1, s13, v[14:15]
	v_cmp_gt_i32_e32 vcc, s29, v1
	v_or_b32_e32 v1, 3, v33
	v_lshl_add_u64 v[2:3], v[2:3], 1, s[0:1]
	v_cndmask_b32_e32 v7, 0, v14, vcc
	v_mad_u64_u32 v[14:15], s[4:5], v1, s12, 0
	v_mov_b32_e32 v16, v15
	v_cndmask_b32_e32 v6, 0, v6, vcc
	v_mad_u64_u32 v[16:17], s[4:5], v1, s13, v[16:17]
	v_cmp_gt_i32_e32 vcc, s29, v1
	v_lshl_add_u64 v[2:3], v[2:3], 0, v[8:9]
	v_lshl_add_u64 v[4:5], v[4:5], 1, s[0:1]
	v_cndmask_b32_e32 v14, 0, v14, vcc
	v_cndmask_b32_e32 v15, 0, v16, vcc
	v_lshl_add_u64 v[6:7], v[6:7], 1, s[0:1]
	v_lshl_add_u64 v[14:15], v[14:15], 1, s[0:1]
	;; [unrolled: 1-line block ×4, first 2 shown]
	global_load_ushort v16, v[2:3], off
	global_load_ushort v17, v[4:5], off
	;; [unrolled: 1-line block ×3, first 2 shown]
	v_lshl_add_u64 v[8:9], v[14:15], 0, v[8:9]
	global_load_ushort v1, v[8:9], off
	v_add_u32_e32 v15, 32, v0
	v_cmp_gt_i32_e32 vcc, s28, v15
	s_waitcnt vmcnt(3)
	v_fma_mix_f32 v14, v13, v16, v35 op_sel_hi:[0,1,0]
	s_waitcnt vmcnt(2)
	v_fma_mix_f32 v14, v12, v17, v14 op_sel_hi:[0,1,0]
	s_waitcnt vmcnt(1)
	v_fma_mix_f32 v14, v11, v18, v14 op_sel_hi:[0,1,0]
	s_and_saveexec_b64 s[0:1], vcc
	s_cbranch_execz .LBB477_39
; %bb.34:
	global_load_ushort v16, v[2:3], off offset:64
	global_load_ushort v17, v[4:5], off offset:64
	global_load_ushort v18, v[6:7], off offset:64
	global_load_ushort v15, v[8:9], off offset:64
	v_add_u32_e32 v19, 64, v0
	v_cmp_gt_i32_e32 vcc, s28, v19
	s_waitcnt vmcnt(3)
	v_fma_mix_f32 v16, v13, v16, v34 op_sel_hi:[0,1,0]
	s_waitcnt vmcnt(2)
	v_fma_mix_f32 v16, v12, v17, v16 op_sel_hi:[0,1,0]
	s_waitcnt vmcnt(1)
	v_fma_mix_f32 v16, v11, v18, v16 op_sel_hi:[0,1,0]
	s_and_saveexec_b64 s[4:5], vcc
	s_cbranch_execz .LBB477_38
; %bb.35:
	global_load_ushort v18, v[2:3], off offset:128
	global_load_ushort v19, v[4:5], off offset:128
	global_load_ushort v20, v[6:7], off offset:128
	global_load_ushort v17, v[8:9], off offset:128
	;; [unrolled: 15-line block ×3, first 2 shown]
	s_waitcnt vmcnt(3)
	v_fma_mix_f32 v2, v13, v18, v31 op_sel_hi:[0,1,0]
	s_waitcnt vmcnt(2)
	v_fma_mix_f32 v2, v12, v19, v2 op_sel_hi:[0,1,0]
	;; [unrolled: 2-line block ×4, first 2 shown]
.LBB477_37:
	s_or_b64 exec, exec, s[6:7]
	s_waitcnt vmcnt(0)
	v_fma_mix_f32 v32, v10, v17, v0 op_sel_hi:[0,1,0]
.LBB477_38:
	s_or_b64 exec, exec, s[4:5]
	s_waitcnt vmcnt(0)
	v_fma_mix_f32 v34, v10, v15, v16 op_sel_hi:[0,1,0]
.LBB477_39:
	s_or_b64 exec, exec, s[0:1]
	s_waitcnt vmcnt(0)
	v_fma_mix_f32 v35, v10, v1, v14 op_sel_hi:[0,1,0]
.LBB477_40:
	s_or_b64 exec, exec, s[2:3]
.LBB477_41:
	v_lshlrev_b32_e32 v0, 7, v30
	s_movk_i32 s0, 0x80
	v_add_lshl_u32 v0, v0, v29, 2
	v_cmp_gt_u32_e32 vcc, s0, v28
	ds_write2_b32 v0, v35, v34 offset1:32
	ds_write2_b32 v0, v32, v31 offset0:64 offset1:96
	s_waitcnt lgkmcnt(0)
	s_barrier
	s_waitcnt lgkmcnt(0)
                                        ; implicit-def: $vgpr1
                                        ; implicit-def: $vgpr2_vgpr3
	s_and_saveexec_b64 s[0:1], vcc
	s_cbranch_execz .LBB477_47
; %bb.42:
	v_lshlrev_b32_e32 v10, 2, v28
	ds_read2st64_b32 v[0:1], v10 offset1:2
	ds_read2st64_b32 v[2:3], v10 offset0:4 offset1:6
	ds_read2st64_b32 v[4:5], v10 offset0:8 offset1:10
	;; [unrolled: 1-line block ×4, first 2 shown]
	s_waitcnt lgkmcnt(4)
	v_add_f32_e32 v0, v0, v1
	s_waitcnt lgkmcnt(3)
	v_add_f32_e32 v0, v2, v0
	v_add_f32_e32 v0, v3, v0
	s_waitcnt lgkmcnt(2)
	v_add_f32_e32 v0, v4, v0
	v_add_f32_e32 v0, v5, v0
	s_waitcnt lgkmcnt(1)
	v_add_f32_e32 v0, v6, v0
	v_add_f32_e32 v2, v7, v0
	ds_read2st64_b32 v[0:1], v10 offset0:20 offset1:22
	s_waitcnt lgkmcnt(1)
	v_add_f32_e32 v4, v8, v2
	ds_read2st64_b32 v[2:3], v10 offset0:24 offset1:26
	v_add_f32_e32 v6, v9, v4
	ds_read2st64_b32 v[4:5], v10 offset0:28 offset1:30
	s_waitcnt lgkmcnt(2)
	v_add_f32_e32 v0, v0, v6
	v_add_f32_e32 v0, v1, v0
	s_waitcnt lgkmcnt(1)
	v_add_f32_e32 v0, v2, v0
	v_add_f32_e32 v0, v3, v0
	;; [unrolled: 3-line block ×3, first 2 shown]
	v_or_b32_e32 v0, s33, v28
	v_cmp_gt_i32_e32 vcc, s28, v0
	s_mov_b64 s[4:5], s[34:35]
	ds_write_b32 v10, v4
                                        ; implicit-def: $vgpr1
                                        ; implicit-def: $vgpr2_vgpr3
	s_and_saveexec_b64 s[2:3], vcc
	s_cbranch_execz .LBB477_46
; %bb.43:
	v_ashrrev_i32_e32 v2, 31, v0
	v_cmp_eq_f32_e64 s[4:5], s31, 0
	v_mul_f32_e32 v1, s30, v4
	v_mul_lo_u32 v4, v0, s25
	v_mul_lo_u32 v5, v2, s24
	v_mad_u64_u32 v[2:3], s[6:7], v0, s24, 0
	v_add3_u32 v3, v3, v4, v5
	s_and_b64 vcc, exec, s[4:5]
	s_cbranch_vccnz .LBB477_45
; %bb.44:
	v_lshl_add_u64 v[4:5], v[2:3], 2, s[26:27]
	global_load_dword v0, v[4:5], off
	s_waitcnt vmcnt(0)
	v_fmac_f32_e32 v1, s31, v0
.LBB477_45:
	s_or_b64 s[4:5], s[34:35], exec
.LBB477_46:
	s_or_b64 exec, exec, s[2:3]
	s_andn2_b64 s[2:3], s[34:35], exec
	s_and_b64 s[4:5], s[4:5], exec
	s_or_b64 s[34:35], s[2:3], s[4:5]
.LBB477_47:
	s_or_b64 exec, exec, s[0:1]
.LBB477_48:
	s_and_saveexec_b64 s[0:1], s[34:35]
	s_cbranch_execz .LBB477_50
; %bb.49:
	v_lshl_add_u64 v[2:3], v[2:3], 2, s[26:27]
	global_store_dword v[2:3], v1, off
.LBB477_50:
	s_endpgm
	.section	.rodata,"a",@progbits
	.p2align	6, 0x0
	.amdhsa_kernel _ZL20rocblas_gemvn_kernelILi32ELi16ElDF16_ffEviiT3_lPKT2_lT1_lS3_lS4_lS0_lPT4_lS4_li
		.amdhsa_group_segment_fixed_size 8192
		.amdhsa_private_segment_fixed_size 0
		.amdhsa_kernarg_size 400
		.amdhsa_user_sgpr_count 2
		.amdhsa_user_sgpr_dispatch_ptr 0
		.amdhsa_user_sgpr_queue_ptr 0
		.amdhsa_user_sgpr_kernarg_segment_ptr 1
		.amdhsa_user_sgpr_dispatch_id 0
		.amdhsa_user_sgpr_kernarg_preload_length 0
		.amdhsa_user_sgpr_kernarg_preload_offset 0
		.amdhsa_user_sgpr_private_segment_size 0
		.amdhsa_uses_dynamic_stack 0
		.amdhsa_enable_private_segment 0
		.amdhsa_system_sgpr_workgroup_id_x 1
		.amdhsa_system_sgpr_workgroup_id_y 0
		.amdhsa_system_sgpr_workgroup_id_z 1
		.amdhsa_system_sgpr_workgroup_info 0
		.amdhsa_system_vgpr_workitem_id 1
		.amdhsa_next_free_vgpr 55
		.amdhsa_next_free_sgpr 53
		.amdhsa_accum_offset 56
		.amdhsa_reserve_vcc 1
		.amdhsa_float_round_mode_32 0
		.amdhsa_float_round_mode_16_64 0
		.amdhsa_float_denorm_mode_32 3
		.amdhsa_float_denorm_mode_16_64 3
		.amdhsa_dx10_clamp 1
		.amdhsa_ieee_mode 1
		.amdhsa_fp16_overflow 0
		.amdhsa_tg_split 0
		.amdhsa_exception_fp_ieee_invalid_op 0
		.amdhsa_exception_fp_denorm_src 0
		.amdhsa_exception_fp_ieee_div_zero 0
		.amdhsa_exception_fp_ieee_overflow 0
		.amdhsa_exception_fp_ieee_underflow 0
		.amdhsa_exception_fp_ieee_inexact 0
		.amdhsa_exception_int_div_zero 0
	.end_amdhsa_kernel
	.section	.text._ZL20rocblas_gemvn_kernelILi32ELi16ElDF16_ffEviiT3_lPKT2_lT1_lS3_lS4_lS0_lPT4_lS4_li,"axG",@progbits,_ZL20rocblas_gemvn_kernelILi32ELi16ElDF16_ffEviiT3_lPKT2_lT1_lS3_lS4_lS0_lPT4_lS4_li,comdat
.Lfunc_end477:
	.size	_ZL20rocblas_gemvn_kernelILi32ELi16ElDF16_ffEviiT3_lPKT2_lT1_lS3_lS4_lS0_lPT4_lS4_li, .Lfunc_end477-_ZL20rocblas_gemvn_kernelILi32ELi16ElDF16_ffEviiT3_lPKT2_lT1_lS3_lS4_lS0_lPT4_lS4_li
                                        ; -- End function
	.section	.AMDGPU.csdata,"",@progbits
; Kernel info:
; codeLenInByte = 2844
; NumSgprs: 59
; NumVgprs: 55
; NumAgprs: 0
; TotalNumVgprs: 55
; ScratchSize: 0
; MemoryBound: 0
; FloatMode: 240
; IeeeMode: 1
; LDSByteSize: 8192 bytes/workgroup (compile time only)
; SGPRBlocks: 7
; VGPRBlocks: 6
; NumSGPRsForWavesPerEU: 59
; NumVGPRsForWavesPerEU: 55
; AccumOffset: 56
; Occupancy: 8
; WaveLimiterHint : 1
; COMPUTE_PGM_RSRC2:SCRATCH_EN: 0
; COMPUTE_PGM_RSRC2:USER_SGPR: 2
; COMPUTE_PGM_RSRC2:TRAP_HANDLER: 0
; COMPUTE_PGM_RSRC2:TGID_X_EN: 1
; COMPUTE_PGM_RSRC2:TGID_Y_EN: 0
; COMPUTE_PGM_RSRC2:TGID_Z_EN: 1
; COMPUTE_PGM_RSRC2:TIDIG_COMP_CNT: 1
; COMPUTE_PGM_RSRC3_GFX90A:ACCUM_OFFSET: 13
; COMPUTE_PGM_RSRC3_GFX90A:TG_SPLIT: 0
	.section	.text._ZL20rocblas_gemvn_kernelILi64ELi16EiDF16_PKffEviiT3_lPKT2_lT1_lS5_lS6_lS2_lPT4_lS6_li,"axG",@progbits,_ZL20rocblas_gemvn_kernelILi64ELi16EiDF16_PKffEviiT3_lPKT2_lT1_lS5_lS6_lS2_lPT4_lS6_li,comdat
	.globl	_ZL20rocblas_gemvn_kernelILi64ELi16EiDF16_PKffEviiT3_lPKT2_lT1_lS5_lS6_lS2_lPT4_lS6_li ; -- Begin function _ZL20rocblas_gemvn_kernelILi64ELi16EiDF16_PKffEviiT3_lPKT2_lT1_lS5_lS6_lS2_lPT4_lS6_li
	.p2align	8
	.type	_ZL20rocblas_gemvn_kernelILi64ELi16EiDF16_PKffEviiT3_lPKT2_lT1_lS5_lS6_lS2_lPT4_lS6_li,@function
_ZL20rocblas_gemvn_kernelILi64ELi16EiDF16_PKffEviiT3_lPKT2_lT1_lS5_lS6_lS2_lPT4_lS6_li: ; @_ZL20rocblas_gemvn_kernelILi64ELi16EiDF16_PKffEviiT3_lPKT2_lT1_lS5_lS6_lS2_lPT4_lS6_li
; %bb.0:
	s_load_dwordx2 s[4:5], s[0:1], 0x9c
	s_waitcnt lgkmcnt(0)
	s_lshr_b32 s6, s4, 16
	s_and_b32 s4, s4, 0xffff
	s_and_b32 s5, s5, 0xffff
	s_mul_i32 s4, s6, s4
	s_mul_i32 s4, s4, s5
	s_cmpk_lg_i32 s4, 0x400
	s_cbranch_scc1 .LBB478_50
; %bb.1:
	s_load_dwordx8 s[12:19], s[0:1], 0x8
	s_load_dwordx8 s[4:11], s[0:1], 0x50
	s_waitcnt lgkmcnt(0)
	s_mul_i32 s15, s3, s15
	s_mul_hi_u32 s20, s3, s14
	s_mul_i32 s14, s3, s14
	s_add_i32 s15, s20, s15
	s_lshl_b64 s[14:15], s[14:15], 2
	s_add_u32 s12, s12, s14
	s_addc_u32 s13, s13, s15
	s_mul_i32 s9, s3, s9
	s_load_dword s29, s[12:13], 0x0
	s_mul_hi_u32 s12, s3, s8
	s_add_i32 s9, s12, s9
	s_mul_i32 s8, s3, s8
	s_lshl_b64 s[8:9], s[8:9], 2
	s_add_u32 s6, s6, s8
	s_addc_u32 s7, s7, s9
	s_load_dword s28, s[6:7], 0x0
	s_waitcnt lgkmcnt(0)
	v_cmp_eq_f32_e64 s[6:7], s29, 0
	v_cmp_eq_f32_e64 s[8:9], s28, 1.0
	s_and_b64 s[6:7], s[6:7], s[8:9]
	s_and_b64 vcc, exec, s[6:7]
	s_cbranch_vccnz .LBB478_50
; %bb.2:
	s_load_dwordx2 s[6:7], s[0:1], 0x80
	s_load_dword s30, s[0:1], 0x78
	s_load_dwordx2 s[8:9], s[0:1], 0x70
	s_load_dwordx2 s[12:13], s[0:1], 0x0
	v_and_b32_e32 v2, 0x3ff, v0
	s_waitcnt lgkmcnt(0)
	s_mul_i32 s7, s3, s7
	s_mul_hi_u32 s14, s3, s6
	s_add_i32 s7, s14, s7
	s_mul_i32 s6, s3, s6
	s_lshl_b64 s[6:7], s[6:7], 2
	s_add_u32 s10, s10, s6
	s_addc_u32 s11, s11, s7
	s_lshl_b64 s[6:7], s[8:9], 2
	s_add_u32 s8, s10, s6
	s_addc_u32 s9, s11, s7
	v_bfe_u32 v14, v0, 10, 10
	v_cmp_neq_f32_e64 s[6:7], s29, 0
	v_lshl_add_u32 v3, v14, 6, v2
	s_and_b64 vcc, exec, s[6:7]
	s_cbranch_vccnz .LBB478_9
; %bb.3:
	s_movk_i32 s6, 0x100
	v_cmp_gt_u32_e32 vcc, s6, v3
	s_mov_b64 s[6:7], 0
	s_mov_b64 s[10:11], 0
                                        ; implicit-def: $vgpr1
                                        ; implicit-def: $vgpr4_vgpr5
	s_and_saveexec_b64 s[14:15], vcc
	s_cbranch_execz .LBB478_10
; %bb.4:
	v_lshl_or_b32 v0, s2, 8, v3
	v_mov_b32_e32 v1, 0
	s_ashr_i32 s11, s12, 31
	s_mov_b32 s10, s12
	v_cmp_gt_i64_e32 vcc, s[10:11], v[0:1]
	s_mov_b64 s[20:21], 0
                                        ; implicit-def: $vgpr4_vgpr5
	s_and_saveexec_b64 s[10:11], vcc
	s_cbranch_execz .LBB478_8
; %bb.5:
	v_mad_u64_u32 v[4:5], s[22:23], s30, v0, 0
	s_ashr_i32 s24, s30, 31
	v_mov_b32_e32 v6, v5
	v_cmp_eq_f32_e64 s[20:21], s28, 0
	v_mad_u64_u32 v[6:7], s[22:23], s24, v0, v[6:7]
	v_mov_b32_e32 v5, v6
	s_and_b64 vcc, exec, s[20:21]
	s_cbranch_vccnz .LBB478_7
; %bb.6:
	v_lshl_add_u64 v[0:1], v[4:5], 2, s[8:9]
	global_load_dword v0, v[0:1], off
	s_waitcnt vmcnt(0)
	v_mul_f32_e32 v1, s28, v0
.LBB478_7:
	s_mov_b64 s[20:21], exec
.LBB478_8:
	s_or_b64 exec, exec, s[10:11]
	s_and_b64 s[10:11], s[20:21], exec
	s_or_b64 exec, exec, s[14:15]
	s_and_b64 vcc, exec, s[6:7]
	s_cbranch_vccnz .LBB478_11
	s_branch .LBB478_48
.LBB478_9:
	s_mov_b64 s[10:11], 0
                                        ; implicit-def: $vgpr1
                                        ; implicit-def: $vgpr4_vgpr5
	s_cbranch_execnz .LBB478_11
	s_branch .LBB478_48
.LBB478_10:
	s_or_b64 exec, exec, s[14:15]
	s_and_b64 vcc, exec, s[6:7]
	s_cbranch_vccz .LBB478_48
.LBB478_11:
	s_load_dwordx4 s[20:23], s[0:1], 0x30
	s_load_dword s33, s[0:1], 0x28
	s_load_dwordx2 s[6:7], s[0:1], 0x40
	s_load_dword s34, s[0:1], 0x48
	v_lshlrev_b32_e32 v20, 2, v14
	s_waitcnt lgkmcnt(0)
	s_mul_i32 s0, s3, s21
	s_mul_hi_u32 s1, s3, s20
	s_add_i32 s1, s1, s0
	s_mul_i32 s0, s3, s20
	s_lshl_b64 s[0:1], s[0:1], 1
	s_add_u32 s14, s16, s0
	s_addc_u32 s15, s17, s1
	s_lshl_b64 s[0:1], s[18:19], 1
	s_add_u32 s14, s14, s0
	s_addc_u32 s15, s15, s1
	s_mul_i32 s0, s3, s5
	s_mul_hi_u32 s1, s3, s4
	s_add_i32 s1, s1, s0
	s_mul_i32 s0, s3, s4
	s_lshl_b64 s[0:1], s[0:1], 1
	s_add_u32 s3, s22, s0
	s_addc_u32 s4, s23, s1
	s_lshl_b64 s[0:1], s[6:7], 1
	s_add_u32 s16, s3, s0
	s_addc_u32 s17, s4, s1
	s_ashr_i32 s0, s13, 31
	s_lshr_b32 s0, s0, 26
	s_add_i32 s35, s13, s0
	s_lshl_b32 s31, s2, 8
	s_andn2_b32 s35, s35, 63
	v_add_u32_e32 v16, s31, v2
	v_cmp_gt_i32_e32 vcc, s35, v20
	v_mov_b32_e32 v19, 0
	v_mov_b32_e32 v18, 0
	;; [unrolled: 1-line block ×4, first 2 shown]
	s_and_saveexec_b64 s[18:19], vcc
	s_cbranch_execz .LBB478_23
; %bb.12:
	v_add_u32_e32 v0, 64, v16
	v_cmp_gt_i32_e64 s[0:1], s12, v0
	v_add_u32_e32 v0, 0x80, v16
	v_cmp_gt_i32_e64 s[2:3], s12, v0
	;; [unrolled: 2-line block ×3, first 2 shown]
	v_mul_lo_u32 v0, s33, v20
	v_add_u32_e32 v6, 2, v20
	v_add_u32_e32 v7, 3, v20
	v_add3_u32 v21, v0, s33, v2
	v_mad_u64_u32 v[0:1], s[6:7], s33, v6, v[2:3]
	v_mad_u64_u32 v[4:5], s[6:7], s33, v7, v[2:3]
	v_mul_lo_u32 v1, v14, s33
	v_mul_lo_u32 v5, s34, v20
	;; [unrolled: 1-line block ×4, first 2 shown]
	v_cmp_gt_i32_e32 vcc, s12, v16
	s_lshl_b32 s36, s33, 6
	v_lshl_add_u32 v1, v1, 2, v2
	v_add_u32_e32 v5, s34, v5
	s_lshl_b32 s37, s34, 6
	v_mul_lo_u32 v23, s34, v7
	v_lshlrev_b32_e32 v24, 2, v6
	s_mov_b32 s38, 0
	s_mov_b64 s[20:21], 0
	v_mov_b32_e32 v19, 0
	v_mov_b32_e32 v18, 0
	;; [unrolled: 1-line block ×4, first 2 shown]
	s_branch .LBB478_17
.LBB478_13:                             ;   in Loop: Header=BB478_17 Depth=1
	s_or_b64 exec, exec, s[26:27]
	s_waitcnt vmcnt(3)
	v_fma_mix_f32 v6, v37, v41, v17 op_sel_hi:[0,1,0]
	s_waitcnt vmcnt(2)
	v_fma_mix_f32 v6, v38, v42, v6 op_sel_hi:[0,1,0]
	;; [unrolled: 2-line block ×4, first 2 shown]
.LBB478_14:                             ;   in Loop: Header=BB478_17 Depth=1
	s_or_b64 exec, exec, s[24:25]
	s_waitcnt vmcnt(3)
	v_fma_mix_f32 v6, v37, v33, v18 op_sel_hi:[0,1,0]
	s_waitcnt vmcnt(2)
	v_fma_mix_f32 v6, v38, v34, v6 op_sel_hi:[0,1,0]
	;; [unrolled: 2-line block ×4, first 2 shown]
.LBB478_15:                             ;   in Loop: Header=BB478_17 Depth=1
	s_or_b64 exec, exec, s[22:23]
	s_waitcnt vmcnt(3)
	v_fma_mix_f32 v6, v25, v29, v19 op_sel_hi:[1,1,0]
	s_waitcnt vmcnt(2)
	v_fma_mix_f32 v6, v26, v30, v6 op_sel_hi:[1,1,0]
	s_waitcnt vmcnt(1)
	v_fma_mix_f32 v6, v27, v31, v6 op_sel_hi:[1,1,0]
	s_waitcnt vmcnt(0)
	v_fma_mix_f32 v19, v28, v32, v6 op_sel_hi:[1,1,0]
.LBB478_16:                             ;   in Loop: Header=BB478_17 Depth=1
	s_or_b64 exec, exec, s[6:7]
	v_add_u32_e32 v20, 64, v20
	s_add_i32 s38, s38, s37
	v_cmp_le_i32_e64 s[6:7], s35, v20
	v_add_u32_e32 v21, s36, v21
	v_add_u32_e32 v0, s36, v0
	v_add_u32_e32 v4, s36, v4
	s_or_b64 s[20:21], s[6:7], s[20:21]
	v_add_u32_e32 v1, s36, v1
	s_andn2_b64 exec, exec, s[20:21]
	s_cbranch_execz .LBB478_22
.LBB478_17:                             ; =>This Inner Loop Header: Depth=1
	s_and_saveexec_b64 s[6:7], vcc
	s_cbranch_execz .LBB478_16
; %bb.18:                               ;   in Loop: Header=BB478_17 Depth=1
	v_add_u32_e32 v6, s38, v24
	v_ashrrev_i32_e32 v7, 31, v6
	v_add_u32_e32 v8, s38, v5
	v_add_u32_e32 v10, s38, v22
	;; [unrolled: 1-line block ×3, first 2 shown]
	v_lshl_add_u64 v[6:7], v[6:7], 1, s[16:17]
	v_ashrrev_i32_e32 v9, 31, v8
	v_ashrrev_i32_e32 v11, 31, v10
	;; [unrolled: 1-line block ×3, first 2 shown]
	v_lshl_add_u64 v[8:9], v[8:9], 1, s[16:17]
	v_lshl_add_u64 v[10:11], v[10:11], 1, s[16:17]
	;; [unrolled: 1-line block ×3, first 2 shown]
	global_load_ushort v25, v[6:7], off
	global_load_ushort v26, v[8:9], off
	;; [unrolled: 1-line block ×4, first 2 shown]
	v_add_u32_e32 v6, s31, v1
	v_ashrrev_i32_e32 v7, 31, v6
	v_add_u32_e32 v8, s31, v21
	v_add_u32_e32 v10, s31, v0
	;; [unrolled: 1-line block ×3, first 2 shown]
	v_lshl_add_u64 v[6:7], v[6:7], 1, s[14:15]
	v_ashrrev_i32_e32 v9, 31, v8
	v_ashrrev_i32_e32 v11, 31, v10
	;; [unrolled: 1-line block ×3, first 2 shown]
	v_lshl_add_u64 v[8:9], v[8:9], 1, s[14:15]
	v_lshl_add_u64 v[10:11], v[10:11], 1, s[14:15]
	;; [unrolled: 1-line block ×3, first 2 shown]
	global_load_ushort v29, v[6:7], off
	global_load_ushort v30, v[8:9], off
	;; [unrolled: 1-line block ×4, first 2 shown]
	s_and_saveexec_b64 s[22:23], s[0:1]
	s_cbranch_execz .LBB478_15
; %bb.19:                               ;   in Loop: Header=BB478_17 Depth=1
	global_load_ushort v33, v[6:7], off offset:128
	global_load_ushort v34, v[8:9], off offset:128
	;; [unrolled: 1-line block ×4, first 2 shown]
	s_waitcnt vmcnt(11)
	v_cvt_f32_f16_e32 v37, v25
	s_waitcnt vmcnt(10)
	v_cvt_f32_f16_e32 v38, v26
	;; [unrolled: 2-line block ×4, first 2 shown]
	s_and_saveexec_b64 s[24:25], s[2:3]
	s_cbranch_execz .LBB478_14
; %bb.20:                               ;   in Loop: Header=BB478_17 Depth=1
	global_load_ushort v41, v[6:7], off offset:256
	global_load_ushort v42, v[8:9], off offset:256
	global_load_ushort v43, v[10:11], off offset:256
	global_load_ushort v44, v[12:13], off offset:256
	s_and_saveexec_b64 s[26:27], s[4:5]
	s_cbranch_execz .LBB478_13
; %bb.21:                               ;   in Loop: Header=BB478_17 Depth=1
	global_load_ushort v45, v[6:7], off offset:384
	global_load_ushort v46, v[8:9], off offset:384
	;; [unrolled: 1-line block ×4, first 2 shown]
	s_waitcnt vmcnt(3)
	v_fma_mix_f32 v6, v37, v45, v15 op_sel_hi:[0,1,0]
	s_waitcnt vmcnt(2)
	v_fma_mix_f32 v6, v38, v46, v6 op_sel_hi:[0,1,0]
	;; [unrolled: 2-line block ×4, first 2 shown]
	s_branch .LBB478_13
.LBB478_22:
	s_or_b64 exec, exec, s[20:21]
.LBB478_23:
	s_or_b64 exec, exec, s[18:19]
	s_sub_i32 s0, s13, s35
	s_cmp_lt_i32 s0, 1
	s_cbranch_scc1 .LBB478_41
; %bb.24:
	v_cmp_gt_i32_e32 vcc, s13, v20
	v_mov_b32_e32 v10, 0
	v_or_b32_e32 v4, 1, v20
	v_mov_b32_e32 v11, 0
	v_mov_b32_e32 v12, 0
	;; [unrolled: 1-line block ×3, first 2 shown]
	s_and_saveexec_b64 s[2:3], vcc
	s_cbranch_execz .LBB478_32
; %bb.25:
	v_mul_lo_u32 v0, v20, s34
	v_ashrrev_i32_e32 v1, 31, v0
	v_lshl_add_u64 v[0:1], v[0:1], 1, s[16:17]
	global_load_ushort v0, v[0:1], off
	v_cmp_gt_i32_e64 s[0:1], s13, v4
	v_mov_b32_e32 v12, 0
	v_mov_b32_e32 v11, 0
	;; [unrolled: 1-line block ×3, first 2 shown]
	s_and_saveexec_b64 s[4:5], s[0:1]
	s_cbranch_execz .LBB478_31
; %bb.26:
	v_mul_lo_u32 v6, v4, s34
	v_ashrrev_i32_e32 v7, 31, v6
	v_lshl_add_u64 v[6:7], v[6:7], 1, s[16:17]
	global_load_ushort v1, v[6:7], off
	v_or_b32_e32 v5, 2, v20
	v_cmp_gt_i32_e64 s[0:1], s13, v5
	v_mov_b32_e32 v11, 0
	v_mov_b32_e32 v10, 0
	s_and_saveexec_b64 s[6:7], s[0:1]
	s_cbranch_execz .LBB478_30
; %bb.27:
	v_mul_lo_u32 v6, v5, s34
	v_ashrrev_i32_e32 v7, 31, v6
	v_lshl_add_u64 v[6:7], v[6:7], 1, s[16:17]
	global_load_ushort v5, v[6:7], off
	v_or_b32_e32 v6, 3, v20
	v_cmp_gt_i32_e64 s[0:1], s13, v6
	v_mov_b32_e32 v10, 0
	s_and_saveexec_b64 s[18:19], s[0:1]
	s_cbranch_execz .LBB478_29
; %bb.28:
	v_mul_lo_u32 v6, v6, s34
	v_ashrrev_i32_e32 v7, 31, v6
	v_lshl_add_u64 v[6:7], v[6:7], 1, s[16:17]
	global_load_ushort v6, v[6:7], off
	s_waitcnt vmcnt(0)
	v_cvt_f32_f16_e32 v10, v6
.LBB478_29:
	s_or_b64 exec, exec, s[18:19]
	s_waitcnt vmcnt(0)
	v_cvt_f32_f16_e32 v11, v5
.LBB478_30:
	s_or_b64 exec, exec, s[6:7]
	s_waitcnt vmcnt(0)
	v_cvt_f32_f16_e32 v12, v1
.LBB478_31:
	s_or_b64 exec, exec, s[4:5]
	s_waitcnt vmcnt(0)
	v_cvt_f32_f16_e32 v13, v0
.LBB478_32:
	s_or_b64 exec, exec, s[2:3]
	v_cmp_gt_i32_e64 s[0:1], s12, v16
	s_and_saveexec_b64 s[2:3], s[0:1]
	s_cbranch_execz .LBB478_40
; %bb.33:
	v_mul_lo_u32 v0, v20, s33
	v_cndmask_b32_e32 v0, 0, v0, vcc
	v_mul_lo_u32 v5, v4, s33
	v_cmp_gt_i32_e32 vcc, s13, v4
	v_or_b32_e32 v6, 2, v20
	v_mul_lo_u32 v7, v6, s33
	v_cndmask_b32_e32 v4, 0, v5, vcc
	v_cmp_gt_i32_e32 vcc, s13, v6
	v_or_b32_e32 v8, 3, v20
	v_mul_lo_u32 v9, v8, s33
	v_cndmask_b32_e32 v6, 0, v7, vcc
	v_cmp_gt_i32_e32 vcc, s13, v8
	v_add_u32_e32 v0, v0, v16
	v_ashrrev_i32_e32 v1, 31, v0
	v_cndmask_b32_e32 v8, 0, v9, vcc
	v_add_u32_e32 v4, v4, v16
	v_add_u32_e32 v6, v6, v16
	;; [unrolled: 1-line block ×3, first 2 shown]
	v_lshl_add_u64 v[0:1], v[0:1], 1, s[14:15]
	v_ashrrev_i32_e32 v5, 31, v4
	v_ashrrev_i32_e32 v7, 31, v6
	;; [unrolled: 1-line block ×3, first 2 shown]
	v_lshl_add_u64 v[4:5], v[4:5], 1, s[14:15]
	v_lshl_add_u64 v[6:7], v[6:7], 1, s[14:15]
	global_load_ushort v21, v[0:1], off
	global_load_ushort v22, v[4:5], off
	global_load_ushort v23, v[6:7], off
	v_lshl_add_u64 v[8:9], v[8:9], 1, s[14:15]
	global_load_ushort v20, v[8:9], off
	v_add_u32_e32 v24, 64, v16
	v_cmp_gt_i32_e32 vcc, s12, v24
	s_waitcnt vmcnt(3)
	v_fma_mix_f32 v19, v13, v21, v19 op_sel_hi:[0,1,0]
	s_waitcnt vmcnt(2)
	v_fma_mix_f32 v19, v12, v22, v19 op_sel_hi:[0,1,0]
	s_waitcnt vmcnt(1)
	v_fma_mix_f32 v19, v11, v23, v19 op_sel_hi:[0,1,0]
	s_and_saveexec_b64 s[0:1], vcc
	s_cbranch_execz .LBB478_39
; %bb.34:
	global_load_ushort v22, v[0:1], off offset:128
	global_load_ushort v23, v[4:5], off offset:128
	global_load_ushort v24, v[6:7], off offset:128
	global_load_ushort v21, v[8:9], off offset:128
	v_add_u32_e32 v25, 0x80, v16
	v_cmp_gt_i32_e32 vcc, s12, v25
	s_waitcnt vmcnt(3)
	v_fma_mix_f32 v18, v13, v22, v18 op_sel_hi:[0,1,0]
	s_waitcnt vmcnt(2)
	v_fma_mix_f32 v18, v12, v23, v18 op_sel_hi:[0,1,0]
	s_waitcnt vmcnt(1)
	v_fma_mix_f32 v18, v11, v24, v18 op_sel_hi:[0,1,0]
	s_and_saveexec_b64 s[4:5], vcc
	s_cbranch_execz .LBB478_38
; %bb.35:
	global_load_ushort v23, v[0:1], off offset:256
	global_load_ushort v24, v[4:5], off offset:256
	global_load_ushort v25, v[6:7], off offset:256
	global_load_ushort v22, v[8:9], off offset:256
	;; [unrolled: 15-line block ×3, first 2 shown]
	s_waitcnt vmcnt(3)
	v_fma_mix_f32 v0, v13, v17, v15 op_sel_hi:[0,1,0]
	s_waitcnt vmcnt(2)
	v_fma_mix_f32 v0, v12, v23, v0 op_sel_hi:[0,1,0]
	;; [unrolled: 2-line block ×4, first 2 shown]
.LBB478_37:
	s_or_b64 exec, exec, s[6:7]
	s_waitcnt vmcnt(0)
	v_fma_mix_f32 v17, v10, v22, v16 op_sel_hi:[0,1,0]
.LBB478_38:
	s_or_b64 exec, exec, s[4:5]
	s_waitcnt vmcnt(0)
	v_fma_mix_f32 v18, v10, v21, v18 op_sel_hi:[0,1,0]
.LBB478_39:
	s_or_b64 exec, exec, s[0:1]
	s_waitcnt vmcnt(0)
	v_fma_mix_f32 v19, v10, v20, v19 op_sel_hi:[0,1,0]
.LBB478_40:
	s_or_b64 exec, exec, s[2:3]
.LBB478_41:
	v_lshlrev_b32_e32 v0, 8, v14
	s_movk_i32 s0, 0x100
	v_add_lshl_u32 v0, v0, v2, 2
	v_cmp_gt_u32_e32 vcc, s0, v3
	ds_write2st64_b32 v0, v19, v18 offset1:1
	ds_write2st64_b32 v0, v17, v15 offset0:2 offset1:3
	s_waitcnt lgkmcnt(0)
	s_barrier
	s_waitcnt lgkmcnt(0)
                                        ; implicit-def: $vgpr1
                                        ; implicit-def: $vgpr4_vgpr5
	s_and_saveexec_b64 s[0:1], vcc
	s_cbranch_execz .LBB478_47
; %bb.42:
	v_lshlrev_b32_e32 v2, 2, v3
	ds_read2st64_b32 v[0:1], v2 offset1:4
	ds_read2st64_b32 v[4:5], v2 offset0:8 offset1:12
	ds_read2st64_b32 v[6:7], v2 offset0:16 offset1:20
	;; [unrolled: 1-line block ×4, first 2 shown]
	s_waitcnt lgkmcnt(4)
	v_add_f32_e32 v0, v0, v1
	s_waitcnt lgkmcnt(3)
	v_add_f32_e32 v0, v4, v0
	v_add_f32_e32 v0, v5, v0
	s_waitcnt lgkmcnt(2)
	v_add_f32_e32 v0, v6, v0
	;; [unrolled: 3-line block ×3, first 2 shown]
	v_add_f32_e32 v4, v9, v0
	ds_read2st64_b32 v[0:1], v2 offset0:40 offset1:44
	s_waitcnt lgkmcnt(1)
	v_add_f32_e32 v6, v10, v4
	ds_read2st64_b32 v[4:5], v2 offset0:48 offset1:52
	v_add_f32_e32 v8, v11, v6
	ds_read2st64_b32 v[6:7], v2 offset0:56 offset1:60
	s_waitcnt lgkmcnt(2)
	v_add_f32_e32 v0, v0, v8
	v_add_f32_e32 v0, v1, v0
	s_waitcnt lgkmcnt(1)
	v_add_f32_e32 v0, v4, v0
	v_add_f32_e32 v0, v5, v0
	;; [unrolled: 3-line block ×3, first 2 shown]
	ds_write_b32 v2, v0
	v_or_b32_e32 v2, s31, v3
	v_cmp_gt_i32_e32 vcc, s12, v2
	s_mov_b64 s[4:5], s[10:11]
                                        ; implicit-def: $vgpr1
                                        ; implicit-def: $vgpr4_vgpr5
	s_and_saveexec_b64 s[2:3], vcc
	s_cbranch_execz .LBB478_46
; %bb.43:
	v_cmp_eq_f32_e64 s[4:5], s28, 0
	v_mul_lo_u32 v4, v2, s30
	v_mul_f32_e32 v1, s29, v0
	v_ashrrev_i32_e32 v5, 31, v4
	s_and_b64 vcc, exec, s[4:5]
	s_cbranch_vccnz .LBB478_45
; %bb.44:
	v_lshl_add_u64 v[2:3], v[4:5], 2, s[8:9]
	global_load_dword v0, v[2:3], off
	s_waitcnt vmcnt(0)
	v_fmac_f32_e32 v1, s28, v0
.LBB478_45:
	s_or_b64 s[4:5], s[10:11], exec
.LBB478_46:
	s_or_b64 exec, exec, s[2:3]
	s_andn2_b64 s[2:3], s[10:11], exec
	s_and_b64 s[4:5], s[4:5], exec
	s_or_b64 s[10:11], s[2:3], s[4:5]
.LBB478_47:
	s_or_b64 exec, exec, s[0:1]
.LBB478_48:
	s_and_saveexec_b64 s[0:1], s[10:11]
	s_cbranch_execz .LBB478_50
; %bb.49:
	v_lshl_add_u64 v[2:3], v[4:5], 2, s[8:9]
	global_store_dword v[2:3], v1, off
.LBB478_50:
	s_endpgm
	.section	.rodata,"a",@progbits
	.p2align	6, 0x0
	.amdhsa_kernel _ZL20rocblas_gemvn_kernelILi64ELi16EiDF16_PKffEviiT3_lPKT2_lT1_lS5_lS6_lS2_lPT4_lS6_li
		.amdhsa_group_segment_fixed_size 16384
		.amdhsa_private_segment_fixed_size 0
		.amdhsa_kernarg_size 400
		.amdhsa_user_sgpr_count 2
		.amdhsa_user_sgpr_dispatch_ptr 0
		.amdhsa_user_sgpr_queue_ptr 0
		.amdhsa_user_sgpr_kernarg_segment_ptr 1
		.amdhsa_user_sgpr_dispatch_id 0
		.amdhsa_user_sgpr_kernarg_preload_length 0
		.amdhsa_user_sgpr_kernarg_preload_offset 0
		.amdhsa_user_sgpr_private_segment_size 0
		.amdhsa_uses_dynamic_stack 0
		.amdhsa_enable_private_segment 0
		.amdhsa_system_sgpr_workgroup_id_x 1
		.amdhsa_system_sgpr_workgroup_id_y 0
		.amdhsa_system_sgpr_workgroup_id_z 1
		.amdhsa_system_sgpr_workgroup_info 0
		.amdhsa_system_vgpr_workitem_id 1
		.amdhsa_next_free_vgpr 49
		.amdhsa_next_free_sgpr 39
		.amdhsa_accum_offset 52
		.amdhsa_reserve_vcc 1
		.amdhsa_float_round_mode_32 0
		.amdhsa_float_round_mode_16_64 0
		.amdhsa_float_denorm_mode_32 3
		.amdhsa_float_denorm_mode_16_64 3
		.amdhsa_dx10_clamp 1
		.amdhsa_ieee_mode 1
		.amdhsa_fp16_overflow 0
		.amdhsa_tg_split 0
		.amdhsa_exception_fp_ieee_invalid_op 0
		.amdhsa_exception_fp_denorm_src 0
		.amdhsa_exception_fp_ieee_div_zero 0
		.amdhsa_exception_fp_ieee_overflow 0
		.amdhsa_exception_fp_ieee_underflow 0
		.amdhsa_exception_fp_ieee_inexact 0
		.amdhsa_exception_int_div_zero 0
	.end_amdhsa_kernel
	.section	.text._ZL20rocblas_gemvn_kernelILi64ELi16EiDF16_PKffEviiT3_lPKT2_lT1_lS5_lS6_lS2_lPT4_lS6_li,"axG",@progbits,_ZL20rocblas_gemvn_kernelILi64ELi16EiDF16_PKffEviiT3_lPKT2_lT1_lS5_lS6_lS2_lPT4_lS6_li,comdat
.Lfunc_end478:
	.size	_ZL20rocblas_gemvn_kernelILi64ELi16EiDF16_PKffEviiT3_lPKT2_lT1_lS5_lS6_lS2_lPT4_lS6_li, .Lfunc_end478-_ZL20rocblas_gemvn_kernelILi64ELi16EiDF16_PKffEviiT3_lPKT2_lT1_lS5_lS6_lS2_lPT4_lS6_li
                                        ; -- End function
	.section	.AMDGPU.csdata,"",@progbits
; Kernel info:
; codeLenInByte = 2612
; NumSgprs: 45
; NumVgprs: 49
; NumAgprs: 0
; TotalNumVgprs: 49
; ScratchSize: 0
; MemoryBound: 0
; FloatMode: 240
; IeeeMode: 1
; LDSByteSize: 16384 bytes/workgroup (compile time only)
; SGPRBlocks: 5
; VGPRBlocks: 6
; NumSGPRsForWavesPerEU: 45
; NumVGPRsForWavesPerEU: 49
; AccumOffset: 52
; Occupancy: 8
; WaveLimiterHint : 1
; COMPUTE_PGM_RSRC2:SCRATCH_EN: 0
; COMPUTE_PGM_RSRC2:USER_SGPR: 2
; COMPUTE_PGM_RSRC2:TRAP_HANDLER: 0
; COMPUTE_PGM_RSRC2:TGID_X_EN: 1
; COMPUTE_PGM_RSRC2:TGID_Y_EN: 0
; COMPUTE_PGM_RSRC2:TGID_Z_EN: 1
; COMPUTE_PGM_RSRC2:TIDIG_COMP_CNT: 1
; COMPUTE_PGM_RSRC3_GFX90A:ACCUM_OFFSET: 12
; COMPUTE_PGM_RSRC3_GFX90A:TG_SPLIT: 0
	.section	.text._ZL20rocblas_gemvn_kernelILi64ELi16ElDF16_PKffEviiT3_lPKT2_lT1_lS5_lS6_lS2_lPT4_lS6_li,"axG",@progbits,_ZL20rocblas_gemvn_kernelILi64ELi16ElDF16_PKffEviiT3_lPKT2_lT1_lS5_lS6_lS2_lPT4_lS6_li,comdat
	.globl	_ZL20rocblas_gemvn_kernelILi64ELi16ElDF16_PKffEviiT3_lPKT2_lT1_lS5_lS6_lS2_lPT4_lS6_li ; -- Begin function _ZL20rocblas_gemvn_kernelILi64ELi16ElDF16_PKffEviiT3_lPKT2_lT1_lS5_lS6_lS2_lPT4_lS6_li
	.p2align	8
	.type	_ZL20rocblas_gemvn_kernelILi64ELi16ElDF16_PKffEviiT3_lPKT2_lT1_lS5_lS6_lS2_lPT4_lS6_li,@function
_ZL20rocblas_gemvn_kernelILi64ELi16ElDF16_PKffEviiT3_lPKT2_lT1_lS5_lS6_lS2_lPT4_lS6_li: ; @_ZL20rocblas_gemvn_kernelILi64ELi16ElDF16_PKffEviiT3_lPKT2_lT1_lS5_lS6_lS2_lPT4_lS6_li
; %bb.0:
	s_load_dwordx2 s[4:5], s[0:1], 0x9c
	s_waitcnt lgkmcnt(0)
	s_lshr_b32 s6, s4, 16
	s_and_b32 s4, s4, 0xffff
	s_and_b32 s5, s5, 0xffff
	s_mul_i32 s4, s6, s4
	s_mul_i32 s4, s4, s5
	s_cmpk_lg_i32 s4, 0x400
	s_cbranch_scc1 .LBB479_50
; %bb.1:
	s_load_dwordx16 s[36:51], s[0:1], 0x8
	s_load_dwordx16 s[8:23], s[0:1], 0x48
	s_waitcnt lgkmcnt(0)
	s_mul_i32 s5, s3, s39
	s_mul_hi_u32 s6, s3, s38
	s_mul_i32 s4, s3, s38
	s_add_i32 s5, s6, s5
	s_lshl_b64 s[4:5], s[4:5], 2
	s_add_u32 s4, s36, s4
	s_addc_u32 s5, s37, s5
	s_mul_i32 s7, s3, s15
	s_load_dword s52, s[4:5], 0x0
	s_mul_hi_u32 s4, s3, s14
	s_add_i32 s5, s4, s7
	s_mul_i32 s4, s3, s14
	s_lshl_b64 s[4:5], s[4:5], 2
	s_add_u32 s4, s12, s4
	s_addc_u32 s5, s13, s5
	s_load_dword s33, s[4:5], 0x0
	s_waitcnt lgkmcnt(0)
	v_cmp_eq_f32_e64 s[4:5], s52, 0
	v_cmp_eq_f32_e64 s[6:7], s33, 1.0
	s_and_b64 s[4:5], s[4:5], s[6:7]
	s_and_b64 vcc, exec, s[4:5]
	s_cbranch_vccnz .LBB479_50
; %bb.2:
	s_load_dwordx2 s[14:15], s[0:1], 0x0
	s_mul_i32 s0, s3, s23
	s_mul_hi_u32 s1, s3, s22
	s_add_i32 s1, s1, s0
	s_mul_i32 s0, s3, s22
	s_lshl_b64 s[0:1], s[0:1], 2
	s_add_u32 s4, s16, s0
	s_addc_u32 s5, s17, s1
	s_lshl_b64 s[0:1], s[18:19], 2
	s_add_u32 s12, s4, s0
	s_addc_u32 s13, s5, s1
	v_and_b32_e32 v29, 0x3ff, v0
	v_bfe_u32 v30, v0, 10, 10
	v_cmp_neq_f32_e64 s[0:1], s52, 0
	v_lshl_add_u32 v28, v30, 6, v29
	s_and_b64 vcc, exec, s[0:1]
	s_cbranch_vccnz .LBB479_9
; %bb.3:
	s_movk_i32 s0, 0x100
	v_cmp_gt_u32_e32 vcc, s0, v28
	s_mov_b64 s[0:1], 0
	s_mov_b64 s[16:17], 0
                                        ; implicit-def: $vgpr1
                                        ; implicit-def: $vgpr2_vgpr3
	s_and_saveexec_b64 s[4:5], vcc
	s_cbranch_execz .LBB479_10
; %bb.4:
	v_lshl_or_b32 v0, s2, 8, v28
	v_mov_b32_e32 v1, 0
	s_waitcnt lgkmcnt(0)
	s_ashr_i32 s7, s14, 31
	s_mov_b32 s6, s14
	v_cmp_gt_i64_e32 vcc, s[6:7], v[0:1]
                                        ; implicit-def: $vgpr2_vgpr3
	s_and_saveexec_b64 s[6:7], vcc
	s_cbranch_execz .LBB479_8
; %bb.5:
	v_mad_u64_u32 v[2:3], s[18:19], v0, s20, 0
	v_mov_b32_e32 v4, v3
	v_cmp_eq_f32_e64 s[16:17], s33, 0
	v_mad_u64_u32 v[4:5], s[18:19], v0, s21, v[4:5]
	v_mov_b32_e32 v3, v4
	s_and_b64 vcc, exec, s[16:17]
	s_cbranch_vccnz .LBB479_7
; %bb.6:
	v_lshl_add_u64 v[0:1], v[2:3], 2, s[12:13]
	global_load_dword v0, v[0:1], off
	s_waitcnt vmcnt(0)
	v_mul_f32_e32 v1, s33, v0
.LBB479_7:
	s_mov_b64 s[16:17], exec
.LBB479_8:
	s_or_b64 exec, exec, s[6:7]
	s_and_b64 s[16:17], s[16:17], exec
	s_or_b64 exec, exec, s[4:5]
	s_and_b64 vcc, exec, s[0:1]
	s_cbranch_vccnz .LBB479_11
	s_branch .LBB479_48
.LBB479_9:
	s_mov_b64 s[16:17], 0
                                        ; implicit-def: $vgpr1
                                        ; implicit-def: $vgpr2_vgpr3
	s_cbranch_execnz .LBB479_11
	s_branch .LBB479_48
.LBB479_10:
	s_or_b64 exec, exec, s[4:5]
	s_and_b64 vcc, exec, s[0:1]
	s_cbranch_vccz .LBB479_48
.LBB479_11:
	s_mul_i32 s0, s3, s47
	s_mul_hi_u32 s1, s3, s46
	s_add_i32 s19, s1, s0
	s_mul_i32 s0, s3, s11
	s_mul_hi_u32 s1, s3, s10
	s_add_i32 s11, s1, s0
	s_waitcnt lgkmcnt(0)
	s_ashr_i32 s0, s15, 31
	s_lshr_b32 s0, s0, 26
	s_add_i32 s47, s15, s0
	s_mul_i32 s18, s3, s46
	s_lshl_b32 s46, s2, 8
	s_andn2_b32 s47, s47, 63
	v_lshlrev_b32_e32 v33, 2, v30
	s_mul_i32 s10, s3, s10
	v_add_u32_e32 v0, s46, v29
	v_cmp_gt_i32_e32 vcc, s47, v33
	v_mov_b32_e32 v35, 0
	v_mov_b32_e32 v34, 0
	;; [unrolled: 1-line block ×4, first 2 shown]
	s_and_saveexec_b64 s[22:23], vcc
	s_cbranch_execz .LBB479_23
; %bb.12:
	v_add_u32_e32 v2, 64, v0
	v_cmp_gt_i32_e64 s[0:1], s14, v2
	v_add_u32_e32 v2, 0x80, v0
	v_cmp_gt_i32_e64 s[2:3], s14, v2
	;; [unrolled: 2-line block ×3, first 2 shown]
	v_mad_u64_u32 v[2:3], s[6:7], s8, v30, 0
	v_mov_b32_e32 v4, v3
	v_ashrrev_i32_e32 v1, 31, v0
	v_mad_u64_u32 v[4:5], s[6:7], s9, v30, v[4:5]
	v_mov_b32_e32 v3, v4
	v_lshlrev_b64 v[4:5], 1, v[0:1]
	v_lshlrev_b32_e32 v1, 2, v30
	v_or_b32_e32 v11, 3, v1
	v_mad_u64_u32 v[6:7], s[28:29], s44, v11, 0
	v_mov_b32_e32 v8, v7
	v_mad_u64_u32 v[8:9], s[28:29], s45, v11, v[8:9]
	v_mov_b32_e32 v7, v8
	;; [unrolled: 2-line block ×5, first 2 shown]
	v_mad_u64_u32 v[12:13], s[34:35], s45, v30, v[12:13]
	v_or_b32_e32 v17, 2, v1
	v_mov_b32_e32 v11, v12
	v_mad_u64_u32 v[12:13], s[34:35], s44, v17, 0
	v_mov_b32_e32 v14, v13
	v_mad_u64_u32 v[14:15], s[34:35], s45, v17, v[14:15]
	;; [unrolled: 2-line block ×4, first 2 shown]
	v_mov_b32_e32 v15, v16
	v_mov_b64_e32 v[16:17], s[8:9]
	v_mad_u64_u32 v[16:17], s[34:35], s8, v1, v[16:17]
	s_lshl_b64 s[24:25], s[50:51], 1
	s_lshl_b64 s[6:7], s[10:11], 1
	v_mov_b32_e32 v18, v17
	s_add_u32 s6, s48, s6
	v_mad_u64_u32 v[18:19], s[34:35], s9, v1, v[18:19]
	s_addc_u32 s7, s49, s7
	s_lshl_b64 s[26:27], s[8:9], 7
	s_lshl_b64 s[28:29], s[18:19], 1
	;; [unrolled: 1-line block ×3, first 2 shown]
	v_mov_b32_e32 v17, v18
	v_mov_b64_e32 v[18:19], s[44:45]
	v_lshl_add_u64 v[2:3], v[2:3], 3, s[6:7]
	s_add_u32 s30, s40, s30
	v_lshl_add_u64 v[8:9], v[8:9], 1, s[6:7]
	v_lshl_add_u64 v[14:15], v[14:15], 1, s[6:7]
	;; [unrolled: 1-line block ×3, first 2 shown]
	v_mad_u64_u32 v[18:19], s[6:7], s44, v1, v[18:19]
	s_addc_u32 s31, s41, s31
	v_mov_b32_e32 v20, v19
	s_add_u32 s30, s30, s28
	v_mad_u64_u32 v[20:21], s[6:7], s45, v1, v[20:21]
	s_addc_u32 s31, s31, s29
	v_mov_b32_e32 v19, v20
	v_cmp_gt_i32_e32 vcc, s14, v0
	v_lshl_add_u64 v[6:7], v[6:7], 1, s[30:31]
	s_lshl_b64 s[28:29], s[44:45], 7
	v_lshl_add_u64 v[10:11], v[10:11], 3, s[30:31]
	v_lshl_add_u64 v[12:13], v[12:13], 1, s[30:31]
	;; [unrolled: 1-line block ×3, first 2 shown]
	s_mov_b64 s[30:31], 0
	v_mov_b32_e32 v35, 0
	v_mov_b32_e32 v34, 0
	;; [unrolled: 1-line block ×4, first 2 shown]
	s_branch .LBB479_17
.LBB479_13:                             ;   in Loop: Header=BB479_17 Depth=1
	s_or_b64 exec, exec, s[38:39]
	s_waitcnt vmcnt(3)
	v_fma_mix_f32 v20, v47, v51, v32 op_sel_hi:[0,1,0]
	s_waitcnt vmcnt(2)
	v_fma_mix_f32 v20, v48, v52, v20 op_sel_hi:[0,1,0]
	;; [unrolled: 2-line block ×4, first 2 shown]
.LBB479_14:                             ;   in Loop: Header=BB479_17 Depth=1
	s_or_b64 exec, exec, s[36:37]
	s_waitcnt vmcnt(3)
	v_fma_mix_f32 v20, v47, v43, v34 op_sel_hi:[0,1,0]
	s_waitcnt vmcnt(2)
	v_fma_mix_f32 v20, v48, v44, v20 op_sel_hi:[0,1,0]
	;; [unrolled: 2-line block ×4, first 2 shown]
.LBB479_15:                             ;   in Loop: Header=BB479_17 Depth=1
	s_or_b64 exec, exec, s[34:35]
	s_waitcnt vmcnt(3)
	v_fma_mix_f32 v1, v1, v39, v35 op_sel_hi:[1,1,0]
	s_waitcnt vmcnt(2)
	v_fma_mix_f32 v1, v36, v40, v1 op_sel_hi:[1,1,0]
	;; [unrolled: 2-line block ×4, first 2 shown]
.LBB479_16:                             ;   in Loop: Header=BB479_17 Depth=1
	s_or_b64 exec, exec, s[6:7]
	v_add_u32_e32 v33, 64, v33
	v_cmp_le_i32_e64 s[6:7], s47, v33
	v_lshl_add_u64 v[2:3], v[2:3], 0, s[26:27]
	v_lshl_add_u64 v[6:7], v[6:7], 0, s[28:29]
	;; [unrolled: 1-line block ×7, first 2 shown]
	s_or_b64 s[30:31], s[6:7], s[30:31]
	v_lshl_add_u64 v[18:19], v[18:19], 0, s[28:29]
	s_andn2_b64 exec, exec, s[30:31]
	s_cbranch_execz .LBB479_22
.LBB479_17:                             ; =>This Inner Loop Header: Depth=1
	s_and_saveexec_b64 s[6:7], vcc
	s_cbranch_execz .LBB479_16
; %bb.18:                               ;   in Loop: Header=BB479_17 Depth=1
	v_lshl_add_u64 v[20:21], v[2:3], 0, s[24:25]
	global_load_ushort v1, v[20:21], off
	v_lshl_add_u64 v[20:21], v[16:17], 0, s[24:25]
	global_load_ushort v36, v[20:21], off
	;; [unrolled: 2-line block ×4, first 2 shown]
	v_lshl_add_u64 v[20:21], v[10:11], 0, v[4:5]
	v_lshl_add_u64 v[22:23], v[18:19], 0, v[4:5]
	;; [unrolled: 1-line block ×4, first 2 shown]
	global_load_ushort v39, v[20:21], off
	global_load_ushort v40, v[22:23], off
	global_load_ushort v41, v[24:25], off
	global_load_ushort v42, v[26:27], off
	s_and_saveexec_b64 s[34:35], s[0:1]
	s_cbranch_execz .LBB479_15
; %bb.19:                               ;   in Loop: Header=BB479_17 Depth=1
	global_load_ushort v43, v[20:21], off offset:128
	global_load_ushort v44, v[22:23], off offset:128
	;; [unrolled: 1-line block ×4, first 2 shown]
	s_waitcnt vmcnt(11)
	v_cvt_f32_f16_e32 v47, v1
	s_waitcnt vmcnt(10)
	v_cvt_f32_f16_e32 v48, v36
	s_waitcnt vmcnt(9)
	v_cvt_f32_f16_e32 v49, v37
	s_waitcnt vmcnt(8)
	v_cvt_f32_f16_e32 v50, v38
	s_and_saveexec_b64 s[36:37], s[2:3]
	s_cbranch_execz .LBB479_14
; %bb.20:                               ;   in Loop: Header=BB479_17 Depth=1
	global_load_ushort v51, v[20:21], off offset:256
	global_load_ushort v52, v[22:23], off offset:256
	global_load_ushort v53, v[24:25], off offset:256
	global_load_ushort v54, v[26:27], off offset:256
	s_and_saveexec_b64 s[38:39], s[4:5]
	s_cbranch_execz .LBB479_13
; %bb.21:                               ;   in Loop: Header=BB479_17 Depth=1
	global_load_ushort v20, v[20:21], off offset:384
	s_nop 0
	global_load_ushort v21, v[22:23], off offset:384
	s_nop 0
	global_load_ushort v22, v[24:25], off offset:384
	global_load_ushort v23, v[26:27], off offset:384
	s_waitcnt vmcnt(3)
	v_fma_mix_f32 v20, v47, v20, v31 op_sel_hi:[0,1,0]
	s_waitcnt vmcnt(2)
	v_fma_mix_f32 v20, v48, v21, v20 op_sel_hi:[0,1,0]
	;; [unrolled: 2-line block ×4, first 2 shown]
	s_branch .LBB479_13
.LBB479_22:
	s_or_b64 exec, exec, s[30:31]
.LBB479_23:
	s_or_b64 exec, exec, s[22:23]
	s_sub_i32 s0, s15, s47
	s_cmp_lt_i32 s0, 1
	s_cbranch_scc1 .LBB479_41
; %bb.24:
	v_cmp_gt_i32_e32 vcc, s15, v33
	v_mov_b32_e32 v10, 0
	v_or_b32_e32 v4, 1, v33
	v_mov_b32_e32 v11, 0
	v_mov_b32_e32 v12, 0
	;; [unrolled: 1-line block ×3, first 2 shown]
	s_and_saveexec_b64 s[2:3], vcc
	s_cbranch_execz .LBB479_32
; %bb.25:
	s_lshl_b64 s[0:1], s[10:11], 1
	s_add_u32 s4, s48, s0
	s_addc_u32 s5, s49, s1
	s_lshl_b64 s[0:1], s[50:51], 1
	s_add_u32 s6, s4, s0
	s_addc_u32 s7, s5, s1
	v_mad_u64_u32 v[2:3], s[0:1], v33, s8, 0
	v_mov_b32_e32 v6, v3
	v_mad_u64_u32 v[6:7], s[0:1], v33, s9, v[6:7]
	v_mov_b32_e32 v3, v6
	v_lshl_add_u64 v[2:3], v[2:3], 1, s[6:7]
	global_load_ushort v1, v[2:3], off
	v_cmp_gt_i32_e64 s[0:1], s15, v4
	v_mov_b32_e32 v12, 0
	v_mov_b32_e32 v11, 0
	;; [unrolled: 1-line block ×3, first 2 shown]
	s_and_saveexec_b64 s[4:5], s[0:1]
	s_cbranch_execz .LBB479_31
; %bb.26:
	v_mad_u64_u32 v[2:3], s[0:1], v4, s8, 0
	v_mov_b32_e32 v6, v3
	v_mad_u64_u32 v[6:7], s[0:1], v4, s9, v[6:7]
	v_mov_b32_e32 v3, v6
	v_lshl_add_u64 v[2:3], v[2:3], 1, s[6:7]
	global_load_ushort v2, v[2:3], off
	v_or_b32_e32 v3, 2, v33
	v_cmp_gt_i32_e64 s[0:1], s15, v3
	v_mov_b32_e32 v11, 0
	v_mov_b32_e32 v10, 0
	s_and_saveexec_b64 s[10:11], s[0:1]
	s_cbranch_execz .LBB479_30
; %bb.27:
	v_mad_u64_u32 v[6:7], s[0:1], v3, s8, 0
	v_mov_b32_e32 v8, v7
	v_mad_u64_u32 v[8:9], s[0:1], v3, s9, v[8:9]
	v_mov_b32_e32 v7, v8
	v_lshl_add_u64 v[6:7], v[6:7], 1, s[6:7]
	global_load_ushort v3, v[6:7], off
	v_or_b32_e32 v5, 3, v33
	v_cmp_gt_i32_e64 s[0:1], s15, v5
	v_mov_b32_e32 v10, 0
	s_and_saveexec_b64 s[22:23], s[0:1]
	s_cbranch_execz .LBB479_29
; %bb.28:
	v_mad_u64_u32 v[6:7], s[0:1], v5, s8, 0
	v_mov_b32_e32 v8, v7
	v_mad_u64_u32 v[8:9], s[0:1], v5, s9, v[8:9]
	v_mov_b32_e32 v7, v8
	v_lshl_add_u64 v[6:7], v[6:7], 1, s[6:7]
	global_load_ushort v5, v[6:7], off
	s_waitcnt vmcnt(0)
	v_cvt_f32_f16_e32 v10, v5
.LBB479_29:
	s_or_b64 exec, exec, s[22:23]
	s_waitcnt vmcnt(0)
	v_cvt_f32_f16_e32 v11, v3
.LBB479_30:
	s_or_b64 exec, exec, s[10:11]
	s_waitcnt vmcnt(0)
	v_cvt_f32_f16_e32 v12, v2
.LBB479_31:
	s_or_b64 exec, exec, s[4:5]
	s_waitcnt vmcnt(0)
	v_cvt_f32_f16_e32 v13, v1
.LBB479_32:
	s_or_b64 exec, exec, s[2:3]
	v_cmp_gt_i32_e64 s[0:1], s14, v0
	s_and_saveexec_b64 s[2:3], s[0:1]
	s_cbranch_execz .LBB479_40
; %bb.33:
	s_lshl_b64 s[0:1], s[18:19], 1
	s_add_u32 s4, s40, s0
	s_addc_u32 s5, s41, s1
	s_lshl_b64 s[0:1], s[42:43], 1
	s_add_u32 s0, s4, s0
	s_addc_u32 s1, s5, s1
	v_mad_u64_u32 v[2:3], s[4:5], v33, s44, 0
	v_mov_b32_e32 v6, v3
	v_mad_u64_u32 v[6:7], s[4:5], v33, s45, v[6:7]
	v_ashrrev_i32_e32 v1, 31, v0
	v_cndmask_b32_e32 v3, 0, v6, vcc
	v_mad_u64_u32 v[6:7], s[4:5], v4, s44, 0
	v_cndmask_b32_e32 v2, 0, v2, vcc
	v_lshlrev_b64 v[8:9], 1, v[0:1]
	v_mov_b32_e32 v14, v7
	v_cmp_gt_i32_e32 vcc, s15, v4
	v_or_b32_e32 v1, 2, v33
	v_mad_u64_u32 v[14:15], s[4:5], v4, s45, v[14:15]
	v_cndmask_b32_e32 v4, 0, v6, vcc
	v_mad_u64_u32 v[6:7], s[4:5], v1, s44, 0
	v_cndmask_b32_e32 v5, 0, v14, vcc
	v_mov_b32_e32 v14, v7
	v_mad_u64_u32 v[14:15], s[4:5], v1, s45, v[14:15]
	v_cmp_gt_i32_e32 vcc, s15, v1
	v_or_b32_e32 v1, 3, v33
	v_lshl_add_u64 v[2:3], v[2:3], 1, s[0:1]
	v_cndmask_b32_e32 v7, 0, v14, vcc
	v_mad_u64_u32 v[14:15], s[4:5], v1, s44, 0
	v_mov_b32_e32 v16, v15
	v_cndmask_b32_e32 v6, 0, v6, vcc
	v_mad_u64_u32 v[16:17], s[4:5], v1, s45, v[16:17]
	v_cmp_gt_i32_e32 vcc, s15, v1
	v_lshl_add_u64 v[2:3], v[2:3], 0, v[8:9]
	v_lshl_add_u64 v[4:5], v[4:5], 1, s[0:1]
	v_cndmask_b32_e32 v14, 0, v14, vcc
	v_cndmask_b32_e32 v15, 0, v16, vcc
	v_lshl_add_u64 v[6:7], v[6:7], 1, s[0:1]
	v_lshl_add_u64 v[14:15], v[14:15], 1, s[0:1]
	;; [unrolled: 1-line block ×4, first 2 shown]
	global_load_ushort v16, v[2:3], off
	global_load_ushort v17, v[4:5], off
	;; [unrolled: 1-line block ×3, first 2 shown]
	v_lshl_add_u64 v[8:9], v[14:15], 0, v[8:9]
	global_load_ushort v1, v[8:9], off
	v_add_u32_e32 v15, 64, v0
	v_cmp_gt_i32_e32 vcc, s14, v15
	s_waitcnt vmcnt(3)
	v_fma_mix_f32 v14, v13, v16, v35 op_sel_hi:[0,1,0]
	s_waitcnt vmcnt(2)
	v_fma_mix_f32 v14, v12, v17, v14 op_sel_hi:[0,1,0]
	s_waitcnt vmcnt(1)
	v_fma_mix_f32 v14, v11, v18, v14 op_sel_hi:[0,1,0]
	s_and_saveexec_b64 s[0:1], vcc
	s_cbranch_execz .LBB479_39
; %bb.34:
	global_load_ushort v16, v[2:3], off offset:128
	global_load_ushort v17, v[4:5], off offset:128
	global_load_ushort v18, v[6:7], off offset:128
	global_load_ushort v15, v[8:9], off offset:128
	v_add_u32_e32 v19, 0x80, v0
	v_cmp_gt_i32_e32 vcc, s14, v19
	s_waitcnt vmcnt(3)
	v_fma_mix_f32 v16, v13, v16, v34 op_sel_hi:[0,1,0]
	s_waitcnt vmcnt(2)
	v_fma_mix_f32 v16, v12, v17, v16 op_sel_hi:[0,1,0]
	s_waitcnt vmcnt(1)
	v_fma_mix_f32 v16, v11, v18, v16 op_sel_hi:[0,1,0]
	s_and_saveexec_b64 s[4:5], vcc
	s_cbranch_execz .LBB479_38
; %bb.35:
	global_load_ushort v18, v[2:3], off offset:256
	global_load_ushort v19, v[4:5], off offset:256
	global_load_ushort v20, v[6:7], off offset:256
	global_load_ushort v17, v[8:9], off offset:256
	v_add_u32_e32 v21, 0xc0, v0
	v_cmp_gt_i32_e32 vcc, s14, v21
	s_waitcnt vmcnt(3)
	v_fma_mix_f32 v0, v13, v18, v32 op_sel_hi:[0,1,0]
	s_waitcnt vmcnt(2)
	v_fma_mix_f32 v0, v12, v19, v0 op_sel_hi:[0,1,0]
	s_waitcnt vmcnt(1)
	v_fma_mix_f32 v0, v11, v20, v0 op_sel_hi:[0,1,0]
	s_and_saveexec_b64 s[6:7], vcc
	s_cbranch_execz .LBB479_37
; %bb.36:
	global_load_ushort v18, v[2:3], off offset:384
	global_load_ushort v19, v[4:5], off offset:384
	global_load_ushort v20, v[6:7], off offset:384
	global_load_ushort v21, v[8:9], off offset:384
	s_waitcnt vmcnt(3)
	v_fma_mix_f32 v2, v13, v18, v31 op_sel_hi:[0,1,0]
	s_waitcnt vmcnt(2)
	v_fma_mix_f32 v2, v12, v19, v2 op_sel_hi:[0,1,0]
	;; [unrolled: 2-line block ×4, first 2 shown]
.LBB479_37:
	s_or_b64 exec, exec, s[6:7]
	s_waitcnt vmcnt(0)
	v_fma_mix_f32 v32, v10, v17, v0 op_sel_hi:[0,1,0]
.LBB479_38:
	s_or_b64 exec, exec, s[4:5]
	s_waitcnt vmcnt(0)
	v_fma_mix_f32 v34, v10, v15, v16 op_sel_hi:[0,1,0]
.LBB479_39:
	s_or_b64 exec, exec, s[0:1]
	s_waitcnt vmcnt(0)
	v_fma_mix_f32 v35, v10, v1, v14 op_sel_hi:[0,1,0]
.LBB479_40:
	s_or_b64 exec, exec, s[2:3]
.LBB479_41:
	v_lshlrev_b32_e32 v0, 8, v30
	s_movk_i32 s0, 0x100
	v_add_lshl_u32 v0, v0, v29, 2
	v_cmp_gt_u32_e32 vcc, s0, v28
	ds_write2st64_b32 v0, v35, v34 offset1:1
	ds_write2st64_b32 v0, v32, v31 offset0:2 offset1:3
	s_waitcnt lgkmcnt(0)
	s_barrier
	s_waitcnt lgkmcnt(0)
                                        ; implicit-def: $vgpr1
                                        ; implicit-def: $vgpr2_vgpr3
	s_and_saveexec_b64 s[0:1], vcc
	s_cbranch_execz .LBB479_47
; %bb.42:
	v_lshlrev_b32_e32 v10, 2, v28
	ds_read2st64_b32 v[0:1], v10 offset1:4
	ds_read2st64_b32 v[2:3], v10 offset0:8 offset1:12
	ds_read2st64_b32 v[4:5], v10 offset0:16 offset1:20
	;; [unrolled: 1-line block ×4, first 2 shown]
	s_waitcnt lgkmcnt(4)
	v_add_f32_e32 v0, v0, v1
	s_waitcnt lgkmcnt(3)
	v_add_f32_e32 v0, v2, v0
	v_add_f32_e32 v0, v3, v0
	s_waitcnt lgkmcnt(2)
	v_add_f32_e32 v0, v4, v0
	;; [unrolled: 3-line block ×3, first 2 shown]
	v_add_f32_e32 v2, v7, v0
	ds_read2st64_b32 v[0:1], v10 offset0:40 offset1:44
	s_waitcnt lgkmcnt(1)
	v_add_f32_e32 v4, v8, v2
	ds_read2st64_b32 v[2:3], v10 offset0:48 offset1:52
	v_add_f32_e32 v6, v9, v4
	ds_read2st64_b32 v[4:5], v10 offset0:56 offset1:60
	s_waitcnt lgkmcnt(2)
	v_add_f32_e32 v0, v0, v6
	v_add_f32_e32 v0, v1, v0
	s_waitcnt lgkmcnt(1)
	v_add_f32_e32 v0, v2, v0
	v_add_f32_e32 v0, v3, v0
	;; [unrolled: 3-line block ×3, first 2 shown]
	v_or_b32_e32 v0, s46, v28
	v_cmp_gt_i32_e32 vcc, s14, v0
	s_mov_b64 s[4:5], s[16:17]
	ds_write_b32 v10, v4
                                        ; implicit-def: $vgpr1
                                        ; implicit-def: $vgpr2_vgpr3
	s_and_saveexec_b64 s[2:3], vcc
	s_cbranch_execz .LBB479_46
; %bb.43:
	v_ashrrev_i32_e32 v2, 31, v0
	v_cmp_eq_f32_e64 s[4:5], s33, 0
	v_mul_f32_e32 v1, s52, v4
	v_mul_lo_u32 v4, v0, s21
	v_mul_lo_u32 v5, v2, s20
	v_mad_u64_u32 v[2:3], s[6:7], v0, s20, 0
	v_add3_u32 v3, v3, v4, v5
	s_and_b64 vcc, exec, s[4:5]
	s_cbranch_vccnz .LBB479_45
; %bb.44:
	v_lshl_add_u64 v[4:5], v[2:3], 2, s[12:13]
	global_load_dword v0, v[4:5], off
	s_waitcnt vmcnt(0)
	v_fmac_f32_e32 v1, s33, v0
.LBB479_45:
	s_or_b64 s[4:5], s[16:17], exec
.LBB479_46:
	s_or_b64 exec, exec, s[2:3]
	s_andn2_b64 s[2:3], s[16:17], exec
	s_and_b64 s[4:5], s[4:5], exec
	s_or_b64 s[16:17], s[2:3], s[4:5]
.LBB479_47:
	s_or_b64 exec, exec, s[0:1]
.LBB479_48:
	s_and_saveexec_b64 s[0:1], s[16:17]
	s_cbranch_execz .LBB479_50
; %bb.49:
	v_lshl_add_u64 v[2:3], v[2:3], 2, s[12:13]
	global_store_dword v[2:3], v1, off
.LBB479_50:
	s_endpgm
	.section	.rodata,"a",@progbits
	.p2align	6, 0x0
	.amdhsa_kernel _ZL20rocblas_gemvn_kernelILi64ELi16ElDF16_PKffEviiT3_lPKT2_lT1_lS5_lS6_lS2_lPT4_lS6_li
		.amdhsa_group_segment_fixed_size 16384
		.amdhsa_private_segment_fixed_size 0
		.amdhsa_kernarg_size 400
		.amdhsa_user_sgpr_count 2
		.amdhsa_user_sgpr_dispatch_ptr 0
		.amdhsa_user_sgpr_queue_ptr 0
		.amdhsa_user_sgpr_kernarg_segment_ptr 1
		.amdhsa_user_sgpr_dispatch_id 0
		.amdhsa_user_sgpr_kernarg_preload_length 0
		.amdhsa_user_sgpr_kernarg_preload_offset 0
		.amdhsa_user_sgpr_private_segment_size 0
		.amdhsa_uses_dynamic_stack 0
		.amdhsa_enable_private_segment 0
		.amdhsa_system_sgpr_workgroup_id_x 1
		.amdhsa_system_sgpr_workgroup_id_y 0
		.amdhsa_system_sgpr_workgroup_id_z 1
		.amdhsa_system_sgpr_workgroup_info 0
		.amdhsa_system_vgpr_workitem_id 1
		.amdhsa_next_free_vgpr 55
		.amdhsa_next_free_sgpr 53
		.amdhsa_accum_offset 56
		.amdhsa_reserve_vcc 1
		.amdhsa_float_round_mode_32 0
		.amdhsa_float_round_mode_16_64 0
		.amdhsa_float_denorm_mode_32 3
		.amdhsa_float_denorm_mode_16_64 3
		.amdhsa_dx10_clamp 1
		.amdhsa_ieee_mode 1
		.amdhsa_fp16_overflow 0
		.amdhsa_tg_split 0
		.amdhsa_exception_fp_ieee_invalid_op 0
		.amdhsa_exception_fp_denorm_src 0
		.amdhsa_exception_fp_ieee_div_zero 0
		.amdhsa_exception_fp_ieee_overflow 0
		.amdhsa_exception_fp_ieee_underflow 0
		.amdhsa_exception_fp_ieee_inexact 0
		.amdhsa_exception_int_div_zero 0
	.end_amdhsa_kernel
	.section	.text._ZL20rocblas_gemvn_kernelILi64ELi16ElDF16_PKffEviiT3_lPKT2_lT1_lS5_lS6_lS2_lPT4_lS6_li,"axG",@progbits,_ZL20rocblas_gemvn_kernelILi64ELi16ElDF16_PKffEviiT3_lPKT2_lT1_lS5_lS6_lS2_lPT4_lS6_li,comdat
.Lfunc_end479:
	.size	_ZL20rocblas_gemvn_kernelILi64ELi16ElDF16_PKffEviiT3_lPKT2_lT1_lS5_lS6_lS2_lPT4_lS6_li, .Lfunc_end479-_ZL20rocblas_gemvn_kernelILi64ELi16ElDF16_PKffEviiT3_lPKT2_lT1_lS5_lS6_lS2_lPT4_lS6_li
                                        ; -- End function
	.section	.AMDGPU.csdata,"",@progbits
; Kernel info:
; codeLenInByte = 2912
; NumSgprs: 59
; NumVgprs: 55
; NumAgprs: 0
; TotalNumVgprs: 55
; ScratchSize: 0
; MemoryBound: 0
; FloatMode: 240
; IeeeMode: 1
; LDSByteSize: 16384 bytes/workgroup (compile time only)
; SGPRBlocks: 7
; VGPRBlocks: 6
; NumSGPRsForWavesPerEU: 59
; NumVGPRsForWavesPerEU: 55
; AccumOffset: 56
; Occupancy: 8
; WaveLimiterHint : 0
; COMPUTE_PGM_RSRC2:SCRATCH_EN: 0
; COMPUTE_PGM_RSRC2:USER_SGPR: 2
; COMPUTE_PGM_RSRC2:TRAP_HANDLER: 0
; COMPUTE_PGM_RSRC2:TGID_X_EN: 1
; COMPUTE_PGM_RSRC2:TGID_Y_EN: 0
; COMPUTE_PGM_RSRC2:TGID_Z_EN: 1
; COMPUTE_PGM_RSRC2:TIDIG_COMP_CNT: 1
; COMPUTE_PGM_RSRC3_GFX90A:ACCUM_OFFSET: 13
; COMPUTE_PGM_RSRC3_GFX90A:TG_SPLIT: 0
	.section	.text._ZL20rocblas_gemvn_kernelILi64ELi16EiDF16_ffEviiT3_lPKT2_lT1_lS3_lS4_lS0_lPT4_lS4_li,"axG",@progbits,_ZL20rocblas_gemvn_kernelILi64ELi16EiDF16_ffEviiT3_lPKT2_lT1_lS3_lS4_lS0_lPT4_lS4_li,comdat
	.globl	_ZL20rocblas_gemvn_kernelILi64ELi16EiDF16_ffEviiT3_lPKT2_lT1_lS3_lS4_lS0_lPT4_lS4_li ; -- Begin function _ZL20rocblas_gemvn_kernelILi64ELi16EiDF16_ffEviiT3_lPKT2_lT1_lS3_lS4_lS0_lPT4_lS4_li
	.p2align	8
	.type	_ZL20rocblas_gemvn_kernelILi64ELi16EiDF16_ffEviiT3_lPKT2_lT1_lS3_lS4_lS0_lPT4_lS4_li,@function
_ZL20rocblas_gemvn_kernelILi64ELi16EiDF16_ffEviiT3_lPKT2_lT1_lS3_lS4_lS0_lPT4_lS4_li: ; @_ZL20rocblas_gemvn_kernelILi64ELi16EiDF16_ffEviiT3_lPKT2_lT1_lS3_lS4_lS0_lPT4_lS4_li
; %bb.0:
	s_load_dwordx2 s[4:5], s[0:1], 0x9c
	s_waitcnt lgkmcnt(0)
	s_lshr_b32 s6, s4, 16
	s_and_b32 s4, s4, 0xffff
	s_and_b32 s5, s5, 0xffff
	s_mul_i32 s4, s6, s4
	s_mul_i32 s4, s4, s5
	s_cmpk_lg_i32 s4, 0x400
	s_cbranch_scc1 .LBB480_50
; %bb.1:
	s_load_dwordx4 s[8:11], s[0:1], 0x0
	s_waitcnt lgkmcnt(0)
	s_load_dword s11, s[0:1], 0x58
	v_cmp_eq_f32_e64 s[4:5], s10, 0
	s_waitcnt lgkmcnt(0)
	v_cmp_eq_f32_e64 s[6:7], s11, 1.0
	s_and_b64 s[4:5], s[4:5], s[6:7]
	s_and_b64 vcc, exec, s[4:5]
	s_cbranch_vccnz .LBB480_50
; %bb.2:
	s_load_dwordx2 s[12:13], s[0:1], 0x80
	s_load_dwordx4 s[4:7], s[0:1], 0x68
	s_load_dword s30, s[0:1], 0x78
	v_and_b32_e32 v2, 0x3ff, v0
	v_bfe_u32 v14, v0, 10, 10
	s_waitcnt lgkmcnt(0)
	s_mul_i32 s13, s3, s13
	s_mul_hi_u32 s14, s3, s12
	s_mul_i32 s12, s3, s12
	s_add_i32 s13, s14, s13
	s_lshl_b64 s[12:13], s[12:13], 2
	s_add_u32 s12, s4, s12
	s_addc_u32 s13, s5, s13
	s_lshl_b64 s[4:5], s[6:7], 2
	s_add_u32 s12, s12, s4
	s_addc_u32 s13, s13, s5
	v_cmp_neq_f32_e64 s[4:5], s10, 0
	v_lshl_add_u32 v3, v14, 6, v2
	s_and_b64 vcc, exec, s[4:5]
	s_cbranch_vccnz .LBB480_9
; %bb.3:
	s_movk_i32 s4, 0x100
	v_cmp_gt_u32_e32 vcc, s4, v3
	s_mov_b64 s[4:5], 0
	s_mov_b64 s[14:15], 0
                                        ; implicit-def: $vgpr1
                                        ; implicit-def: $vgpr4_vgpr5
	s_and_saveexec_b64 s[6:7], vcc
	s_cbranch_execz .LBB480_10
; %bb.4:
	v_lshl_or_b32 v0, s2, 8, v3
	v_mov_b32_e32 v1, 0
	s_ashr_i32 s15, s8, 31
	s_mov_b32 s14, s8
	v_cmp_gt_i64_e32 vcc, s[14:15], v[0:1]
	s_mov_b64 s[16:17], 0
                                        ; implicit-def: $vgpr4_vgpr5
	s_and_saveexec_b64 s[14:15], vcc
	s_cbranch_execz .LBB480_8
; %bb.5:
	v_mad_u64_u32 v[4:5], s[18:19], s30, v0, 0
	s_ashr_i32 s20, s30, 31
	v_mov_b32_e32 v6, v5
	v_cmp_eq_f32_e64 s[16:17], s11, 0
	v_mad_u64_u32 v[6:7], s[18:19], s20, v0, v[6:7]
	v_mov_b32_e32 v5, v6
	s_and_b64 vcc, exec, s[16:17]
	s_cbranch_vccnz .LBB480_7
; %bb.6:
	v_lshl_add_u64 v[0:1], v[4:5], 2, s[12:13]
	global_load_dword v0, v[0:1], off
	s_waitcnt vmcnt(0)
	v_mul_f32_e32 v1, s11, v0
.LBB480_7:
	s_mov_b64 s[16:17], exec
.LBB480_8:
	s_or_b64 exec, exec, s[14:15]
	s_and_b64 s[14:15], s[16:17], exec
	s_or_b64 exec, exec, s[6:7]
	s_and_b64 vcc, exec, s[4:5]
	s_cbranch_vccnz .LBB480_11
	s_branch .LBB480_48
.LBB480_9:
	s_mov_b64 s[14:15], 0
                                        ; implicit-def: $vgpr1
                                        ; implicit-def: $vgpr4_vgpr5
	s_cbranch_execnz .LBB480_11
	s_branch .LBB480_48
.LBB480_10:
	s_or_b64 exec, exec, s[6:7]
	s_and_b64 vcc, exec, s[4:5]
	s_cbranch_vccz .LBB480_48
.LBB480_11:
	s_load_dwordx4 s[4:7], s[0:1], 0x30
	s_load_dwordx4 s[16:19], s[0:1], 0x18
	s_load_dword s33, s[0:1], 0x28
	s_load_dwordx2 s[20:21], s[0:1], 0x40
	s_load_dword s34, s[0:1], 0x48
	s_load_dwordx2 s[22:23], s[0:1], 0x50
	s_waitcnt lgkmcnt(0)
	s_mul_i32 s0, s3, s5
	s_mul_hi_u32 s1, s3, s4
	s_add_i32 s1, s1, s0
	s_mul_i32 s0, s3, s4
	s_lshl_b64 s[0:1], s[0:1], 1
	s_add_u32 s4, s16, s0
	s_addc_u32 s5, s17, s1
	s_lshl_b64 s[0:1], s[18:19], 1
	s_add_u32 s16, s4, s0
	s_addc_u32 s17, s5, s1
	s_mul_i32 s0, s3, s23
	s_mul_hi_u32 s1, s3, s22
	s_add_i32 s1, s1, s0
	s_mul_i32 s0, s3, s22
	s_lshl_b64 s[0:1], s[0:1], 1
	s_add_u32 s3, s6, s0
	s_addc_u32 s4, s7, s1
	s_lshl_b64 s[0:1], s[20:21], 1
	s_add_u32 s18, s3, s0
	s_addc_u32 s19, s4, s1
	s_ashr_i32 s0, s9, 31
	s_lshr_b32 s0, s0, 26
	s_add_i32 s35, s9, s0
	s_lshl_b32 s31, s2, 8
	s_andn2_b32 s35, s35, 63
	v_lshlrev_b32_e32 v20, 2, v14
	v_add_u32_e32 v16, s31, v2
	v_cmp_gt_i32_e32 vcc, s35, v20
	v_mov_b32_e32 v19, 0
	v_mov_b32_e32 v18, 0
	;; [unrolled: 1-line block ×4, first 2 shown]
	s_and_saveexec_b64 s[20:21], vcc
	s_cbranch_execz .LBB480_23
; %bb.12:
	v_add_u32_e32 v0, 64, v16
	v_cmp_gt_i32_e64 s[0:1], s8, v0
	v_add_u32_e32 v0, 0x80, v16
	v_cmp_gt_i32_e64 s[2:3], s8, v0
	;; [unrolled: 2-line block ×3, first 2 shown]
	v_mul_lo_u32 v0, s33, v20
	v_add_u32_e32 v6, 2, v20
	v_add_u32_e32 v7, 3, v20
	v_add3_u32 v21, v0, s33, v2
	v_mad_u64_u32 v[0:1], s[6:7], s33, v6, v[2:3]
	v_mad_u64_u32 v[4:5], s[6:7], s33, v7, v[2:3]
	v_mul_lo_u32 v1, v14, s33
	v_mul_lo_u32 v5, s34, v20
	;; [unrolled: 1-line block ×4, first 2 shown]
	v_cmp_gt_i32_e32 vcc, s8, v16
	s_lshl_b32 s36, s33, 6
	v_lshl_add_u32 v1, v1, 2, v2
	v_add_u32_e32 v5, s34, v5
	s_lshl_b32 s37, s34, 6
	v_mul_lo_u32 v23, s34, v7
	v_lshlrev_b32_e32 v24, 2, v6
	s_mov_b32 s38, 0
	s_mov_b64 s[22:23], 0
	v_mov_b32_e32 v19, 0
	v_mov_b32_e32 v18, 0
	;; [unrolled: 1-line block ×4, first 2 shown]
	s_branch .LBB480_17
.LBB480_13:                             ;   in Loop: Header=BB480_17 Depth=1
	s_or_b64 exec, exec, s[28:29]
	s_waitcnt vmcnt(3)
	v_fma_mix_f32 v6, v37, v41, v17 op_sel_hi:[0,1,0]
	s_waitcnt vmcnt(2)
	v_fma_mix_f32 v6, v38, v42, v6 op_sel_hi:[0,1,0]
	;; [unrolled: 2-line block ×4, first 2 shown]
.LBB480_14:                             ;   in Loop: Header=BB480_17 Depth=1
	s_or_b64 exec, exec, s[26:27]
	s_waitcnt vmcnt(3)
	v_fma_mix_f32 v6, v37, v33, v18 op_sel_hi:[0,1,0]
	s_waitcnt vmcnt(2)
	v_fma_mix_f32 v6, v38, v34, v6 op_sel_hi:[0,1,0]
	;; [unrolled: 2-line block ×4, first 2 shown]
.LBB480_15:                             ;   in Loop: Header=BB480_17 Depth=1
	s_or_b64 exec, exec, s[24:25]
	s_waitcnt vmcnt(3)
	v_fma_mix_f32 v6, v25, v29, v19 op_sel_hi:[1,1,0]
	s_waitcnt vmcnt(2)
	v_fma_mix_f32 v6, v26, v30, v6 op_sel_hi:[1,1,0]
	;; [unrolled: 2-line block ×4, first 2 shown]
.LBB480_16:                             ;   in Loop: Header=BB480_17 Depth=1
	s_or_b64 exec, exec, s[6:7]
	v_add_u32_e32 v20, 64, v20
	s_add_i32 s38, s38, s37
	v_cmp_le_i32_e64 s[6:7], s35, v20
	v_add_u32_e32 v21, s36, v21
	v_add_u32_e32 v0, s36, v0
	;; [unrolled: 1-line block ×3, first 2 shown]
	s_or_b64 s[22:23], s[6:7], s[22:23]
	v_add_u32_e32 v1, s36, v1
	s_andn2_b64 exec, exec, s[22:23]
	s_cbranch_execz .LBB480_22
.LBB480_17:                             ; =>This Inner Loop Header: Depth=1
	s_and_saveexec_b64 s[6:7], vcc
	s_cbranch_execz .LBB480_16
; %bb.18:                               ;   in Loop: Header=BB480_17 Depth=1
	v_add_u32_e32 v6, s38, v24
	v_ashrrev_i32_e32 v7, 31, v6
	v_add_u32_e32 v8, s38, v5
	v_add_u32_e32 v10, s38, v22
	;; [unrolled: 1-line block ×3, first 2 shown]
	v_lshl_add_u64 v[6:7], v[6:7], 1, s[18:19]
	v_ashrrev_i32_e32 v9, 31, v8
	v_ashrrev_i32_e32 v11, 31, v10
	;; [unrolled: 1-line block ×3, first 2 shown]
	v_lshl_add_u64 v[8:9], v[8:9], 1, s[18:19]
	v_lshl_add_u64 v[10:11], v[10:11], 1, s[18:19]
	;; [unrolled: 1-line block ×3, first 2 shown]
	global_load_ushort v25, v[6:7], off
	global_load_ushort v26, v[8:9], off
	global_load_ushort v27, v[10:11], off
	global_load_ushort v28, v[12:13], off
	v_add_u32_e32 v6, s31, v1
	v_ashrrev_i32_e32 v7, 31, v6
	v_add_u32_e32 v8, s31, v21
	v_add_u32_e32 v10, s31, v0
	;; [unrolled: 1-line block ×3, first 2 shown]
	v_lshl_add_u64 v[6:7], v[6:7], 1, s[16:17]
	v_ashrrev_i32_e32 v9, 31, v8
	v_ashrrev_i32_e32 v11, 31, v10
	;; [unrolled: 1-line block ×3, first 2 shown]
	v_lshl_add_u64 v[8:9], v[8:9], 1, s[16:17]
	v_lshl_add_u64 v[10:11], v[10:11], 1, s[16:17]
	;; [unrolled: 1-line block ×3, first 2 shown]
	global_load_ushort v29, v[6:7], off
	global_load_ushort v30, v[8:9], off
	;; [unrolled: 1-line block ×4, first 2 shown]
	s_and_saveexec_b64 s[24:25], s[0:1]
	s_cbranch_execz .LBB480_15
; %bb.19:                               ;   in Loop: Header=BB480_17 Depth=1
	global_load_ushort v33, v[6:7], off offset:128
	global_load_ushort v34, v[8:9], off offset:128
	;; [unrolled: 1-line block ×4, first 2 shown]
	s_waitcnt vmcnt(11)
	v_cvt_f32_f16_e32 v37, v25
	s_waitcnt vmcnt(10)
	v_cvt_f32_f16_e32 v38, v26
	;; [unrolled: 2-line block ×4, first 2 shown]
	s_and_saveexec_b64 s[26:27], s[2:3]
	s_cbranch_execz .LBB480_14
; %bb.20:                               ;   in Loop: Header=BB480_17 Depth=1
	global_load_ushort v41, v[6:7], off offset:256
	global_load_ushort v42, v[8:9], off offset:256
	;; [unrolled: 1-line block ×4, first 2 shown]
	s_and_saveexec_b64 s[28:29], s[4:5]
	s_cbranch_execz .LBB480_13
; %bb.21:                               ;   in Loop: Header=BB480_17 Depth=1
	global_load_ushort v45, v[6:7], off offset:384
	global_load_ushort v46, v[8:9], off offset:384
	;; [unrolled: 1-line block ×4, first 2 shown]
	s_waitcnt vmcnt(3)
	v_fma_mix_f32 v6, v37, v45, v15 op_sel_hi:[0,1,0]
	s_waitcnt vmcnt(2)
	v_fma_mix_f32 v6, v38, v46, v6 op_sel_hi:[0,1,0]
	;; [unrolled: 2-line block ×4, first 2 shown]
	s_branch .LBB480_13
.LBB480_22:
	s_or_b64 exec, exec, s[22:23]
.LBB480_23:
	s_or_b64 exec, exec, s[20:21]
	s_sub_i32 s0, s9, s35
	s_cmp_lt_i32 s0, 1
	s_cbranch_scc1 .LBB480_41
; %bb.24:
	v_cmp_gt_i32_e32 vcc, s9, v20
	v_mov_b32_e32 v10, 0
	v_or_b32_e32 v4, 1, v20
	v_mov_b32_e32 v11, 0
	v_mov_b32_e32 v12, 0
	;; [unrolled: 1-line block ×3, first 2 shown]
	s_and_saveexec_b64 s[2:3], vcc
	s_cbranch_execz .LBB480_32
; %bb.25:
	v_mul_lo_u32 v0, v20, s34
	v_ashrrev_i32_e32 v1, 31, v0
	v_lshl_add_u64 v[0:1], v[0:1], 1, s[18:19]
	global_load_ushort v0, v[0:1], off
	v_cmp_gt_i32_e64 s[0:1], s9, v4
	v_mov_b32_e32 v12, 0
	v_mov_b32_e32 v11, 0
	v_mov_b32_e32 v10, 0
	s_and_saveexec_b64 s[4:5], s[0:1]
	s_cbranch_execz .LBB480_31
; %bb.26:
	v_mul_lo_u32 v6, v4, s34
	v_ashrrev_i32_e32 v7, 31, v6
	v_lshl_add_u64 v[6:7], v[6:7], 1, s[18:19]
	global_load_ushort v1, v[6:7], off
	v_or_b32_e32 v5, 2, v20
	v_cmp_gt_i32_e64 s[0:1], s9, v5
	v_mov_b32_e32 v11, 0
	v_mov_b32_e32 v10, 0
	s_and_saveexec_b64 s[6:7], s[0:1]
	s_cbranch_execz .LBB480_30
; %bb.27:
	v_mul_lo_u32 v6, v5, s34
	v_ashrrev_i32_e32 v7, 31, v6
	v_lshl_add_u64 v[6:7], v[6:7], 1, s[18:19]
	global_load_ushort v5, v[6:7], off
	v_or_b32_e32 v6, 3, v20
	v_cmp_gt_i32_e64 s[0:1], s9, v6
	v_mov_b32_e32 v10, 0
	s_and_saveexec_b64 s[20:21], s[0:1]
	s_cbranch_execz .LBB480_29
; %bb.28:
	v_mul_lo_u32 v6, v6, s34
	v_ashrrev_i32_e32 v7, 31, v6
	v_lshl_add_u64 v[6:7], v[6:7], 1, s[18:19]
	global_load_ushort v6, v[6:7], off
	s_waitcnt vmcnt(0)
	v_cvt_f32_f16_e32 v10, v6
.LBB480_29:
	s_or_b64 exec, exec, s[20:21]
	s_waitcnt vmcnt(0)
	v_cvt_f32_f16_e32 v11, v5
.LBB480_30:
	s_or_b64 exec, exec, s[6:7]
	s_waitcnt vmcnt(0)
	v_cvt_f32_f16_e32 v12, v1
.LBB480_31:
	s_or_b64 exec, exec, s[4:5]
	s_waitcnt vmcnt(0)
	v_cvt_f32_f16_e32 v13, v0
.LBB480_32:
	s_or_b64 exec, exec, s[2:3]
	v_cmp_gt_i32_e64 s[0:1], s8, v16
	s_and_saveexec_b64 s[2:3], s[0:1]
	s_cbranch_execz .LBB480_40
; %bb.33:
	v_mul_lo_u32 v0, v20, s33
	v_cndmask_b32_e32 v0, 0, v0, vcc
	v_mul_lo_u32 v5, v4, s33
	v_cmp_gt_i32_e32 vcc, s9, v4
	v_or_b32_e32 v6, 2, v20
	v_mul_lo_u32 v7, v6, s33
	v_cndmask_b32_e32 v4, 0, v5, vcc
	v_cmp_gt_i32_e32 vcc, s9, v6
	v_or_b32_e32 v8, 3, v20
	v_mul_lo_u32 v9, v8, s33
	v_cndmask_b32_e32 v6, 0, v7, vcc
	v_cmp_gt_i32_e32 vcc, s9, v8
	v_add_u32_e32 v0, v0, v16
	v_ashrrev_i32_e32 v1, 31, v0
	v_cndmask_b32_e32 v8, 0, v9, vcc
	v_add_u32_e32 v4, v4, v16
	v_add_u32_e32 v6, v6, v16
	;; [unrolled: 1-line block ×3, first 2 shown]
	v_lshl_add_u64 v[0:1], v[0:1], 1, s[16:17]
	v_ashrrev_i32_e32 v5, 31, v4
	v_ashrrev_i32_e32 v7, 31, v6
	v_ashrrev_i32_e32 v9, 31, v8
	v_lshl_add_u64 v[4:5], v[4:5], 1, s[16:17]
	v_lshl_add_u64 v[6:7], v[6:7], 1, s[16:17]
	global_load_ushort v21, v[0:1], off
	global_load_ushort v22, v[4:5], off
	;; [unrolled: 1-line block ×3, first 2 shown]
	v_lshl_add_u64 v[8:9], v[8:9], 1, s[16:17]
	global_load_ushort v20, v[8:9], off
	v_add_u32_e32 v24, 64, v16
	v_cmp_gt_i32_e32 vcc, s8, v24
	s_waitcnt vmcnt(3)
	v_fma_mix_f32 v19, v13, v21, v19 op_sel_hi:[0,1,0]
	s_waitcnt vmcnt(2)
	v_fma_mix_f32 v19, v12, v22, v19 op_sel_hi:[0,1,0]
	s_waitcnt vmcnt(1)
	v_fma_mix_f32 v19, v11, v23, v19 op_sel_hi:[0,1,0]
	s_and_saveexec_b64 s[0:1], vcc
	s_cbranch_execz .LBB480_39
; %bb.34:
	global_load_ushort v22, v[0:1], off offset:128
	global_load_ushort v23, v[4:5], off offset:128
	global_load_ushort v24, v[6:7], off offset:128
	global_load_ushort v21, v[8:9], off offset:128
	v_add_u32_e32 v25, 0x80, v16
	v_cmp_gt_i32_e32 vcc, s8, v25
	s_waitcnt vmcnt(3)
	v_fma_mix_f32 v18, v13, v22, v18 op_sel_hi:[0,1,0]
	s_waitcnt vmcnt(2)
	v_fma_mix_f32 v18, v12, v23, v18 op_sel_hi:[0,1,0]
	s_waitcnt vmcnt(1)
	v_fma_mix_f32 v18, v11, v24, v18 op_sel_hi:[0,1,0]
	s_and_saveexec_b64 s[4:5], vcc
	s_cbranch_execz .LBB480_38
; %bb.35:
	global_load_ushort v23, v[0:1], off offset:256
	global_load_ushort v24, v[4:5], off offset:256
	global_load_ushort v25, v[6:7], off offset:256
	global_load_ushort v22, v[8:9], off offset:256
	;; [unrolled: 15-line block ×3, first 2 shown]
	s_waitcnt vmcnt(3)
	v_fma_mix_f32 v0, v13, v17, v15 op_sel_hi:[0,1,0]
	s_waitcnt vmcnt(2)
	v_fma_mix_f32 v0, v12, v23, v0 op_sel_hi:[0,1,0]
	;; [unrolled: 2-line block ×4, first 2 shown]
.LBB480_37:
	s_or_b64 exec, exec, s[6:7]
	s_waitcnt vmcnt(0)
	v_fma_mix_f32 v17, v10, v22, v16 op_sel_hi:[0,1,0]
.LBB480_38:
	s_or_b64 exec, exec, s[4:5]
	s_waitcnt vmcnt(0)
	v_fma_mix_f32 v18, v10, v21, v18 op_sel_hi:[0,1,0]
.LBB480_39:
	s_or_b64 exec, exec, s[0:1]
	s_waitcnt vmcnt(0)
	v_fma_mix_f32 v19, v10, v20, v19 op_sel_hi:[0,1,0]
.LBB480_40:
	s_or_b64 exec, exec, s[2:3]
.LBB480_41:
	v_lshlrev_b32_e32 v0, 8, v14
	s_movk_i32 s0, 0x100
	v_add_lshl_u32 v0, v0, v2, 2
	v_cmp_gt_u32_e32 vcc, s0, v3
	ds_write2st64_b32 v0, v19, v18 offset1:1
	ds_write2st64_b32 v0, v17, v15 offset0:2 offset1:3
	s_waitcnt lgkmcnt(0)
	s_barrier
	s_waitcnt lgkmcnt(0)
                                        ; implicit-def: $vgpr1
                                        ; implicit-def: $vgpr4_vgpr5
	s_and_saveexec_b64 s[0:1], vcc
	s_cbranch_execz .LBB480_47
; %bb.42:
	v_lshlrev_b32_e32 v2, 2, v3
	ds_read2st64_b32 v[0:1], v2 offset1:4
	ds_read2st64_b32 v[4:5], v2 offset0:8 offset1:12
	ds_read2st64_b32 v[6:7], v2 offset0:16 offset1:20
	;; [unrolled: 1-line block ×4, first 2 shown]
	s_waitcnt lgkmcnt(4)
	v_add_f32_e32 v0, v0, v1
	s_waitcnt lgkmcnt(3)
	v_add_f32_e32 v0, v4, v0
	v_add_f32_e32 v0, v5, v0
	s_waitcnt lgkmcnt(2)
	v_add_f32_e32 v0, v6, v0
	;; [unrolled: 3-line block ×3, first 2 shown]
	v_add_f32_e32 v4, v9, v0
	ds_read2st64_b32 v[0:1], v2 offset0:40 offset1:44
	s_waitcnt lgkmcnt(1)
	v_add_f32_e32 v6, v10, v4
	ds_read2st64_b32 v[4:5], v2 offset0:48 offset1:52
	v_add_f32_e32 v8, v11, v6
	ds_read2st64_b32 v[6:7], v2 offset0:56 offset1:60
	s_waitcnt lgkmcnt(2)
	v_add_f32_e32 v0, v0, v8
	v_add_f32_e32 v0, v1, v0
	s_waitcnt lgkmcnt(1)
	v_add_f32_e32 v0, v4, v0
	v_add_f32_e32 v0, v5, v0
	;; [unrolled: 3-line block ×3, first 2 shown]
	ds_write_b32 v2, v0
	v_or_b32_e32 v2, s31, v3
	v_cmp_gt_i32_e32 vcc, s8, v2
	s_mov_b64 s[4:5], s[14:15]
                                        ; implicit-def: $vgpr1
                                        ; implicit-def: $vgpr4_vgpr5
	s_and_saveexec_b64 s[2:3], vcc
	s_cbranch_execz .LBB480_46
; %bb.43:
	v_cmp_eq_f32_e64 s[4:5], s11, 0
	v_mul_lo_u32 v4, v2, s30
	v_mul_f32_e32 v1, s10, v0
	v_ashrrev_i32_e32 v5, 31, v4
	s_and_b64 vcc, exec, s[4:5]
	s_cbranch_vccnz .LBB480_45
; %bb.44:
	v_lshl_add_u64 v[2:3], v[4:5], 2, s[12:13]
	global_load_dword v0, v[2:3], off
	s_waitcnt vmcnt(0)
	v_fmac_f32_e32 v1, s11, v0
.LBB480_45:
	s_or_b64 s[4:5], s[14:15], exec
.LBB480_46:
	s_or_b64 exec, exec, s[2:3]
	s_andn2_b64 s[2:3], s[14:15], exec
	s_and_b64 s[4:5], s[4:5], exec
	s_or_b64 s[14:15], s[2:3], s[4:5]
.LBB480_47:
	s_or_b64 exec, exec, s[0:1]
.LBB480_48:
	s_and_saveexec_b64 s[0:1], s[14:15]
	s_cbranch_execz .LBB480_50
; %bb.49:
	v_lshl_add_u64 v[2:3], v[4:5], 2, s[12:13]
	global_store_dword v[2:3], v1, off
.LBB480_50:
	s_endpgm
	.section	.rodata,"a",@progbits
	.p2align	6, 0x0
	.amdhsa_kernel _ZL20rocblas_gemvn_kernelILi64ELi16EiDF16_ffEviiT3_lPKT2_lT1_lS3_lS4_lS0_lPT4_lS4_li
		.amdhsa_group_segment_fixed_size 16384
		.amdhsa_private_segment_fixed_size 0
		.amdhsa_kernarg_size 400
		.amdhsa_user_sgpr_count 2
		.amdhsa_user_sgpr_dispatch_ptr 0
		.amdhsa_user_sgpr_queue_ptr 0
		.amdhsa_user_sgpr_kernarg_segment_ptr 1
		.amdhsa_user_sgpr_dispatch_id 0
		.amdhsa_user_sgpr_kernarg_preload_length 0
		.amdhsa_user_sgpr_kernarg_preload_offset 0
		.amdhsa_user_sgpr_private_segment_size 0
		.amdhsa_uses_dynamic_stack 0
		.amdhsa_enable_private_segment 0
		.amdhsa_system_sgpr_workgroup_id_x 1
		.amdhsa_system_sgpr_workgroup_id_y 0
		.amdhsa_system_sgpr_workgroup_id_z 1
		.amdhsa_system_sgpr_workgroup_info 0
		.amdhsa_system_vgpr_workitem_id 1
		.amdhsa_next_free_vgpr 49
		.amdhsa_next_free_sgpr 39
		.amdhsa_accum_offset 52
		.amdhsa_reserve_vcc 1
		.amdhsa_float_round_mode_32 0
		.amdhsa_float_round_mode_16_64 0
		.amdhsa_float_denorm_mode_32 3
		.amdhsa_float_denorm_mode_16_64 3
		.amdhsa_dx10_clamp 1
		.amdhsa_ieee_mode 1
		.amdhsa_fp16_overflow 0
		.amdhsa_tg_split 0
		.amdhsa_exception_fp_ieee_invalid_op 0
		.amdhsa_exception_fp_denorm_src 0
		.amdhsa_exception_fp_ieee_div_zero 0
		.amdhsa_exception_fp_ieee_overflow 0
		.amdhsa_exception_fp_ieee_underflow 0
		.amdhsa_exception_fp_ieee_inexact 0
		.amdhsa_exception_int_div_zero 0
	.end_amdhsa_kernel
	.section	.text._ZL20rocblas_gemvn_kernelILi64ELi16EiDF16_ffEviiT3_lPKT2_lT1_lS3_lS4_lS0_lPT4_lS4_li,"axG",@progbits,_ZL20rocblas_gemvn_kernelILi64ELi16EiDF16_ffEviiT3_lPKT2_lT1_lS3_lS4_lS0_lPT4_lS4_li,comdat
.Lfunc_end480:
	.size	_ZL20rocblas_gemvn_kernelILi64ELi16EiDF16_ffEviiT3_lPKT2_lT1_lS3_lS4_lS0_lPT4_lS4_li, .Lfunc_end480-_ZL20rocblas_gemvn_kernelILi64ELi16EiDF16_ffEviiT3_lPKT2_lT1_lS3_lS4_lS0_lPT4_lS4_li
                                        ; -- End function
	.section	.AMDGPU.csdata,"",@progbits
; Kernel info:
; codeLenInByte = 2548
; NumSgprs: 45
; NumVgprs: 49
; NumAgprs: 0
; TotalNumVgprs: 49
; ScratchSize: 0
; MemoryBound: 0
; FloatMode: 240
; IeeeMode: 1
; LDSByteSize: 16384 bytes/workgroup (compile time only)
; SGPRBlocks: 5
; VGPRBlocks: 6
; NumSGPRsForWavesPerEU: 45
; NumVGPRsForWavesPerEU: 49
; AccumOffset: 52
; Occupancy: 8
; WaveLimiterHint : 1
; COMPUTE_PGM_RSRC2:SCRATCH_EN: 0
; COMPUTE_PGM_RSRC2:USER_SGPR: 2
; COMPUTE_PGM_RSRC2:TRAP_HANDLER: 0
; COMPUTE_PGM_RSRC2:TGID_X_EN: 1
; COMPUTE_PGM_RSRC2:TGID_Y_EN: 0
; COMPUTE_PGM_RSRC2:TGID_Z_EN: 1
; COMPUTE_PGM_RSRC2:TIDIG_COMP_CNT: 1
; COMPUTE_PGM_RSRC3_GFX90A:ACCUM_OFFSET: 12
; COMPUTE_PGM_RSRC3_GFX90A:TG_SPLIT: 0
	.section	.text._ZL20rocblas_gemvn_kernelILi64ELi16ElDF16_ffEviiT3_lPKT2_lT1_lS3_lS4_lS0_lPT4_lS4_li,"axG",@progbits,_ZL20rocblas_gemvn_kernelILi64ELi16ElDF16_ffEviiT3_lPKT2_lT1_lS3_lS4_lS0_lPT4_lS4_li,comdat
	.globl	_ZL20rocblas_gemvn_kernelILi64ELi16ElDF16_ffEviiT3_lPKT2_lT1_lS3_lS4_lS0_lPT4_lS4_li ; -- Begin function _ZL20rocblas_gemvn_kernelILi64ELi16ElDF16_ffEviiT3_lPKT2_lT1_lS3_lS4_lS0_lPT4_lS4_li
	.p2align	8
	.type	_ZL20rocblas_gemvn_kernelILi64ELi16ElDF16_ffEviiT3_lPKT2_lT1_lS3_lS4_lS0_lPT4_lS4_li,@function
_ZL20rocblas_gemvn_kernelILi64ELi16ElDF16_ffEviiT3_lPKT2_lT1_lS3_lS4_lS0_lPT4_lS4_li: ; @_ZL20rocblas_gemvn_kernelILi64ELi16ElDF16_ffEviiT3_lPKT2_lT1_lS3_lS4_lS0_lPT4_lS4_li
; %bb.0:
	s_load_dwordx2 s[4:5], s[0:1], 0x9c
	s_waitcnt lgkmcnt(0)
	s_lshr_b32 s6, s4, 16
	s_and_b32 s4, s4, 0xffff
	s_and_b32 s5, s5, 0xffff
	s_mul_i32 s4, s6, s4
	s_mul_i32 s4, s4, s5
	s_cmpk_lg_i32 s4, 0x400
	s_cbranch_scc1 .LBB481_50
; %bb.1:
	s_load_dwordx4 s[28:31], s[0:1], 0x0
	s_waitcnt lgkmcnt(0)
	s_load_dword s31, s[0:1], 0x58
	v_cmp_eq_f32_e64 s[4:5], s30, 0
	s_waitcnt lgkmcnt(0)
	v_cmp_eq_f32_e64 s[6:7], s31, 1.0
	s_and_b64 s[4:5], s[4:5], s[6:7]
	s_and_b64 vcc, exec, s[4:5]
	s_cbranch_vccnz .LBB481_50
; %bb.2:
	s_load_dwordx8 s[20:27], s[0:1], 0x68
	v_and_b32_e32 v29, 0x3ff, v0
	v_bfe_u32 v30, v0, 10, 10
	v_lshl_add_u32 v28, v30, 6, v29
	s_waitcnt lgkmcnt(0)
	s_mul_i32 s5, s3, s27
	s_mul_hi_u32 s6, s3, s26
	s_mul_i32 s4, s3, s26
	s_add_i32 s5, s6, s5
	s_lshl_b64 s[4:5], s[4:5], 2
	s_add_u32 s6, s20, s4
	s_addc_u32 s7, s21, s5
	s_lshl_b64 s[4:5], s[22:23], 2
	s_add_u32 s26, s6, s4
	s_addc_u32 s27, s7, s5
	v_cmp_neq_f32_e64 s[4:5], s30, 0
	s_and_b64 vcc, exec, s[4:5]
	s_cbranch_vccnz .LBB481_9
; %bb.3:
	s_movk_i32 s4, 0x100
	v_cmp_gt_u32_e32 vcc, s4, v28
	s_mov_b64 s[4:5], 0
	s_mov_b64 s[34:35], 0
                                        ; implicit-def: $vgpr1
                                        ; implicit-def: $vgpr2_vgpr3
	s_and_saveexec_b64 s[6:7], vcc
	s_cbranch_execz .LBB481_10
; %bb.4:
	v_lshl_or_b32 v0, s2, 8, v28
	v_mov_b32_e32 v1, 0
	s_ashr_i32 s9, s28, 31
	s_mov_b32 s8, s28
	v_cmp_gt_i64_e32 vcc, s[8:9], v[0:1]
	s_mov_b64 s[10:11], 0
                                        ; implicit-def: $vgpr2_vgpr3
	s_and_saveexec_b64 s[8:9], vcc
	s_cbranch_execz .LBB481_8
; %bb.5:
	v_mad_u64_u32 v[2:3], s[12:13], v0, s24, 0
	v_mov_b32_e32 v4, v3
	v_cmp_eq_f32_e64 s[10:11], s31, 0
	v_mad_u64_u32 v[4:5], s[12:13], v0, s25, v[4:5]
	v_mov_b32_e32 v3, v4
	s_and_b64 vcc, exec, s[10:11]
	s_cbranch_vccnz .LBB481_7
; %bb.6:
	v_lshl_add_u64 v[0:1], v[2:3], 2, s[26:27]
	global_load_dword v0, v[0:1], off
	s_waitcnt vmcnt(0)
	v_mul_f32_e32 v1, s31, v0
.LBB481_7:
	s_mov_b64 s[10:11], exec
.LBB481_8:
	s_or_b64 exec, exec, s[8:9]
	s_and_b64 s[34:35], s[10:11], exec
	s_or_b64 exec, exec, s[6:7]
	s_and_b64 vcc, exec, s[4:5]
	s_cbranch_vccnz .LBB481_11
	s_branch .LBB481_48
.LBB481_9:
	s_mov_b64 s[34:35], 0
                                        ; implicit-def: $vgpr1
                                        ; implicit-def: $vgpr2_vgpr3
	s_cbranch_execnz .LBB481_11
	s_branch .LBB481_48
.LBB481_10:
	s_or_b64 exec, exec, s[6:7]
	s_and_b64 vcc, exec, s[4:5]
	s_cbranch_vccz .LBB481_48
.LBB481_11:
	s_load_dwordx16 s[8:23], s[0:1], 0x18
	s_lshl_b32 s33, s2, 8
	v_lshlrev_b32_e32 v33, 2, v30
	v_add_u32_e32 v0, s33, v29
	v_mov_b32_e32 v35, 0
	s_waitcnt lgkmcnt(0)
	s_mul_i32 s0, s3, s15
	s_mul_hi_u32 s1, s3, s14
	s_add_i32 s15, s1, s0
	s_ashr_i32 s0, s29, 31
	s_lshr_b32 s0, s0, 26
	s_add_i32 s52, s29, s0
	s_mul_i32 s4, s3, s23
	s_mul_hi_u32 s5, s3, s22
	s_andn2_b32 s52, s52, 63
	s_mul_i32 s14, s3, s14
	s_add_i32 s23, s5, s4
	s_mul_i32 s22, s3, s22
	v_cmp_gt_i32_e32 vcc, s52, v33
	v_mov_b32_e32 v34, 0
	v_mov_b32_e32 v32, 0
	v_mov_b32_e32 v31, 0
	s_and_saveexec_b64 s[36:37], vcc
	s_cbranch_execz .LBB481_23
; %bb.12:
	v_add_u32_e32 v2, 64, v0
	v_cmp_gt_i32_e64 s[0:1], s28, v2
	v_add_u32_e32 v2, 0x80, v0
	v_cmp_gt_i32_e64 s[2:3], s28, v2
	;; [unrolled: 2-line block ×3, first 2 shown]
	v_mad_u64_u32 v[2:3], s[6:7], s20, v30, 0
	v_mov_b32_e32 v4, v3
	v_ashrrev_i32_e32 v1, 31, v0
	v_mad_u64_u32 v[4:5], s[6:7], s21, v30, v[4:5]
	v_mov_b32_e32 v3, v4
	v_lshlrev_b64 v[4:5], 1, v[0:1]
	v_lshlrev_b32_e32 v1, 2, v30
	v_or_b32_e32 v11, 3, v1
	v_mad_u64_u32 v[6:7], s[42:43], s12, v11, 0
	v_mov_b32_e32 v8, v7
	v_mad_u64_u32 v[8:9], s[42:43], s13, v11, v[8:9]
	v_mov_b32_e32 v7, v8
	;; [unrolled: 2-line block ×5, first 2 shown]
	v_mad_u64_u32 v[12:13], s[46:47], s13, v30, v[12:13]
	v_or_b32_e32 v17, 2, v1
	v_mov_b32_e32 v11, v12
	v_mad_u64_u32 v[12:13], s[46:47], s12, v17, 0
	v_mov_b32_e32 v14, v13
	v_mad_u64_u32 v[14:15], s[46:47], s13, v17, v[14:15]
	;; [unrolled: 2-line block ×4, first 2 shown]
	v_mov_b32_e32 v15, v16
	v_mov_b64_e32 v[16:17], s[20:21]
	v_mad_u64_u32 v[16:17], s[46:47], s20, v1, v[16:17]
	s_lshl_b64 s[38:39], s[18:19], 1
	s_lshl_b64 s[6:7], s[22:23], 1
	v_mov_b32_e32 v18, v17
	s_add_u32 s6, s16, s6
	v_mad_u64_u32 v[18:19], s[46:47], s21, v1, v[18:19]
	s_addc_u32 s7, s17, s7
	s_lshl_b64 s[40:41], s[20:21], 7
	s_lshl_b64 s[42:43], s[14:15], 1
	;; [unrolled: 1-line block ×3, first 2 shown]
	v_mov_b32_e32 v17, v18
	v_mov_b64_e32 v[18:19], s[12:13]
	v_lshl_add_u64 v[2:3], v[2:3], 3, s[6:7]
	s_add_u32 s44, s8, s44
	v_lshl_add_u64 v[8:9], v[8:9], 1, s[6:7]
	v_lshl_add_u64 v[14:15], v[14:15], 1, s[6:7]
	;; [unrolled: 1-line block ×3, first 2 shown]
	v_mad_u64_u32 v[18:19], s[6:7], s12, v1, v[18:19]
	s_addc_u32 s45, s9, s45
	v_mov_b32_e32 v20, v19
	s_add_u32 s44, s44, s42
	v_mad_u64_u32 v[20:21], s[6:7], s13, v1, v[20:21]
	s_addc_u32 s45, s45, s43
	v_mov_b32_e32 v19, v20
	v_cmp_gt_i32_e32 vcc, s28, v0
	v_lshl_add_u64 v[6:7], v[6:7], 1, s[44:45]
	s_lshl_b64 s[42:43], s[12:13], 7
	v_lshl_add_u64 v[10:11], v[10:11], 3, s[44:45]
	v_lshl_add_u64 v[12:13], v[12:13], 1, s[44:45]
	;; [unrolled: 1-line block ×3, first 2 shown]
	s_mov_b64 s[44:45], 0
	v_mov_b32_e32 v35, 0
	v_mov_b32_e32 v34, 0
	;; [unrolled: 1-line block ×4, first 2 shown]
	s_branch .LBB481_17
.LBB481_13:                             ;   in Loop: Header=BB481_17 Depth=1
	s_or_b64 exec, exec, s[50:51]
	s_waitcnt vmcnt(3)
	v_fma_mix_f32 v20, v47, v51, v32 op_sel_hi:[0,1,0]
	s_waitcnt vmcnt(2)
	v_fma_mix_f32 v20, v48, v52, v20 op_sel_hi:[0,1,0]
	;; [unrolled: 2-line block ×4, first 2 shown]
.LBB481_14:                             ;   in Loop: Header=BB481_17 Depth=1
	s_or_b64 exec, exec, s[48:49]
	s_waitcnt vmcnt(3)
	v_fma_mix_f32 v20, v47, v43, v34 op_sel_hi:[0,1,0]
	s_waitcnt vmcnt(2)
	v_fma_mix_f32 v20, v48, v44, v20 op_sel_hi:[0,1,0]
	;; [unrolled: 2-line block ×4, first 2 shown]
.LBB481_15:                             ;   in Loop: Header=BB481_17 Depth=1
	s_or_b64 exec, exec, s[46:47]
	s_waitcnt vmcnt(3)
	v_fma_mix_f32 v1, v1, v39, v35 op_sel_hi:[1,1,0]
	s_waitcnt vmcnt(2)
	v_fma_mix_f32 v1, v36, v40, v1 op_sel_hi:[1,1,0]
	;; [unrolled: 2-line block ×4, first 2 shown]
.LBB481_16:                             ;   in Loop: Header=BB481_17 Depth=1
	s_or_b64 exec, exec, s[6:7]
	v_add_u32_e32 v33, 64, v33
	v_cmp_le_i32_e64 s[6:7], s52, v33
	v_lshl_add_u64 v[2:3], v[2:3], 0, s[40:41]
	v_lshl_add_u64 v[6:7], v[6:7], 0, s[42:43]
	;; [unrolled: 1-line block ×7, first 2 shown]
	s_or_b64 s[44:45], s[6:7], s[44:45]
	v_lshl_add_u64 v[18:19], v[18:19], 0, s[42:43]
	s_andn2_b64 exec, exec, s[44:45]
	s_cbranch_execz .LBB481_22
.LBB481_17:                             ; =>This Inner Loop Header: Depth=1
	s_and_saveexec_b64 s[6:7], vcc
	s_cbranch_execz .LBB481_16
; %bb.18:                               ;   in Loop: Header=BB481_17 Depth=1
	v_lshl_add_u64 v[20:21], v[2:3], 0, s[38:39]
	global_load_ushort v1, v[20:21], off
	v_lshl_add_u64 v[20:21], v[16:17], 0, s[38:39]
	global_load_ushort v36, v[20:21], off
	v_lshl_add_u64 v[20:21], v[14:15], 0, s[38:39]
	global_load_ushort v37, v[20:21], off
	v_lshl_add_u64 v[20:21], v[8:9], 0, s[38:39]
	global_load_ushort v38, v[20:21], off
	v_lshl_add_u64 v[20:21], v[10:11], 0, v[4:5]
	v_lshl_add_u64 v[22:23], v[18:19], 0, v[4:5]
	v_lshl_add_u64 v[24:25], v[12:13], 0, v[4:5]
	v_lshl_add_u64 v[26:27], v[6:7], 0, v[4:5]
	global_load_ushort v39, v[20:21], off
	global_load_ushort v40, v[22:23], off
	;; [unrolled: 1-line block ×4, first 2 shown]
	s_and_saveexec_b64 s[46:47], s[0:1]
	s_cbranch_execz .LBB481_15
; %bb.19:                               ;   in Loop: Header=BB481_17 Depth=1
	global_load_ushort v43, v[20:21], off offset:128
	global_load_ushort v44, v[22:23], off offset:128
	;; [unrolled: 1-line block ×4, first 2 shown]
	s_waitcnt vmcnt(11)
	v_cvt_f32_f16_e32 v47, v1
	s_waitcnt vmcnt(10)
	v_cvt_f32_f16_e32 v48, v36
	;; [unrolled: 2-line block ×4, first 2 shown]
	s_and_saveexec_b64 s[48:49], s[2:3]
	s_cbranch_execz .LBB481_14
; %bb.20:                               ;   in Loop: Header=BB481_17 Depth=1
	global_load_ushort v51, v[20:21], off offset:256
	global_load_ushort v52, v[22:23], off offset:256
	;; [unrolled: 1-line block ×4, first 2 shown]
	s_and_saveexec_b64 s[50:51], s[4:5]
	s_cbranch_execz .LBB481_13
; %bb.21:                               ;   in Loop: Header=BB481_17 Depth=1
	global_load_ushort v20, v[20:21], off offset:384
	s_nop 0
	global_load_ushort v21, v[22:23], off offset:384
	s_nop 0
	global_load_ushort v22, v[24:25], off offset:384
	global_load_ushort v23, v[26:27], off offset:384
	s_waitcnt vmcnt(3)
	v_fma_mix_f32 v20, v47, v20, v31 op_sel_hi:[0,1,0]
	s_waitcnt vmcnt(2)
	v_fma_mix_f32 v20, v48, v21, v20 op_sel_hi:[0,1,0]
	;; [unrolled: 2-line block ×4, first 2 shown]
	s_branch .LBB481_13
.LBB481_22:
	s_or_b64 exec, exec, s[44:45]
.LBB481_23:
	s_or_b64 exec, exec, s[36:37]
	s_sub_i32 s0, s29, s52
	s_cmp_lt_i32 s0, 1
	s_cbranch_scc1 .LBB481_41
; %bb.24:
	v_cmp_gt_i32_e32 vcc, s29, v33
	v_mov_b32_e32 v10, 0
	v_or_b32_e32 v4, 1, v33
	v_mov_b32_e32 v11, 0
	v_mov_b32_e32 v12, 0
	v_mov_b32_e32 v13, 0
	s_and_saveexec_b64 s[2:3], vcc
	s_cbranch_execz .LBB481_32
; %bb.25:
	s_lshl_b64 s[0:1], s[22:23], 1
	s_add_u32 s4, s16, s0
	s_addc_u32 s5, s17, s1
	s_lshl_b64 s[0:1], s[18:19], 1
	s_add_u32 s6, s4, s0
	s_addc_u32 s7, s5, s1
	v_mad_u64_u32 v[2:3], s[0:1], v33, s20, 0
	v_mov_b32_e32 v6, v3
	v_mad_u64_u32 v[6:7], s[0:1], v33, s21, v[6:7]
	v_mov_b32_e32 v3, v6
	v_lshl_add_u64 v[2:3], v[2:3], 1, s[6:7]
	global_load_ushort v1, v[2:3], off
	v_cmp_gt_i32_e64 s[0:1], s29, v4
	v_mov_b32_e32 v12, 0
	v_mov_b32_e32 v11, 0
	v_mov_b32_e32 v10, 0
	s_and_saveexec_b64 s[4:5], s[0:1]
	s_cbranch_execz .LBB481_31
; %bb.26:
	v_mad_u64_u32 v[2:3], s[0:1], v4, s20, 0
	v_mov_b32_e32 v6, v3
	v_mad_u64_u32 v[6:7], s[0:1], v4, s21, v[6:7]
	v_mov_b32_e32 v3, v6
	v_lshl_add_u64 v[2:3], v[2:3], 1, s[6:7]
	global_load_ushort v2, v[2:3], off
	v_or_b32_e32 v3, 2, v33
	v_cmp_gt_i32_e64 s[0:1], s29, v3
	v_mov_b32_e32 v11, 0
	v_mov_b32_e32 v10, 0
	s_and_saveexec_b64 s[16:17], s[0:1]
	s_cbranch_execz .LBB481_30
; %bb.27:
	v_mad_u64_u32 v[6:7], s[0:1], v3, s20, 0
	v_mov_b32_e32 v8, v7
	v_mad_u64_u32 v[8:9], s[0:1], v3, s21, v[8:9]
	v_mov_b32_e32 v7, v8
	v_lshl_add_u64 v[6:7], v[6:7], 1, s[6:7]
	global_load_ushort v3, v[6:7], off
	v_or_b32_e32 v5, 3, v33
	v_cmp_gt_i32_e64 s[0:1], s29, v5
	v_mov_b32_e32 v10, 0
	s_and_saveexec_b64 s[18:19], s[0:1]
	s_cbranch_execz .LBB481_29
; %bb.28:
	v_mad_u64_u32 v[6:7], s[0:1], v5, s20, 0
	v_mov_b32_e32 v8, v7
	v_mad_u64_u32 v[8:9], s[0:1], v5, s21, v[8:9]
	v_mov_b32_e32 v7, v8
	v_lshl_add_u64 v[6:7], v[6:7], 1, s[6:7]
	global_load_ushort v5, v[6:7], off
	s_waitcnt vmcnt(0)
	v_cvt_f32_f16_e32 v10, v5
.LBB481_29:
	s_or_b64 exec, exec, s[18:19]
	s_waitcnt vmcnt(0)
	v_cvt_f32_f16_e32 v11, v3
.LBB481_30:
	s_or_b64 exec, exec, s[16:17]
	s_waitcnt vmcnt(0)
	v_cvt_f32_f16_e32 v12, v2
.LBB481_31:
	s_or_b64 exec, exec, s[4:5]
	s_waitcnt vmcnt(0)
	v_cvt_f32_f16_e32 v13, v1
.LBB481_32:
	s_or_b64 exec, exec, s[2:3]
	v_cmp_gt_i32_e64 s[0:1], s28, v0
	s_and_saveexec_b64 s[2:3], s[0:1]
	s_cbranch_execz .LBB481_40
; %bb.33:
	s_lshl_b64 s[0:1], s[14:15], 1
	s_add_u32 s4, s8, s0
	s_addc_u32 s5, s9, s1
	s_lshl_b64 s[0:1], s[10:11], 1
	s_add_u32 s0, s4, s0
	s_addc_u32 s1, s5, s1
	v_mad_u64_u32 v[2:3], s[4:5], v33, s12, 0
	v_mov_b32_e32 v6, v3
	v_mad_u64_u32 v[6:7], s[4:5], v33, s13, v[6:7]
	v_ashrrev_i32_e32 v1, 31, v0
	v_cndmask_b32_e32 v3, 0, v6, vcc
	v_mad_u64_u32 v[6:7], s[4:5], v4, s12, 0
	v_cndmask_b32_e32 v2, 0, v2, vcc
	v_lshlrev_b64 v[8:9], 1, v[0:1]
	v_mov_b32_e32 v14, v7
	v_cmp_gt_i32_e32 vcc, s29, v4
	v_or_b32_e32 v1, 2, v33
	v_mad_u64_u32 v[14:15], s[4:5], v4, s13, v[14:15]
	v_cndmask_b32_e32 v4, 0, v6, vcc
	v_mad_u64_u32 v[6:7], s[4:5], v1, s12, 0
	v_cndmask_b32_e32 v5, 0, v14, vcc
	v_mov_b32_e32 v14, v7
	v_mad_u64_u32 v[14:15], s[4:5], v1, s13, v[14:15]
	v_cmp_gt_i32_e32 vcc, s29, v1
	v_or_b32_e32 v1, 3, v33
	v_lshl_add_u64 v[2:3], v[2:3], 1, s[0:1]
	v_cndmask_b32_e32 v7, 0, v14, vcc
	v_mad_u64_u32 v[14:15], s[4:5], v1, s12, 0
	v_mov_b32_e32 v16, v15
	v_cndmask_b32_e32 v6, 0, v6, vcc
	v_mad_u64_u32 v[16:17], s[4:5], v1, s13, v[16:17]
	v_cmp_gt_i32_e32 vcc, s29, v1
	v_lshl_add_u64 v[2:3], v[2:3], 0, v[8:9]
	v_lshl_add_u64 v[4:5], v[4:5], 1, s[0:1]
	v_cndmask_b32_e32 v14, 0, v14, vcc
	v_cndmask_b32_e32 v15, 0, v16, vcc
	v_lshl_add_u64 v[6:7], v[6:7], 1, s[0:1]
	v_lshl_add_u64 v[14:15], v[14:15], 1, s[0:1]
	;; [unrolled: 1-line block ×4, first 2 shown]
	global_load_ushort v16, v[2:3], off
	global_load_ushort v17, v[4:5], off
	;; [unrolled: 1-line block ×3, first 2 shown]
	v_lshl_add_u64 v[8:9], v[14:15], 0, v[8:9]
	global_load_ushort v1, v[8:9], off
	v_add_u32_e32 v15, 64, v0
	v_cmp_gt_i32_e32 vcc, s28, v15
	s_waitcnt vmcnt(3)
	v_fma_mix_f32 v14, v13, v16, v35 op_sel_hi:[0,1,0]
	s_waitcnt vmcnt(2)
	v_fma_mix_f32 v14, v12, v17, v14 op_sel_hi:[0,1,0]
	s_waitcnt vmcnt(1)
	v_fma_mix_f32 v14, v11, v18, v14 op_sel_hi:[0,1,0]
	s_and_saveexec_b64 s[0:1], vcc
	s_cbranch_execz .LBB481_39
; %bb.34:
	global_load_ushort v16, v[2:3], off offset:128
	global_load_ushort v17, v[4:5], off offset:128
	global_load_ushort v18, v[6:7], off offset:128
	global_load_ushort v15, v[8:9], off offset:128
	v_add_u32_e32 v19, 0x80, v0
	v_cmp_gt_i32_e32 vcc, s28, v19
	s_waitcnt vmcnt(3)
	v_fma_mix_f32 v16, v13, v16, v34 op_sel_hi:[0,1,0]
	s_waitcnt vmcnt(2)
	v_fma_mix_f32 v16, v12, v17, v16 op_sel_hi:[0,1,0]
	s_waitcnt vmcnt(1)
	v_fma_mix_f32 v16, v11, v18, v16 op_sel_hi:[0,1,0]
	s_and_saveexec_b64 s[4:5], vcc
	s_cbranch_execz .LBB481_38
; %bb.35:
	global_load_ushort v18, v[2:3], off offset:256
	global_load_ushort v19, v[4:5], off offset:256
	global_load_ushort v20, v[6:7], off offset:256
	global_load_ushort v17, v[8:9], off offset:256
	;; [unrolled: 15-line block ×3, first 2 shown]
	s_waitcnt vmcnt(3)
	v_fma_mix_f32 v2, v13, v18, v31 op_sel_hi:[0,1,0]
	s_waitcnt vmcnt(2)
	v_fma_mix_f32 v2, v12, v19, v2 op_sel_hi:[0,1,0]
	;; [unrolled: 2-line block ×4, first 2 shown]
.LBB481_37:
	s_or_b64 exec, exec, s[6:7]
	s_waitcnt vmcnt(0)
	v_fma_mix_f32 v32, v10, v17, v0 op_sel_hi:[0,1,0]
.LBB481_38:
	s_or_b64 exec, exec, s[4:5]
	s_waitcnt vmcnt(0)
	v_fma_mix_f32 v34, v10, v15, v16 op_sel_hi:[0,1,0]
.LBB481_39:
	s_or_b64 exec, exec, s[0:1]
	s_waitcnt vmcnt(0)
	v_fma_mix_f32 v35, v10, v1, v14 op_sel_hi:[0,1,0]
.LBB481_40:
	s_or_b64 exec, exec, s[2:3]
.LBB481_41:
	v_lshlrev_b32_e32 v0, 8, v30
	s_movk_i32 s0, 0x100
	v_add_lshl_u32 v0, v0, v29, 2
	v_cmp_gt_u32_e32 vcc, s0, v28
	ds_write2st64_b32 v0, v35, v34 offset1:1
	ds_write2st64_b32 v0, v32, v31 offset0:2 offset1:3
	s_waitcnt lgkmcnt(0)
	s_barrier
	s_waitcnt lgkmcnt(0)
                                        ; implicit-def: $vgpr1
                                        ; implicit-def: $vgpr2_vgpr3
	s_and_saveexec_b64 s[0:1], vcc
	s_cbranch_execz .LBB481_47
; %bb.42:
	v_lshlrev_b32_e32 v10, 2, v28
	ds_read2st64_b32 v[0:1], v10 offset1:4
	ds_read2st64_b32 v[2:3], v10 offset0:8 offset1:12
	ds_read2st64_b32 v[4:5], v10 offset0:16 offset1:20
	;; [unrolled: 1-line block ×4, first 2 shown]
	s_waitcnt lgkmcnt(4)
	v_add_f32_e32 v0, v0, v1
	s_waitcnt lgkmcnt(3)
	v_add_f32_e32 v0, v2, v0
	v_add_f32_e32 v0, v3, v0
	s_waitcnt lgkmcnt(2)
	v_add_f32_e32 v0, v4, v0
	;; [unrolled: 3-line block ×3, first 2 shown]
	v_add_f32_e32 v2, v7, v0
	ds_read2st64_b32 v[0:1], v10 offset0:40 offset1:44
	s_waitcnt lgkmcnt(1)
	v_add_f32_e32 v4, v8, v2
	ds_read2st64_b32 v[2:3], v10 offset0:48 offset1:52
	v_add_f32_e32 v6, v9, v4
	ds_read2st64_b32 v[4:5], v10 offset0:56 offset1:60
	s_waitcnt lgkmcnt(2)
	v_add_f32_e32 v0, v0, v6
	v_add_f32_e32 v0, v1, v0
	s_waitcnt lgkmcnt(1)
	v_add_f32_e32 v0, v2, v0
	v_add_f32_e32 v0, v3, v0
	;; [unrolled: 3-line block ×3, first 2 shown]
	v_or_b32_e32 v0, s33, v28
	v_cmp_gt_i32_e32 vcc, s28, v0
	s_mov_b64 s[4:5], s[34:35]
	ds_write_b32 v10, v4
                                        ; implicit-def: $vgpr1
                                        ; implicit-def: $vgpr2_vgpr3
	s_and_saveexec_b64 s[2:3], vcc
	s_cbranch_execz .LBB481_46
; %bb.43:
	v_ashrrev_i32_e32 v2, 31, v0
	v_cmp_eq_f32_e64 s[4:5], s31, 0
	v_mul_f32_e32 v1, s30, v4
	v_mul_lo_u32 v4, v0, s25
	v_mul_lo_u32 v5, v2, s24
	v_mad_u64_u32 v[2:3], s[6:7], v0, s24, 0
	v_add3_u32 v3, v3, v4, v5
	s_and_b64 vcc, exec, s[4:5]
	s_cbranch_vccnz .LBB481_45
; %bb.44:
	v_lshl_add_u64 v[4:5], v[2:3], 2, s[26:27]
	global_load_dword v0, v[4:5], off
	s_waitcnt vmcnt(0)
	v_fmac_f32_e32 v1, s31, v0
.LBB481_45:
	s_or_b64 s[4:5], s[34:35], exec
.LBB481_46:
	s_or_b64 exec, exec, s[2:3]
	s_andn2_b64 s[2:3], s[34:35], exec
	s_and_b64 s[4:5], s[4:5], exec
	s_or_b64 s[34:35], s[2:3], s[4:5]
.LBB481_47:
	s_or_b64 exec, exec, s[0:1]
.LBB481_48:
	s_and_saveexec_b64 s[0:1], s[34:35]
	s_cbranch_execz .LBB481_50
; %bb.49:
	v_lshl_add_u64 v[2:3], v[2:3], 2, s[26:27]
	global_store_dword v[2:3], v1, off
.LBB481_50:
	s_endpgm
	.section	.rodata,"a",@progbits
	.p2align	6, 0x0
	.amdhsa_kernel _ZL20rocblas_gemvn_kernelILi64ELi16ElDF16_ffEviiT3_lPKT2_lT1_lS3_lS4_lS0_lPT4_lS4_li
		.amdhsa_group_segment_fixed_size 16384
		.amdhsa_private_segment_fixed_size 0
		.amdhsa_kernarg_size 400
		.amdhsa_user_sgpr_count 2
		.amdhsa_user_sgpr_dispatch_ptr 0
		.amdhsa_user_sgpr_queue_ptr 0
		.amdhsa_user_sgpr_kernarg_segment_ptr 1
		.amdhsa_user_sgpr_dispatch_id 0
		.amdhsa_user_sgpr_kernarg_preload_length 0
		.amdhsa_user_sgpr_kernarg_preload_offset 0
		.amdhsa_user_sgpr_private_segment_size 0
		.amdhsa_uses_dynamic_stack 0
		.amdhsa_enable_private_segment 0
		.amdhsa_system_sgpr_workgroup_id_x 1
		.amdhsa_system_sgpr_workgroup_id_y 0
		.amdhsa_system_sgpr_workgroup_id_z 1
		.amdhsa_system_sgpr_workgroup_info 0
		.amdhsa_system_vgpr_workitem_id 1
		.amdhsa_next_free_vgpr 55
		.amdhsa_next_free_sgpr 53
		.amdhsa_accum_offset 56
		.amdhsa_reserve_vcc 1
		.amdhsa_float_round_mode_32 0
		.amdhsa_float_round_mode_16_64 0
		.amdhsa_float_denorm_mode_32 3
		.amdhsa_float_denorm_mode_16_64 3
		.amdhsa_dx10_clamp 1
		.amdhsa_ieee_mode 1
		.amdhsa_fp16_overflow 0
		.amdhsa_tg_split 0
		.amdhsa_exception_fp_ieee_invalid_op 0
		.amdhsa_exception_fp_denorm_src 0
		.amdhsa_exception_fp_ieee_div_zero 0
		.amdhsa_exception_fp_ieee_overflow 0
		.amdhsa_exception_fp_ieee_underflow 0
		.amdhsa_exception_fp_ieee_inexact 0
		.amdhsa_exception_int_div_zero 0
	.end_amdhsa_kernel
	.section	.text._ZL20rocblas_gemvn_kernelILi64ELi16ElDF16_ffEviiT3_lPKT2_lT1_lS3_lS4_lS0_lPT4_lS4_li,"axG",@progbits,_ZL20rocblas_gemvn_kernelILi64ELi16ElDF16_ffEviiT3_lPKT2_lT1_lS3_lS4_lS0_lPT4_lS4_li,comdat
.Lfunc_end481:
	.size	_ZL20rocblas_gemvn_kernelILi64ELi16ElDF16_ffEviiT3_lPKT2_lT1_lS3_lS4_lS0_lPT4_lS4_li, .Lfunc_end481-_ZL20rocblas_gemvn_kernelILi64ELi16ElDF16_ffEviiT3_lPKT2_lT1_lS3_lS4_lS0_lPT4_lS4_li
                                        ; -- End function
	.section	.AMDGPU.csdata,"",@progbits
; Kernel info:
; codeLenInByte = 2852
; NumSgprs: 59
; NumVgprs: 55
; NumAgprs: 0
; TotalNumVgprs: 55
; ScratchSize: 0
; MemoryBound: 0
; FloatMode: 240
; IeeeMode: 1
; LDSByteSize: 16384 bytes/workgroup (compile time only)
; SGPRBlocks: 7
; VGPRBlocks: 6
; NumSGPRsForWavesPerEU: 59
; NumVGPRsForWavesPerEU: 55
; AccumOffset: 56
; Occupancy: 8
; WaveLimiterHint : 1
; COMPUTE_PGM_RSRC2:SCRATCH_EN: 0
; COMPUTE_PGM_RSRC2:USER_SGPR: 2
; COMPUTE_PGM_RSRC2:TRAP_HANDLER: 0
; COMPUTE_PGM_RSRC2:TGID_X_EN: 1
; COMPUTE_PGM_RSRC2:TGID_Y_EN: 0
; COMPUTE_PGM_RSRC2:TGID_Z_EN: 1
; COMPUTE_PGM_RSRC2:TIDIG_COMP_CNT: 1
; COMPUTE_PGM_RSRC3_GFX90A:ACCUM_OFFSET: 13
; COMPUTE_PGM_RSRC3_GFX90A:TG_SPLIT: 0
	.section	.text._ZL22rocblas_gemvtsm_kernelILb0ELi256EDF16_PKffEviiT2_lPKT1_lilS5_lilS2_lPT3_lil,"axG",@progbits,_ZL22rocblas_gemvtsm_kernelILb0ELi256EDF16_PKffEviiT2_lPKT1_lilS5_lilS2_lPT3_lil,comdat
	.globl	_ZL22rocblas_gemvtsm_kernelILb0ELi256EDF16_PKffEviiT2_lPKT1_lilS5_lilS2_lPT3_lil ; -- Begin function _ZL22rocblas_gemvtsm_kernelILb0ELi256EDF16_PKffEviiT2_lPKT1_lilS5_lilS2_lPT3_lil
	.p2align	8
	.type	_ZL22rocblas_gemvtsm_kernelILb0ELi256EDF16_PKffEviiT2_lPKT1_lilS5_lilS2_lPT3_lil,@function
_ZL22rocblas_gemvtsm_kernelILb0ELi256EDF16_PKffEviiT2_lPKT1_lilS5_lilS2_lPT3_lil: ; @_ZL22rocblas_gemvtsm_kernelILb0ELi256EDF16_PKffEviiT2_lPKT1_lilS5_lilS2_lPT3_lil
; %bb.0:
	s_load_dwordx8 s[4:11], s[0:1], 0x8
	s_load_dwordx8 s[12:19], s[0:1], 0x50
	s_waitcnt lgkmcnt(0)
	s_mul_i32 s3, s2, s7
	s_mul_hi_u32 s7, s2, s6
	s_add_i32 s7, s7, s3
	s_mul_i32 s6, s2, s6
	s_lshl_b64 s[6:7], s[6:7], 2
	s_add_u32 s4, s4, s6
	s_addc_u32 s5, s5, s7
	s_load_dword s3, s[4:5], 0x0
	s_mul_i32 s4, s2, s17
	s_mul_hi_u32 s5, s2, s16
	s_add_i32 s5, s5, s4
	s_mul_i32 s4, s2, s16
	s_lshl_b64 s[4:5], s[4:5], 2
	s_add_u32 s4, s14, s4
	s_addc_u32 s5, s15, s5
	s_load_dword s28, s[4:5], 0x0
	s_waitcnt lgkmcnt(0)
	v_cmp_eq_f32_e64 s[4:5], s3, 0
	v_cmp_eq_f32_e64 s[6:7], s28, 1.0
	s_and_b64 s[4:5], s[4:5], s[6:7]
	s_and_b64 vcc, exec, s[4:5]
	s_cbranch_vccnz .LBB482_34
; %bb.1:
	s_load_dwordx2 s[4:5], s[0:1], 0x80
	s_load_dword s14, s[0:1], 0x78
	s_load_dwordx2 s[20:21], s[0:1], 0x70
	s_load_dwordx2 s[16:17], s[0:1], 0x0
	s_waitcnt lgkmcnt(0)
	s_mul_i32 s5, s2, s5
	s_mul_hi_u32 s6, s2, s4
	s_add_i32 s23, s6, s5
	s_mul_i32 s22, s2, s4
	v_cmp_neq_f32_e64 s[4:5], s3, 0
	s_and_b64 vcc, exec, s[4:5]
	s_cbranch_vccnz .LBB482_9
; %bb.2:
	s_cmp_gt_i32 s17, 0
	s_cselect_b64 s[6:7], -1, 0
	v_cmp_neq_f32_e64 s[4:5], s28, 0
	v_cndmask_b32_e64 v1, 0, 1, s[6:7]
	s_and_b64 vcc, exec, s[4:5]
	v_cmp_ne_u32_e64 s[4:5], 1, v1
	s_cbranch_vccnz .LBB482_10
; %bb.3:
	s_and_b64 vcc, exec, s[4:5]
	s_cbranch_vccnz .LBB482_8
; %bb.4:
	v_mad_i64_i32 v[2:3], s[24:25], s14, v0, 0
	s_ashr_i32 s15, s14, 31
	s_lshl_b64 s[6:7], s[22:23], 2
	s_lshl_b64 s[24:25], s[20:21], 2
	s_add_u32 s24, s18, s24
	s_addc_u32 s25, s19, s25
	s_add_u32 s6, s24, s6
	s_addc_u32 s7, s25, s7
	v_lshl_add_u64 v[2:3], v[2:3], 2, s[6:7]
	s_lshl_b64 s[6:7], s[14:15], 10
	s_mov_b32 s15, 0
	v_mov_b32_e32 v1, 0
	s_branch .LBB482_6
.LBB482_5:                              ;   in Loop: Header=BB482_6 Depth=1
	s_or_b64 exec, exec, s[24:25]
	s_addk_i32 s15, 0x100
	s_cmp_ge_i32 s15, s17
	v_lshl_add_u64 v[2:3], v[2:3], 0, s[6:7]
	s_cbranch_scc1 .LBB482_8
.LBB482_6:                              ; =>This Inner Loop Header: Depth=1
	v_add_u32_e32 v4, s15, v0
	v_cmp_gt_i32_e32 vcc, s17, v4
	s_and_saveexec_b64 s[24:25], vcc
	s_cbranch_execz .LBB482_5
; %bb.7:                                ;   in Loop: Header=BB482_6 Depth=1
	global_store_dword v[2:3], v1, off
	s_branch .LBB482_5
.LBB482_8:
	s_cbranch_execz .LBB482_11
	s_branch .LBB482_16
.LBB482_9:
	s_branch .LBB482_17
.LBB482_10:
.LBB482_11:
	s_and_b64 vcc, exec, s[4:5]
	s_cbranch_vccnz .LBB482_16
; %bb.12:
	v_mad_i64_i32 v[2:3], s[6:7], s14, v0, 0
	s_ashr_i32 s15, s14, 31
	s_lshl_b64 s[4:5], s[22:23], 2
	s_lshl_b64 s[6:7], s[20:21], 2
	s_add_u32 s6, s18, s6
	s_addc_u32 s7, s19, s7
	s_add_u32 s4, s6, s4
	s_addc_u32 s5, s7, s5
	v_lshl_add_u64 v[2:3], v[2:3], 2, s[4:5]
	s_lshl_b64 s[4:5], s[14:15], 10
	s_mov_b32 s15, 0
	s_branch .LBB482_14
.LBB482_13:                             ;   in Loop: Header=BB482_14 Depth=1
	s_or_b64 exec, exec, s[6:7]
	s_addk_i32 s15, 0x100
	s_cmp_ge_i32 s15, s17
	v_lshl_add_u64 v[2:3], v[2:3], 0, s[4:5]
	s_cbranch_scc1 .LBB482_16
.LBB482_14:                             ; =>This Inner Loop Header: Depth=1
	v_add_u32_e32 v1, s15, v0
	v_cmp_gt_i32_e32 vcc, s17, v1
	s_and_saveexec_b64 s[6:7], vcc
	s_cbranch_execz .LBB482_13
; %bb.15:                               ;   in Loop: Header=BB482_14 Depth=1
	global_load_dword v1, v[2:3], off
	s_waitcnt vmcnt(0)
	v_mul_f32_e32 v1, s28, v1
	global_store_dword v[2:3], v1, off
	s_branch .LBB482_13
.LBB482_16:
	s_cbranch_execnz .LBB482_34
.LBB482_17:
	s_load_dwordx4 s[4:7], s[0:1], 0x30
	s_load_dwordx2 s[26:27], s[0:1], 0x40
	v_cmp_gt_i32_e32 vcc, s16, v0
	s_and_saveexec_b64 s[24:25], vcc
	s_cbranch_execz .LBB482_19
; %bb.18:
	s_mul_i32 s13, s2, s13
	s_mul_hi_u32 s15, s2, s12
	s_add_i32 s13, s15, s13
	s_mul_i32 s12, s2, s12
	s_load_dword s15, s[0:1], 0x48
	s_lshl_b64 s[12:13], s[12:13], 1
	s_waitcnt lgkmcnt(0)
	s_add_u32 s12, s6, s12
	s_addc_u32 s13, s7, s13
	s_lshl_b64 s[6:7], s[26:27], 1
	s_add_u32 s6, s12, s6
	s_addc_u32 s7, s13, s7
	v_mad_i64_i32 v[2:3], s[12:13], s15, v0, 0
	v_lshl_add_u64 v[2:3], v[2:3], 1, s[6:7]
	global_load_ushort v1, v[2:3], off
	v_lshlrev_b32_e32 v2, 2, v0
	s_waitcnt vmcnt(0)
	v_cvt_f32_f16_e32 v1, v1
	v_mul_f32_e32 v1, s3, v1
	ds_write_b32 v2, v1
.LBB482_19:
	s_or_b64 exec, exec, s[24:25]
	s_cmp_lt_i32 s17, 1
	s_waitcnt lgkmcnt(0)
	s_barrier
	s_cbranch_scc1 .LBB482_34
; %bb.20:
	s_load_dword s0, s[0:1], 0x28
	s_lshl_b64 s[6:7], s[22:23], 2
	s_add_u32 s3, s18, s6
	s_addc_u32 s1, s19, s7
	s_lshl_b64 s[6:7], s[20:21], 2
	s_add_u32 s12, s3, s6
	s_addc_u32 s13, s1, s7
	s_waitcnt lgkmcnt(0)
	s_ashr_i32 s1, s0, 31
	s_ashr_i32 s15, s14, 31
	s_cmp_gt_i32 s16, 0
	s_cselect_b64 s[6:7], -1, 0
	s_and_b32 s20, s16, 7
	s_cmp_gt_u32 s16, 7
	s_cselect_b64 s[22:23], -1, 0
	s_and_b32 s16, s16, 0x7ffffff8
	s_cmp_lg_u32 s20, 0
	s_mul_i32 s3, s5, s2
	s_mul_hi_u32 s5, s4, s2
	s_cselect_b64 s[24:25], -1, 0
	s_add_i32 s3, s5, s3
	s_mul_i32 s2, s4, s2
	v_mad_i64_i32 v[2:3], s[4:5], s0, v0, 0
	s_lshl_b64 s[2:3], s[2:3], 1
	s_lshl_b64 s[4:5], s[10:11], 1
	s_add_u32 s4, s8, s4
	s_addc_u32 s5, s9, s5
	s_add_u32 s2, s4, s2
	s_addc_u32 s3, s5, s3
	s_lshl_b64 s[8:9], s[0:1], 9
	v_cmp_neq_f32_e64 s[0:1], s28, 0
	v_cndmask_b32_e64 v6, 0, 1, s[22:23]
	v_lshl_add_u64 v[2:3], v[2:3], 1, s[2:3]
	v_cndmask_b32_e64 v1, 0, 1, s[0:1]
	v_cmp_ne_u32_e64 s[0:1], 1, v1
	v_cndmask_b32_e64 v1, 0, 1, s[6:7]
	v_cmp_ne_u32_e64 s[2:3], 1, v6
	v_cndmask_b32_e64 v6, 0, 1, s[24:25]
	s_mov_b32 s19, 0
	v_lshl_add_u64 v[4:5], v[2:3], 0, 14
	v_cmp_ne_u32_e64 s[4:5], 1, v1
	v_cmp_ne_u32_e64 s[6:7], 1, v6
	s_mov_b32 s21, 0
	s_branch .LBB482_23
.LBB482_21:                             ;   in Loop: Header=BB482_23 Depth=1
	global_store_dword v[6:7], v1, off
.LBB482_22:                             ;   in Loop: Header=BB482_23 Depth=1
	s_or_b64 exec, exec, s[10:11]
	s_addk_i32 s21, 0x100
	v_lshl_add_u64 v[4:5], v[4:5], 0, s[8:9]
	s_cmp_ge_i32 s21, s17
	v_lshl_add_u64 v[2:3], v[2:3], 0, s[8:9]
	s_cbranch_scc1 .LBB482_34
.LBB482_23:                             ; =>This Loop Header: Depth=1
                                        ;     Child Loop BB482_29 Depth 2
                                        ;     Child Loop BB482_33 Depth 2
	v_add_u32_e32 v1, s21, v0
	v_cmp_gt_i32_e32 vcc, s17, v1
	s_and_saveexec_b64 s[10:11], vcc
	s_cbranch_execz .LBB482_22
; %bb.24:                               ;   in Loop: Header=BB482_23 Depth=1
	v_mad_u64_u32 v[6:7], s[22:23], v1, s14, 0
	v_mov_b32_e32 v8, v7
	v_mad_u64_u32 v[8:9], s[22:23], v1, s15, v[8:9]
	v_mov_b32_e32 v7, v8
	s_and_b64 vcc, exec, s[0:1]
	v_lshl_add_u64 v[6:7], v[6:7], 2, s[12:13]
	s_cbranch_vccnz .LBB482_26
; %bb.25:                               ;   in Loop: Header=BB482_23 Depth=1
	global_load_dword v1, v[6:7], off
	s_waitcnt vmcnt(0)
	v_mul_f32_e32 v1, s28, v1
	s_and_b64 vcc, exec, s[4:5]
	s_cbranch_vccz .LBB482_27
	s_branch .LBB482_21
.LBB482_26:                             ;   in Loop: Header=BB482_23 Depth=1
	v_mov_b32_e32 v1, 0
	s_and_b64 vcc, exec, s[4:5]
	s_cbranch_vccnz .LBB482_21
.LBB482_27:                             ;   in Loop: Header=BB482_23 Depth=1
	s_mov_b32 s18, 0
	s_and_b64 vcc, exec, s[2:3]
	s_cbranch_vccnz .LBB482_31
; %bb.28:                               ;   in Loop: Header=BB482_23 Depth=1
	s_mov_b32 s22, 0
	v_mov_b64_e32 v[8:9], v[4:5]
.LBB482_29:                             ;   Parent Loop BB482_23 Depth=1
                                        ; =>  This Inner Loop Header: Depth=2
	global_load_dwordx4 v[10:13], v[8:9], off offset:-14
	v_mov_b32_e32 v18, s18
	ds_read_b128 v[14:17], v18
	ds_read_b128 v[18:21], v18 offset:16
	s_add_i32 s22, s22, 8
	s_add_i32 s18, s18, 32
	v_lshl_add_u64 v[8:9], v[8:9], 0, 16
	s_cmp_eq_u32 s16, s22
	s_waitcnt vmcnt(0) lgkmcnt(1)
	v_fma_mix_f32 v1, v14, v10, v1 op_sel_hi:[0,1,0]
	v_fma_mix_f32 v1, v15, v10, v1 op_sel:[0,1,0] op_sel_hi:[0,1,0]
	v_fma_mix_f32 v1, v16, v11, v1 op_sel_hi:[0,1,0]
	v_fma_mix_f32 v1, v17, v11, v1 op_sel:[0,1,0] op_sel_hi:[0,1,0]
	s_waitcnt lgkmcnt(0)
	v_fma_mix_f32 v1, v18, v12, v1 op_sel_hi:[0,1,0]
	v_fma_mix_f32 v1, v19, v12, v1 op_sel:[0,1,0] op_sel_hi:[0,1,0]
	v_fma_mix_f32 v1, v20, v13, v1 op_sel_hi:[0,1,0]
	v_fma_mix_f32 v1, v21, v13, v1 op_sel:[0,1,0] op_sel_hi:[0,1,0]
	s_cbranch_scc0 .LBB482_29
; %bb.30:                               ;   in Loop: Header=BB482_23 Depth=1
	s_mov_b32 s18, s16
.LBB482_31:                             ;   in Loop: Header=BB482_23 Depth=1
	s_and_b64 vcc, exec, s[6:7]
	s_cbranch_vccnz .LBB482_21
; %bb.32:                               ;   in Loop: Header=BB482_23 Depth=1
	s_lshl_b32 s22, s18, 2
	s_lshl_b32 s18, s18, 1
	v_lshl_add_u64 v[8:9], v[2:3], 0, s[18:19]
	s_mov_b32 s18, s20
.LBB482_33:                             ;   Parent Loop BB482_23 Depth=1
                                        ; =>  This Inner Loop Header: Depth=2
	global_load_ushort v10, v[8:9], off
	v_mov_b32_e32 v11, s22
	ds_read_b32 v11, v11
	s_add_i32 s22, s22, 4
	s_add_i32 s18, s18, -1
	v_lshl_add_u64 v[8:9], v[8:9], 0, 2
	s_cmp_lg_u32 s18, 0
	s_waitcnt vmcnt(0) lgkmcnt(0)
	v_fma_mix_f32 v1, v11, v10, v1 op_sel_hi:[0,1,0]
	s_cbranch_scc1 .LBB482_33
	s_branch .LBB482_21
.LBB482_34:
	s_endpgm
	.section	.rodata,"a",@progbits
	.p2align	6, 0x0
	.amdhsa_kernel _ZL22rocblas_gemvtsm_kernelILb0ELi256EDF16_PKffEviiT2_lPKT1_lilS5_lilS2_lPT3_lil
		.amdhsa_group_segment_fixed_size 256
		.amdhsa_private_segment_fixed_size 0
		.amdhsa_kernarg_size 136
		.amdhsa_user_sgpr_count 2
		.amdhsa_user_sgpr_dispatch_ptr 0
		.amdhsa_user_sgpr_queue_ptr 0
		.amdhsa_user_sgpr_kernarg_segment_ptr 1
		.amdhsa_user_sgpr_dispatch_id 0
		.amdhsa_user_sgpr_kernarg_preload_length 0
		.amdhsa_user_sgpr_kernarg_preload_offset 0
		.amdhsa_user_sgpr_private_segment_size 0
		.amdhsa_uses_dynamic_stack 0
		.amdhsa_enable_private_segment 0
		.amdhsa_system_sgpr_workgroup_id_x 1
		.amdhsa_system_sgpr_workgroup_id_y 0
		.amdhsa_system_sgpr_workgroup_id_z 0
		.amdhsa_system_sgpr_workgroup_info 0
		.amdhsa_system_vgpr_workitem_id 0
		.amdhsa_next_free_vgpr 22
		.amdhsa_next_free_sgpr 29
		.amdhsa_accum_offset 24
		.amdhsa_reserve_vcc 1
		.amdhsa_float_round_mode_32 0
		.amdhsa_float_round_mode_16_64 0
		.amdhsa_float_denorm_mode_32 3
		.amdhsa_float_denorm_mode_16_64 3
		.amdhsa_dx10_clamp 1
		.amdhsa_ieee_mode 1
		.amdhsa_fp16_overflow 0
		.amdhsa_tg_split 0
		.amdhsa_exception_fp_ieee_invalid_op 0
		.amdhsa_exception_fp_denorm_src 0
		.amdhsa_exception_fp_ieee_div_zero 0
		.amdhsa_exception_fp_ieee_overflow 0
		.amdhsa_exception_fp_ieee_underflow 0
		.amdhsa_exception_fp_ieee_inexact 0
		.amdhsa_exception_int_div_zero 0
	.end_amdhsa_kernel
	.section	.text._ZL22rocblas_gemvtsm_kernelILb0ELi256EDF16_PKffEviiT2_lPKT1_lilS5_lilS2_lPT3_lil,"axG",@progbits,_ZL22rocblas_gemvtsm_kernelILb0ELi256EDF16_PKffEviiT2_lPKT1_lilS5_lilS2_lPT3_lil,comdat
.Lfunc_end482:
	.size	_ZL22rocblas_gemvtsm_kernelILb0ELi256EDF16_PKffEviiT2_lPKT1_lilS5_lilS2_lPT3_lil, .Lfunc_end482-_ZL22rocblas_gemvtsm_kernelILb0ELi256EDF16_PKffEviiT2_lPKT1_lilS5_lilS2_lPT3_lil
                                        ; -- End function
	.section	.AMDGPU.csdata,"",@progbits
; Kernel info:
; codeLenInByte = 1256
; NumSgprs: 35
; NumVgprs: 22
; NumAgprs: 0
; TotalNumVgprs: 22
; ScratchSize: 0
; MemoryBound: 0
; FloatMode: 240
; IeeeMode: 1
; LDSByteSize: 256 bytes/workgroup (compile time only)
; SGPRBlocks: 4
; VGPRBlocks: 2
; NumSGPRsForWavesPerEU: 35
; NumVGPRsForWavesPerEU: 22
; AccumOffset: 24
; Occupancy: 8
; WaveLimiterHint : 1
; COMPUTE_PGM_RSRC2:SCRATCH_EN: 0
; COMPUTE_PGM_RSRC2:USER_SGPR: 2
; COMPUTE_PGM_RSRC2:TRAP_HANDLER: 0
; COMPUTE_PGM_RSRC2:TGID_X_EN: 1
; COMPUTE_PGM_RSRC2:TGID_Y_EN: 0
; COMPUTE_PGM_RSRC2:TGID_Z_EN: 0
; COMPUTE_PGM_RSRC2:TIDIG_COMP_CNT: 0
; COMPUTE_PGM_RSRC3_GFX90A:ACCUM_OFFSET: 5
; COMPUTE_PGM_RSRC3_GFX90A:TG_SPLIT: 0
	.section	.text._ZL22rocblas_gemvtsm_kernelILb0ELi256EDF16_ffEviiT2_lPKT1_lilS3_lilS0_lPT3_lil,"axG",@progbits,_ZL22rocblas_gemvtsm_kernelILb0ELi256EDF16_ffEviiT2_lPKT1_lilS3_lilS0_lPT3_lil,comdat
	.globl	_ZL22rocblas_gemvtsm_kernelILb0ELi256EDF16_ffEviiT2_lPKT1_lilS3_lilS0_lPT3_lil ; -- Begin function _ZL22rocblas_gemvtsm_kernelILb0ELi256EDF16_ffEviiT2_lPKT1_lilS3_lilS0_lPT3_lil
	.p2align	8
	.type	_ZL22rocblas_gemvtsm_kernelILb0ELi256EDF16_ffEviiT2_lPKT1_lilS3_lilS0_lPT3_lil,@function
_ZL22rocblas_gemvtsm_kernelILb0ELi256EDF16_ffEviiT2_lPKT1_lilS3_lilS0_lPT3_lil: ; @_ZL22rocblas_gemvtsm_kernelILb0ELi256EDF16_ffEviiT2_lPKT1_lilS3_lilS0_lPT3_lil
; %bb.0:
	s_load_dwordx4 s[8:11], s[0:1], 0x0
	s_load_dword s24, s[0:1], 0x58
	s_waitcnt lgkmcnt(0)
	v_cmp_eq_f32_e64 s[4:5], s10, 0
	v_cmp_eq_f32_e64 s[6:7], s24, 1.0
	s_and_b64 s[4:5], s[4:5], s[6:7]
	s_and_b64 vcc, exec, s[4:5]
	s_cbranch_vccnz .LBB483_34
; %bb.1:
	s_load_dwordx2 s[4:5], s[0:1], 0x80
	s_load_dwordx4 s[12:15], s[0:1], 0x68
	s_load_dword s16, s[0:1], 0x78
	s_waitcnt lgkmcnt(0)
	s_mul_i32 s3, s2, s5
	s_mul_hi_u32 s5, s2, s4
	s_mul_i32 s18, s2, s4
	s_add_i32 s19, s5, s3
	v_cmp_neq_f32_e64 s[4:5], s10, 0
	s_and_b64 vcc, exec, s[4:5]
	s_cbranch_vccnz .LBB483_9
; %bb.2:
	s_cmp_gt_i32 s9, 0
	s_cselect_b64 s[6:7], -1, 0
	v_cmp_neq_f32_e64 s[4:5], s24, 0
	v_cndmask_b32_e64 v1, 0, 1, s[6:7]
	s_and_b64 vcc, exec, s[4:5]
	v_cmp_ne_u32_e64 s[4:5], 1, v1
	s_cbranch_vccnz .LBB483_10
; %bb.3:
	s_and_b64 vcc, exec, s[4:5]
	s_cbranch_vccnz .LBB483_8
; %bb.4:
	v_mad_i64_i32 v[2:3], s[20:21], s16, v0, 0
	s_ashr_i32 s17, s16, 31
	s_lshl_b64 s[6:7], s[18:19], 2
	s_lshl_b64 s[20:21], s[14:15], 2
	s_add_u32 s3, s12, s20
	s_addc_u32 s11, s13, s21
	s_add_u32 s6, s3, s6
	s_addc_u32 s7, s11, s7
	v_lshl_add_u64 v[2:3], v[2:3], 2, s[6:7]
	s_lshl_b64 s[6:7], s[16:17], 10
	s_mov_b32 s3, 0
	v_mov_b32_e32 v1, 0
	s_branch .LBB483_6
.LBB483_5:                              ;   in Loop: Header=BB483_6 Depth=1
	s_or_b64 exec, exec, s[20:21]
	s_addk_i32 s3, 0x100
	s_cmp_ge_i32 s3, s9
	v_lshl_add_u64 v[2:3], v[2:3], 0, s[6:7]
	s_cbranch_scc1 .LBB483_8
.LBB483_6:                              ; =>This Inner Loop Header: Depth=1
	v_add_u32_e32 v4, s3, v0
	v_cmp_gt_i32_e32 vcc, s9, v4
	s_and_saveexec_b64 s[20:21], vcc
	s_cbranch_execz .LBB483_5
; %bb.7:                                ;   in Loop: Header=BB483_6 Depth=1
	global_store_dword v[2:3], v1, off
	s_branch .LBB483_5
.LBB483_8:
	s_cbranch_execz .LBB483_11
	s_branch .LBB483_16
.LBB483_9:
	s_branch .LBB483_17
.LBB483_10:
.LBB483_11:
	s_and_b64 vcc, exec, s[4:5]
	s_cbranch_vccnz .LBB483_16
; %bb.12:
	v_mad_i64_i32 v[2:3], s[6:7], s16, v0, 0
	s_ashr_i32 s17, s16, 31
	s_lshl_b64 s[4:5], s[18:19], 2
	s_lshl_b64 s[6:7], s[14:15], 2
	s_add_u32 s3, s12, s6
	s_addc_u32 s6, s13, s7
	s_add_u32 s4, s3, s4
	s_addc_u32 s5, s6, s5
	v_lshl_add_u64 v[2:3], v[2:3], 2, s[4:5]
	s_lshl_b64 s[4:5], s[16:17], 10
	s_mov_b32 s3, 0
	s_branch .LBB483_14
.LBB483_13:                             ;   in Loop: Header=BB483_14 Depth=1
	s_or_b64 exec, exec, s[6:7]
	s_addk_i32 s3, 0x100
	s_cmp_ge_i32 s3, s9
	v_lshl_add_u64 v[2:3], v[2:3], 0, s[4:5]
	s_cbranch_scc1 .LBB483_16
.LBB483_14:                             ; =>This Inner Loop Header: Depth=1
	v_add_u32_e32 v1, s3, v0
	v_cmp_gt_i32_e32 vcc, s9, v1
	s_and_saveexec_b64 s[6:7], vcc
	s_cbranch_execz .LBB483_13
; %bb.15:                               ;   in Loop: Header=BB483_14 Depth=1
	global_load_dword v1, v[2:3], off
	s_waitcnt vmcnt(0)
	v_mul_f32_e32 v1, s24, v1
	global_store_dword v[2:3], v1, off
	s_branch .LBB483_13
.LBB483_16:
	s_cbranch_execnz .LBB483_34
.LBB483_17:
	s_load_dwordx4 s[4:7], s[0:1], 0x30
	s_load_dwordx2 s[22:23], s[0:1], 0x40
	v_cmp_gt_i32_e32 vcc, s8, v0
	s_and_saveexec_b64 s[20:21], vcc
	s_cbranch_execz .LBB483_19
; %bb.18:
	s_load_dwordx2 s[26:27], s[0:1], 0x50
	s_load_dword s3, s[0:1], 0x48
	s_waitcnt lgkmcnt(0)
	s_mul_i32 s11, s2, s27
	s_mul_hi_u32 s17, s2, s26
	s_mul_i32 s26, s2, s26
	s_add_i32 s27, s17, s11
	s_lshl_b64 s[26:27], s[26:27], 1
	s_add_u32 s11, s6, s26
	s_addc_u32 s17, s7, s27
	s_lshl_b64 s[6:7], s[22:23], 1
	s_add_u32 s6, s11, s6
	s_addc_u32 s7, s17, s7
	v_mad_i64_i32 v[2:3], s[22:23], s3, v0, 0
	v_lshl_add_u64 v[2:3], v[2:3], 1, s[6:7]
	global_load_ushort v1, v[2:3], off
	v_lshlrev_b32_e32 v2, 2, v0
	s_waitcnt vmcnt(0)
	v_cvt_f32_f16_e32 v1, v1
	v_mul_f32_e32 v1, s10, v1
	ds_write_b32 v2, v1
.LBB483_19:
	s_or_b64 exec, exec, s[20:21]
	s_cmp_lt_i32 s9, 1
	s_waitcnt lgkmcnt(0)
	s_barrier
	s_cbranch_scc1 .LBB483_34
; %bb.20:
	s_lshl_b64 s[6:7], s[18:19], 2
	s_add_u32 s3, s12, s6
	s_load_dwordx4 s[28:31], s[0:1], 0x18
	s_load_dword s6, s[0:1], 0x28
	s_addc_u32 s7, s13, s7
	s_lshl_b64 s[0:1], s[14:15], 2
	s_add_u32 s10, s3, s0
	s_addc_u32 s11, s7, s1
	s_waitcnt lgkmcnt(0)
	s_ashr_i32 s7, s6, 31
	s_ashr_i32 s17, s16, 31
	s_cmp_gt_i32 s8, 0
	s_cselect_b64 s[18:19], -1, 0
	s_and_b32 s20, s8, 7
	s_cmp_gt_u32 s8, 7
	s_cselect_b64 s[22:23], -1, 0
	s_and_b32 s8, s8, 0x7ffffff8
	s_cmp_lg_u32 s20, 0
	s_mul_i32 s0, s5, s2
	s_mul_hi_u32 s1, s4, s2
	s_cselect_b64 s[26:27], -1, 0
	s_add_i32 s1, s1, s0
	s_mul_i32 s0, s4, s2
	v_mad_i64_i32 v[2:3], s[2:3], s6, v0, 0
	s_lshl_b64 s[0:1], s[0:1], 1
	s_lshl_b64 s[2:3], s[30:31], 1
	s_add_u32 s2, s28, s2
	s_addc_u32 s3, s29, s3
	s_add_u32 s0, s2, s0
	s_addc_u32 s1, s3, s1
	v_lshl_add_u64 v[2:3], v[2:3], 1, s[0:1]
	v_cmp_neq_f32_e64 s[0:1], s24, 0
	s_mov_b32 s13, 0
	v_lshl_add_u64 v[4:5], v[2:3], 0, 14
	v_cndmask_b32_e64 v1, 0, 1, s[0:1]
	v_cmp_ne_u32_e64 s[0:1], 1, v1
	v_cndmask_b32_e64 v1, 0, 1, s[18:19]
	v_cmp_ne_u32_e64 s[2:3], 1, v1
	;; [unrolled: 2-line block ×3, first 2 shown]
	v_cndmask_b32_e64 v1, 0, 1, s[26:27]
	s_lshl_b64 s[14:15], s[6:7], 9
	v_cmp_ne_u32_e64 s[6:7], 1, v1
	s_mov_b32 s21, 0
	s_branch .LBB483_23
.LBB483_21:                             ;   in Loop: Header=BB483_23 Depth=1
	global_store_dword v[6:7], v1, off
.LBB483_22:                             ;   in Loop: Header=BB483_23 Depth=1
	s_or_b64 exec, exec, s[18:19]
	s_addk_i32 s21, 0x100
	v_lshl_add_u64 v[4:5], v[4:5], 0, s[14:15]
	s_cmp_ge_i32 s21, s9
	v_lshl_add_u64 v[2:3], v[2:3], 0, s[14:15]
	s_cbranch_scc1 .LBB483_34
.LBB483_23:                             ; =>This Loop Header: Depth=1
                                        ;     Child Loop BB483_29 Depth 2
                                        ;     Child Loop BB483_33 Depth 2
	v_add_u32_e32 v1, s21, v0
	v_cmp_gt_i32_e32 vcc, s9, v1
	s_and_saveexec_b64 s[18:19], vcc
	s_cbranch_execz .LBB483_22
; %bb.24:                               ;   in Loop: Header=BB483_23 Depth=1
	v_mad_u64_u32 v[6:7], s[22:23], v1, s16, 0
	v_mov_b32_e32 v8, v7
	v_mad_u64_u32 v[8:9], s[22:23], v1, s17, v[8:9]
	v_mov_b32_e32 v7, v8
	s_and_b64 vcc, exec, s[0:1]
	v_lshl_add_u64 v[6:7], v[6:7], 2, s[10:11]
	s_cbranch_vccnz .LBB483_26
; %bb.25:                               ;   in Loop: Header=BB483_23 Depth=1
	global_load_dword v1, v[6:7], off
	s_waitcnt vmcnt(0)
	v_mul_f32_e32 v1, s24, v1
	s_and_b64 vcc, exec, s[2:3]
	s_cbranch_vccz .LBB483_27
	s_branch .LBB483_21
.LBB483_26:                             ;   in Loop: Header=BB483_23 Depth=1
	v_mov_b32_e32 v1, 0
	s_and_b64 vcc, exec, s[2:3]
	s_cbranch_vccnz .LBB483_21
.LBB483_27:                             ;   in Loop: Header=BB483_23 Depth=1
	s_mov_b32 s12, 0
	s_and_b64 vcc, exec, s[4:5]
	s_cbranch_vccnz .LBB483_31
; %bb.28:                               ;   in Loop: Header=BB483_23 Depth=1
	s_mov_b32 s22, 0
	v_mov_b64_e32 v[8:9], v[4:5]
.LBB483_29:                             ;   Parent Loop BB483_23 Depth=1
                                        ; =>  This Inner Loop Header: Depth=2
	global_load_dwordx4 v[10:13], v[8:9], off offset:-14
	v_mov_b32_e32 v18, s12
	ds_read_b128 v[14:17], v18
	ds_read_b128 v[18:21], v18 offset:16
	s_add_i32 s22, s22, 8
	s_add_i32 s12, s12, 32
	v_lshl_add_u64 v[8:9], v[8:9], 0, 16
	s_cmp_eq_u32 s8, s22
	s_waitcnt vmcnt(0) lgkmcnt(1)
	v_fma_mix_f32 v1, v14, v10, v1 op_sel_hi:[0,1,0]
	v_fma_mix_f32 v1, v15, v10, v1 op_sel:[0,1,0] op_sel_hi:[0,1,0]
	v_fma_mix_f32 v1, v16, v11, v1 op_sel_hi:[0,1,0]
	v_fma_mix_f32 v1, v17, v11, v1 op_sel:[0,1,0] op_sel_hi:[0,1,0]
	s_waitcnt lgkmcnt(0)
	v_fma_mix_f32 v1, v18, v12, v1 op_sel_hi:[0,1,0]
	v_fma_mix_f32 v1, v19, v12, v1 op_sel:[0,1,0] op_sel_hi:[0,1,0]
	v_fma_mix_f32 v1, v20, v13, v1 op_sel_hi:[0,1,0]
	v_fma_mix_f32 v1, v21, v13, v1 op_sel:[0,1,0] op_sel_hi:[0,1,0]
	s_cbranch_scc0 .LBB483_29
; %bb.30:                               ;   in Loop: Header=BB483_23 Depth=1
	s_mov_b32 s12, s8
.LBB483_31:                             ;   in Loop: Header=BB483_23 Depth=1
	s_and_b64 vcc, exec, s[6:7]
	s_cbranch_vccnz .LBB483_21
; %bb.32:                               ;   in Loop: Header=BB483_23 Depth=1
	s_lshl_b32 s22, s12, 2
	s_lshl_b32 s12, s12, 1
	v_lshl_add_u64 v[8:9], v[2:3], 0, s[12:13]
	s_mov_b32 s12, s20
.LBB483_33:                             ;   Parent Loop BB483_23 Depth=1
                                        ; =>  This Inner Loop Header: Depth=2
	global_load_ushort v10, v[8:9], off
	v_mov_b32_e32 v11, s22
	ds_read_b32 v11, v11
	s_add_i32 s22, s22, 4
	s_add_i32 s12, s12, -1
	v_lshl_add_u64 v[8:9], v[8:9], 0, 2
	s_cmp_lg_u32 s12, 0
	s_waitcnt vmcnt(0) lgkmcnt(0)
	v_fma_mix_f32 v1, v11, v10, v1 op_sel_hi:[0,1,0]
	s_cbranch_scc1 .LBB483_33
	s_branch .LBB483_21
.LBB483_34:
	s_endpgm
	.section	.rodata,"a",@progbits
	.p2align	6, 0x0
	.amdhsa_kernel _ZL22rocblas_gemvtsm_kernelILb0ELi256EDF16_ffEviiT2_lPKT1_lilS3_lilS0_lPT3_lil
		.amdhsa_group_segment_fixed_size 256
		.amdhsa_private_segment_fixed_size 0
		.amdhsa_kernarg_size 136
		.amdhsa_user_sgpr_count 2
		.amdhsa_user_sgpr_dispatch_ptr 0
		.amdhsa_user_sgpr_queue_ptr 0
		.amdhsa_user_sgpr_kernarg_segment_ptr 1
		.amdhsa_user_sgpr_dispatch_id 0
		.amdhsa_user_sgpr_kernarg_preload_length 0
		.amdhsa_user_sgpr_kernarg_preload_offset 0
		.amdhsa_user_sgpr_private_segment_size 0
		.amdhsa_uses_dynamic_stack 0
		.amdhsa_enable_private_segment 0
		.amdhsa_system_sgpr_workgroup_id_x 1
		.amdhsa_system_sgpr_workgroup_id_y 0
		.amdhsa_system_sgpr_workgroup_id_z 0
		.amdhsa_system_sgpr_workgroup_info 0
		.amdhsa_system_vgpr_workitem_id 0
		.amdhsa_next_free_vgpr 22
		.amdhsa_next_free_sgpr 32
		.amdhsa_accum_offset 24
		.amdhsa_reserve_vcc 1
		.amdhsa_float_round_mode_32 0
		.amdhsa_float_round_mode_16_64 0
		.amdhsa_float_denorm_mode_32 3
		.amdhsa_float_denorm_mode_16_64 3
		.amdhsa_dx10_clamp 1
		.amdhsa_ieee_mode 1
		.amdhsa_fp16_overflow 0
		.amdhsa_tg_split 0
		.amdhsa_exception_fp_ieee_invalid_op 0
		.amdhsa_exception_fp_denorm_src 0
		.amdhsa_exception_fp_ieee_div_zero 0
		.amdhsa_exception_fp_ieee_overflow 0
		.amdhsa_exception_fp_ieee_underflow 0
		.amdhsa_exception_fp_ieee_inexact 0
		.amdhsa_exception_int_div_zero 0
	.end_amdhsa_kernel
	.section	.text._ZL22rocblas_gemvtsm_kernelILb0ELi256EDF16_ffEviiT2_lPKT1_lilS3_lilS0_lPT3_lil,"axG",@progbits,_ZL22rocblas_gemvtsm_kernelILb0ELi256EDF16_ffEviiT2_lPKT1_lilS3_lilS0_lPT3_lil,comdat
.Lfunc_end483:
	.size	_ZL22rocblas_gemvtsm_kernelILb0ELi256EDF16_ffEviiT2_lPKT1_lilS3_lilS0_lPT3_lil, .Lfunc_end483-_ZL22rocblas_gemvtsm_kernelILb0ELi256EDF16_ffEviiT2_lPKT1_lilS3_lilS0_lPT3_lil
                                        ; -- End function
	.section	.AMDGPU.csdata,"",@progbits
; Kernel info:
; codeLenInByte = 1188
; NumSgprs: 38
; NumVgprs: 22
; NumAgprs: 0
; TotalNumVgprs: 22
; ScratchSize: 0
; MemoryBound: 0
; FloatMode: 240
; IeeeMode: 1
; LDSByteSize: 256 bytes/workgroup (compile time only)
; SGPRBlocks: 4
; VGPRBlocks: 2
; NumSGPRsForWavesPerEU: 38
; NumVGPRsForWavesPerEU: 22
; AccumOffset: 24
; Occupancy: 8
; WaveLimiterHint : 1
; COMPUTE_PGM_RSRC2:SCRATCH_EN: 0
; COMPUTE_PGM_RSRC2:USER_SGPR: 2
; COMPUTE_PGM_RSRC2:TRAP_HANDLER: 0
; COMPUTE_PGM_RSRC2:TGID_X_EN: 1
; COMPUTE_PGM_RSRC2:TGID_Y_EN: 0
; COMPUTE_PGM_RSRC2:TGID_Z_EN: 0
; COMPUTE_PGM_RSRC2:TIDIG_COMP_CNT: 0
; COMPUTE_PGM_RSRC3_GFX90A:ACCUM_OFFSET: 5
; COMPUTE_PGM_RSRC3_GFX90A:TG_SPLIT: 0
	.section	.text._ZL23rocblas_gemvt_sn_reduceILi256ELi8EfPKffEviT2_lPT3_lilPT1_i,"axG",@progbits,_ZL23rocblas_gemvt_sn_reduceILi256ELi8EfPKffEviT2_lPT3_lilPT1_i,comdat
	.globl	_ZL23rocblas_gemvt_sn_reduceILi256ELi8EfPKffEviT2_lPT3_lilPT1_i ; -- Begin function _ZL23rocblas_gemvt_sn_reduceILi256ELi8EfPKffEviT2_lPT3_lilPT1_i
	.p2align	8
	.type	_ZL23rocblas_gemvt_sn_reduceILi256ELi8EfPKffEviT2_lPT3_lilPT1_i,@function
_ZL23rocblas_gemvt_sn_reduceILi256ELi8EfPKffEviT2_lPT3_lilPT1_i: ; @_ZL23rocblas_gemvt_sn_reduceILi256ELi8EfPKffEviT2_lPT3_lilPT1_i
; %bb.0:
	s_load_dword s5, s[0:1], 0x0
	s_load_dwordx8 s[8:15], s[0:1], 0x8
	v_lshlrev_b32_e32 v1, 3, v0
	s_mov_b32 s17, 0
	v_mov_b32_e32 v3, 0
	s_waitcnt lgkmcnt(0)
	s_ashr_i32 s16, s5, 31
	s_mul_i32 s2, s4, s11
	s_mul_hi_u32 s6, s4, s10
	s_add_i32 s7, s6, s2
	s_mul_i32 s6, s4, s10
	s_lshl_b64 s[10:11], s[6:7], 2
	s_add_u32 s8, s8, s10
	s_load_dwordx2 s[6:7], s[0:1], 0x38
	s_load_dword s10, s[0:1], 0x4c
	s_addc_u32 s9, s9, s11
	s_load_dword s2, s[8:9], 0x0
	s_add_u32 s18, s0, 0x48
	s_addc_u32 s19, s1, 0
	s_waitcnt lgkmcnt(0)
	s_mul_i32 s8, s10, s4
	s_add_i32 s8, s8, s3
	s_mul_i32 s9, s8, s16
	s_mul_hi_u32 s10, s8, s5
	s_add_i32 s9, s10, s9
	s_lshr_b32 s10, s16, 29
	s_add_i32 s10, s5, s10
	s_and_b32 s20, s10, -8
	s_mul_i32 s8, s8, s5
	v_cmp_gt_i32_e32 vcc, s20, v1
	s_and_saveexec_b64 s[10:11], vcc
	s_cbranch_execz .LBB484_4
; %bb.1:
	s_load_dword s16, s[18:19], 0xc
	s_lshl_b64 s[18:19], s[8:9], 2
	v_lshlrev_b32_e32 v2, 5, v0
	v_mov_b32_e32 v3, 0
	s_waitcnt lgkmcnt(0)
	s_and_b32 s16, s16, 0xffff
	s_lshl_b32 s21, s16, 3
	s_add_u32 s18, s6, s18
	s_addc_u32 s19, s7, s19
	v_lshl_add_u64 v[4:5], s[18:19], 0, v[2:3]
	s_lshl_b32 s16, s16, 5
	v_lshl_add_u64 v[4:5], v[4:5], 0, 28
	s_mov_b64 s[18:19], 0
.LBB484_2:                              ; =>This Inner Loop Header: Depth=1
	global_load_dwordx4 v[6:9], v[4:5], off offset:-28
	global_load_dwordx4 v[10:13], v[4:5], off offset:-12
	v_add_u32_e32 v1, s21, v1
	v_cmp_le_i32_e32 vcc, s20, v1
	v_lshl_add_u64 v[4:5], v[4:5], 0, s[16:17]
	s_or_b64 s[18:19], vcc, s[18:19]
	s_waitcnt vmcnt(1)
	v_add_f32_e32 v2, v3, v6
	v_add_f32_e32 v2, v2, v7
	;; [unrolled: 1-line block ×4, first 2 shown]
	s_waitcnt vmcnt(0)
	v_add_f32_e32 v2, v2, v10
	v_add_f32_e32 v2, v2, v11
	;; [unrolled: 1-line block ×4, first 2 shown]
	s_andn2_b64 exec, exec, s[18:19]
	s_cbranch_execnz .LBB484_2
; %bb.3:
	s_or_b64 exec, exec, s[18:19]
.LBB484_4:
	s_or_b64 exec, exec, s[10:11]
	s_sub_i32 s10, s5, s20
	v_cmp_gt_u32_e32 vcc, s10, v0
	s_and_saveexec_b64 s[10:11], vcc
	s_cbranch_execz .LBB484_6
; %bb.5:
	s_lshl_b64 s[8:9], s[8:9], 2
	s_add_u32 s6, s6, s8
	s_addc_u32 s7, s7, s9
	v_xad_u32 v4, v0, -1, s5
	v_mov_b32_e32 v5, 0
	v_lshl_add_u64 v[4:5], v[4:5], 2, s[6:7]
	global_load_dword v1, v[4:5], off
	s_waitcnt vmcnt(0)
	v_add_f32_e32 v3, v3, v1
.LBB484_6:
	s_or_b64 exec, exec, s[10:11]
	v_and_b32_e32 v2, 63, v0
	v_cmp_gt_u32_e32 vcc, 64, v0
	v_lshlrev_b32_e32 v1, 2, v2
	s_and_saveexec_b64 s[6:7], vcc
	s_cbranch_execz .LBB484_8
; %bb.7:
	v_mov_b32_e32 v4, 0
	ds_write_b32 v1, v4
.LBB484_8:
	s_or_b64 exec, exec, s[6:7]
	v_mbcnt_lo_u32_b32 v4, -1, 0
	v_mbcnt_hi_u32_b32 v4, -1, v4
	v_and_b32_e32 v5, 63, v4
	v_cmp_gt_u32_e64 s[6:7], 32, v5
	s_waitcnt lgkmcnt(0)
	s_barrier
	v_cndmask_b32_e64 v6, 0, 1, s[6:7]
	v_lshlrev_b32_e32 v6, 5, v6
	v_add_lshl_u32 v6, v6, v4, 2
	ds_bpermute_b32 v6, v6, v3
	v_cmp_gt_u32_e64 s[6:7], 48, v5
	s_waitcnt lgkmcnt(0)
	v_add_f32_e32 v3, v3, v6
	v_cndmask_b32_e64 v7, 0, 1, s[6:7]
	v_lshlrev_b32_e32 v7, 4, v7
	v_add_lshl_u32 v6, v7, v4, 2
	ds_bpermute_b32 v6, v6, v3
	v_cmp_gt_u32_e64 s[6:7], 56, v5
	s_waitcnt lgkmcnt(0)
	v_add_f32_e32 v3, v3, v6
	;; [unrolled: 7-line block ×4, first 2 shown]
	v_cndmask_b32_e64 v7, 0, 1, s[6:7]
	v_lshlrev_b32_e32 v7, 1, v7
	v_add_lshl_u32 v3, v7, v4, 2
	ds_bpermute_b32 v7, v3, v6
	v_cmp_ne_u32_e64 s[6:7], 63, v5
	s_waitcnt lgkmcnt(0)
	v_add_f32_e32 v5, v6, v7
	v_addc_co_u32_e64 v4, s[6:7], 0, v4, s[6:7]
	v_lshlrev_b32_e32 v4, 2, v4
	ds_bpermute_b32 v6, v4, v5
	v_cmp_eq_u32_e64 s[6:7], 0, v2
	s_and_saveexec_b64 s[8:9], s[6:7]
	s_cbranch_execz .LBB484_10
; %bb.9:
	v_lshrrev_b32_e32 v2, 4, v0
	v_and_b32_e32 v2, 12, v2
	s_waitcnt lgkmcnt(0)
	v_add_f32_e32 v5, v5, v6
	ds_write_b32 v2, v5
.LBB484_10:
	s_or_b64 exec, exec, s[8:9]
	v_cmp_gt_u32_e64 s[6:7], 4, v0
	v_mov_b32_e32 v2, 0
	s_waitcnt lgkmcnt(0)
	s_barrier
	s_and_saveexec_b64 s[8:9], s[6:7]
	s_cbranch_execnz .LBB484_14
; %bb.11:
	s_or_b64 exec, exec, s[8:9]
	s_and_saveexec_b64 s[6:7], vcc
	s_cbranch_execnz .LBB484_15
.LBB484_12:
	s_or_b64 exec, exec, s[6:7]
	v_cmp_eq_u32_e32 vcc, 0, v0
	s_and_saveexec_b64 s[6:7], vcc
	s_cbranch_execnz .LBB484_16
.LBB484_13:
	s_endpgm
.LBB484_14:
	ds_read_b32 v2, v1
	s_or_b64 exec, exec, s[8:9]
	s_and_saveexec_b64 s[6:7], vcc
	s_cbranch_execz .LBB484_12
.LBB484_15:
	s_waitcnt lgkmcnt(0)
	ds_bpermute_b32 v1, v3, v2
	s_waitcnt lgkmcnt(0)
	v_add_f32_e32 v1, v2, v1
	ds_bpermute_b32 v2, v4, v1
	s_waitcnt lgkmcnt(0)
	v_add_f32_e32 v2, v1, v2
	s_or_b64 exec, exec, s[6:7]
	v_cmp_eq_u32_e32 vcc, 0, v0
	s_and_saveexec_b64 s[6:7], vcc
	s_cbranch_execz .LBB484_13
.LBB484_16:
	s_load_dword s8, s[0:1], 0x28
	s_load_dwordx2 s[6:7], s[0:1], 0x30
	s_waitcnt lgkmcnt(0)
	s_ashr_i32 s9, s8, 31
	s_mul_i32 s1, s4, s7
	s_mul_hi_u32 s5, s4, s6
	s_mul_i32 s0, s4, s6
	s_add_i32 s1, s5, s1
	s_lshl_b64 s[0:1], s[0:1], 2
	s_add_u32 s4, s12, s0
	s_addc_u32 s5, s13, s1
	s_lshl_b64 s[0:1], s[14:15], 2
	s_add_u32 s4, s4, s0
	v_cmp_eq_f32_e64 s[6:7], s2, 0
	s_mul_hi_u32 s0, s8, s3
	s_mul_i32 s9, s9, s3
	s_addc_u32 s5, s5, s1
	s_add_i32 s1, s0, s9
	s_mul_i32 s0, s8, s3
	s_and_b64 vcc, exec, s[6:7]
	s_cbranch_vccnz .LBB484_18
; %bb.17:
	s_lshl_b64 s[6:7], s[0:1], 2
	s_add_u32 s6, s4, s6
	s_addc_u32 s7, s5, s7
	s_load_dword s3, s[6:7], 0x0
	s_waitcnt lgkmcnt(0)
	v_mov_b32_e32 v0, s3
	v_fmac_f32_e32 v2, s2, v0
.LBB484_18:
	s_lshl_b64 s[0:1], s[0:1], 2
	s_add_u32 s0, s4, s0
	s_addc_u32 s1, s5, s1
	v_mov_b32_e32 v0, 0
	global_store_dword v0, v2, s[0:1]
	s_endpgm
	.section	.rodata,"a",@progbits
	.p2align	6, 0x0
	.amdhsa_kernel _ZL23rocblas_gemvt_sn_reduceILi256ELi8EfPKffEviT2_lPT3_lilPT1_i
		.amdhsa_group_segment_fixed_size 256
		.amdhsa_private_segment_fixed_size 0
		.amdhsa_kernarg_size 328
		.amdhsa_user_sgpr_count 2
		.amdhsa_user_sgpr_dispatch_ptr 0
		.amdhsa_user_sgpr_queue_ptr 0
		.amdhsa_user_sgpr_kernarg_segment_ptr 1
		.amdhsa_user_sgpr_dispatch_id 0
		.amdhsa_user_sgpr_kernarg_preload_length 0
		.amdhsa_user_sgpr_kernarg_preload_offset 0
		.amdhsa_user_sgpr_private_segment_size 0
		.amdhsa_uses_dynamic_stack 0
		.amdhsa_enable_private_segment 0
		.amdhsa_system_sgpr_workgroup_id_x 1
		.amdhsa_system_sgpr_workgroup_id_y 1
		.amdhsa_system_sgpr_workgroup_id_z 1
		.amdhsa_system_sgpr_workgroup_info 0
		.amdhsa_system_vgpr_workitem_id 0
		.amdhsa_next_free_vgpr 14
		.amdhsa_next_free_sgpr 22
		.amdhsa_accum_offset 16
		.amdhsa_reserve_vcc 1
		.amdhsa_float_round_mode_32 0
		.amdhsa_float_round_mode_16_64 0
		.amdhsa_float_denorm_mode_32 3
		.amdhsa_float_denorm_mode_16_64 3
		.amdhsa_dx10_clamp 1
		.amdhsa_ieee_mode 1
		.amdhsa_fp16_overflow 0
		.amdhsa_tg_split 0
		.amdhsa_exception_fp_ieee_invalid_op 0
		.amdhsa_exception_fp_denorm_src 0
		.amdhsa_exception_fp_ieee_div_zero 0
		.amdhsa_exception_fp_ieee_overflow 0
		.amdhsa_exception_fp_ieee_underflow 0
		.amdhsa_exception_fp_ieee_inexact 0
		.amdhsa_exception_int_div_zero 0
	.end_amdhsa_kernel
	.section	.text._ZL23rocblas_gemvt_sn_reduceILi256ELi8EfPKffEviT2_lPT3_lilPT1_i,"axG",@progbits,_ZL23rocblas_gemvt_sn_reduceILi256ELi8EfPKffEviT2_lPT3_lilPT1_i,comdat
.Lfunc_end484:
	.size	_ZL23rocblas_gemvt_sn_reduceILi256ELi8EfPKffEviT2_lPT3_lilPT1_i, .Lfunc_end484-_ZL23rocblas_gemvt_sn_reduceILi256ELi8EfPKffEviT2_lPT3_lilPT1_i
                                        ; -- End function
	.section	.AMDGPU.csdata,"",@progbits
; Kernel info:
; codeLenInByte = 1024
; NumSgprs: 28
; NumVgprs: 14
; NumAgprs: 0
; TotalNumVgprs: 14
; ScratchSize: 0
; MemoryBound: 0
; FloatMode: 240
; IeeeMode: 1
; LDSByteSize: 256 bytes/workgroup (compile time only)
; SGPRBlocks: 3
; VGPRBlocks: 1
; NumSGPRsForWavesPerEU: 28
; NumVGPRsForWavesPerEU: 14
; AccumOffset: 16
; Occupancy: 8
; WaveLimiterHint : 0
; COMPUTE_PGM_RSRC2:SCRATCH_EN: 0
; COMPUTE_PGM_RSRC2:USER_SGPR: 2
; COMPUTE_PGM_RSRC2:TRAP_HANDLER: 0
; COMPUTE_PGM_RSRC2:TGID_X_EN: 1
; COMPUTE_PGM_RSRC2:TGID_Y_EN: 1
; COMPUTE_PGM_RSRC2:TGID_Z_EN: 1
; COMPUTE_PGM_RSRC2:TIDIG_COMP_CNT: 0
; COMPUTE_PGM_RSRC3_GFX90A:ACCUM_OFFSET: 3
; COMPUTE_PGM_RSRC3_GFX90A:TG_SPLIT: 0
	.section	.text._ZL23rocblas_gemvt_sn_reduceILi256ELi8EfffEviT2_lPT3_lilPT1_i,"axG",@progbits,_ZL23rocblas_gemvt_sn_reduceILi256ELi8EfffEviT2_lPT3_lilPT1_i,comdat
	.globl	_ZL23rocblas_gemvt_sn_reduceILi256ELi8EfffEviT2_lPT3_lilPT1_i ; -- Begin function _ZL23rocblas_gemvt_sn_reduceILi256ELi8EfffEviT2_lPT3_lilPT1_i
	.p2align	8
	.type	_ZL23rocblas_gemvt_sn_reduceILi256ELi8EfffEviT2_lPT3_lilPT1_i,@function
_ZL23rocblas_gemvt_sn_reduceILi256ELi8EfffEviT2_lPT3_lilPT1_i: ; @_ZL23rocblas_gemvt_sn_reduceILi256ELi8EfffEviT2_lPT3_lilPT1_i
; %bb.0:
	s_load_dwordx2 s[8:9], s[0:1], 0x0
	s_load_dword s2, s[0:1], 0x44
	s_load_dwordx2 s[6:7], s[0:1], 0x30
	v_lshlrev_b32_e32 v1, 3, v0
	v_mov_b32_e32 v3, 0
	s_waitcnt lgkmcnt(0)
	s_ashr_i32 s5, s8, 31
	s_add_u32 s14, s0, 64
	s_mul_i32 s2, s2, s4
	s_addc_u32 s15, s1, 0
	s_add_i32 s2, s2, s3
	s_mul_i32 s10, s2, s5
	s_mul_hi_u32 s11, s2, s8
	s_add_i32 s11, s11, s10
	s_mul_i32 s10, s2, s8
	s_lshr_b32 s2, s5, 29
	s_add_i32 s2, s8, s2
	s_and_b32 s2, s2, -8
	v_cmp_gt_i32_e32 vcc, s2, v1
	s_and_saveexec_b64 s[12:13], vcc
	s_cbranch_execz .LBB485_4
; %bb.1:
	s_load_dword s5, s[14:15], 0xc
	s_lshl_b64 s[16:17], s[10:11], 2
	v_lshlrev_b32_e32 v2, 5, v0
	v_mov_b32_e32 v3, 0
	s_mov_b32 s15, 0
	s_waitcnt lgkmcnt(0)
	s_and_b32 s14, s5, 0xffff
	s_lshl_b32 s5, s14, 3
	s_add_u32 s16, s6, s16
	s_addc_u32 s17, s7, s17
	v_lshl_add_u64 v[4:5], s[16:17], 0, v[2:3]
	v_lshl_add_u64 v[4:5], v[4:5], 0, 28
	s_lshl_b32 s14, s14, 5
	s_mov_b64 s[16:17], 0
.LBB485_2:                              ; =>This Inner Loop Header: Depth=1
	global_load_dwordx4 v[6:9], v[4:5], off offset:-28
	global_load_dwordx4 v[10:13], v[4:5], off offset:-12
	v_add_u32_e32 v1, s5, v1
	v_cmp_le_i32_e32 vcc, s2, v1
	v_lshl_add_u64 v[4:5], v[4:5], 0, s[14:15]
	s_or_b64 s[16:17], vcc, s[16:17]
	s_waitcnt vmcnt(1)
	v_add_f32_e32 v2, v3, v6
	v_add_f32_e32 v2, v2, v7
	;; [unrolled: 1-line block ×4, first 2 shown]
	s_waitcnt vmcnt(0)
	v_add_f32_e32 v2, v2, v10
	v_add_f32_e32 v2, v2, v11
	;; [unrolled: 1-line block ×4, first 2 shown]
	s_andn2_b64 exec, exec, s[16:17]
	s_cbranch_execnz .LBB485_2
; %bb.3:
	s_or_b64 exec, exec, s[16:17]
.LBB485_4:
	s_or_b64 exec, exec, s[12:13]
	s_sub_i32 s2, s8, s2
	v_cmp_gt_u32_e32 vcc, s2, v0
	s_and_saveexec_b64 s[12:13], vcc
	s_cbranch_execz .LBB485_6
; %bb.5:
	s_lshl_b64 s[10:11], s[10:11], 2
	s_add_u32 s6, s6, s10
	s_addc_u32 s7, s7, s11
	v_xad_u32 v4, v0, -1, s8
	v_mov_b32_e32 v5, 0
	v_lshl_add_u64 v[4:5], v[4:5], 2, s[6:7]
	global_load_dword v1, v[4:5], off
	s_waitcnt vmcnt(0)
	v_add_f32_e32 v3, v3, v1
.LBB485_6:
	s_or_b64 exec, exec, s[12:13]
	v_and_b32_e32 v2, 63, v0
	v_cmp_gt_u32_e32 vcc, 64, v0
	v_lshlrev_b32_e32 v1, 2, v2
	s_and_saveexec_b64 s[6:7], vcc
	s_cbranch_execz .LBB485_8
; %bb.7:
	v_mov_b32_e32 v4, 0
	ds_write_b32 v1, v4
.LBB485_8:
	s_or_b64 exec, exec, s[6:7]
	v_mbcnt_lo_u32_b32 v4, -1, 0
	v_mbcnt_hi_u32_b32 v4, -1, v4
	v_and_b32_e32 v5, 63, v4
	v_cmp_gt_u32_e64 s[6:7], 32, v5
	s_waitcnt lgkmcnt(0)
	s_barrier
	v_cndmask_b32_e64 v6, 0, 1, s[6:7]
	v_lshlrev_b32_e32 v6, 5, v6
	v_add_lshl_u32 v6, v6, v4, 2
	ds_bpermute_b32 v6, v6, v3
	v_cmp_gt_u32_e64 s[6:7], 48, v5
	s_waitcnt lgkmcnt(0)
	v_add_f32_e32 v3, v3, v6
	v_cndmask_b32_e64 v7, 0, 1, s[6:7]
	v_lshlrev_b32_e32 v7, 4, v7
	v_add_lshl_u32 v6, v7, v4, 2
	ds_bpermute_b32 v6, v6, v3
	v_cmp_gt_u32_e64 s[6:7], 56, v5
	s_waitcnt lgkmcnt(0)
	v_add_f32_e32 v3, v3, v6
	v_cndmask_b32_e64 v7, 0, 1, s[6:7]
	v_lshlrev_b32_e32 v7, 3, v7
	v_add_lshl_u32 v6, v7, v4, 2
	ds_bpermute_b32 v6, v6, v3
	v_cmp_gt_u32_e64 s[6:7], 60, v5
	s_waitcnt lgkmcnt(0)
	v_add_f32_e32 v3, v3, v6
	v_cndmask_b32_e64 v7, 0, 1, s[6:7]
	v_lshlrev_b32_e32 v7, 2, v7
	v_add_lshl_u32 v6, v7, v4, 2
	ds_bpermute_b32 v6, v6, v3
	v_cmp_gt_u32_e64 s[6:7], 62, v5
	s_waitcnt lgkmcnt(0)
	v_add_f32_e32 v6, v3, v6
	v_cndmask_b32_e64 v7, 0, 1, s[6:7]
	v_lshlrev_b32_e32 v7, 1, v7
	v_add_lshl_u32 v3, v7, v4, 2
	ds_bpermute_b32 v7, v3, v6
	v_cmp_ne_u32_e64 s[6:7], 63, v5
	s_waitcnt lgkmcnt(0)
	v_add_f32_e32 v5, v6, v7
	v_addc_co_u32_e64 v4, s[6:7], 0, v4, s[6:7]
	v_lshlrev_b32_e32 v4, 2, v4
	ds_bpermute_b32 v6, v4, v5
	v_cmp_eq_u32_e64 s[6:7], 0, v2
	s_and_saveexec_b64 s[10:11], s[6:7]
	s_cbranch_execz .LBB485_10
; %bb.9:
	v_lshrrev_b32_e32 v2, 4, v0
	v_and_b32_e32 v2, 12, v2
	s_waitcnt lgkmcnt(0)
	v_add_f32_e32 v5, v5, v6
	ds_write_b32 v2, v5
.LBB485_10:
	s_or_b64 exec, exec, s[10:11]
	v_cmp_gt_u32_e64 s[6:7], 4, v0
	v_mov_b32_e32 v2, 0
	s_waitcnt lgkmcnt(0)
	s_barrier
	s_and_saveexec_b64 s[10:11], s[6:7]
	s_cbranch_execnz .LBB485_14
; %bb.11:
	s_or_b64 exec, exec, s[10:11]
	s_and_saveexec_b64 s[6:7], vcc
	s_cbranch_execnz .LBB485_15
.LBB485_12:
	s_or_b64 exec, exec, s[6:7]
	v_cmp_eq_u32_e32 vcc, 0, v0
	s_and_saveexec_b64 s[6:7], vcc
	s_cbranch_execnz .LBB485_16
.LBB485_13:
	s_endpgm
.LBB485_14:
	ds_read_b32 v2, v1
	s_or_b64 exec, exec, s[10:11]
	s_and_saveexec_b64 s[6:7], vcc
	s_cbranch_execz .LBB485_12
.LBB485_15:
	s_waitcnt lgkmcnt(0)
	ds_bpermute_b32 v1, v3, v2
	s_waitcnt lgkmcnt(0)
	v_add_f32_e32 v1, v2, v1
	ds_bpermute_b32 v2, v4, v1
	s_waitcnt lgkmcnt(0)
	v_add_f32_e32 v2, v1, v2
	s_or_b64 exec, exec, s[6:7]
	v_cmp_eq_u32_e32 vcc, 0, v0
	s_and_saveexec_b64 s[6:7], vcc
	s_cbranch_execz .LBB485_13
.LBB485_16:
	s_load_dword s5, s[0:1], 0x20
	s_load_dwordx2 s[6:7], s[0:1], 0x28
	s_load_dwordx4 s[12:15], s[0:1], 0x10
	s_waitcnt lgkmcnt(0)
	s_ashr_i32 s8, s5, 31
	s_mul_i32 s0, s4, s7
	s_mul_hi_u32 s1, s4, s6
	s_add_i32 s1, s1, s0
	s_mul_i32 s0, s4, s6
	s_lshl_b64 s[0:1], s[0:1], 2
	s_add_u32 s2, s12, s0
	s_addc_u32 s4, s13, s1
	s_lshl_b64 s[0:1], s[14:15], 2
	s_add_u32 s2, s2, s0
	v_cmp_eq_f32_e64 s[6:7], s9, 0
	s_mul_hi_u32 s0, s5, s3
	s_mul_i32 s8, s8, s3
	s_addc_u32 s4, s4, s1
	s_add_i32 s1, s0, s8
	s_mul_i32 s0, s5, s3
	s_and_b64 vcc, exec, s[6:7]
	s_cbranch_vccnz .LBB485_18
; %bb.17:
	s_lshl_b64 s[6:7], s[0:1], 2
	s_add_u32 s6, s2, s6
	s_addc_u32 s7, s4, s7
	s_load_dword s3, s[6:7], 0x0
	v_mov_b32_e32 v0, s9
	s_waitcnt lgkmcnt(0)
	v_fmac_f32_e32 v2, s3, v0
.LBB485_18:
	s_lshl_b64 s[0:1], s[0:1], 2
	s_add_u32 s0, s2, s0
	s_addc_u32 s1, s4, s1
	v_mov_b32_e32 v0, 0
	global_store_dword v0, v2, s[0:1]
	s_endpgm
	.section	.rodata,"a",@progbits
	.p2align	6, 0x0
	.amdhsa_kernel _ZL23rocblas_gemvt_sn_reduceILi256ELi8EfffEviT2_lPT3_lilPT1_i
		.amdhsa_group_segment_fixed_size 256
		.amdhsa_private_segment_fixed_size 0
		.amdhsa_kernarg_size 320
		.amdhsa_user_sgpr_count 2
		.amdhsa_user_sgpr_dispatch_ptr 0
		.amdhsa_user_sgpr_queue_ptr 0
		.amdhsa_user_sgpr_kernarg_segment_ptr 1
		.amdhsa_user_sgpr_dispatch_id 0
		.amdhsa_user_sgpr_kernarg_preload_length 0
		.amdhsa_user_sgpr_kernarg_preload_offset 0
		.amdhsa_user_sgpr_private_segment_size 0
		.amdhsa_uses_dynamic_stack 0
		.amdhsa_enable_private_segment 0
		.amdhsa_system_sgpr_workgroup_id_x 1
		.amdhsa_system_sgpr_workgroup_id_y 1
		.amdhsa_system_sgpr_workgroup_id_z 1
		.amdhsa_system_sgpr_workgroup_info 0
		.amdhsa_system_vgpr_workitem_id 0
		.amdhsa_next_free_vgpr 14
		.amdhsa_next_free_sgpr 18
		.amdhsa_accum_offset 16
		.amdhsa_reserve_vcc 1
		.amdhsa_float_round_mode_32 0
		.amdhsa_float_round_mode_16_64 0
		.amdhsa_float_denorm_mode_32 3
		.amdhsa_float_denorm_mode_16_64 3
		.amdhsa_dx10_clamp 1
		.amdhsa_ieee_mode 1
		.amdhsa_fp16_overflow 0
		.amdhsa_tg_split 0
		.amdhsa_exception_fp_ieee_invalid_op 0
		.amdhsa_exception_fp_denorm_src 0
		.amdhsa_exception_fp_ieee_div_zero 0
		.amdhsa_exception_fp_ieee_overflow 0
		.amdhsa_exception_fp_ieee_underflow 0
		.amdhsa_exception_fp_ieee_inexact 0
		.amdhsa_exception_int_div_zero 0
	.end_amdhsa_kernel
	.section	.text._ZL23rocblas_gemvt_sn_reduceILi256ELi8EfffEviT2_lPT3_lilPT1_i,"axG",@progbits,_ZL23rocblas_gemvt_sn_reduceILi256ELi8EfffEviT2_lPT3_lilPT1_i,comdat
.Lfunc_end485:
	.size	_ZL23rocblas_gemvt_sn_reduceILi256ELi8EfffEviT2_lPT3_lilPT1_i, .Lfunc_end485-_ZL23rocblas_gemvt_sn_reduceILi256ELi8EfffEviT2_lPT3_lilPT1_i
                                        ; -- End function
	.section	.AMDGPU.csdata,"",@progbits
; Kernel info:
; codeLenInByte = 980
; NumSgprs: 24
; NumVgprs: 14
; NumAgprs: 0
; TotalNumVgprs: 14
; ScratchSize: 0
; MemoryBound: 0
; FloatMode: 240
; IeeeMode: 1
; LDSByteSize: 256 bytes/workgroup (compile time only)
; SGPRBlocks: 2
; VGPRBlocks: 1
; NumSGPRsForWavesPerEU: 24
; NumVGPRsForWavesPerEU: 14
; AccumOffset: 16
; Occupancy: 8
; WaveLimiterHint : 0
; COMPUTE_PGM_RSRC2:SCRATCH_EN: 0
; COMPUTE_PGM_RSRC2:USER_SGPR: 2
; COMPUTE_PGM_RSRC2:TRAP_HANDLER: 0
; COMPUTE_PGM_RSRC2:TGID_X_EN: 1
; COMPUTE_PGM_RSRC2:TGID_Y_EN: 1
; COMPUTE_PGM_RSRC2:TGID_Z_EN: 1
; COMPUTE_PGM_RSRC2:TIDIG_COMP_CNT: 0
; COMPUTE_PGM_RSRC3_GFX90A:ACCUM_OFFSET: 3
; COMPUTE_PGM_RSRC3_GFX90A:TG_SPLIT: 0
	.section	.text._ZL32rocblas_gemvt_warp_reduce_kernelILb0ELi256EiDF16_PKffEviiT3_lPKT2_lT1_lS5_lS6_lS2_lPT4_lS6_li,"axG",@progbits,_ZL32rocblas_gemvt_warp_reduce_kernelILb0ELi256EiDF16_PKffEviiT3_lPKT2_lT1_lS5_lS6_lS2_lPT4_lS6_li,comdat
	.globl	_ZL32rocblas_gemvt_warp_reduce_kernelILb0ELi256EiDF16_PKffEviiT3_lPKT2_lT1_lS5_lS6_lS2_lPT4_lS6_li ; -- Begin function _ZL32rocblas_gemvt_warp_reduce_kernelILb0ELi256EiDF16_PKffEviiT3_lPKT2_lT1_lS5_lS6_lS2_lPT4_lS6_li
	.p2align	8
	.type	_ZL32rocblas_gemvt_warp_reduce_kernelILb0ELi256EiDF16_PKffEviiT3_lPKT2_lT1_lS5_lS6_lS2_lPT4_lS6_li,@function
_ZL32rocblas_gemvt_warp_reduce_kernelILb0ELi256EiDF16_PKffEviiT3_lPKT2_lT1_lS5_lS6_lS2_lPT4_lS6_li: ; @_ZL32rocblas_gemvt_warp_reduce_kernelILb0ELi256EiDF16_PKffEviiT3_lPKT2_lT1_lS5_lS6_lS2_lPT4_lS6_li
; %bb.0:
	s_load_dwordx8 s[4:11], s[0:1], 0x8
	s_load_dwordx8 s[12:19], s[0:1], 0x50
	s_waitcnt lgkmcnt(0)
	s_mul_i32 s7, s3, s7
	s_mul_hi_u32 s20, s3, s6
	s_add_i32 s7, s20, s7
	s_mul_i32 s6, s3, s6
	s_lshl_b64 s[6:7], s[6:7], 2
	s_add_u32 s4, s4, s6
	s_addc_u32 s5, s5, s7
	s_load_dword s23, s[4:5], 0x0
	s_mul_i32 s4, s3, s17
	s_mul_hi_u32 s5, s3, s16
	s_add_i32 s5, s5, s4
	s_mul_i32 s4, s3, s16
	s_lshl_b64 s[4:5], s[4:5], 2
	s_add_u32 s4, s14, s4
	s_addc_u32 s5, s15, s5
	s_load_dword s22, s[4:5], 0x0
	s_waitcnt lgkmcnt(0)
	v_cmp_eq_f32_e64 s[4:5], s23, 0
	v_cmp_eq_f32_e64 s[6:7], s22, 1.0
	s_and_b64 s[4:5], s[4:5], s[6:7]
	s_and_b64 vcc, exec, s[4:5]
	s_cbranch_vccnz .LBB486_29
; %bb.1:
	s_load_dwordx2 s[4:5], s[0:1], 0x80
	s_load_dwordx2 s[6:7], s[0:1], 0x70
	s_load_dword s24, s[0:1], 0x78
	s_waitcnt lgkmcnt(0)
	s_mul_i32 s5, s3, s5
	s_mul_hi_u32 s14, s3, s4
	s_mul_i32 s4, s3, s4
	s_add_i32 s5, s14, s5
	s_lshl_b64 s[4:5], s[4:5], 2
	s_add_u32 s14, s18, s4
	s_addc_u32 s15, s19, s5
	s_lshl_b64 s[4:5], s[6:7], 2
	s_add_u32 s20, s14, s4
	s_addc_u32 s21, s15, s5
	v_cmp_neq_f32_e64 s[4:5], s23, 0
	s_and_b64 vcc, exec, s[4:5]
	v_cmp_eq_u32_e64 s[4:5], 0, v0
	s_cbranch_vccnz .LBB486_6
; %bb.2:
	s_mov_b64 s[16:17], 0
	s_mov_b64 s[6:7], 0
                                        ; implicit-def: $vgpr1
                                        ; implicit-def: $sgpr14_sgpr15
	s_and_saveexec_b64 s[18:19], s[4:5]
	s_cbranch_execz .LBB486_7
; %bb.3:
	v_cmp_eq_f32_e64 s[4:5], s22, 0
	s_mul_i32 s14, s2, s24
	v_mov_b32_e32 v1, 0
	s_ashr_i32 s15, s14, 31
	s_and_b64 vcc, exec, s[4:5]
	s_cbranch_vccnz .LBB486_5
; %bb.4:
	s_lshl_b64 s[4:5], s[14:15], 2
	s_add_u32 s4, s20, s4
	s_addc_u32 s5, s21, s5
	s_load_dword s4, s[4:5], 0x0
	s_waitcnt lgkmcnt(0)
	v_mov_b32_e32 v1, s4
	v_mul_f32_e32 v1, s22, v1
.LBB486_5:
	s_mov_b64 s[6:7], exec
	s_or_b64 exec, exec, s[18:19]
	s_and_b64 vcc, exec, s[16:17]
	s_cbranch_vccnz .LBB486_8
	s_branch .LBB486_27
.LBB486_6:
	s_mov_b64 s[6:7], 0
                                        ; implicit-def: $vgpr1
                                        ; implicit-def: $sgpr14_sgpr15
	s_cbranch_execnz .LBB486_8
	s_branch .LBB486_27
.LBB486_7:
	s_or_b64 exec, exec, s[18:19]
	s_and_b64 vcc, exec, s[16:17]
	s_cbranch_vccz .LBB486_27
.LBB486_8:
	s_load_dword s14, s[0:1], 0x0
	s_load_dword s25, s[0:1], 0x28
	s_load_dwordx4 s[16:19], s[0:1], 0x30
	s_load_dwordx2 s[4:5], s[0:1], 0x40
	s_mul_i32 s13, s3, s13
	s_mul_hi_u32 s15, s3, s12
	s_add_i32 s13, s15, s13
	s_mul_i32 s12, s3, s12
	s_lshl_b64 s[12:13], s[12:13], 1
	s_waitcnt lgkmcnt(0)
	s_add_u32 s12, s18, s12
	s_addc_u32 s13, s19, s13
	s_lshl_b64 s[4:5], s[4:5], 1
	s_add_u32 s4, s12, s4
	s_load_dword s15, s[0:1], 0x48
	s_mul_i32 s0, s3, s17
	s_mul_hi_u32 s1, s3, s16
	s_addc_u32 s5, s13, s5
	s_add_i32 s1, s1, s0
	s_mul_i32 s0, s3, s16
	s_lshl_b64 s[0:1], s[0:1], 1
	s_add_u32 s3, s8, s0
	s_addc_u32 s8, s9, s1
	s_lshl_b64 s[0:1], s[10:11], 1
	s_add_u32 s3, s3, s0
	s_mul_i32 s0, s2, s25
	s_addc_u32 s8, s8, s1
	s_ashr_i32 s1, s0, 31
	v_cmp_gt_i32_e32 vcc, s14, v0
	s_lshl_b64 s[0:1], s[0:1], 1
	s_add_u32 s0, s0, s3
	v_cndmask_b32_e32 v1, 0, v0, vcc
	v_lshlrev_b32_e32 v2, 1, v1
	v_mov_b32_e32 v3, 0
	s_addc_u32 s1, s1, s8
	v_lshl_add_u64 v[4:5], s[0:1], 0, v[2:3]
	s_ashr_i32 s0, s14, 31
	s_lshr_b32 s0, s0, 24
	s_add_i32 s0, s14, s0
	s_and_b32 s0, s0, 0xffffff00
	v_cmp_gt_i32_e32 vcc, s0, v0
	s_and_saveexec_b64 s[8:9], vcc
	s_cbranch_execz .LBB486_12
; %bb.9:
	s_waitcnt lgkmcnt(0)
	v_mul_lo_u32 v6, v0, s15
	s_lshl_b32 s1, s15, 8
	s_mov_b64 s[10:11], 0
	v_mov_b32_e32 v3, 0
	s_mov_b64 s[12:13], 0x200
	v_mov_b64_e32 v[8:9], v[4:5]
	v_mov_b32_e32 v1, v0
.LBB486_10:                             ; =>This Inner Loop Header: Depth=1
	v_ashrrev_i32_e32 v7, 31, v6
	v_lshl_add_u64 v[10:11], v[6:7], 1, s[4:5]
	global_load_ushort v2, v[8:9], off
	global_load_ushort v7, v[10:11], off
	v_add_u32_e32 v1, 0x100, v1
	v_cmp_le_i32_e32 vcc, s0, v1
	v_lshl_add_u64 v[8:9], v[8:9], 0, s[12:13]
	v_add_u32_e32 v6, s1, v6
	s_or_b64 s[10:11], vcc, s[10:11]
	s_waitcnt vmcnt(0)
	v_mul_f16_e32 v2, v2, v7
	v_cvt_f32_f16_e32 v2, v2
	v_add_f32_e32 v3, v3, v2
	s_andn2_b64 exec, exec, s[10:11]
	s_cbranch_execnz .LBB486_10
; %bb.11:
	s_or_b64 exec, exec, s[10:11]
.LBB486_12:
	s_or_b64 exec, exec, s[8:9]
	v_add_u32_e32 v1, s0, v0
	v_cmp_gt_i32_e32 vcc, s14, v1
	s_and_saveexec_b64 s[8:9], vcc
	s_cbranch_execz .LBB486_14
; %bb.13:
	s_ashr_i32 s1, s0, 31
	v_lshl_add_u64 v[4:5], s[0:1], 1, v[4:5]
	global_load_ushort v2, v[4:5], off
	s_waitcnt lgkmcnt(0)
	v_mul_lo_u32 v4, v1, s15
	v_ashrrev_i32_e32 v5, 31, v4
	v_lshl_add_u64 v[4:5], v[4:5], 1, s[4:5]
	global_load_ushort v1, v[4:5], off
	s_waitcnt vmcnt(0)
	v_mul_f16_e32 v1, v2, v1
	v_cvt_f32_f16_e32 v1, v1
	v_add_f32_e32 v3, v3, v1
.LBB486_14:
	s_or_b64 exec, exec, s[8:9]
	v_and_b32_e32 v2, 63, v0
	v_cmp_gt_u32_e32 vcc, 64, v0
	v_lshlrev_b32_e32 v1, 2, v2
	s_and_saveexec_b64 s[0:1], vcc
	s_cbranch_execz .LBB486_16
; %bb.15:
	v_mov_b32_e32 v4, 0
	ds_write_b32 v1, v4
.LBB486_16:
	s_or_b64 exec, exec, s[0:1]
	v_mbcnt_lo_u32_b32 v4, -1, 0
	v_mbcnt_hi_u32_b32 v4, -1, v4
	v_and_b32_e32 v5, 63, v4
	v_cmp_gt_u32_e64 s[0:1], 32, v5
	s_waitcnt lgkmcnt(0)
	s_barrier
	v_cndmask_b32_e64 v6, 0, 1, s[0:1]
	v_lshlrev_b32_e32 v6, 5, v6
	v_add_lshl_u32 v6, v6, v4, 2
	ds_bpermute_b32 v6, v6, v3
	v_cmp_gt_u32_e64 s[0:1], 48, v5
	s_waitcnt lgkmcnt(0)
	v_add_f32_e32 v3, v3, v6
	v_cndmask_b32_e64 v7, 0, 1, s[0:1]
	v_lshlrev_b32_e32 v7, 4, v7
	v_add_lshl_u32 v6, v7, v4, 2
	ds_bpermute_b32 v6, v6, v3
	v_cmp_gt_u32_e64 s[0:1], 56, v5
	s_waitcnt lgkmcnt(0)
	v_add_f32_e32 v3, v3, v6
	v_cndmask_b32_e64 v7, 0, 1, s[0:1]
	v_lshlrev_b32_e32 v7, 3, v7
	v_add_lshl_u32 v6, v7, v4, 2
	ds_bpermute_b32 v6, v6, v3
	v_cmp_gt_u32_e64 s[0:1], 60, v5
	s_waitcnt lgkmcnt(0)
	v_add_f32_e32 v3, v3, v6
	v_cndmask_b32_e64 v7, 0, 1, s[0:1]
	v_lshlrev_b32_e32 v7, 2, v7
	v_add_lshl_u32 v6, v7, v4, 2
	ds_bpermute_b32 v6, v6, v3
	v_cmp_gt_u32_e64 s[0:1], 62, v5
	s_waitcnt lgkmcnt(0)
	v_add_f32_e32 v6, v3, v6
	v_cndmask_b32_e64 v7, 0, 1, s[0:1]
	v_lshlrev_b32_e32 v7, 1, v7
	v_add_lshl_u32 v3, v7, v4, 2
	ds_bpermute_b32 v7, v3, v6
	v_cmp_ne_u32_e64 s[0:1], 63, v5
	s_waitcnt lgkmcnt(0)
	v_add_f32_e32 v5, v6, v7
	v_addc_co_u32_e64 v4, s[0:1], 0, v4, s[0:1]
	v_lshlrev_b32_e32 v4, 2, v4
	ds_bpermute_b32 v6, v4, v5
	v_cmp_eq_u32_e64 s[0:1], 0, v2
	s_and_saveexec_b64 s[4:5], s[0:1]
	s_cbranch_execz .LBB486_18
; %bb.17:
	v_lshrrev_b32_e32 v2, 4, v0
	v_and_b32_e32 v2, 12, v2
	s_waitcnt lgkmcnt(0)
	v_add_f32_e32 v5, v5, v6
	ds_write_b32 v2, v5
.LBB486_18:
	s_or_b64 exec, exec, s[4:5]
	v_cmp_gt_u32_e64 s[0:1], 4, v0
	v_mov_b32_e32 v2, 0
	s_waitcnt lgkmcnt(0)
	s_barrier
	s_and_saveexec_b64 s[4:5], s[0:1]
	s_cbranch_execz .LBB486_20
; %bb.19:
	ds_read_b32 v2, v1
	s_or_b64 exec, exec, s[4:5]
	s_and_saveexec_b64 s[0:1], vcc
	s_cbranch_execz .LBB486_22
	s_branch .LBB486_21
.LBB486_20:
	s_or_b64 exec, exec, s[4:5]
	s_and_saveexec_b64 s[0:1], vcc
	s_cbranch_execz .LBB486_22
.LBB486_21:
	s_waitcnt lgkmcnt(0)
	ds_bpermute_b32 v1, v3, v2
	s_waitcnt lgkmcnt(0)
	v_add_f32_e32 v1, v2, v1
	ds_bpermute_b32 v2, v4, v1
	s_waitcnt lgkmcnt(0)
	v_add_f32_e32 v2, v1, v2
.LBB486_22:
	s_or_b64 exec, exec, s[0:1]
	v_cmp_eq_u32_e32 vcc, 0, v0
                                        ; implicit-def: $vgpr1
                                        ; implicit-def: $sgpr14_sgpr15
	s_and_saveexec_b64 s[0:1], vcc
	s_cbranch_execz .LBB486_26
; %bb.23:
	v_cmp_eq_f32_e64 s[4:5], s22, 0
	s_mul_i32 s14, s2, s24
	s_waitcnt lgkmcnt(0)
	v_mul_f32_e32 v1, s23, v2
	s_ashr_i32 s15, s14, 31
	s_and_b64 vcc, exec, s[4:5]
	s_cbranch_vccnz .LBB486_25
; %bb.24:
	s_lshl_b64 s[2:3], s[14:15], 2
	s_add_u32 s2, s20, s2
	s_addc_u32 s3, s21, s3
	s_load_dword s2, s[2:3], 0x0
	s_waitcnt lgkmcnt(0)
	v_mov_b32_e32 v0, s2
	v_fmac_f32_e32 v1, s22, v0
.LBB486_25:
	s_or_b64 s[6:7], s[6:7], exec
.LBB486_26:
	s_or_b64 exec, exec, s[0:1]
.LBB486_27:
	s_and_saveexec_b64 s[0:1], s[6:7]
	s_cbranch_execz .LBB486_29
; %bb.28:
	s_lshl_b64 s[0:1], s[14:15], 2
	s_add_u32 s0, s20, s0
	s_addc_u32 s1, s21, s1
	v_mov_b32_e32 v0, 0
	global_store_dword v0, v1, s[0:1]
.LBB486_29:
	s_endpgm
	.section	.rodata,"a",@progbits
	.p2align	6, 0x0
	.amdhsa_kernel _ZL32rocblas_gemvt_warp_reduce_kernelILb0ELi256EiDF16_PKffEviiT3_lPKT2_lT1_lS5_lS6_lS2_lPT4_lS6_li
		.amdhsa_group_segment_fixed_size 256
		.amdhsa_private_segment_fixed_size 0
		.amdhsa_kernarg_size 140
		.amdhsa_user_sgpr_count 2
		.amdhsa_user_sgpr_dispatch_ptr 0
		.amdhsa_user_sgpr_queue_ptr 0
		.amdhsa_user_sgpr_kernarg_segment_ptr 1
		.amdhsa_user_sgpr_dispatch_id 0
		.amdhsa_user_sgpr_kernarg_preload_length 0
		.amdhsa_user_sgpr_kernarg_preload_offset 0
		.amdhsa_user_sgpr_private_segment_size 0
		.amdhsa_uses_dynamic_stack 0
		.amdhsa_enable_private_segment 0
		.amdhsa_system_sgpr_workgroup_id_x 1
		.amdhsa_system_sgpr_workgroup_id_y 0
		.amdhsa_system_sgpr_workgroup_id_z 1
		.amdhsa_system_sgpr_workgroup_info 0
		.amdhsa_system_vgpr_workitem_id 0
		.amdhsa_next_free_vgpr 12
		.amdhsa_next_free_sgpr 26
		.amdhsa_accum_offset 12
		.amdhsa_reserve_vcc 1
		.amdhsa_float_round_mode_32 0
		.amdhsa_float_round_mode_16_64 0
		.amdhsa_float_denorm_mode_32 3
		.amdhsa_float_denorm_mode_16_64 3
		.amdhsa_dx10_clamp 1
		.amdhsa_ieee_mode 1
		.amdhsa_fp16_overflow 0
		.amdhsa_tg_split 0
		.amdhsa_exception_fp_ieee_invalid_op 0
		.amdhsa_exception_fp_denorm_src 0
		.amdhsa_exception_fp_ieee_div_zero 0
		.amdhsa_exception_fp_ieee_overflow 0
		.amdhsa_exception_fp_ieee_underflow 0
		.amdhsa_exception_fp_ieee_inexact 0
		.amdhsa_exception_int_div_zero 0
	.end_amdhsa_kernel
	.section	.text._ZL32rocblas_gemvt_warp_reduce_kernelILb0ELi256EiDF16_PKffEviiT3_lPKT2_lT1_lS5_lS6_lS2_lPT4_lS6_li,"axG",@progbits,_ZL32rocblas_gemvt_warp_reduce_kernelILb0ELi256EiDF16_PKffEviiT3_lPKT2_lT1_lS5_lS6_lS2_lPT4_lS6_li,comdat
.Lfunc_end486:
	.size	_ZL32rocblas_gemvt_warp_reduce_kernelILb0ELi256EiDF16_PKffEviiT3_lPKT2_lT1_lS5_lS6_lS2_lPT4_lS6_li, .Lfunc_end486-_ZL32rocblas_gemvt_warp_reduce_kernelILb0ELi256EiDF16_PKffEviiT3_lPKT2_lT1_lS5_lS6_lS2_lPT4_lS6_li
                                        ; -- End function
	.section	.AMDGPU.csdata,"",@progbits
; Kernel info:
; codeLenInByte = 1332
; NumSgprs: 32
; NumVgprs: 12
; NumAgprs: 0
; TotalNumVgprs: 12
; ScratchSize: 0
; MemoryBound: 0
; FloatMode: 240
; IeeeMode: 1
; LDSByteSize: 256 bytes/workgroup (compile time only)
; SGPRBlocks: 3
; VGPRBlocks: 1
; NumSGPRsForWavesPerEU: 32
; NumVGPRsForWavesPerEU: 12
; AccumOffset: 12
; Occupancy: 8
; WaveLimiterHint : 1
; COMPUTE_PGM_RSRC2:SCRATCH_EN: 0
; COMPUTE_PGM_RSRC2:USER_SGPR: 2
; COMPUTE_PGM_RSRC2:TRAP_HANDLER: 0
; COMPUTE_PGM_RSRC2:TGID_X_EN: 1
; COMPUTE_PGM_RSRC2:TGID_Y_EN: 0
; COMPUTE_PGM_RSRC2:TGID_Z_EN: 1
; COMPUTE_PGM_RSRC2:TIDIG_COMP_CNT: 0
; COMPUTE_PGM_RSRC3_GFX90A:ACCUM_OFFSET: 2
; COMPUTE_PGM_RSRC3_GFX90A:TG_SPLIT: 0
	.section	.text._ZL32rocblas_gemvt_warp_reduce_kernelILb0ELi256ElDF16_PKffEviiT3_lPKT2_lT1_lS5_lS6_lS2_lPT4_lS6_li,"axG",@progbits,_ZL32rocblas_gemvt_warp_reduce_kernelILb0ELi256ElDF16_PKffEviiT3_lPKT2_lT1_lS5_lS6_lS2_lPT4_lS6_li,comdat
	.globl	_ZL32rocblas_gemvt_warp_reduce_kernelILb0ELi256ElDF16_PKffEviiT3_lPKT2_lT1_lS5_lS6_lS2_lPT4_lS6_li ; -- Begin function _ZL32rocblas_gemvt_warp_reduce_kernelILb0ELi256ElDF16_PKffEviiT3_lPKT2_lT1_lS5_lS6_lS2_lPT4_lS6_li
	.p2align	8
	.type	_ZL32rocblas_gemvt_warp_reduce_kernelILb0ELi256ElDF16_PKffEviiT3_lPKT2_lT1_lS5_lS6_lS2_lPT4_lS6_li,@function
_ZL32rocblas_gemvt_warp_reduce_kernelILb0ELi256ElDF16_PKffEviiT3_lPKT2_lT1_lS5_lS6_lS2_lPT4_lS6_li: ; @_ZL32rocblas_gemvt_warp_reduce_kernelILb0ELi256ElDF16_PKffEviiT3_lPKT2_lT1_lS5_lS6_lS2_lPT4_lS6_li
; %bb.0:
	s_load_dwordx16 s[36:51], s[0:1], 0x8
	s_load_dwordx16 s[8:23], s[0:1], 0x48
	s_waitcnt lgkmcnt(0)
	s_mul_i32 s4, s3, s39
	s_mul_hi_u32 s5, s3, s38
	s_add_i32 s5, s5, s4
	s_mul_i32 s4, s3, s38
	s_lshl_b64 s[4:5], s[4:5], 2
	s_add_u32 s4, s36, s4
	s_addc_u32 s5, s37, s5
	s_load_dword s25, s[4:5], 0x0
	s_mul_i32 s4, s3, s15
	s_mul_hi_u32 s5, s3, s14
	s_add_i32 s5, s5, s4
	s_mul_i32 s4, s3, s14
	s_lshl_b64 s[4:5], s[4:5], 2
	s_add_u32 s4, s12, s4
	s_addc_u32 s5, s13, s5
	s_load_dword s24, s[4:5], 0x0
	s_waitcnt lgkmcnt(0)
	v_cmp_eq_f32_e64 s[4:5], s25, 0
	v_cmp_eq_f32_e64 s[6:7], s24, 1.0
	s_and_b64 s[4:5], s[4:5], s[6:7]
	s_and_b64 vcc, exec, s[4:5]
	s_cbranch_vccnz .LBB487_29
; %bb.1:
	s_mul_i32 s4, s3, s23
	s_mul_hi_u32 s5, s3, s22
	s_add_i32 s5, s5, s4
	s_mul_i32 s4, s3, s22
	s_lshl_b64 s[4:5], s[4:5], 2
	s_add_u32 s6, s16, s4
	s_addc_u32 s7, s17, s5
	s_lshl_b64 s[4:5], s[18:19], 2
	s_add_u32 s18, s6, s4
	s_addc_u32 s19, s7, s5
	v_cmp_neq_f32_e64 s[4:5], s25, 0
	s_and_b64 vcc, exec, s[4:5]
	v_cmp_eq_u32_e64 s[4:5], 0, v0
	s_cbranch_vccnz .LBB487_6
; %bb.2:
	s_mov_b64 s[14:15], 0
	s_mov_b64 s[6:7], 0
                                        ; implicit-def: $vgpr1
                                        ; implicit-def: $sgpr12_sgpr13
	s_and_saveexec_b64 s[16:17], s[4:5]
	s_cbranch_execz .LBB487_7
; %bb.3:
	s_ashr_i32 s6, s2, 31
	s_mul_i32 s7, s2, s21
	s_mul_hi_u32 s12, s2, s20
	v_cmp_eq_f32_e64 s[4:5], s24, 0
	s_add_i32 s7, s12, s7
	s_mul_i32 s6, s6, s20
	v_mov_b32_e32 v1, 0
	s_add_i32 s13, s7, s6
	s_mul_i32 s12, s2, s20
	s_and_b64 vcc, exec, s[4:5]
	s_cbranch_vccnz .LBB487_5
; %bb.4:
	s_lshl_b64 s[4:5], s[12:13], 2
	s_add_u32 s4, s18, s4
	s_addc_u32 s5, s19, s5
	s_load_dword s4, s[4:5], 0x0
	s_waitcnt lgkmcnt(0)
	v_mov_b32_e32 v1, s4
	v_mul_f32_e32 v1, s24, v1
.LBB487_5:
	s_mov_b64 s[6:7], exec
	s_or_b64 exec, exec, s[16:17]
	s_and_b64 vcc, exec, s[14:15]
	s_cbranch_vccnz .LBB487_8
	s_branch .LBB487_27
.LBB487_6:
	s_mov_b64 s[6:7], 0
                                        ; implicit-def: $vgpr1
                                        ; implicit-def: $sgpr12_sgpr13
	s_cbranch_execnz .LBB487_8
	s_branch .LBB487_27
.LBB487_7:
	s_or_b64 exec, exec, s[16:17]
	s_and_b64 vcc, exec, s[14:15]
	s_cbranch_vccz .LBB487_27
.LBB487_8:
	s_mul_i32 s4, s3, s11
	s_mul_hi_u32 s5, s3, s10
	s_add_i32 s5, s5, s4
	s_mul_i32 s4, s3, s10
	s_load_dword s1, s[0:1], 0x0
	s_mul_i32 s0, s3, s47
	s_mul_hi_u32 s10, s3, s46
	s_add_i32 s11, s10, s0
	s_mul_i32 s10, s3, s46
	s_lshl_b64 s[10:11], s[10:11], 1
	s_add_u32 s0, s40, s10
	s_addc_u32 s3, s41, s11
	s_lshl_b64 s[10:11], s[42:43], 1
	s_add_u32 s0, s0, s10
	s_addc_u32 s12, s3, s11
	s_ashr_i32 s3, s2, 31
	s_mul_i32 s10, s2, s45
	s_mul_hi_u32 s11, s2, s44
	s_add_i32 s10, s11, s10
	s_mul_i32 s11, s3, s44
	s_add_i32 s11, s10, s11
	s_mul_i32 s10, s2, s44
	s_lshl_b64 s[10:11], s[10:11], 1
	s_add_u32 s10, s10, s0
	s_addc_u32 s11, s11, s12
	s_waitcnt lgkmcnt(0)
	s_ashr_i32 s0, s1, 31
	v_cmp_gt_i32_e32 vcc, s1, v0
	s_lshr_b32 s0, s0, 24
	s_add_i32 s0, s1, s0
	v_cndmask_b32_e32 v1, 0, v0, vcc
	v_lshlrev_b32_e32 v2, 1, v1
	v_mov_b32_e32 v3, 0
	s_and_b32 s0, s0, 0xffffff00
	v_lshl_add_u64 v[4:5], s[10:11], 0, v[2:3]
	v_cmp_gt_i32_e32 vcc, s0, v0
	s_and_saveexec_b64 s[10:11], vcc
	s_cbranch_execz .LBB487_12
; %bb.9:
	v_mad_u64_u32 v[2:3], s[14:15], s8, v0, 0
	v_mov_b32_e32 v6, v3
	v_mad_u64_u32 v[6:7], s[14:15], s9, v0, v[6:7]
	s_lshl_b64 s[12:13], s[4:5], 1
	s_lshl_b64 s[14:15], s[50:51], 1
	s_add_u32 s14, s48, s14
	s_addc_u32 s15, s49, s15
	s_add_u32 s12, s14, s12
	v_mov_b32_e32 v3, v6
	s_addc_u32 s13, s15, s13
	v_lshl_add_u64 v[6:7], v[2:3], 1, s[12:13]
	s_lshl_b64 s[14:15], s[8:9], 9
	s_mov_b64 s[12:13], 0
	v_mov_b32_e32 v3, 0
	s_mov_b64 s[16:17], 0x200
	v_mov_b64_e32 v[8:9], v[4:5]
	v_mov_b32_e32 v1, v0
.LBB487_10:                             ; =>This Inner Loop Header: Depth=1
	global_load_ushort v2, v[8:9], off
	global_load_ushort v10, v[6:7], off
	v_add_u32_e32 v1, 0x100, v1
	v_cmp_le_i32_e32 vcc, s0, v1
	v_lshl_add_u64 v[8:9], v[8:9], 0, s[16:17]
	v_lshl_add_u64 v[6:7], v[6:7], 0, s[14:15]
	s_or_b64 s[12:13], vcc, s[12:13]
	s_waitcnt vmcnt(0)
	v_mul_f16_e32 v2, v2, v10
	v_cvt_f32_f16_e32 v2, v2
	v_add_f32_e32 v3, v3, v2
	s_andn2_b64 exec, exec, s[12:13]
	s_cbranch_execnz .LBB487_10
; %bb.11:
	s_or_b64 exec, exec, s[12:13]
.LBB487_12:
	s_or_b64 exec, exec, s[10:11]
	v_add_u32_e32 v1, s0, v0
	v_cmp_gt_i32_e32 vcc, s1, v1
	s_and_saveexec_b64 s[10:11], vcc
	s_cbranch_execz .LBB487_14
; %bb.13:
	s_lshl_b64 s[4:5], s[4:5], 1
	s_add_u32 s1, s48, s4
	s_addc_u32 s12, s49, s5
	s_lshl_b64 s[4:5], s[50:51], 1
	s_add_u32 s4, s1, s4
	s_addc_u32 s5, s12, s5
	s_ashr_i32 s1, s0, 31
	v_lshl_add_u64 v[4:5], s[0:1], 1, v[4:5]
	global_load_ushort v2, v[4:5], off
	v_ashrrev_i32_e32 v4, 31, v1
	v_mul_lo_u32 v6, v1, s9
	v_mul_lo_u32 v7, v4, s8
	v_mad_u64_u32 v[4:5], s[0:1], v1, s8, 0
	v_add3_u32 v5, v5, v6, v7
	v_lshl_add_u64 v[4:5], v[4:5], 1, s[4:5]
	global_load_ushort v1, v[4:5], off
	s_waitcnt vmcnt(0)
	v_mul_f16_e32 v1, v2, v1
	v_cvt_f32_f16_e32 v1, v1
	v_add_f32_e32 v3, v3, v1
.LBB487_14:
	s_or_b64 exec, exec, s[10:11]
	v_and_b32_e32 v2, 63, v0
	v_cmp_gt_u32_e32 vcc, 64, v0
	v_lshlrev_b32_e32 v1, 2, v2
	s_and_saveexec_b64 s[0:1], vcc
	s_cbranch_execz .LBB487_16
; %bb.15:
	v_mov_b32_e32 v4, 0
	ds_write_b32 v1, v4
.LBB487_16:
	s_or_b64 exec, exec, s[0:1]
	v_mbcnt_lo_u32_b32 v4, -1, 0
	v_mbcnt_hi_u32_b32 v4, -1, v4
	v_and_b32_e32 v5, 63, v4
	v_cmp_gt_u32_e64 s[0:1], 32, v5
	s_waitcnt lgkmcnt(0)
	s_barrier
	v_cndmask_b32_e64 v6, 0, 1, s[0:1]
	v_lshlrev_b32_e32 v6, 5, v6
	v_add_lshl_u32 v6, v6, v4, 2
	ds_bpermute_b32 v6, v6, v3
	v_cmp_gt_u32_e64 s[0:1], 48, v5
	s_waitcnt lgkmcnt(0)
	v_add_f32_e32 v3, v3, v6
	v_cndmask_b32_e64 v7, 0, 1, s[0:1]
	v_lshlrev_b32_e32 v7, 4, v7
	v_add_lshl_u32 v6, v7, v4, 2
	ds_bpermute_b32 v6, v6, v3
	v_cmp_gt_u32_e64 s[0:1], 56, v5
	s_waitcnt lgkmcnt(0)
	v_add_f32_e32 v3, v3, v6
	;; [unrolled: 7-line block ×4, first 2 shown]
	v_cndmask_b32_e64 v7, 0, 1, s[0:1]
	v_lshlrev_b32_e32 v7, 1, v7
	v_add_lshl_u32 v3, v7, v4, 2
	ds_bpermute_b32 v7, v3, v6
	v_cmp_ne_u32_e64 s[0:1], 63, v5
	s_waitcnt lgkmcnt(0)
	v_add_f32_e32 v5, v6, v7
	v_addc_co_u32_e64 v4, s[0:1], 0, v4, s[0:1]
	v_lshlrev_b32_e32 v4, 2, v4
	ds_bpermute_b32 v6, v4, v5
	v_cmp_eq_u32_e64 s[0:1], 0, v2
	s_and_saveexec_b64 s[4:5], s[0:1]
	s_cbranch_execz .LBB487_18
; %bb.17:
	v_lshrrev_b32_e32 v2, 4, v0
	v_and_b32_e32 v2, 12, v2
	s_waitcnt lgkmcnt(0)
	v_add_f32_e32 v5, v5, v6
	ds_write_b32 v2, v5
.LBB487_18:
	s_or_b64 exec, exec, s[4:5]
	v_cmp_gt_u32_e64 s[0:1], 4, v0
	v_mov_b32_e32 v2, 0
	s_waitcnt lgkmcnt(0)
	s_barrier
	s_and_saveexec_b64 s[4:5], s[0:1]
	s_cbranch_execz .LBB487_20
; %bb.19:
	ds_read_b32 v2, v1
	s_or_b64 exec, exec, s[4:5]
	s_and_saveexec_b64 s[0:1], vcc
	s_cbranch_execz .LBB487_22
	s_branch .LBB487_21
.LBB487_20:
	s_or_b64 exec, exec, s[4:5]
	s_and_saveexec_b64 s[0:1], vcc
	s_cbranch_execz .LBB487_22
.LBB487_21:
	s_waitcnt lgkmcnt(0)
	ds_bpermute_b32 v1, v3, v2
	s_waitcnt lgkmcnt(0)
	v_add_f32_e32 v1, v2, v1
	ds_bpermute_b32 v2, v4, v1
	s_waitcnt lgkmcnt(0)
	v_add_f32_e32 v2, v1, v2
.LBB487_22:
	s_or_b64 exec, exec, s[0:1]
	v_cmp_eq_u32_e32 vcc, 0, v0
                                        ; implicit-def: $vgpr1
                                        ; implicit-def: $sgpr12_sgpr13
	s_and_saveexec_b64 s[0:1], vcc
	s_cbranch_execz .LBB487_26
; %bb.23:
	s_mul_i32 s8, s2, s21
	s_mul_hi_u32 s9, s2, s20
	v_cmp_eq_f32_e64 s[4:5], s24, 0
	s_add_i32 s8, s9, s8
	s_mul_i32 s3, s3, s20
	s_waitcnt lgkmcnt(0)
	v_mul_f32_e32 v1, s25, v2
	s_add_i32 s13, s8, s3
	s_mul_i32 s12, s2, s20
	s_and_b64 vcc, exec, s[4:5]
	s_cbranch_vccnz .LBB487_25
; %bb.24:
	s_lshl_b64 s[2:3], s[12:13], 2
	s_add_u32 s2, s18, s2
	s_addc_u32 s3, s19, s3
	s_load_dword s2, s[2:3], 0x0
	s_waitcnt lgkmcnt(0)
	v_mov_b32_e32 v0, s2
	v_fmac_f32_e32 v1, s24, v0
.LBB487_25:
	s_or_b64 s[6:7], s[6:7], exec
.LBB487_26:
	s_or_b64 exec, exec, s[0:1]
.LBB487_27:
	s_and_saveexec_b64 s[0:1], s[6:7]
	s_cbranch_execz .LBB487_29
; %bb.28:
	s_lshl_b64 s[0:1], s[12:13], 2
	s_add_u32 s0, s18, s0
	s_addc_u32 s1, s19, s1
	v_mov_b32_e32 v0, 0
	global_store_dword v0, v1, s[0:1]
.LBB487_29:
	s_endpgm
	.section	.rodata,"a",@progbits
	.p2align	6, 0x0
	.amdhsa_kernel _ZL32rocblas_gemvt_warp_reduce_kernelILb0ELi256ElDF16_PKffEviiT3_lPKT2_lT1_lS5_lS6_lS2_lPT4_lS6_li
		.amdhsa_group_segment_fixed_size 256
		.amdhsa_private_segment_fixed_size 0
		.amdhsa_kernarg_size 140
		.amdhsa_user_sgpr_count 2
		.amdhsa_user_sgpr_dispatch_ptr 0
		.amdhsa_user_sgpr_queue_ptr 0
		.amdhsa_user_sgpr_kernarg_segment_ptr 1
		.amdhsa_user_sgpr_dispatch_id 0
		.amdhsa_user_sgpr_kernarg_preload_length 0
		.amdhsa_user_sgpr_kernarg_preload_offset 0
		.amdhsa_user_sgpr_private_segment_size 0
		.amdhsa_uses_dynamic_stack 0
		.amdhsa_enable_private_segment 0
		.amdhsa_system_sgpr_workgroup_id_x 1
		.amdhsa_system_sgpr_workgroup_id_y 0
		.amdhsa_system_sgpr_workgroup_id_z 1
		.amdhsa_system_sgpr_workgroup_info 0
		.amdhsa_system_vgpr_workitem_id 0
		.amdhsa_next_free_vgpr 11
		.amdhsa_next_free_sgpr 52
		.amdhsa_accum_offset 12
		.amdhsa_reserve_vcc 1
		.amdhsa_float_round_mode_32 0
		.amdhsa_float_round_mode_16_64 0
		.amdhsa_float_denorm_mode_32 3
		.amdhsa_float_denorm_mode_16_64 3
		.amdhsa_dx10_clamp 1
		.amdhsa_ieee_mode 1
		.amdhsa_fp16_overflow 0
		.amdhsa_tg_split 0
		.amdhsa_exception_fp_ieee_invalid_op 0
		.amdhsa_exception_fp_denorm_src 0
		.amdhsa_exception_fp_ieee_div_zero 0
		.amdhsa_exception_fp_ieee_overflow 0
		.amdhsa_exception_fp_ieee_underflow 0
		.amdhsa_exception_fp_ieee_inexact 0
		.amdhsa_exception_int_div_zero 0
	.end_amdhsa_kernel
	.section	.text._ZL32rocblas_gemvt_warp_reduce_kernelILb0ELi256ElDF16_PKffEviiT3_lPKT2_lT1_lS5_lS6_lS2_lPT4_lS6_li,"axG",@progbits,_ZL32rocblas_gemvt_warp_reduce_kernelILb0ELi256ElDF16_PKffEviiT3_lPKT2_lT1_lS5_lS6_lS2_lPT4_lS6_li,comdat
.Lfunc_end487:
	.size	_ZL32rocblas_gemvt_warp_reduce_kernelILb0ELi256ElDF16_PKffEviiT3_lPKT2_lT1_lS5_lS6_lS2_lPT4_lS6_li, .Lfunc_end487-_ZL32rocblas_gemvt_warp_reduce_kernelILb0ELi256ElDF16_PKffEviiT3_lPKT2_lT1_lS5_lS6_lS2_lPT4_lS6_li
                                        ; -- End function
	.section	.AMDGPU.csdata,"",@progbits
; Kernel info:
; codeLenInByte = 1384
; NumSgprs: 58
; NumVgprs: 11
; NumAgprs: 0
; TotalNumVgprs: 11
; ScratchSize: 0
; MemoryBound: 0
; FloatMode: 240
; IeeeMode: 1
; LDSByteSize: 256 bytes/workgroup (compile time only)
; SGPRBlocks: 7
; VGPRBlocks: 1
; NumSGPRsForWavesPerEU: 58
; NumVGPRsForWavesPerEU: 11
; AccumOffset: 12
; Occupancy: 8
; WaveLimiterHint : 0
; COMPUTE_PGM_RSRC2:SCRATCH_EN: 0
; COMPUTE_PGM_RSRC2:USER_SGPR: 2
; COMPUTE_PGM_RSRC2:TRAP_HANDLER: 0
; COMPUTE_PGM_RSRC2:TGID_X_EN: 1
; COMPUTE_PGM_RSRC2:TGID_Y_EN: 0
; COMPUTE_PGM_RSRC2:TGID_Z_EN: 1
; COMPUTE_PGM_RSRC2:TIDIG_COMP_CNT: 0
; COMPUTE_PGM_RSRC3_GFX90A:ACCUM_OFFSET: 2
; COMPUTE_PGM_RSRC3_GFX90A:TG_SPLIT: 0
	.section	.text._ZL32rocblas_gemvt_warp_reduce_kernelILb0ELi256EiDF16_ffEviiT3_lPKT2_lT1_lS3_lS4_lS0_lPT4_lS4_li,"axG",@progbits,_ZL32rocblas_gemvt_warp_reduce_kernelILb0ELi256EiDF16_ffEviiT3_lPKT2_lT1_lS3_lS4_lS0_lPT4_lS4_li,comdat
	.globl	_ZL32rocblas_gemvt_warp_reduce_kernelILb0ELi256EiDF16_ffEviiT3_lPKT2_lT1_lS3_lS4_lS0_lPT4_lS4_li ; -- Begin function _ZL32rocblas_gemvt_warp_reduce_kernelILb0ELi256EiDF16_ffEviiT3_lPKT2_lT1_lS3_lS4_lS0_lPT4_lS4_li
	.p2align	8
	.type	_ZL32rocblas_gemvt_warp_reduce_kernelILb0ELi256EiDF16_ffEviiT3_lPKT2_lT1_lS3_lS4_lS0_lPT4_lS4_li,@function
_ZL32rocblas_gemvt_warp_reduce_kernelILb0ELi256EiDF16_ffEviiT3_lPKT2_lT1_lS3_lS4_lS0_lPT4_lS4_li: ; @_ZL32rocblas_gemvt_warp_reduce_kernelILb0ELi256EiDF16_ffEviiT3_lPKT2_lT1_lS3_lS4_lS0_lPT4_lS4_li
; %bb.0:
	s_load_dword s17, s[0:1], 0x8
	s_load_dword s16, s[0:1], 0x58
	s_waitcnt lgkmcnt(0)
	v_cmp_eq_f32_e64 s[4:5], s17, 0
	v_cmp_eq_f32_e64 s[6:7], s16, 1.0
	s_and_b64 s[4:5], s[4:5], s[6:7]
	s_and_b64 vcc, exec, s[4:5]
	s_cbranch_vccnz .LBB488_29
; %bb.1:
	s_load_dwordx2 s[8:9], s[0:1], 0x80
	s_load_dwordx4 s[4:7], s[0:1], 0x68
	s_load_dword s18, s[0:1], 0x78
	s_waitcnt lgkmcnt(0)
	s_mul_i32 s9, s3, s9
	s_mul_hi_u32 s10, s3, s8
	s_mul_i32 s8, s3, s8
	s_add_i32 s9, s10, s9
	s_lshl_b64 s[8:9], s[8:9], 2
	s_add_u32 s8, s4, s8
	s_addc_u32 s9, s5, s9
	s_lshl_b64 s[4:5], s[6:7], 2
	s_add_u32 s14, s8, s4
	s_addc_u32 s15, s9, s5
	v_cmp_neq_f32_e64 s[4:5], s17, 0
	s_and_b64 vcc, exec, s[4:5]
	v_cmp_eq_u32_e64 s[4:5], 0, v0
	s_cbranch_vccnz .LBB488_6
; %bb.2:
	s_mov_b64 s[10:11], 0
	s_mov_b64 s[6:7], 0
                                        ; implicit-def: $vgpr1
                                        ; implicit-def: $sgpr8_sgpr9
	s_and_saveexec_b64 s[12:13], s[4:5]
	s_cbranch_execz .LBB488_7
; %bb.3:
	v_cmp_eq_f32_e64 s[4:5], s16, 0
	s_mul_i32 s8, s2, s18
	v_mov_b32_e32 v1, 0
	s_ashr_i32 s9, s8, 31
	s_and_b64 vcc, exec, s[4:5]
	s_cbranch_vccnz .LBB488_5
; %bb.4:
	s_lshl_b64 s[4:5], s[8:9], 2
	s_add_u32 s4, s14, s4
	s_addc_u32 s5, s15, s5
	s_load_dword s4, s[4:5], 0x0
	v_mov_b32_e32 v1, s16
	s_waitcnt lgkmcnt(0)
	v_mul_f32_e32 v1, s4, v1
.LBB488_5:
	s_mov_b64 s[6:7], exec
	s_or_b64 exec, exec, s[12:13]
	s_and_b64 vcc, exec, s[10:11]
	s_cbranch_vccnz .LBB488_8
	s_branch .LBB488_27
.LBB488_6:
	s_mov_b64 s[6:7], 0
                                        ; implicit-def: $vgpr1
                                        ; implicit-def: $sgpr8_sgpr9
	s_cbranch_execnz .LBB488_8
	s_branch .LBB488_27
.LBB488_7:
	s_or_b64 exec, exec, s[12:13]
	s_and_b64 vcc, exec, s[10:11]
	s_cbranch_vccz .LBB488_27
.LBB488_8:
	s_load_dwordx2 s[12:13], s[0:1], 0x50
	s_load_dword s5, s[0:1], 0x0
	s_load_dwordx4 s[8:11], s[0:1], 0x18
	s_load_dword s4, s[0:1], 0x28
	s_load_dwordx4 s[20:23], s[0:1], 0x30
	s_load_dwordx2 s[24:25], s[0:1], 0x40
	s_load_dword s19, s[0:1], 0x48
	s_waitcnt lgkmcnt(0)
	s_mul_i32 s0, s3, s13
	s_mul_hi_u32 s1, s3, s12
	s_add_i32 s1, s1, s0
	s_mul_i32 s0, s3, s12
	s_lshl_b64 s[0:1], s[0:1], 1
	s_add_u32 s12, s22, s0
	s_addc_u32 s13, s23, s1
	s_lshl_b64 s[0:1], s[24:25], 1
	s_add_u32 s0, s12, s0
	s_addc_u32 s1, s13, s1
	s_mul_i32 s12, s3, s21
	s_mul_hi_u32 s13, s3, s20
	s_add_i32 s13, s13, s12
	s_mul_i32 s12, s3, s20
	s_lshl_b64 s[12:13], s[12:13], 1
	s_add_u32 s3, s8, s12
	s_addc_u32 s12, s9, s13
	s_lshl_b64 s[8:9], s[10:11], 1
	s_add_u32 s3, s3, s8
	s_mul_i32 s8, s2, s4
	s_addc_u32 s10, s12, s9
	s_ashr_i32 s9, s8, 31
	s_lshl_b64 s[8:9], s[8:9], 1
	s_add_u32 s8, s8, s3
	s_addc_u32 s9, s9, s10
	s_ashr_i32 s3, s5, 31
	v_cmp_gt_i32_e32 vcc, s5, v0
	s_lshr_b32 s3, s3, 24
	s_add_i32 s3, s5, s3
	v_cndmask_b32_e32 v1, 0, v0, vcc
	v_lshlrev_b32_e32 v2, 1, v1
	v_mov_b32_e32 v3, 0
	s_and_b32 s4, s3, 0xffffff00
	v_lshl_add_u64 v[4:5], s[8:9], 0, v[2:3]
	v_cmp_gt_i32_e32 vcc, s4, v0
	s_and_saveexec_b64 s[8:9], vcc
	s_cbranch_execz .LBB488_12
; %bb.9:
	v_mul_lo_u32 v6, v0, s19
	s_lshl_b32 s3, s19, 8
	s_mov_b64 s[10:11], 0
	v_mov_b32_e32 v3, 0
	s_mov_b64 s[12:13], 0x200
	v_mov_b64_e32 v[8:9], v[4:5]
	v_mov_b32_e32 v1, v0
.LBB488_10:                             ; =>This Inner Loop Header: Depth=1
	v_ashrrev_i32_e32 v7, 31, v6
	v_lshl_add_u64 v[10:11], v[6:7], 1, s[0:1]
	global_load_ushort v2, v[8:9], off
	global_load_ushort v7, v[10:11], off
	v_add_u32_e32 v1, 0x100, v1
	v_cmp_le_i32_e32 vcc, s4, v1
	v_lshl_add_u64 v[8:9], v[8:9], 0, s[12:13]
	v_add_u32_e32 v6, s3, v6
	s_or_b64 s[10:11], vcc, s[10:11]
	s_waitcnt vmcnt(0)
	v_mul_f16_e32 v2, v2, v7
	v_cvt_f32_f16_e32 v2, v2
	v_add_f32_e32 v3, v3, v2
	s_andn2_b64 exec, exec, s[10:11]
	s_cbranch_execnz .LBB488_10
; %bb.11:
	s_or_b64 exec, exec, s[10:11]
.LBB488_12:
	s_or_b64 exec, exec, s[8:9]
	v_add_u32_e32 v1, s4, v0
	v_cmp_gt_i32_e32 vcc, s5, v1
	s_and_saveexec_b64 s[8:9], vcc
	s_cbranch_execz .LBB488_14
; %bb.13:
	s_ashr_i32 s5, s4, 31
	v_lshl_add_u64 v[4:5], s[4:5], 1, v[4:5]
	global_load_ushort v2, v[4:5], off
	v_mul_lo_u32 v4, v1, s19
	v_ashrrev_i32_e32 v5, 31, v4
	v_lshl_add_u64 v[4:5], v[4:5], 1, s[0:1]
	global_load_ushort v1, v[4:5], off
	s_waitcnt vmcnt(0)
	v_mul_f16_e32 v1, v2, v1
	v_cvt_f32_f16_e32 v1, v1
	v_add_f32_e32 v3, v3, v1
.LBB488_14:
	s_or_b64 exec, exec, s[8:9]
	v_and_b32_e32 v2, 63, v0
	v_cmp_gt_u32_e32 vcc, 64, v0
	v_lshlrev_b32_e32 v1, 2, v2
	s_and_saveexec_b64 s[0:1], vcc
	s_cbranch_execz .LBB488_16
; %bb.15:
	v_mov_b32_e32 v4, 0
	ds_write_b32 v1, v4
.LBB488_16:
	s_or_b64 exec, exec, s[0:1]
	v_mbcnt_lo_u32_b32 v4, -1, 0
	v_mbcnt_hi_u32_b32 v4, -1, v4
	v_and_b32_e32 v5, 63, v4
	v_cmp_gt_u32_e64 s[0:1], 32, v5
	s_waitcnt lgkmcnt(0)
	s_barrier
	v_cndmask_b32_e64 v6, 0, 1, s[0:1]
	v_lshlrev_b32_e32 v6, 5, v6
	v_add_lshl_u32 v6, v6, v4, 2
	ds_bpermute_b32 v6, v6, v3
	v_cmp_gt_u32_e64 s[0:1], 48, v5
	s_waitcnt lgkmcnt(0)
	v_add_f32_e32 v3, v3, v6
	v_cndmask_b32_e64 v7, 0, 1, s[0:1]
	v_lshlrev_b32_e32 v7, 4, v7
	v_add_lshl_u32 v6, v7, v4, 2
	ds_bpermute_b32 v6, v6, v3
	v_cmp_gt_u32_e64 s[0:1], 56, v5
	s_waitcnt lgkmcnt(0)
	v_add_f32_e32 v3, v3, v6
	;; [unrolled: 7-line block ×4, first 2 shown]
	v_cndmask_b32_e64 v7, 0, 1, s[0:1]
	v_lshlrev_b32_e32 v7, 1, v7
	v_add_lshl_u32 v3, v7, v4, 2
	ds_bpermute_b32 v7, v3, v6
	v_cmp_ne_u32_e64 s[0:1], 63, v5
	s_waitcnt lgkmcnt(0)
	v_add_f32_e32 v5, v6, v7
	v_addc_co_u32_e64 v4, s[0:1], 0, v4, s[0:1]
	v_lshlrev_b32_e32 v4, 2, v4
	ds_bpermute_b32 v6, v4, v5
	v_cmp_eq_u32_e64 s[0:1], 0, v2
	s_and_saveexec_b64 s[4:5], s[0:1]
	s_cbranch_execz .LBB488_18
; %bb.17:
	v_lshrrev_b32_e32 v2, 4, v0
	v_and_b32_e32 v2, 12, v2
	s_waitcnt lgkmcnt(0)
	v_add_f32_e32 v5, v5, v6
	ds_write_b32 v2, v5
.LBB488_18:
	s_or_b64 exec, exec, s[4:5]
	v_cmp_gt_u32_e64 s[0:1], 4, v0
	v_mov_b32_e32 v2, 0
	s_waitcnt lgkmcnt(0)
	s_barrier
	s_and_saveexec_b64 s[4:5], s[0:1]
	s_cbranch_execz .LBB488_20
; %bb.19:
	ds_read_b32 v2, v1
	s_or_b64 exec, exec, s[4:5]
	s_and_saveexec_b64 s[0:1], vcc
	s_cbranch_execz .LBB488_22
	s_branch .LBB488_21
.LBB488_20:
	s_or_b64 exec, exec, s[4:5]
	s_and_saveexec_b64 s[0:1], vcc
	s_cbranch_execz .LBB488_22
.LBB488_21:
	s_waitcnt lgkmcnt(0)
	ds_bpermute_b32 v1, v3, v2
	s_waitcnt lgkmcnt(0)
	v_add_f32_e32 v1, v2, v1
	ds_bpermute_b32 v2, v4, v1
	s_waitcnt lgkmcnt(0)
	v_add_f32_e32 v2, v1, v2
.LBB488_22:
	s_or_b64 exec, exec, s[0:1]
	v_cmp_eq_u32_e32 vcc, 0, v0
                                        ; implicit-def: $vgpr1
                                        ; implicit-def: $sgpr8_sgpr9
	s_and_saveexec_b64 s[0:1], vcc
	s_cbranch_execz .LBB488_26
; %bb.23:
	v_cmp_eq_f32_e64 s[4:5], s16, 0
	s_mul_i32 s8, s2, s18
	s_waitcnt lgkmcnt(0)
	v_mul_f32_e32 v1, s17, v2
	s_ashr_i32 s9, s8, 31
	s_and_b64 vcc, exec, s[4:5]
	s_cbranch_vccnz .LBB488_25
; %bb.24:
	s_lshl_b64 s[2:3], s[8:9], 2
	s_add_u32 s2, s14, s2
	s_addc_u32 s3, s15, s3
	s_load_dword s2, s[2:3], 0x0
	v_mov_b32_e32 v0, s16
	s_waitcnt lgkmcnt(0)
	v_fmac_f32_e32 v1, s2, v0
.LBB488_25:
	s_or_b64 s[6:7], s[6:7], exec
.LBB488_26:
	s_or_b64 exec, exec, s[0:1]
.LBB488_27:
	s_and_saveexec_b64 s[0:1], s[6:7]
	s_cbranch_execz .LBB488_29
; %bb.28:
	s_lshl_b64 s[0:1], s[8:9], 2
	s_add_u32 s0, s14, s0
	s_addc_u32 s1, s15, s1
	v_mov_b32_e32 v0, 0
	global_store_dword v0, v1, s[0:1]
.LBB488_29:
	s_endpgm
	.section	.rodata,"a",@progbits
	.p2align	6, 0x0
	.amdhsa_kernel _ZL32rocblas_gemvt_warp_reduce_kernelILb0ELi256EiDF16_ffEviiT3_lPKT2_lT1_lS3_lS4_lS0_lPT4_lS4_li
		.amdhsa_group_segment_fixed_size 256
		.amdhsa_private_segment_fixed_size 0
		.amdhsa_kernarg_size 140
		.amdhsa_user_sgpr_count 2
		.amdhsa_user_sgpr_dispatch_ptr 0
		.amdhsa_user_sgpr_queue_ptr 0
		.amdhsa_user_sgpr_kernarg_segment_ptr 1
		.amdhsa_user_sgpr_dispatch_id 0
		.amdhsa_user_sgpr_kernarg_preload_length 0
		.amdhsa_user_sgpr_kernarg_preload_offset 0
		.amdhsa_user_sgpr_private_segment_size 0
		.amdhsa_uses_dynamic_stack 0
		.amdhsa_enable_private_segment 0
		.amdhsa_system_sgpr_workgroup_id_x 1
		.amdhsa_system_sgpr_workgroup_id_y 0
		.amdhsa_system_sgpr_workgroup_id_z 1
		.amdhsa_system_sgpr_workgroup_info 0
		.amdhsa_system_vgpr_workitem_id 0
		.amdhsa_next_free_vgpr 12
		.amdhsa_next_free_sgpr 26
		.amdhsa_accum_offset 12
		.amdhsa_reserve_vcc 1
		.amdhsa_float_round_mode_32 0
		.amdhsa_float_round_mode_16_64 0
		.amdhsa_float_denorm_mode_32 3
		.amdhsa_float_denorm_mode_16_64 3
		.amdhsa_dx10_clamp 1
		.amdhsa_ieee_mode 1
		.amdhsa_fp16_overflow 0
		.amdhsa_tg_split 0
		.amdhsa_exception_fp_ieee_invalid_op 0
		.amdhsa_exception_fp_denorm_src 0
		.amdhsa_exception_fp_ieee_div_zero 0
		.amdhsa_exception_fp_ieee_overflow 0
		.amdhsa_exception_fp_ieee_underflow 0
		.amdhsa_exception_fp_ieee_inexact 0
		.amdhsa_exception_int_div_zero 0
	.end_amdhsa_kernel
	.section	.text._ZL32rocblas_gemvt_warp_reduce_kernelILb0ELi256EiDF16_ffEviiT3_lPKT2_lT1_lS3_lS4_lS0_lPT4_lS4_li,"axG",@progbits,_ZL32rocblas_gemvt_warp_reduce_kernelILb0ELi256EiDF16_ffEviiT3_lPKT2_lT1_lS3_lS4_lS0_lPT4_lS4_li,comdat
.Lfunc_end488:
	.size	_ZL32rocblas_gemvt_warp_reduce_kernelILb0ELi256EiDF16_ffEviiT3_lPKT2_lT1_lS3_lS4_lS0_lPT4_lS4_li, .Lfunc_end488-_ZL32rocblas_gemvt_warp_reduce_kernelILb0ELi256EiDF16_ffEviiT3_lPKT2_lT1_lS3_lS4_lS0_lPT4_lS4_li
                                        ; -- End function
	.section	.AMDGPU.csdata,"",@progbits
; Kernel info:
; codeLenInByte = 1264
; NumSgprs: 32
; NumVgprs: 12
; NumAgprs: 0
; TotalNumVgprs: 12
; ScratchSize: 0
; MemoryBound: 0
; FloatMode: 240
; IeeeMode: 1
; LDSByteSize: 256 bytes/workgroup (compile time only)
; SGPRBlocks: 3
; VGPRBlocks: 1
; NumSGPRsForWavesPerEU: 32
; NumVGPRsForWavesPerEU: 12
; AccumOffset: 12
; Occupancy: 8
; WaveLimiterHint : 1
; COMPUTE_PGM_RSRC2:SCRATCH_EN: 0
; COMPUTE_PGM_RSRC2:USER_SGPR: 2
; COMPUTE_PGM_RSRC2:TRAP_HANDLER: 0
; COMPUTE_PGM_RSRC2:TGID_X_EN: 1
; COMPUTE_PGM_RSRC2:TGID_Y_EN: 0
; COMPUTE_PGM_RSRC2:TGID_Z_EN: 1
; COMPUTE_PGM_RSRC2:TIDIG_COMP_CNT: 0
; COMPUTE_PGM_RSRC3_GFX90A:ACCUM_OFFSET: 2
; COMPUTE_PGM_RSRC3_GFX90A:TG_SPLIT: 0
	.section	.text._ZL32rocblas_gemvt_warp_reduce_kernelILb0ELi256ElDF16_ffEviiT3_lPKT2_lT1_lS3_lS4_lS0_lPT4_lS4_li,"axG",@progbits,_ZL32rocblas_gemvt_warp_reduce_kernelILb0ELi256ElDF16_ffEviiT3_lPKT2_lT1_lS3_lS4_lS0_lPT4_lS4_li,comdat
	.globl	_ZL32rocblas_gemvt_warp_reduce_kernelILb0ELi256ElDF16_ffEviiT3_lPKT2_lT1_lS3_lS4_lS0_lPT4_lS4_li ; -- Begin function _ZL32rocblas_gemvt_warp_reduce_kernelILb0ELi256ElDF16_ffEviiT3_lPKT2_lT1_lS3_lS4_lS0_lPT4_lS4_li
	.p2align	8
	.type	_ZL32rocblas_gemvt_warp_reduce_kernelILb0ELi256ElDF16_ffEviiT3_lPKT2_lT1_lS3_lS4_lS0_lPT4_lS4_li,@function
_ZL32rocblas_gemvt_warp_reduce_kernelILb0ELi256ElDF16_ffEviiT3_lPKT2_lT1_lS3_lS4_lS0_lPT4_lS4_li: ; @_ZL32rocblas_gemvt_warp_reduce_kernelILb0ELi256ElDF16_ffEviiT3_lPKT2_lT1_lS3_lS4_lS0_lPT4_lS4_li
; %bb.0:
	s_load_dword s27, s[0:1], 0x8
	s_load_dword s26, s[0:1], 0x58
	s_waitcnt lgkmcnt(0)
	v_cmp_eq_f32_e64 s[4:5], s27, 0
	v_cmp_eq_f32_e64 s[6:7], s26, 1.0
	s_and_b64 s[4:5], s[4:5], s[6:7]
	s_and_b64 vcc, exec, s[4:5]
	s_cbranch_vccnz .LBB489_29
; %bb.1:
	s_load_dwordx8 s[16:23], s[0:1], 0x68
	v_cmp_neq_f32_e64 s[4:5], s27, 0
	s_waitcnt lgkmcnt(0)
	s_mul_i32 s7, s3, s23
	s_mul_hi_u32 s8, s3, s22
	s_mul_i32 s6, s3, s22
	s_add_i32 s7, s8, s7
	s_lshl_b64 s[6:7], s[6:7], 2
	s_add_u32 s8, s16, s6
	s_addc_u32 s9, s17, s7
	s_lshl_b64 s[6:7], s[18:19], 2
	s_add_u32 s24, s8, s6
	s_addc_u32 s25, s9, s7
	s_and_b64 vcc, exec, s[4:5]
	v_cmp_eq_u32_e64 s[4:5], 0, v0
	s_cbranch_vccnz .LBB489_6
; %bb.2:
	s_mov_b64 s[8:9], 0
	s_mov_b64 s[22:23], 0
                                        ; implicit-def: $vgpr1
                                        ; implicit-def: $sgpr6_sgpr7
	s_and_saveexec_b64 s[10:11], s[4:5]
	s_cbranch_execz .LBB489_7
; %bb.3:
	s_ashr_i32 s6, s2, 31
	s_mul_i32 s7, s2, s21
	s_mul_hi_u32 s12, s2, s20
	v_cmp_eq_f32_e64 s[4:5], s26, 0
	s_add_i32 s7, s12, s7
	s_mul_i32 s6, s6, s20
	v_mov_b32_e32 v1, 0
	s_add_i32 s7, s7, s6
	s_mul_i32 s6, s2, s20
	s_and_b64 vcc, exec, s[4:5]
	s_cbranch_vccnz .LBB489_5
; %bb.4:
	s_lshl_b64 s[4:5], s[6:7], 2
	s_add_u32 s4, s24, s4
	s_addc_u32 s5, s25, s5
	s_load_dword s4, s[4:5], 0x0
	v_mov_b32_e32 v1, s26
	s_waitcnt lgkmcnt(0)
	v_mul_f32_e32 v1, s4, v1
.LBB489_5:
	s_mov_b64 s[22:23], exec
	s_or_b64 exec, exec, s[10:11]
	s_and_b64 vcc, exec, s[8:9]
	s_cbranch_vccnz .LBB489_8
	s_branch .LBB489_27
.LBB489_6:
	s_mov_b64 s[22:23], 0
                                        ; implicit-def: $vgpr1
                                        ; implicit-def: $sgpr6_sgpr7
	s_cbranch_execnz .LBB489_8
	s_branch .LBB489_27
.LBB489_7:
	s_or_b64 exec, exec, s[10:11]
	s_and_b64 vcc, exec, s[8:9]
	s_cbranch_vccz .LBB489_27
.LBB489_8:
	s_load_dwordx16 s[4:19], s[0:1], 0x18
	s_load_dword s28, s[0:1], 0x0
	v_mov_b32_e32 v3, 0
	s_waitcnt lgkmcnt(0)
	s_mul_i32 s1, s3, s19
	s_mul_hi_u32 s19, s3, s18
	s_mul_i32 s0, s3, s18
	s_mul_i32 s11, s3, s11
	s_mul_hi_u32 s18, s3, s10
	s_add_i32 s11, s18, s11
	s_mul_i32 s10, s3, s10
	s_add_i32 s1, s19, s1
	s_lshl_b64 s[10:11], s[10:11], 1
	s_add_u32 s3, s4, s10
	s_addc_u32 s10, s5, s11
	s_lshl_b64 s[4:5], s[6:7], 1
	s_add_u32 s6, s3, s4
	s_addc_u32 s7, s10, s5
	s_ashr_i32 s3, s2, 31
	s_mul_i32 s4, s2, s9
	s_mul_hi_u32 s5, s2, s8
	s_add_i32 s4, s5, s4
	s_mul_i32 s5, s3, s8
	s_add_i32 s5, s4, s5
	s_mul_i32 s4, s2, s8
	v_cmp_gt_i32_e32 vcc, s28, v0
	s_lshl_b64 s[4:5], s[4:5], 1
	s_add_u32 s4, s4, s6
	v_cndmask_b32_e32 v1, 0, v0, vcc
	v_lshlrev_b32_e32 v2, 1, v1
	s_addc_u32 s5, s5, s7
	v_lshl_add_u64 v[4:5], s[4:5], 0, v[2:3]
	s_ashr_i32 s4, s28, 31
	s_lshr_b32 s4, s4, 24
	s_add_i32 s4, s28, s4
	s_and_b32 s4, s4, 0xffffff00
	v_cmp_gt_i32_e32 vcc, s4, v0
	s_and_saveexec_b64 s[6:7], vcc
	s_cbranch_execz .LBB489_12
; %bb.9:
	v_mad_u64_u32 v[2:3], s[10:11], s16, v0, 0
	v_mov_b32_e32 v6, v3
	v_mad_u64_u32 v[6:7], s[10:11], s17, v0, v[6:7]
	s_lshl_b64 s[8:9], s[0:1], 1
	s_lshl_b64 s[10:11], s[14:15], 1
	s_add_u32 s5, s12, s10
	s_addc_u32 s10, s13, s11
	s_add_u32 s8, s5, s8
	v_mov_b32_e32 v3, v6
	s_addc_u32 s9, s10, s9
	v_lshl_add_u64 v[6:7], v[2:3], 1, s[8:9]
	s_lshl_b64 s[10:11], s[16:17], 9
	s_mov_b64 s[8:9], 0
	v_mov_b32_e32 v3, 0
	s_mov_b64 s[18:19], 0x200
	v_mov_b64_e32 v[8:9], v[4:5]
	v_mov_b32_e32 v1, v0
.LBB489_10:                             ; =>This Inner Loop Header: Depth=1
	global_load_ushort v2, v[8:9], off
	global_load_ushort v10, v[6:7], off
	v_add_u32_e32 v1, 0x100, v1
	v_cmp_le_i32_e32 vcc, s4, v1
	v_lshl_add_u64 v[8:9], v[8:9], 0, s[18:19]
	v_lshl_add_u64 v[6:7], v[6:7], 0, s[10:11]
	s_or_b64 s[8:9], vcc, s[8:9]
	s_waitcnt vmcnt(0)
	v_mul_f16_e32 v2, v2, v10
	v_cvt_f32_f16_e32 v2, v2
	v_add_f32_e32 v3, v3, v2
	s_andn2_b64 exec, exec, s[8:9]
	s_cbranch_execnz .LBB489_10
; %bb.11:
	s_or_b64 exec, exec, s[8:9]
.LBB489_12:
	s_or_b64 exec, exec, s[6:7]
	v_add_u32_e32 v1, s4, v0
	v_cmp_gt_i32_e32 vcc, s28, v1
	s_and_saveexec_b64 s[6:7], vcc
	s_cbranch_execz .LBB489_14
; %bb.13:
	s_lshl_b64 s[0:1], s[0:1], 1
	s_add_u32 s5, s12, s0
	s_addc_u32 s8, s13, s1
	s_lshl_b64 s[0:1], s[14:15], 1
	s_add_u32 s0, s5, s0
	s_addc_u32 s1, s8, s1
	s_ashr_i32 s5, s4, 31
	v_lshl_add_u64 v[4:5], s[4:5], 1, v[4:5]
	global_load_ushort v2, v[4:5], off
	v_ashrrev_i32_e32 v4, 31, v1
	v_mul_lo_u32 v6, v1, s17
	v_mul_lo_u32 v7, v4, s16
	v_mad_u64_u32 v[4:5], s[4:5], v1, s16, 0
	v_add3_u32 v5, v5, v6, v7
	v_lshl_add_u64 v[4:5], v[4:5], 1, s[0:1]
	global_load_ushort v1, v[4:5], off
	s_waitcnt vmcnt(0)
	v_mul_f16_e32 v1, v2, v1
	v_cvt_f32_f16_e32 v1, v1
	v_add_f32_e32 v3, v3, v1
.LBB489_14:
	s_or_b64 exec, exec, s[6:7]
	v_and_b32_e32 v2, 63, v0
	v_cmp_gt_u32_e32 vcc, 64, v0
	v_lshlrev_b32_e32 v1, 2, v2
	s_and_saveexec_b64 s[0:1], vcc
	s_cbranch_execz .LBB489_16
; %bb.15:
	v_mov_b32_e32 v4, 0
	ds_write_b32 v1, v4
.LBB489_16:
	s_or_b64 exec, exec, s[0:1]
	v_mbcnt_lo_u32_b32 v4, -1, 0
	v_mbcnt_hi_u32_b32 v4, -1, v4
	v_and_b32_e32 v5, 63, v4
	v_cmp_gt_u32_e64 s[0:1], 32, v5
	s_waitcnt lgkmcnt(0)
	s_barrier
	v_cndmask_b32_e64 v6, 0, 1, s[0:1]
	v_lshlrev_b32_e32 v6, 5, v6
	v_add_lshl_u32 v6, v6, v4, 2
	ds_bpermute_b32 v6, v6, v3
	v_cmp_gt_u32_e64 s[0:1], 48, v5
	s_waitcnt lgkmcnt(0)
	v_add_f32_e32 v3, v3, v6
	v_cndmask_b32_e64 v7, 0, 1, s[0:1]
	v_lshlrev_b32_e32 v7, 4, v7
	v_add_lshl_u32 v6, v7, v4, 2
	ds_bpermute_b32 v6, v6, v3
	v_cmp_gt_u32_e64 s[0:1], 56, v5
	s_waitcnt lgkmcnt(0)
	v_add_f32_e32 v3, v3, v6
	;; [unrolled: 7-line block ×4, first 2 shown]
	v_cndmask_b32_e64 v7, 0, 1, s[0:1]
	v_lshlrev_b32_e32 v7, 1, v7
	v_add_lshl_u32 v3, v7, v4, 2
	ds_bpermute_b32 v7, v3, v6
	v_cmp_ne_u32_e64 s[0:1], 63, v5
	s_waitcnt lgkmcnt(0)
	v_add_f32_e32 v5, v6, v7
	v_addc_co_u32_e64 v4, s[0:1], 0, v4, s[0:1]
	v_lshlrev_b32_e32 v4, 2, v4
	ds_bpermute_b32 v6, v4, v5
	v_cmp_eq_u32_e64 s[0:1], 0, v2
	s_and_saveexec_b64 s[4:5], s[0:1]
	s_cbranch_execz .LBB489_18
; %bb.17:
	v_lshrrev_b32_e32 v2, 4, v0
	v_and_b32_e32 v2, 12, v2
	s_waitcnt lgkmcnt(0)
	v_add_f32_e32 v5, v5, v6
	ds_write_b32 v2, v5
.LBB489_18:
	s_or_b64 exec, exec, s[4:5]
	v_cmp_gt_u32_e64 s[0:1], 4, v0
	v_mov_b32_e32 v2, 0
	s_waitcnt lgkmcnt(0)
	s_barrier
	s_and_saveexec_b64 s[4:5], s[0:1]
	s_cbranch_execz .LBB489_20
; %bb.19:
	ds_read_b32 v2, v1
	s_or_b64 exec, exec, s[4:5]
	s_and_saveexec_b64 s[0:1], vcc
	s_cbranch_execz .LBB489_22
	s_branch .LBB489_21
.LBB489_20:
	s_or_b64 exec, exec, s[4:5]
	s_and_saveexec_b64 s[0:1], vcc
	s_cbranch_execz .LBB489_22
.LBB489_21:
	s_waitcnt lgkmcnt(0)
	ds_bpermute_b32 v1, v3, v2
	s_waitcnt lgkmcnt(0)
	v_add_f32_e32 v1, v2, v1
	ds_bpermute_b32 v2, v4, v1
	s_waitcnt lgkmcnt(0)
	v_add_f32_e32 v2, v1, v2
.LBB489_22:
	s_or_b64 exec, exec, s[0:1]
	v_cmp_eq_u32_e32 vcc, 0, v0
                                        ; implicit-def: $vgpr1
                                        ; implicit-def: $sgpr6_sgpr7
	s_and_saveexec_b64 s[0:1], vcc
	s_cbranch_execz .LBB489_26
; %bb.23:
	s_mul_i32 s6, s2, s21
	s_mul_hi_u32 s7, s2, s20
	v_cmp_eq_f32_e64 s[4:5], s26, 0
	s_add_i32 s6, s7, s6
	s_mul_i32 s3, s3, s20
	s_waitcnt lgkmcnt(0)
	v_mul_f32_e32 v1, s27, v2
	s_add_i32 s7, s6, s3
	s_mul_i32 s6, s2, s20
	s_and_b64 vcc, exec, s[4:5]
	s_cbranch_vccnz .LBB489_25
; %bb.24:
	s_lshl_b64 s[2:3], s[6:7], 2
	s_add_u32 s2, s24, s2
	s_addc_u32 s3, s25, s3
	s_load_dword s2, s[2:3], 0x0
	v_mov_b32_e32 v0, s26
	s_waitcnt lgkmcnt(0)
	v_fmac_f32_e32 v1, s2, v0
.LBB489_25:
	s_or_b64 s[22:23], s[22:23], exec
.LBB489_26:
	s_or_b64 exec, exec, s[0:1]
.LBB489_27:
	s_and_saveexec_b64 s[0:1], s[22:23]
	s_cbranch_execz .LBB489_29
; %bb.28:
	s_lshl_b64 s[0:1], s[6:7], 2
	s_add_u32 s0, s24, s0
	s_addc_u32 s1, s25, s1
	v_mov_b32_e32 v0, 0
	global_store_dword v0, v1, s[0:1]
.LBB489_29:
	s_endpgm
	.section	.rodata,"a",@progbits
	.p2align	6, 0x0
	.amdhsa_kernel _ZL32rocblas_gemvt_warp_reduce_kernelILb0ELi256ElDF16_ffEviiT3_lPKT2_lT1_lS3_lS4_lS0_lPT4_lS4_li
		.amdhsa_group_segment_fixed_size 256
		.amdhsa_private_segment_fixed_size 0
		.amdhsa_kernarg_size 140
		.amdhsa_user_sgpr_count 2
		.amdhsa_user_sgpr_dispatch_ptr 0
		.amdhsa_user_sgpr_queue_ptr 0
		.amdhsa_user_sgpr_kernarg_segment_ptr 1
		.amdhsa_user_sgpr_dispatch_id 0
		.amdhsa_user_sgpr_kernarg_preload_length 0
		.amdhsa_user_sgpr_kernarg_preload_offset 0
		.amdhsa_user_sgpr_private_segment_size 0
		.amdhsa_uses_dynamic_stack 0
		.amdhsa_enable_private_segment 0
		.amdhsa_system_sgpr_workgroup_id_x 1
		.amdhsa_system_sgpr_workgroup_id_y 0
		.amdhsa_system_sgpr_workgroup_id_z 1
		.amdhsa_system_sgpr_workgroup_info 0
		.amdhsa_system_vgpr_workitem_id 0
		.amdhsa_next_free_vgpr 11
		.amdhsa_next_free_sgpr 29
		.amdhsa_accum_offset 12
		.amdhsa_reserve_vcc 1
		.amdhsa_float_round_mode_32 0
		.amdhsa_float_round_mode_16_64 0
		.amdhsa_float_denorm_mode_32 3
		.amdhsa_float_denorm_mode_16_64 3
		.amdhsa_dx10_clamp 1
		.amdhsa_ieee_mode 1
		.amdhsa_fp16_overflow 0
		.amdhsa_tg_split 0
		.amdhsa_exception_fp_ieee_invalid_op 0
		.amdhsa_exception_fp_denorm_src 0
		.amdhsa_exception_fp_ieee_div_zero 0
		.amdhsa_exception_fp_ieee_overflow 0
		.amdhsa_exception_fp_ieee_underflow 0
		.amdhsa_exception_fp_ieee_inexact 0
		.amdhsa_exception_int_div_zero 0
	.end_amdhsa_kernel
	.section	.text._ZL32rocblas_gemvt_warp_reduce_kernelILb0ELi256ElDF16_ffEviiT3_lPKT2_lT1_lS3_lS4_lS0_lPT4_lS4_li,"axG",@progbits,_ZL32rocblas_gemvt_warp_reduce_kernelILb0ELi256ElDF16_ffEviiT3_lPKT2_lT1_lS3_lS4_lS0_lPT4_lS4_li,comdat
.Lfunc_end489:
	.size	_ZL32rocblas_gemvt_warp_reduce_kernelILb0ELi256ElDF16_ffEviiT3_lPKT2_lT1_lS3_lS4_lS0_lPT4_lS4_li, .Lfunc_end489-_ZL32rocblas_gemvt_warp_reduce_kernelILb0ELi256ElDF16_ffEviiT3_lPKT2_lT1_lS3_lS4_lS0_lPT4_lS4_li
                                        ; -- End function
	.section	.AMDGPU.csdata,"",@progbits
; Kernel info:
; codeLenInByte = 1328
; NumSgprs: 35
; NumVgprs: 11
; NumAgprs: 0
; TotalNumVgprs: 11
; ScratchSize: 0
; MemoryBound: 0
; FloatMode: 240
; IeeeMode: 1
; LDSByteSize: 256 bytes/workgroup (compile time only)
; SGPRBlocks: 4
; VGPRBlocks: 1
; NumSGPRsForWavesPerEU: 35
; NumVGPRsForWavesPerEU: 11
; AccumOffset: 12
; Occupancy: 8
; WaveLimiterHint : 1
; COMPUTE_PGM_RSRC2:SCRATCH_EN: 0
; COMPUTE_PGM_RSRC2:USER_SGPR: 2
; COMPUTE_PGM_RSRC2:TRAP_HANDLER: 0
; COMPUTE_PGM_RSRC2:TGID_X_EN: 1
; COMPUTE_PGM_RSRC2:TGID_Y_EN: 0
; COMPUTE_PGM_RSRC2:TGID_Z_EN: 1
; COMPUTE_PGM_RSRC2:TIDIG_COMP_CNT: 0
; COMPUTE_PGM_RSRC3_GFX90A:ACCUM_OFFSET: 2
; COMPUTE_PGM_RSRC3_GFX90A:TG_SPLIT: 0
	.section	.text._ZL20rocblas_gemvt_kernelILb0ELi256EDF16_PKffEviiT2_lPKT1_lilS5_lilS2_lPT3_lili,"axG",@progbits,_ZL20rocblas_gemvt_kernelILb0ELi256EDF16_PKffEviiT2_lPKT1_lilS5_lilS2_lPT3_lili,comdat
	.globl	_ZL20rocblas_gemvt_kernelILb0ELi256EDF16_PKffEviiT2_lPKT1_lilS5_lilS2_lPT3_lili ; -- Begin function _ZL20rocblas_gemvt_kernelILb0ELi256EDF16_PKffEviiT2_lPKT1_lilS5_lilS2_lPT3_lili
	.p2align	8
	.type	_ZL20rocblas_gemvt_kernelILb0ELi256EDF16_PKffEviiT2_lPKT1_lilS5_lilS2_lPT3_lili,@function
_ZL20rocblas_gemvt_kernelILb0ELi256EDF16_PKffEviiT2_lPKT1_lilS5_lilS2_lPT3_lili: ; @_ZL20rocblas_gemvt_kernelILb0ELi256EDF16_PKffEviiT2_lPKT1_lilS5_lilS2_lPT3_lili
; %bb.0:
	s_load_dwordx8 s[4:11], s[0:1], 0x8
	s_load_dwordx8 s[12:19], s[0:1], 0x50
	s_waitcnt lgkmcnt(0)
	s_mul_i32 s7, s3, s7
	s_mul_hi_u32 s20, s3, s6
	s_add_i32 s7, s20, s7
	s_mul_i32 s6, s3, s6
	s_lshl_b64 s[6:7], s[6:7], 2
	s_add_u32 s4, s4, s6
	s_addc_u32 s5, s5, s7
	s_load_dword s22, s[4:5], 0x0
	s_mul_i32 s4, s3, s17
	s_mul_hi_u32 s5, s3, s16
	s_add_i32 s5, s5, s4
	s_mul_i32 s4, s3, s16
	s_lshl_b64 s[4:5], s[4:5], 2
	s_add_u32 s4, s14, s4
	s_addc_u32 s5, s15, s5
	s_load_dword s23, s[4:5], 0x0
	s_waitcnt lgkmcnt(0)
	v_cmp_eq_f32_e64 s[4:5], s22, 0
	v_cmp_eq_f32_e64 s[6:7], s23, 1.0
	s_and_b64 s[4:5], s[4:5], s[6:7]
	s_and_b64 vcc, exec, s[4:5]
	s_cbranch_vccnz .LBB490_36
; %bb.1:
	s_load_dwordx2 s[4:5], s[0:1], 0x80
	s_load_dwordx2 s[6:7], s[0:1], 0x70
	s_load_dword s24, s[0:1], 0x78
	s_waitcnt lgkmcnt(0)
	s_mul_i32 s5, s3, s5
	s_mul_hi_u32 s14, s3, s4
	s_mul_i32 s4, s3, s4
	s_add_i32 s5, s14, s5
	s_lshl_b64 s[4:5], s[4:5], 2
	s_add_u32 s14, s18, s4
	s_addc_u32 s15, s19, s5
	s_lshl_b64 s[4:5], s[6:7], 2
	s_add_u32 s20, s14, s4
	s_addc_u32 s21, s15, s5
	v_cmp_neq_f32_e64 s[4:5], s22, 0
	s_and_b64 vcc, exec, s[4:5]
	v_cmp_eq_u32_e64 s[4:5], 0, v0
	s_cbranch_vccnz .LBB490_6
; %bb.2:
	s_mov_b64 s[16:17], 0
	s_mov_b64 s[14:15], 0
                                        ; implicit-def: $vgpr1
                                        ; implicit-def: $sgpr6_sgpr7
	s_and_saveexec_b64 s[18:19], s[4:5]
	s_cbranch_execz .LBB490_7
; %bb.3:
	v_cmp_eq_f32_e64 s[4:5], s23, 0
	v_mov_b32_e32 v1, 0
	s_mul_hi_i32 s7, s24, s2
	s_mul_i32 s6, s24, s2
	s_and_b64 vcc, exec, s[4:5]
	s_cbranch_vccnz .LBB490_5
; %bb.4:
	s_lshl_b64 s[4:5], s[6:7], 2
	s_add_u32 s4, s20, s4
	s_addc_u32 s5, s21, s5
	s_load_dword s4, s[4:5], 0x0
	s_waitcnt lgkmcnt(0)
	v_mov_b32_e32 v1, s4
	v_mul_f32_e32 v1, s23, v1
.LBB490_5:
	s_mov_b64 s[14:15], exec
	s_or_b64 exec, exec, s[18:19]
	s_and_b64 vcc, exec, s[16:17]
	s_cbranch_vccnz .LBB490_8
	s_branch .LBB490_34
.LBB490_6:
	s_mov_b64 s[14:15], 0
                                        ; implicit-def: $vgpr1
                                        ; implicit-def: $sgpr6_sgpr7
	s_cbranch_execnz .LBB490_8
	s_branch .LBB490_34
.LBB490_7:
	s_or_b64 exec, exec, s[18:19]
	s_and_b64 vcc, exec, s[16:17]
	s_cbranch_vccz .LBB490_34
.LBB490_8:
	s_load_dword s18, s[0:1], 0x0
	s_load_dword s19, s[0:1], 0x28
	s_load_dwordx4 s[4:7], s[0:1], 0x30
	s_load_dwordx2 s[16:17], s[0:1], 0x40
	s_mul_i32 s13, s3, s13
	s_load_dword s0, s[0:1], 0x48
	s_mul_hi_u32 s25, s3, s12
	s_waitcnt lgkmcnt(0)
	s_mul_i32 s1, s3, s5
	s_mul_hi_u32 s5, s3, s4
	s_add_i32 s5, s5, s1
	s_mul_i32 s4, s3, s4
	s_add_i32 s13, s25, s13
	s_lshl_b64 s[4:5], s[4:5], 1
	s_add_u32 s1, s8, s4
	s_mul_i32 s12, s3, s12
	s_addc_u32 s3, s9, s5
	s_lshl_b64 s[4:5], s[10:11], 1
	s_add_u32 s1, s1, s4
	s_addc_u32 s9, s3, s5
	s_mul_hi_i32 s5, s19, s2
	s_mul_i32 s4, s19, s2
	s_lshl_b64 s[4:5], s[4:5], 1
	s_add_u32 s8, s4, s1
	s_addc_u32 s9, s5, s9
	s_ashr_i32 s1, s18, 31
	v_cmp_gt_i32_e32 vcc, s18, v0
	s_lshr_b32 s1, s1, 24
	s_add_i32 s1, s18, s1
	v_cndmask_b32_e32 v1, 0, v0, vcc
	v_lshlrev_b32_e32 v2, 1, v1
	v_mov_b32_e32 v3, 0
	s_and_b32 s4, s1, 0xffffff00
	s_mov_b32 s3, 0
	s_cmpk_lt_i32 s18, 0x100
	v_lshl_add_u64 v[4:5], s[8:9], 0, v[2:3]
	s_cbranch_scc1 .LBB490_11
; %bb.9:
	v_mad_i64_i32 v[2:3], s[10:11], s0, v0, 0
	s_ashr_i32 s1, s0, 31
	s_lshl_b64 s[8:9], s[12:13], 1
	s_lshl_b64 s[10:11], s[16:17], 1
	s_add_u32 s5, s6, s10
	s_addc_u32 s10, s7, s11
	s_add_u32 s8, s5, s8
	s_addc_u32 s9, s10, s9
	v_lshl_add_u64 v[6:7], v[2:3], 1, s[8:9]
	s_lshl_b64 s[8:9], s[0:1], 9
	v_mov_b32_e32 v3, 0
	s_mov_b64 s[10:11], 0x200
	v_mov_b64_e32 v[8:9], v[4:5]
.LBB490_10:                             ; =>This Inner Loop Header: Depth=1
	global_load_ushort v1, v[8:9], off
	global_load_ushort v2, v[6:7], off
	s_addk_i32 s3, 0x100
	v_lshl_add_u64 v[6:7], v[6:7], 0, s[8:9]
	v_lshl_add_u64 v[8:9], v[8:9], 0, s[10:11]
	s_cmp_ge_i32 s3, s4
	s_waitcnt vmcnt(0)
	v_mul_f16_e32 v1, v1, v2
	v_cvt_f32_f16_e32 v1, v1
	v_add_f32_e32 v3, v3, v1
	s_cbranch_scc0 .LBB490_10
.LBB490_11:
	v_add_u32_e32 v1, s4, v0
	v_cmp_gt_i32_e32 vcc, s18, v1
	s_and_saveexec_b64 s[8:9], vcc
	s_cbranch_execz .LBB490_13
; %bb.12:
	s_lshl_b64 s[10:11], s[12:13], 1
	s_add_u32 s1, s6, s10
	s_addc_u32 s3, s7, s11
	s_lshl_b64 s[6:7], s[16:17], 1
	s_add_u32 s6, s1, s6
	s_addc_u32 s7, s3, s7
	s_ashr_i32 s5, s4, 31
	v_lshl_add_u64 v[4:5], s[4:5], 1, v[4:5]
	global_load_ushort v2, v[4:5], off
	v_mad_i64_i32 v[4:5], s[0:1], s0, v1, 0
	v_lshl_add_u64 v[4:5], v[4:5], 1, s[6:7]
	global_load_ushort v1, v[4:5], off
	s_waitcnt vmcnt(0)
	v_mul_f16_e32 v1, v2, v1
	v_cvt_f32_f16_e32 v1, v1
	v_add_f32_e32 v3, v3, v1
.LBB490_13:
	s_or_b64 exec, exec, s[8:9]
	s_movk_i32 s0, 0x80
	v_lshlrev_b32_e32 v1, 2, v0
	v_cmp_gt_u32_e32 vcc, s0, v0
	ds_write_b32 v1, v3
	s_waitcnt lgkmcnt(0)
	s_barrier
	s_and_saveexec_b64 s[0:1], vcc
	s_cbranch_execz .LBB490_15
; %bb.14:
	ds_read2st64_b32 v[2:3], v1 offset1:2
	s_waitcnt lgkmcnt(0)
	v_add_f32_e32 v2, v3, v2
	ds_write_b32 v1, v2
.LBB490_15:
	s_or_b64 exec, exec, s[0:1]
	v_cmp_gt_u32_e32 vcc, 64, v0
	s_waitcnt lgkmcnt(0)
	s_barrier
	s_and_saveexec_b64 s[0:1], vcc
	s_cbranch_execz .LBB490_17
; %bb.16:
	ds_read2st64_b32 v[2:3], v1 offset1:1
	s_waitcnt lgkmcnt(0)
	v_add_f32_e32 v2, v3, v2
	ds_write_b32 v1, v2
.LBB490_17:
	s_or_b64 exec, exec, s[0:1]
	v_cmp_gt_u32_e32 vcc, 32, v0
	s_waitcnt lgkmcnt(0)
	s_barrier
	s_and_saveexec_b64 s[0:1], vcc
	s_cbranch_execz .LBB490_19
; %bb.18:
	ds_read2_b32 v[2:3], v1 offset1:32
	s_waitcnt lgkmcnt(0)
	v_add_f32_e32 v2, v3, v2
	ds_write_b32 v1, v2
.LBB490_19:
	s_or_b64 exec, exec, s[0:1]
	v_cmp_gt_u32_e32 vcc, 16, v0
	s_waitcnt lgkmcnt(0)
	s_barrier
	s_and_saveexec_b64 s[0:1], vcc
	s_cbranch_execz .LBB490_21
; %bb.20:
	ds_read2_b32 v[2:3], v1 offset1:16
	s_waitcnt lgkmcnt(0)
	v_add_f32_e32 v2, v3, v2
	ds_write_b32 v1, v2
.LBB490_21:
	;; [unrolled: 12-line block ×5, first 2 shown]
	s_or_b64 exec, exec, s[0:1]
	v_cmp_eq_u32_e32 vcc, 0, v0
	s_waitcnt lgkmcnt(0)
	s_barrier
	s_and_saveexec_b64 s[0:1], vcc
	s_cbranch_execz .LBB490_29
; %bb.28:
	v_mov_b32_e32 v2, 0
	ds_read_b64 v[0:1], v2
	s_waitcnt lgkmcnt(0)
	v_add_f32_e32 v0, v1, v0
	ds_write_b32 v2, v0
.LBB490_29:
	s_or_b64 exec, exec, s[0:1]
	s_waitcnt lgkmcnt(0)
	s_barrier
	s_waitcnt lgkmcnt(0)
                                        ; implicit-def: $vgpr1
                                        ; implicit-def: $sgpr6_sgpr7
	s_and_saveexec_b64 s[0:1], vcc
	s_cbranch_execz .LBB490_33
; %bb.30:
	v_mov_b32_e32 v0, 0
	ds_read_b32 v0, v0
	v_cmp_eq_f32_e64 s[4:5], s23, 0
	s_mul_hi_i32 s7, s24, s2
	s_mul_i32 s6, s24, s2
	s_and_b64 vcc, exec, s[4:5]
	s_waitcnt lgkmcnt(0)
	v_mul_f32_e32 v1, s22, v0
	s_cbranch_vccnz .LBB490_32
; %bb.31:
	s_lshl_b64 s[2:3], s[6:7], 2
	s_add_u32 s2, s20, s2
	s_addc_u32 s3, s21, s3
	s_load_dword s2, s[2:3], 0x0
	s_waitcnt lgkmcnt(0)
	v_mov_b32_e32 v0, s2
	v_fmac_f32_e32 v1, s23, v0
.LBB490_32:
	s_or_b64 s[14:15], s[14:15], exec
.LBB490_33:
	s_or_b64 exec, exec, s[0:1]
.LBB490_34:
	s_and_saveexec_b64 s[0:1], s[14:15]
	s_cbranch_execz .LBB490_36
; %bb.35:
	s_lshl_b64 s[0:1], s[6:7], 2
	s_add_u32 s0, s20, s0
	s_addc_u32 s1, s21, s1
	v_mov_b32_e32 v0, 0
	global_store_dword v0, v1, s[0:1]
.LBB490_36:
	s_endpgm
	.section	.rodata,"a",@progbits
	.p2align	6, 0x0
	.amdhsa_kernel _ZL20rocblas_gemvt_kernelILb0ELi256EDF16_PKffEviiT2_lPKT1_lilS5_lilS2_lPT3_lili
		.amdhsa_group_segment_fixed_size 1024
		.amdhsa_private_segment_fixed_size 0
		.amdhsa_kernarg_size 140
		.amdhsa_user_sgpr_count 2
		.amdhsa_user_sgpr_dispatch_ptr 0
		.amdhsa_user_sgpr_queue_ptr 0
		.amdhsa_user_sgpr_kernarg_segment_ptr 1
		.amdhsa_user_sgpr_dispatch_id 0
		.amdhsa_user_sgpr_kernarg_preload_length 0
		.amdhsa_user_sgpr_kernarg_preload_offset 0
		.amdhsa_user_sgpr_private_segment_size 0
		.amdhsa_uses_dynamic_stack 0
		.amdhsa_enable_private_segment 0
		.amdhsa_system_sgpr_workgroup_id_x 1
		.amdhsa_system_sgpr_workgroup_id_y 0
		.amdhsa_system_sgpr_workgroup_id_z 1
		.amdhsa_system_sgpr_workgroup_info 0
		.amdhsa_system_vgpr_workitem_id 0
		.amdhsa_next_free_vgpr 10
		.amdhsa_next_free_sgpr 26
		.amdhsa_accum_offset 12
		.amdhsa_reserve_vcc 1
		.amdhsa_float_round_mode_32 0
		.amdhsa_float_round_mode_16_64 0
		.amdhsa_float_denorm_mode_32 3
		.amdhsa_float_denorm_mode_16_64 3
		.amdhsa_dx10_clamp 1
		.amdhsa_ieee_mode 1
		.amdhsa_fp16_overflow 0
		.amdhsa_tg_split 0
		.amdhsa_exception_fp_ieee_invalid_op 0
		.amdhsa_exception_fp_denorm_src 0
		.amdhsa_exception_fp_ieee_div_zero 0
		.amdhsa_exception_fp_ieee_overflow 0
		.amdhsa_exception_fp_ieee_underflow 0
		.amdhsa_exception_fp_ieee_inexact 0
		.amdhsa_exception_int_div_zero 0
	.end_amdhsa_kernel
	.section	.text._ZL20rocblas_gemvt_kernelILb0ELi256EDF16_PKffEviiT2_lPKT1_lilS5_lilS2_lPT3_lili,"axG",@progbits,_ZL20rocblas_gemvt_kernelILb0ELi256EDF16_PKffEviiT2_lPKT1_lilS5_lilS2_lPT3_lili,comdat
.Lfunc_end490:
	.size	_ZL20rocblas_gemvt_kernelILb0ELi256EDF16_PKffEviiT2_lPKT1_lilS5_lilS2_lPT3_lili, .Lfunc_end490-_ZL20rocblas_gemvt_kernelILb0ELi256EDF16_PKffEviiT2_lPKT1_lilS5_lilS2_lPT3_lili
                                        ; -- End function
	.section	.AMDGPU.csdata,"",@progbits
; Kernel info:
; codeLenInByte = 1284
; NumSgprs: 32
; NumVgprs: 10
; NumAgprs: 0
; TotalNumVgprs: 10
; ScratchSize: 0
; MemoryBound: 0
; FloatMode: 240
; IeeeMode: 1
; LDSByteSize: 1024 bytes/workgroup (compile time only)
; SGPRBlocks: 3
; VGPRBlocks: 1
; NumSGPRsForWavesPerEU: 32
; NumVGPRsForWavesPerEU: 10
; AccumOffset: 12
; Occupancy: 8
; WaveLimiterHint : 1
; COMPUTE_PGM_RSRC2:SCRATCH_EN: 0
; COMPUTE_PGM_RSRC2:USER_SGPR: 2
; COMPUTE_PGM_RSRC2:TRAP_HANDLER: 0
; COMPUTE_PGM_RSRC2:TGID_X_EN: 1
; COMPUTE_PGM_RSRC2:TGID_Y_EN: 0
; COMPUTE_PGM_RSRC2:TGID_Z_EN: 1
; COMPUTE_PGM_RSRC2:TIDIG_COMP_CNT: 0
; COMPUTE_PGM_RSRC3_GFX90A:ACCUM_OFFSET: 2
; COMPUTE_PGM_RSRC3_GFX90A:TG_SPLIT: 0
	.section	.text._ZL20rocblas_gemvt_kernelILb0ELi256EDF16_ffEviiT2_lPKT1_lilS3_lilS0_lPT3_lili,"axG",@progbits,_ZL20rocblas_gemvt_kernelILb0ELi256EDF16_ffEviiT2_lPKT1_lilS3_lilS0_lPT3_lili,comdat
	.globl	_ZL20rocblas_gemvt_kernelILb0ELi256EDF16_ffEviiT2_lPKT1_lilS3_lilS0_lPT3_lili ; -- Begin function _ZL20rocblas_gemvt_kernelILb0ELi256EDF16_ffEviiT2_lPKT1_lilS3_lilS0_lPT3_lili
	.p2align	8
	.type	_ZL20rocblas_gemvt_kernelILb0ELi256EDF16_ffEviiT2_lPKT1_lilS3_lilS0_lPT3_lili,@function
_ZL20rocblas_gemvt_kernelILb0ELi256EDF16_ffEviiT2_lPKT1_lilS3_lilS0_lPT3_lili: ; @_ZL20rocblas_gemvt_kernelILb0ELi256EDF16_ffEviiT2_lPKT1_lilS3_lilS0_lPT3_lili
; %bb.0:
	s_load_dword s21, s[0:1], 0x8
	s_load_dword s20, s[0:1], 0x58
	s_waitcnt lgkmcnt(0)
	v_cmp_eq_f32_e64 s[4:5], s21, 0
	v_cmp_eq_f32_e64 s[6:7], s20, 1.0
	s_and_b64 s[4:5], s[4:5], s[6:7]
	s_and_b64 vcc, exec, s[4:5]
	s_cbranch_vccnz .LBB491_36
; %bb.1:
	s_load_dwordx2 s[8:9], s[0:1], 0x80
	s_load_dwordx4 s[4:7], s[0:1], 0x68
	s_load_dword s22, s[0:1], 0x78
	s_waitcnt lgkmcnt(0)
	s_mul_i32 s9, s3, s9
	s_mul_hi_u32 s10, s3, s8
	s_mul_i32 s8, s3, s8
	s_add_i32 s9, s10, s9
	s_lshl_b64 s[8:9], s[8:9], 2
	s_add_u32 s8, s4, s8
	s_addc_u32 s9, s5, s9
	s_lshl_b64 s[4:5], s[6:7], 2
	s_add_u32 s18, s8, s4
	s_addc_u32 s19, s9, s5
	v_cmp_neq_f32_e64 s[4:5], s21, 0
	s_and_b64 vcc, exec, s[4:5]
	v_cmp_eq_u32_e64 s[4:5], 0, v0
	s_cbranch_vccnz .LBB491_6
; %bb.2:
	s_mov_b64 s[10:11], 0
	s_mov_b64 s[8:9], 0
                                        ; implicit-def: $vgpr1
                                        ; implicit-def: $sgpr6_sgpr7
	s_and_saveexec_b64 s[12:13], s[4:5]
	s_cbranch_execz .LBB491_7
; %bb.3:
	v_cmp_eq_f32_e64 s[4:5], s20, 0
	v_mov_b32_e32 v1, 0
	s_mul_hi_i32 s7, s22, s2
	s_mul_i32 s6, s22, s2
	s_and_b64 vcc, exec, s[4:5]
	s_cbranch_vccnz .LBB491_5
; %bb.4:
	s_lshl_b64 s[4:5], s[6:7], 2
	s_add_u32 s4, s18, s4
	s_addc_u32 s5, s19, s5
	s_load_dword s4, s[4:5], 0x0
	v_mov_b32_e32 v1, s20
	s_waitcnt lgkmcnt(0)
	v_mul_f32_e32 v1, s4, v1
.LBB491_5:
	s_mov_b64 s[8:9], exec
	s_or_b64 exec, exec, s[12:13]
	s_and_b64 vcc, exec, s[10:11]
	s_cbranch_vccnz .LBB491_8
	s_branch .LBB491_34
.LBB491_6:
	s_mov_b64 s[8:9], 0
                                        ; implicit-def: $vgpr1
                                        ; implicit-def: $sgpr6_sgpr7
	s_cbranch_execnz .LBB491_8
	s_branch .LBB491_34
.LBB491_7:
	s_or_b64 exec, exec, s[12:13]
	s_and_b64 vcc, exec, s[10:11]
	s_cbranch_vccz .LBB491_34
.LBB491_8:
	s_load_dwordx2 s[14:15], s[0:1], 0x50
	s_load_dword s23, s[0:1], 0x0
	s_load_dwordx4 s[24:27], s[0:1], 0x18
	s_load_dword s13, s[0:1], 0x28
	s_load_dwordx4 s[4:7], s[0:1], 0x30
	s_load_dwordx2 s[10:11], s[0:1], 0x40
	s_load_dword s12, s[0:1], 0x48
	s_waitcnt lgkmcnt(0)
	s_mul_i32 s0, s3, s15
	s_mul_hi_u32 s1, s3, s14
	s_add_i32 s1, s1, s0
	s_mul_i32 s0, s3, s14
	s_mul_i32 s5, s3, s5
	s_mul_hi_u32 s14, s3, s4
	s_add_i32 s5, s14, s5
	s_mul_i32 s4, s3, s4
	s_lshl_b64 s[4:5], s[4:5], 1
	s_add_u32 s3, s24, s4
	s_addc_u32 s14, s25, s5
	s_lshl_b64 s[4:5], s[26:27], 1
	s_add_u32 s15, s3, s4
	s_addc_u32 s16, s14, s5
	s_mul_hi_i32 s5, s13, s2
	s_mul_i32 s4, s13, s2
	s_lshl_b64 s[4:5], s[4:5], 1
	s_add_u32 s14, s4, s15
	s_addc_u32 s15, s5, s16
	s_ashr_i32 s4, s23, 31
	v_cmp_gt_i32_e32 vcc, s23, v0
	s_lshr_b32 s4, s4, 24
	s_add_i32 s4, s23, s4
	v_cndmask_b32_e32 v1, 0, v0, vcc
	v_lshlrev_b32_e32 v2, 1, v1
	v_mov_b32_e32 v3, 0
	s_and_b32 s4, s4, 0xffffff00
	s_mov_b32 s3, 0
	s_cmpk_lt_i32 s23, 0x100
	v_lshl_add_u64 v[4:5], s[14:15], 0, v[2:3]
	s_cbranch_scc1 .LBB491_11
; %bb.9:
	v_mad_i64_i32 v[2:3], s[16:17], s12, v0, 0
	s_ashr_i32 s13, s12, 31
	s_lshl_b64 s[14:15], s[0:1], 1
	s_lshl_b64 s[16:17], s[10:11], 1
	s_add_u32 s5, s6, s16
	s_addc_u32 s16, s7, s17
	s_add_u32 s14, s5, s14
	s_addc_u32 s15, s16, s15
	v_lshl_add_u64 v[6:7], v[2:3], 1, s[14:15]
	s_lshl_b64 s[14:15], s[12:13], 9
	v_mov_b32_e32 v3, 0
	s_mov_b64 s[16:17], 0x200
	v_mov_b64_e32 v[8:9], v[4:5]
.LBB491_10:                             ; =>This Inner Loop Header: Depth=1
	global_load_ushort v1, v[8:9], off
	global_load_ushort v2, v[6:7], off
	s_addk_i32 s3, 0x100
	v_lshl_add_u64 v[6:7], v[6:7], 0, s[14:15]
	v_lshl_add_u64 v[8:9], v[8:9], 0, s[16:17]
	s_cmp_ge_i32 s3, s4
	s_waitcnt vmcnt(0)
	v_mul_f16_e32 v1, v1, v2
	v_cvt_f32_f16_e32 v1, v1
	v_add_f32_e32 v3, v3, v1
	s_cbranch_scc0 .LBB491_10
.LBB491_11:
	v_add_u32_e32 v1, s4, v0
	v_cmp_gt_i32_e32 vcc, s23, v1
	s_and_saveexec_b64 s[14:15], vcc
	s_cbranch_execz .LBB491_13
; %bb.12:
	s_lshl_b64 s[0:1], s[0:1], 1
	s_add_u32 s3, s6, s0
	s_addc_u32 s5, s7, s1
	s_lshl_b64 s[0:1], s[10:11], 1
	s_add_u32 s0, s3, s0
	s_addc_u32 s1, s5, s1
	s_ashr_i32 s5, s4, 31
	v_lshl_add_u64 v[4:5], s[4:5], 1, v[4:5]
	global_load_ushort v2, v[4:5], off
	v_mad_i64_i32 v[4:5], s[4:5], s12, v1, 0
	v_lshl_add_u64 v[4:5], v[4:5], 1, s[0:1]
	global_load_ushort v1, v[4:5], off
	s_waitcnt vmcnt(0)
	v_mul_f16_e32 v1, v2, v1
	v_cvt_f32_f16_e32 v1, v1
	v_add_f32_e32 v3, v3, v1
.LBB491_13:
	s_or_b64 exec, exec, s[14:15]
	s_movk_i32 s0, 0x80
	v_lshlrev_b32_e32 v1, 2, v0
	v_cmp_gt_u32_e32 vcc, s0, v0
	ds_write_b32 v1, v3
	s_waitcnt lgkmcnt(0)
	s_barrier
	s_and_saveexec_b64 s[0:1], vcc
	s_cbranch_execz .LBB491_15
; %bb.14:
	ds_read2st64_b32 v[2:3], v1 offset1:2
	s_waitcnt lgkmcnt(0)
	v_add_f32_e32 v2, v3, v2
	ds_write_b32 v1, v2
.LBB491_15:
	s_or_b64 exec, exec, s[0:1]
	v_cmp_gt_u32_e32 vcc, 64, v0
	s_waitcnt lgkmcnt(0)
	s_barrier
	s_and_saveexec_b64 s[0:1], vcc
	s_cbranch_execz .LBB491_17
; %bb.16:
	ds_read2st64_b32 v[2:3], v1 offset1:1
	s_waitcnt lgkmcnt(0)
	v_add_f32_e32 v2, v3, v2
	ds_write_b32 v1, v2
.LBB491_17:
	s_or_b64 exec, exec, s[0:1]
	v_cmp_gt_u32_e32 vcc, 32, v0
	s_waitcnt lgkmcnt(0)
	s_barrier
	s_and_saveexec_b64 s[0:1], vcc
	s_cbranch_execz .LBB491_19
; %bb.18:
	ds_read2_b32 v[2:3], v1 offset1:32
	s_waitcnt lgkmcnt(0)
	v_add_f32_e32 v2, v3, v2
	ds_write_b32 v1, v2
.LBB491_19:
	s_or_b64 exec, exec, s[0:1]
	v_cmp_gt_u32_e32 vcc, 16, v0
	s_waitcnt lgkmcnt(0)
	s_barrier
	s_and_saveexec_b64 s[0:1], vcc
	s_cbranch_execz .LBB491_21
; %bb.20:
	ds_read2_b32 v[2:3], v1 offset1:16
	s_waitcnt lgkmcnt(0)
	v_add_f32_e32 v2, v3, v2
	ds_write_b32 v1, v2
.LBB491_21:
	;; [unrolled: 12-line block ×5, first 2 shown]
	s_or_b64 exec, exec, s[0:1]
	v_cmp_eq_u32_e32 vcc, 0, v0
	s_waitcnt lgkmcnt(0)
	s_barrier
	s_and_saveexec_b64 s[0:1], vcc
	s_cbranch_execz .LBB491_29
; %bb.28:
	v_mov_b32_e32 v2, 0
	ds_read_b64 v[0:1], v2
	s_waitcnt lgkmcnt(0)
	v_add_f32_e32 v0, v1, v0
	ds_write_b32 v2, v0
.LBB491_29:
	s_or_b64 exec, exec, s[0:1]
	s_waitcnt lgkmcnt(0)
	s_barrier
	s_waitcnt lgkmcnt(0)
                                        ; implicit-def: $vgpr1
                                        ; implicit-def: $sgpr6_sgpr7
	s_and_saveexec_b64 s[0:1], vcc
	s_cbranch_execz .LBB491_33
; %bb.30:
	v_mov_b32_e32 v0, 0
	ds_read_b32 v0, v0
	v_cmp_eq_f32_e64 s[4:5], s20, 0
	s_mul_hi_i32 s7, s22, s2
	s_mul_i32 s6, s22, s2
	s_and_b64 vcc, exec, s[4:5]
	s_waitcnt lgkmcnt(0)
	v_mul_f32_e32 v1, s21, v0
	s_cbranch_vccnz .LBB491_32
; %bb.31:
	s_lshl_b64 s[2:3], s[6:7], 2
	s_add_u32 s2, s18, s2
	s_addc_u32 s3, s19, s3
	s_load_dword s2, s[2:3], 0x0
	v_mov_b32_e32 v0, s20
	s_waitcnt lgkmcnt(0)
	v_fmac_f32_e32 v1, s2, v0
.LBB491_32:
	s_or_b64 s[8:9], s[8:9], exec
.LBB491_33:
	s_or_b64 exec, exec, s[0:1]
.LBB491_34:
	s_and_saveexec_b64 s[0:1], s[8:9]
	s_cbranch_execz .LBB491_36
; %bb.35:
	s_lshl_b64 s[0:1], s[6:7], 2
	s_add_u32 s0, s18, s0
	s_addc_u32 s1, s19, s1
	v_mov_b32_e32 v0, 0
	global_store_dword v0, v1, s[0:1]
.LBB491_36:
	s_endpgm
	.section	.rodata,"a",@progbits
	.p2align	6, 0x0
	.amdhsa_kernel _ZL20rocblas_gemvt_kernelILb0ELi256EDF16_ffEviiT2_lPKT1_lilS3_lilS0_lPT3_lili
		.amdhsa_group_segment_fixed_size 1024
		.amdhsa_private_segment_fixed_size 0
		.amdhsa_kernarg_size 140
		.amdhsa_user_sgpr_count 2
		.amdhsa_user_sgpr_dispatch_ptr 0
		.amdhsa_user_sgpr_queue_ptr 0
		.amdhsa_user_sgpr_kernarg_segment_ptr 1
		.amdhsa_user_sgpr_dispatch_id 0
		.amdhsa_user_sgpr_kernarg_preload_length 0
		.amdhsa_user_sgpr_kernarg_preload_offset 0
		.amdhsa_user_sgpr_private_segment_size 0
		.amdhsa_uses_dynamic_stack 0
		.amdhsa_enable_private_segment 0
		.amdhsa_system_sgpr_workgroup_id_x 1
		.amdhsa_system_sgpr_workgroup_id_y 0
		.amdhsa_system_sgpr_workgroup_id_z 1
		.amdhsa_system_sgpr_workgroup_info 0
		.amdhsa_system_vgpr_workitem_id 0
		.amdhsa_next_free_vgpr 10
		.amdhsa_next_free_sgpr 28
		.amdhsa_accum_offset 12
		.amdhsa_reserve_vcc 1
		.amdhsa_float_round_mode_32 0
		.amdhsa_float_round_mode_16_64 0
		.amdhsa_float_denorm_mode_32 3
		.amdhsa_float_denorm_mode_16_64 3
		.amdhsa_dx10_clamp 1
		.amdhsa_ieee_mode 1
		.amdhsa_fp16_overflow 0
		.amdhsa_tg_split 0
		.amdhsa_exception_fp_ieee_invalid_op 0
		.amdhsa_exception_fp_denorm_src 0
		.amdhsa_exception_fp_ieee_div_zero 0
		.amdhsa_exception_fp_ieee_overflow 0
		.amdhsa_exception_fp_ieee_underflow 0
		.amdhsa_exception_fp_ieee_inexact 0
		.amdhsa_exception_int_div_zero 0
	.end_amdhsa_kernel
	.section	.text._ZL20rocblas_gemvt_kernelILb0ELi256EDF16_ffEviiT2_lPKT1_lilS3_lilS0_lPT3_lili,"axG",@progbits,_ZL20rocblas_gemvt_kernelILb0ELi256EDF16_ffEviiT2_lPKT1_lilS3_lilS0_lPT3_lili,comdat
.Lfunc_end491:
	.size	_ZL20rocblas_gemvt_kernelILb0ELi256EDF16_ffEviiT2_lPKT1_lilS3_lilS0_lPT3_lili, .Lfunc_end491-_ZL20rocblas_gemvt_kernelILb0ELi256EDF16_ffEviiT2_lPKT1_lilS3_lilS0_lPT3_lili
                                        ; -- End function
	.section	.AMDGPU.csdata,"",@progbits
; Kernel info:
; codeLenInByte = 1224
; NumSgprs: 34
; NumVgprs: 10
; NumAgprs: 0
; TotalNumVgprs: 10
; ScratchSize: 0
; MemoryBound: 0
; FloatMode: 240
; IeeeMode: 1
; LDSByteSize: 1024 bytes/workgroup (compile time only)
; SGPRBlocks: 4
; VGPRBlocks: 1
; NumSGPRsForWavesPerEU: 34
; NumVGPRsForWavesPerEU: 10
; AccumOffset: 12
; Occupancy: 8
; WaveLimiterHint : 1
; COMPUTE_PGM_RSRC2:SCRATCH_EN: 0
; COMPUTE_PGM_RSRC2:USER_SGPR: 2
; COMPUTE_PGM_RSRC2:TRAP_HANDLER: 0
; COMPUTE_PGM_RSRC2:TGID_X_EN: 1
; COMPUTE_PGM_RSRC2:TGID_Y_EN: 0
; COMPUTE_PGM_RSRC2:TGID_Z_EN: 1
; COMPUTE_PGM_RSRC2:TIDIG_COMP_CNT: 0
; COMPUTE_PGM_RSRC3_GFX90A:ACCUM_OFFSET: 2
; COMPUTE_PGM_RSRC3_GFX90A:TG_SPLIT: 0
	.section	.text._ZL32rocblas_gemvt_warp_reduce_kernelILb0ELi1024EiDF16_PKffEviiT3_lPKT2_lT1_lS5_lS6_lS2_lPT4_lS6_li,"axG",@progbits,_ZL32rocblas_gemvt_warp_reduce_kernelILb0ELi1024EiDF16_PKffEviiT3_lPKT2_lT1_lS5_lS6_lS2_lPT4_lS6_li,comdat
	.globl	_ZL32rocblas_gemvt_warp_reduce_kernelILb0ELi1024EiDF16_PKffEviiT3_lPKT2_lT1_lS5_lS6_lS2_lPT4_lS6_li ; -- Begin function _ZL32rocblas_gemvt_warp_reduce_kernelILb0ELi1024EiDF16_PKffEviiT3_lPKT2_lT1_lS5_lS6_lS2_lPT4_lS6_li
	.p2align	8
	.type	_ZL32rocblas_gemvt_warp_reduce_kernelILb0ELi1024EiDF16_PKffEviiT3_lPKT2_lT1_lS5_lS6_lS2_lPT4_lS6_li,@function
_ZL32rocblas_gemvt_warp_reduce_kernelILb0ELi1024EiDF16_PKffEviiT3_lPKT2_lT1_lS5_lS6_lS2_lPT4_lS6_li: ; @_ZL32rocblas_gemvt_warp_reduce_kernelILb0ELi1024EiDF16_PKffEviiT3_lPKT2_lT1_lS5_lS6_lS2_lPT4_lS6_li
; %bb.0:
	s_load_dwordx8 s[4:11], s[0:1], 0x8
	s_load_dwordx8 s[12:19], s[0:1], 0x50
	s_waitcnt lgkmcnt(0)
	s_mul_i32 s7, s3, s7
	s_mul_hi_u32 s20, s3, s6
	s_add_i32 s7, s20, s7
	s_mul_i32 s6, s3, s6
	s_lshl_b64 s[6:7], s[6:7], 2
	s_add_u32 s4, s4, s6
	s_addc_u32 s5, s5, s7
	s_load_dword s23, s[4:5], 0x0
	s_mul_i32 s4, s3, s17
	s_mul_hi_u32 s5, s3, s16
	s_add_i32 s5, s5, s4
	s_mul_i32 s4, s3, s16
	s_lshl_b64 s[4:5], s[4:5], 2
	s_add_u32 s4, s14, s4
	s_addc_u32 s5, s15, s5
	s_load_dword s22, s[4:5], 0x0
	s_waitcnt lgkmcnt(0)
	v_cmp_eq_f32_e64 s[4:5], s23, 0
	v_cmp_eq_f32_e64 s[6:7], s22, 1.0
	s_and_b64 s[4:5], s[4:5], s[6:7]
	s_and_b64 vcc, exec, s[4:5]
	s_cbranch_vccnz .LBB492_29
; %bb.1:
	s_load_dwordx2 s[4:5], s[0:1], 0x80
	s_load_dwordx2 s[6:7], s[0:1], 0x70
	s_load_dword s24, s[0:1], 0x78
	s_waitcnt lgkmcnt(0)
	s_mul_i32 s5, s3, s5
	s_mul_hi_u32 s14, s3, s4
	s_mul_i32 s4, s3, s4
	s_add_i32 s5, s14, s5
	s_lshl_b64 s[4:5], s[4:5], 2
	s_add_u32 s14, s18, s4
	s_addc_u32 s15, s19, s5
	s_lshl_b64 s[4:5], s[6:7], 2
	s_add_u32 s20, s14, s4
	s_addc_u32 s21, s15, s5
	v_cmp_neq_f32_e64 s[4:5], s23, 0
	s_and_b64 vcc, exec, s[4:5]
	v_cmp_eq_u32_e64 s[4:5], 0, v0
	s_cbranch_vccnz .LBB492_6
; %bb.2:
	s_mov_b64 s[16:17], 0
	s_mov_b64 s[6:7], 0
                                        ; implicit-def: $vgpr1
                                        ; implicit-def: $sgpr14_sgpr15
	s_and_saveexec_b64 s[18:19], s[4:5]
	s_cbranch_execz .LBB492_7
; %bb.3:
	v_cmp_eq_f32_e64 s[4:5], s22, 0
	s_mul_i32 s14, s2, s24
	v_mov_b32_e32 v1, 0
	s_ashr_i32 s15, s14, 31
	s_and_b64 vcc, exec, s[4:5]
	s_cbranch_vccnz .LBB492_5
; %bb.4:
	s_lshl_b64 s[4:5], s[14:15], 2
	s_add_u32 s4, s20, s4
	s_addc_u32 s5, s21, s5
	s_load_dword s4, s[4:5], 0x0
	s_waitcnt lgkmcnt(0)
	v_mov_b32_e32 v1, s4
	v_mul_f32_e32 v1, s22, v1
.LBB492_5:
	s_mov_b64 s[6:7], exec
	s_or_b64 exec, exec, s[18:19]
	s_and_b64 vcc, exec, s[16:17]
	s_cbranch_vccnz .LBB492_8
	s_branch .LBB492_27
.LBB492_6:
	s_mov_b64 s[6:7], 0
                                        ; implicit-def: $vgpr1
                                        ; implicit-def: $sgpr14_sgpr15
	s_cbranch_execnz .LBB492_8
	s_branch .LBB492_27
.LBB492_7:
	s_or_b64 exec, exec, s[18:19]
	s_and_b64 vcc, exec, s[16:17]
	s_cbranch_vccz .LBB492_27
.LBB492_8:
	s_load_dword s14, s[0:1], 0x0
	s_load_dword s25, s[0:1], 0x28
	s_load_dwordx4 s[16:19], s[0:1], 0x30
	s_load_dwordx2 s[4:5], s[0:1], 0x40
	s_mul_i32 s13, s3, s13
	s_mul_hi_u32 s15, s3, s12
	s_add_i32 s13, s15, s13
	s_mul_i32 s12, s3, s12
	s_lshl_b64 s[12:13], s[12:13], 1
	s_waitcnt lgkmcnt(0)
	s_add_u32 s12, s18, s12
	s_addc_u32 s13, s19, s13
	s_lshl_b64 s[4:5], s[4:5], 1
	s_add_u32 s4, s12, s4
	s_load_dword s15, s[0:1], 0x48
	s_mul_i32 s0, s3, s17
	s_mul_hi_u32 s1, s3, s16
	s_addc_u32 s5, s13, s5
	s_add_i32 s1, s1, s0
	s_mul_i32 s0, s3, s16
	s_lshl_b64 s[0:1], s[0:1], 1
	s_add_u32 s3, s8, s0
	s_addc_u32 s8, s9, s1
	s_lshl_b64 s[0:1], s[10:11], 1
	s_add_u32 s3, s3, s0
	s_mul_i32 s0, s2, s25
	s_addc_u32 s8, s8, s1
	s_ashr_i32 s1, s0, 31
	v_cmp_gt_i32_e32 vcc, s14, v0
	s_lshl_b64 s[0:1], s[0:1], 1
	s_add_u32 s0, s0, s3
	v_cndmask_b32_e32 v1, 0, v0, vcc
	v_lshlrev_b32_e32 v2, 1, v1
	v_mov_b32_e32 v3, 0
	s_addc_u32 s1, s1, s8
	v_lshl_add_u64 v[4:5], s[0:1], 0, v[2:3]
	s_ashr_i32 s0, s14, 31
	s_lshr_b32 s0, s0, 22
	s_add_i32 s0, s14, s0
	s_and_b32 s0, s0, 0xfffffc00
	v_cmp_gt_i32_e32 vcc, s0, v0
	s_and_saveexec_b64 s[8:9], vcc
	s_cbranch_execz .LBB492_12
; %bb.9:
	s_waitcnt lgkmcnt(0)
	v_mul_lo_u32 v6, v0, s15
	s_lshl_b32 s1, s15, 10
	s_mov_b64 s[10:11], 0
	v_mov_b32_e32 v3, 0
	s_mov_b64 s[12:13], 0x800
	v_mov_b64_e32 v[8:9], v[4:5]
	v_mov_b32_e32 v1, v0
.LBB492_10:                             ; =>This Inner Loop Header: Depth=1
	v_ashrrev_i32_e32 v7, 31, v6
	v_lshl_add_u64 v[10:11], v[6:7], 1, s[4:5]
	global_load_ushort v2, v[8:9], off
	global_load_ushort v7, v[10:11], off
	v_add_u32_e32 v1, 0x400, v1
	v_cmp_le_i32_e32 vcc, s0, v1
	v_lshl_add_u64 v[8:9], v[8:9], 0, s[12:13]
	v_add_u32_e32 v6, s1, v6
	s_or_b64 s[10:11], vcc, s[10:11]
	s_waitcnt vmcnt(0)
	v_mul_f16_e32 v2, v2, v7
	v_cvt_f32_f16_e32 v2, v2
	v_add_f32_e32 v3, v3, v2
	s_andn2_b64 exec, exec, s[10:11]
	s_cbranch_execnz .LBB492_10
; %bb.11:
	s_or_b64 exec, exec, s[10:11]
.LBB492_12:
	s_or_b64 exec, exec, s[8:9]
	v_or_b32_e32 v1, s0, v0
	v_cmp_gt_i32_e32 vcc, s14, v1
	s_and_saveexec_b64 s[8:9], vcc
	s_cbranch_execz .LBB492_14
; %bb.13:
	s_ashr_i32 s1, s0, 31
	v_lshl_add_u64 v[4:5], s[0:1], 1, v[4:5]
	global_load_ushort v2, v[4:5], off
	s_waitcnt lgkmcnt(0)
	v_mul_lo_u32 v4, v1, s15
	v_ashrrev_i32_e32 v5, 31, v4
	v_lshl_add_u64 v[4:5], v[4:5], 1, s[4:5]
	global_load_ushort v1, v[4:5], off
	s_waitcnt vmcnt(0)
	v_mul_f16_e32 v1, v2, v1
	v_cvt_f32_f16_e32 v1, v1
	v_add_f32_e32 v3, v3, v1
.LBB492_14:
	s_or_b64 exec, exec, s[8:9]
	v_and_b32_e32 v2, 63, v0
	v_cmp_gt_u32_e32 vcc, 64, v0
	v_lshlrev_b32_e32 v1, 2, v2
	s_and_saveexec_b64 s[0:1], vcc
	s_cbranch_execz .LBB492_16
; %bb.15:
	v_mov_b32_e32 v4, 0
	ds_write_b32 v1, v4
.LBB492_16:
	s_or_b64 exec, exec, s[0:1]
	v_mbcnt_lo_u32_b32 v4, -1, 0
	v_mbcnt_hi_u32_b32 v6, -1, v4
	v_and_b32_e32 v7, 63, v6
	v_cmp_gt_u32_e64 s[0:1], 32, v7
	s_waitcnt lgkmcnt(0)
	s_barrier
	v_cndmask_b32_e64 v4, 0, 1, s[0:1]
	v_lshlrev_b32_e32 v4, 5, v4
	v_add_lshl_u32 v4, v4, v6, 2
	ds_bpermute_b32 v4, v4, v3
	v_cmp_gt_u32_e64 s[0:1], 48, v7
	s_waitcnt lgkmcnt(0)
	v_add_f32_e32 v3, v3, v4
	v_cndmask_b32_e64 v5, 0, 1, s[0:1]
	v_lshlrev_b32_e32 v5, 4, v5
	v_add_lshl_u32 v4, v5, v6, 2
	ds_bpermute_b32 v4, v4, v3
	v_cmp_gt_u32_e64 s[0:1], 56, v7
	s_waitcnt lgkmcnt(0)
	v_add_f32_e32 v4, v3, v4
	;; [unrolled: 7-line block ×4, first 2 shown]
	v_cndmask_b32_e64 v9, 0, 1, s[0:1]
	v_lshlrev_b32_e32 v9, 1, v9
	v_add_lshl_u32 v5, v9, v6, 2
	ds_bpermute_b32 v9, v5, v8
	v_cmp_ne_u32_e64 s[0:1], 63, v7
	s_waitcnt lgkmcnt(0)
	v_add_f32_e32 v7, v8, v9
	v_addc_co_u32_e64 v6, s[0:1], 0, v6, s[0:1]
	v_lshlrev_b32_e32 v6, 2, v6
	ds_bpermute_b32 v8, v6, v7
	v_cmp_eq_u32_e64 s[0:1], 0, v2
	s_and_saveexec_b64 s[4:5], s[0:1]
	s_cbranch_execz .LBB492_18
; %bb.17:
	v_lshrrev_b32_e32 v2, 4, v0
	v_and_b32_e32 v2, 60, v2
	s_waitcnt lgkmcnt(0)
	v_add_f32_e32 v7, v7, v8
	ds_write_b32 v2, v7
.LBB492_18:
	s_or_b64 exec, exec, s[4:5]
	v_cmp_gt_u32_e64 s[0:1], 16, v0
	v_mov_b32_e32 v2, 0
	s_waitcnt lgkmcnt(0)
	s_barrier
	s_and_saveexec_b64 s[4:5], s[0:1]
	s_cbranch_execz .LBB492_20
; %bb.19:
	ds_read_b32 v2, v1
	s_or_b64 exec, exec, s[4:5]
	s_and_saveexec_b64 s[0:1], vcc
	s_cbranch_execz .LBB492_22
	s_branch .LBB492_21
.LBB492_20:
	s_or_b64 exec, exec, s[4:5]
	s_and_saveexec_b64 s[0:1], vcc
	s_cbranch_execz .LBB492_22
.LBB492_21:
	s_waitcnt lgkmcnt(0)
	ds_bpermute_b32 v1, v3, v2
	s_waitcnt lgkmcnt(0)
	v_add_f32_e32 v1, v2, v1
	ds_bpermute_b32 v2, v4, v1
	s_waitcnt lgkmcnt(0)
	v_add_f32_e32 v1, v1, v2
	;; [unrolled: 3-line block ×4, first 2 shown]
.LBB492_22:
	s_or_b64 exec, exec, s[0:1]
	v_cmp_eq_u32_e32 vcc, 0, v0
                                        ; implicit-def: $vgpr1
                                        ; implicit-def: $sgpr14_sgpr15
	s_and_saveexec_b64 s[0:1], vcc
	s_cbranch_execz .LBB492_26
; %bb.23:
	v_cmp_eq_f32_e64 s[4:5], s22, 0
	s_mul_i32 s14, s2, s24
	s_waitcnt lgkmcnt(0)
	v_mul_f32_e32 v1, s23, v2
	s_ashr_i32 s15, s14, 31
	s_and_b64 vcc, exec, s[4:5]
	s_cbranch_vccnz .LBB492_25
; %bb.24:
	s_lshl_b64 s[2:3], s[14:15], 2
	s_add_u32 s2, s20, s2
	s_addc_u32 s3, s21, s3
	s_load_dword s2, s[2:3], 0x0
	s_waitcnt lgkmcnt(0)
	v_mov_b32_e32 v0, s2
	v_fmac_f32_e32 v1, s22, v0
.LBB492_25:
	s_or_b64 s[6:7], s[6:7], exec
.LBB492_26:
	s_or_b64 exec, exec, s[0:1]
.LBB492_27:
	s_and_saveexec_b64 s[0:1], s[6:7]
	s_cbranch_execz .LBB492_29
; %bb.28:
	s_lshl_b64 s[0:1], s[14:15], 2
	s_add_u32 s0, s20, s0
	s_addc_u32 s1, s21, s1
	v_mov_b32_e32 v0, 0
	global_store_dword v0, v1, s[0:1]
.LBB492_29:
	s_endpgm
	.section	.rodata,"a",@progbits
	.p2align	6, 0x0
	.amdhsa_kernel _ZL32rocblas_gemvt_warp_reduce_kernelILb0ELi1024EiDF16_PKffEviiT3_lPKT2_lT1_lS5_lS6_lS2_lPT4_lS6_li
		.amdhsa_group_segment_fixed_size 256
		.amdhsa_private_segment_fixed_size 0
		.amdhsa_kernarg_size 140
		.amdhsa_user_sgpr_count 2
		.amdhsa_user_sgpr_dispatch_ptr 0
		.amdhsa_user_sgpr_queue_ptr 0
		.amdhsa_user_sgpr_kernarg_segment_ptr 1
		.amdhsa_user_sgpr_dispatch_id 0
		.amdhsa_user_sgpr_kernarg_preload_length 0
		.amdhsa_user_sgpr_kernarg_preload_offset 0
		.amdhsa_user_sgpr_private_segment_size 0
		.amdhsa_uses_dynamic_stack 0
		.amdhsa_enable_private_segment 0
		.amdhsa_system_sgpr_workgroup_id_x 1
		.amdhsa_system_sgpr_workgroup_id_y 0
		.amdhsa_system_sgpr_workgroup_id_z 1
		.amdhsa_system_sgpr_workgroup_info 0
		.amdhsa_system_vgpr_workitem_id 0
		.amdhsa_next_free_vgpr 12
		.amdhsa_next_free_sgpr 26
		.amdhsa_accum_offset 12
		.amdhsa_reserve_vcc 1
		.amdhsa_float_round_mode_32 0
		.amdhsa_float_round_mode_16_64 0
		.amdhsa_float_denorm_mode_32 3
		.amdhsa_float_denorm_mode_16_64 3
		.amdhsa_dx10_clamp 1
		.amdhsa_ieee_mode 1
		.amdhsa_fp16_overflow 0
		.amdhsa_tg_split 0
		.amdhsa_exception_fp_ieee_invalid_op 0
		.amdhsa_exception_fp_denorm_src 0
		.amdhsa_exception_fp_ieee_div_zero 0
		.amdhsa_exception_fp_ieee_overflow 0
		.amdhsa_exception_fp_ieee_underflow 0
		.amdhsa_exception_fp_ieee_inexact 0
		.amdhsa_exception_int_div_zero 0
	.end_amdhsa_kernel
	.section	.text._ZL32rocblas_gemvt_warp_reduce_kernelILb0ELi1024EiDF16_PKffEviiT3_lPKT2_lT1_lS5_lS6_lS2_lPT4_lS6_li,"axG",@progbits,_ZL32rocblas_gemvt_warp_reduce_kernelILb0ELi1024EiDF16_PKffEviiT3_lPKT2_lT1_lS5_lS6_lS2_lPT4_lS6_li,comdat
.Lfunc_end492:
	.size	_ZL32rocblas_gemvt_warp_reduce_kernelILb0ELi1024EiDF16_PKffEviiT3_lPKT2_lT1_lS5_lS6_lS2_lPT4_lS6_li, .Lfunc_end492-_ZL32rocblas_gemvt_warp_reduce_kernelILb0ELi1024EiDF16_PKffEviiT3_lPKT2_lT1_lS5_lS6_lS2_lPT4_lS6_li
                                        ; -- End function
	.section	.AMDGPU.csdata,"",@progbits
; Kernel info:
; codeLenInByte = 1364
; NumSgprs: 32
; NumVgprs: 12
; NumAgprs: 0
; TotalNumVgprs: 12
; ScratchSize: 0
; MemoryBound: 0
; FloatMode: 240
; IeeeMode: 1
; LDSByteSize: 256 bytes/workgroup (compile time only)
; SGPRBlocks: 3
; VGPRBlocks: 1
; NumSGPRsForWavesPerEU: 32
; NumVGPRsForWavesPerEU: 12
; AccumOffset: 12
; Occupancy: 8
; WaveLimiterHint : 1
; COMPUTE_PGM_RSRC2:SCRATCH_EN: 0
; COMPUTE_PGM_RSRC2:USER_SGPR: 2
; COMPUTE_PGM_RSRC2:TRAP_HANDLER: 0
; COMPUTE_PGM_RSRC2:TGID_X_EN: 1
; COMPUTE_PGM_RSRC2:TGID_Y_EN: 0
; COMPUTE_PGM_RSRC2:TGID_Z_EN: 1
; COMPUTE_PGM_RSRC2:TIDIG_COMP_CNT: 0
; COMPUTE_PGM_RSRC3_GFX90A:ACCUM_OFFSET: 2
; COMPUTE_PGM_RSRC3_GFX90A:TG_SPLIT: 0
	.section	.text._ZL32rocblas_gemvt_warp_reduce_kernelILb0ELi1024ElDF16_PKffEviiT3_lPKT2_lT1_lS5_lS6_lS2_lPT4_lS6_li,"axG",@progbits,_ZL32rocblas_gemvt_warp_reduce_kernelILb0ELi1024ElDF16_PKffEviiT3_lPKT2_lT1_lS5_lS6_lS2_lPT4_lS6_li,comdat
	.globl	_ZL32rocblas_gemvt_warp_reduce_kernelILb0ELi1024ElDF16_PKffEviiT3_lPKT2_lT1_lS5_lS6_lS2_lPT4_lS6_li ; -- Begin function _ZL32rocblas_gemvt_warp_reduce_kernelILb0ELi1024ElDF16_PKffEviiT3_lPKT2_lT1_lS5_lS6_lS2_lPT4_lS6_li
	.p2align	8
	.type	_ZL32rocblas_gemvt_warp_reduce_kernelILb0ELi1024ElDF16_PKffEviiT3_lPKT2_lT1_lS5_lS6_lS2_lPT4_lS6_li,@function
_ZL32rocblas_gemvt_warp_reduce_kernelILb0ELi1024ElDF16_PKffEviiT3_lPKT2_lT1_lS5_lS6_lS2_lPT4_lS6_li: ; @_ZL32rocblas_gemvt_warp_reduce_kernelILb0ELi1024ElDF16_PKffEviiT3_lPKT2_lT1_lS5_lS6_lS2_lPT4_lS6_li
; %bb.0:
	s_load_dwordx16 s[36:51], s[0:1], 0x8
	s_load_dwordx16 s[8:23], s[0:1], 0x48
	s_waitcnt lgkmcnt(0)
	s_mul_i32 s4, s3, s39
	s_mul_hi_u32 s5, s3, s38
	s_add_i32 s5, s5, s4
	s_mul_i32 s4, s3, s38
	s_lshl_b64 s[4:5], s[4:5], 2
	s_add_u32 s4, s36, s4
	s_addc_u32 s5, s37, s5
	s_load_dword s25, s[4:5], 0x0
	s_mul_i32 s4, s3, s15
	s_mul_hi_u32 s5, s3, s14
	s_add_i32 s5, s5, s4
	s_mul_i32 s4, s3, s14
	s_lshl_b64 s[4:5], s[4:5], 2
	s_add_u32 s4, s12, s4
	s_addc_u32 s5, s13, s5
	s_load_dword s24, s[4:5], 0x0
	s_waitcnt lgkmcnt(0)
	v_cmp_eq_f32_e64 s[4:5], s25, 0
	v_cmp_eq_f32_e64 s[6:7], s24, 1.0
	s_and_b64 s[4:5], s[4:5], s[6:7]
	s_and_b64 vcc, exec, s[4:5]
	s_cbranch_vccnz .LBB493_29
; %bb.1:
	s_mul_i32 s4, s3, s23
	s_mul_hi_u32 s5, s3, s22
	s_add_i32 s5, s5, s4
	s_mul_i32 s4, s3, s22
	s_lshl_b64 s[4:5], s[4:5], 2
	s_add_u32 s6, s16, s4
	s_addc_u32 s7, s17, s5
	s_lshl_b64 s[4:5], s[18:19], 2
	s_add_u32 s18, s6, s4
	s_addc_u32 s19, s7, s5
	v_cmp_neq_f32_e64 s[4:5], s25, 0
	s_and_b64 vcc, exec, s[4:5]
	v_cmp_eq_u32_e64 s[4:5], 0, v0
	s_cbranch_vccnz .LBB493_6
; %bb.2:
	s_mov_b64 s[14:15], 0
	s_mov_b64 s[6:7], 0
                                        ; implicit-def: $vgpr1
                                        ; implicit-def: $sgpr12_sgpr13
	s_and_saveexec_b64 s[16:17], s[4:5]
	s_cbranch_execz .LBB493_7
; %bb.3:
	s_ashr_i32 s6, s2, 31
	s_mul_i32 s7, s2, s21
	s_mul_hi_u32 s12, s2, s20
	v_cmp_eq_f32_e64 s[4:5], s24, 0
	s_add_i32 s7, s12, s7
	s_mul_i32 s6, s6, s20
	v_mov_b32_e32 v1, 0
	s_add_i32 s13, s7, s6
	s_mul_i32 s12, s2, s20
	s_and_b64 vcc, exec, s[4:5]
	s_cbranch_vccnz .LBB493_5
; %bb.4:
	s_lshl_b64 s[4:5], s[12:13], 2
	s_add_u32 s4, s18, s4
	s_addc_u32 s5, s19, s5
	s_load_dword s4, s[4:5], 0x0
	s_waitcnt lgkmcnt(0)
	v_mov_b32_e32 v1, s4
	v_mul_f32_e32 v1, s24, v1
.LBB493_5:
	s_mov_b64 s[6:7], exec
	s_or_b64 exec, exec, s[16:17]
	s_and_b64 vcc, exec, s[14:15]
	s_cbranch_vccnz .LBB493_8
	s_branch .LBB493_27
.LBB493_6:
	s_mov_b64 s[6:7], 0
                                        ; implicit-def: $vgpr1
                                        ; implicit-def: $sgpr12_sgpr13
	s_cbranch_execnz .LBB493_8
	s_branch .LBB493_27
.LBB493_7:
	s_or_b64 exec, exec, s[16:17]
	s_and_b64 vcc, exec, s[14:15]
	s_cbranch_vccz .LBB493_27
.LBB493_8:
	s_mul_i32 s4, s3, s11
	s_mul_hi_u32 s5, s3, s10
	s_add_i32 s5, s5, s4
	s_mul_i32 s4, s3, s10
	s_load_dword s1, s[0:1], 0x0
	s_mul_i32 s0, s3, s47
	s_mul_hi_u32 s10, s3, s46
	s_add_i32 s11, s10, s0
	s_mul_i32 s10, s3, s46
	s_lshl_b64 s[10:11], s[10:11], 1
	s_add_u32 s0, s40, s10
	s_addc_u32 s3, s41, s11
	s_lshl_b64 s[10:11], s[42:43], 1
	s_add_u32 s0, s0, s10
	s_addc_u32 s12, s3, s11
	s_ashr_i32 s3, s2, 31
	s_mul_i32 s10, s2, s45
	s_mul_hi_u32 s11, s2, s44
	s_add_i32 s10, s11, s10
	s_mul_i32 s11, s3, s44
	s_add_i32 s11, s10, s11
	s_mul_i32 s10, s2, s44
	s_lshl_b64 s[10:11], s[10:11], 1
	s_add_u32 s10, s10, s0
	s_addc_u32 s11, s11, s12
	s_waitcnt lgkmcnt(0)
	s_ashr_i32 s0, s1, 31
	v_cmp_gt_i32_e32 vcc, s1, v0
	s_lshr_b32 s0, s0, 22
	s_add_i32 s0, s1, s0
	v_cndmask_b32_e32 v1, 0, v0, vcc
	v_lshlrev_b32_e32 v2, 1, v1
	v_mov_b32_e32 v3, 0
	s_and_b32 s0, s0, 0xfffffc00
	v_lshl_add_u64 v[4:5], s[10:11], 0, v[2:3]
	v_cmp_gt_i32_e32 vcc, s0, v0
	s_and_saveexec_b64 s[10:11], vcc
	s_cbranch_execz .LBB493_12
; %bb.9:
	v_mad_u64_u32 v[2:3], s[14:15], s8, v0, 0
	v_mov_b32_e32 v6, v3
	v_mad_u64_u32 v[6:7], s[14:15], s9, v0, v[6:7]
	s_lshl_b64 s[12:13], s[4:5], 1
	s_lshl_b64 s[14:15], s[50:51], 1
	s_add_u32 s14, s48, s14
	s_addc_u32 s15, s49, s15
	s_add_u32 s12, s14, s12
	v_mov_b32_e32 v3, v6
	s_addc_u32 s13, s15, s13
	v_lshl_add_u64 v[6:7], v[2:3], 1, s[12:13]
	s_lshl_b64 s[14:15], s[8:9], 11
	s_mov_b64 s[12:13], 0
	v_mov_b32_e32 v3, 0
	s_mov_b64 s[16:17], 0x800
	v_mov_b64_e32 v[8:9], v[4:5]
	v_mov_b32_e32 v1, v0
.LBB493_10:                             ; =>This Inner Loop Header: Depth=1
	global_load_ushort v2, v[8:9], off
	global_load_ushort v10, v[6:7], off
	v_add_u32_e32 v1, 0x400, v1
	v_cmp_le_i32_e32 vcc, s0, v1
	v_lshl_add_u64 v[8:9], v[8:9], 0, s[16:17]
	v_lshl_add_u64 v[6:7], v[6:7], 0, s[14:15]
	s_or_b64 s[12:13], vcc, s[12:13]
	s_waitcnt vmcnt(0)
	v_mul_f16_e32 v2, v2, v10
	v_cvt_f32_f16_e32 v2, v2
	v_add_f32_e32 v3, v3, v2
	s_andn2_b64 exec, exec, s[12:13]
	s_cbranch_execnz .LBB493_10
; %bb.11:
	s_or_b64 exec, exec, s[12:13]
.LBB493_12:
	s_or_b64 exec, exec, s[10:11]
	v_or_b32_e32 v1, s0, v0
	v_cmp_gt_i32_e32 vcc, s1, v1
	s_and_saveexec_b64 s[10:11], vcc
	s_cbranch_execz .LBB493_14
; %bb.13:
	s_lshl_b64 s[4:5], s[4:5], 1
	s_add_u32 s1, s48, s4
	s_addc_u32 s12, s49, s5
	s_lshl_b64 s[4:5], s[50:51], 1
	s_add_u32 s4, s1, s4
	s_addc_u32 s5, s12, s5
	s_ashr_i32 s1, s0, 31
	v_lshl_add_u64 v[4:5], s[0:1], 1, v[4:5]
	global_load_ushort v2, v[4:5], off
	v_ashrrev_i32_e32 v4, 31, v1
	v_mul_lo_u32 v6, v1, s9
	v_mul_lo_u32 v7, v4, s8
	v_mad_u64_u32 v[4:5], s[0:1], v1, s8, 0
	v_add3_u32 v5, v5, v6, v7
	v_lshl_add_u64 v[4:5], v[4:5], 1, s[4:5]
	global_load_ushort v1, v[4:5], off
	s_waitcnt vmcnt(0)
	v_mul_f16_e32 v1, v2, v1
	v_cvt_f32_f16_e32 v1, v1
	v_add_f32_e32 v3, v3, v1
.LBB493_14:
	s_or_b64 exec, exec, s[10:11]
	v_and_b32_e32 v2, 63, v0
	v_cmp_gt_u32_e32 vcc, 64, v0
	v_lshlrev_b32_e32 v1, 2, v2
	s_and_saveexec_b64 s[0:1], vcc
	s_cbranch_execz .LBB493_16
; %bb.15:
	v_mov_b32_e32 v4, 0
	ds_write_b32 v1, v4
.LBB493_16:
	s_or_b64 exec, exec, s[0:1]
	v_mbcnt_lo_u32_b32 v4, -1, 0
	v_mbcnt_hi_u32_b32 v6, -1, v4
	v_and_b32_e32 v7, 63, v6
	v_cmp_gt_u32_e64 s[0:1], 32, v7
	s_waitcnt lgkmcnt(0)
	s_barrier
	v_cndmask_b32_e64 v4, 0, 1, s[0:1]
	v_lshlrev_b32_e32 v4, 5, v4
	v_add_lshl_u32 v4, v4, v6, 2
	ds_bpermute_b32 v4, v4, v3
	v_cmp_gt_u32_e64 s[0:1], 48, v7
	s_waitcnt lgkmcnt(0)
	v_add_f32_e32 v3, v3, v4
	v_cndmask_b32_e64 v5, 0, 1, s[0:1]
	v_lshlrev_b32_e32 v5, 4, v5
	v_add_lshl_u32 v4, v5, v6, 2
	ds_bpermute_b32 v4, v4, v3
	v_cmp_gt_u32_e64 s[0:1], 56, v7
	s_waitcnt lgkmcnt(0)
	v_add_f32_e32 v4, v3, v4
	;; [unrolled: 7-line block ×4, first 2 shown]
	v_cndmask_b32_e64 v9, 0, 1, s[0:1]
	v_lshlrev_b32_e32 v9, 1, v9
	v_add_lshl_u32 v5, v9, v6, 2
	ds_bpermute_b32 v9, v5, v8
	v_cmp_ne_u32_e64 s[0:1], 63, v7
	s_waitcnt lgkmcnt(0)
	v_add_f32_e32 v7, v8, v9
	v_addc_co_u32_e64 v6, s[0:1], 0, v6, s[0:1]
	v_lshlrev_b32_e32 v6, 2, v6
	ds_bpermute_b32 v8, v6, v7
	v_cmp_eq_u32_e64 s[0:1], 0, v2
	s_and_saveexec_b64 s[4:5], s[0:1]
	s_cbranch_execz .LBB493_18
; %bb.17:
	v_lshrrev_b32_e32 v2, 4, v0
	v_and_b32_e32 v2, 60, v2
	s_waitcnt lgkmcnt(0)
	v_add_f32_e32 v7, v7, v8
	ds_write_b32 v2, v7
.LBB493_18:
	s_or_b64 exec, exec, s[4:5]
	v_cmp_gt_u32_e64 s[0:1], 16, v0
	v_mov_b32_e32 v2, 0
	s_waitcnt lgkmcnt(0)
	s_barrier
	s_and_saveexec_b64 s[4:5], s[0:1]
	s_cbranch_execz .LBB493_20
; %bb.19:
	ds_read_b32 v2, v1
	s_or_b64 exec, exec, s[4:5]
	s_and_saveexec_b64 s[0:1], vcc
	s_cbranch_execz .LBB493_22
	s_branch .LBB493_21
.LBB493_20:
	s_or_b64 exec, exec, s[4:5]
	s_and_saveexec_b64 s[0:1], vcc
	s_cbranch_execz .LBB493_22
.LBB493_21:
	s_waitcnt lgkmcnt(0)
	ds_bpermute_b32 v1, v3, v2
	s_waitcnt lgkmcnt(0)
	v_add_f32_e32 v1, v2, v1
	ds_bpermute_b32 v2, v4, v1
	s_waitcnt lgkmcnt(0)
	v_add_f32_e32 v1, v1, v2
	;; [unrolled: 3-line block ×4, first 2 shown]
.LBB493_22:
	s_or_b64 exec, exec, s[0:1]
	v_cmp_eq_u32_e32 vcc, 0, v0
                                        ; implicit-def: $vgpr1
                                        ; implicit-def: $sgpr12_sgpr13
	s_and_saveexec_b64 s[0:1], vcc
	s_cbranch_execz .LBB493_26
; %bb.23:
	s_mul_i32 s8, s2, s21
	s_mul_hi_u32 s9, s2, s20
	v_cmp_eq_f32_e64 s[4:5], s24, 0
	s_add_i32 s8, s9, s8
	s_mul_i32 s3, s3, s20
	s_waitcnt lgkmcnt(0)
	v_mul_f32_e32 v1, s25, v2
	s_add_i32 s13, s8, s3
	s_mul_i32 s12, s2, s20
	s_and_b64 vcc, exec, s[4:5]
	s_cbranch_vccnz .LBB493_25
; %bb.24:
	s_lshl_b64 s[2:3], s[12:13], 2
	s_add_u32 s2, s18, s2
	s_addc_u32 s3, s19, s3
	s_load_dword s2, s[2:3], 0x0
	s_waitcnt lgkmcnt(0)
	v_mov_b32_e32 v0, s2
	v_fmac_f32_e32 v1, s24, v0
.LBB493_25:
	s_or_b64 s[6:7], s[6:7], exec
.LBB493_26:
	s_or_b64 exec, exec, s[0:1]
.LBB493_27:
	s_and_saveexec_b64 s[0:1], s[6:7]
	s_cbranch_execz .LBB493_29
; %bb.28:
	s_lshl_b64 s[0:1], s[12:13], 2
	s_add_u32 s0, s18, s0
	s_addc_u32 s1, s19, s1
	v_mov_b32_e32 v0, 0
	global_store_dword v0, v1, s[0:1]
.LBB493_29:
	s_endpgm
	.section	.rodata,"a",@progbits
	.p2align	6, 0x0
	.amdhsa_kernel _ZL32rocblas_gemvt_warp_reduce_kernelILb0ELi1024ElDF16_PKffEviiT3_lPKT2_lT1_lS5_lS6_lS2_lPT4_lS6_li
		.amdhsa_group_segment_fixed_size 256
		.amdhsa_private_segment_fixed_size 0
		.amdhsa_kernarg_size 140
		.amdhsa_user_sgpr_count 2
		.amdhsa_user_sgpr_dispatch_ptr 0
		.amdhsa_user_sgpr_queue_ptr 0
		.amdhsa_user_sgpr_kernarg_segment_ptr 1
		.amdhsa_user_sgpr_dispatch_id 0
		.amdhsa_user_sgpr_kernarg_preload_length 0
		.amdhsa_user_sgpr_kernarg_preload_offset 0
		.amdhsa_user_sgpr_private_segment_size 0
		.amdhsa_uses_dynamic_stack 0
		.amdhsa_enable_private_segment 0
		.amdhsa_system_sgpr_workgroup_id_x 1
		.amdhsa_system_sgpr_workgroup_id_y 0
		.amdhsa_system_sgpr_workgroup_id_z 1
		.amdhsa_system_sgpr_workgroup_info 0
		.amdhsa_system_vgpr_workitem_id 0
		.amdhsa_next_free_vgpr 11
		.amdhsa_next_free_sgpr 52
		.amdhsa_accum_offset 12
		.amdhsa_reserve_vcc 1
		.amdhsa_float_round_mode_32 0
		.amdhsa_float_round_mode_16_64 0
		.amdhsa_float_denorm_mode_32 3
		.amdhsa_float_denorm_mode_16_64 3
		.amdhsa_dx10_clamp 1
		.amdhsa_ieee_mode 1
		.amdhsa_fp16_overflow 0
		.amdhsa_tg_split 0
		.amdhsa_exception_fp_ieee_invalid_op 0
		.amdhsa_exception_fp_denorm_src 0
		.amdhsa_exception_fp_ieee_div_zero 0
		.amdhsa_exception_fp_ieee_overflow 0
		.amdhsa_exception_fp_ieee_underflow 0
		.amdhsa_exception_fp_ieee_inexact 0
		.amdhsa_exception_int_div_zero 0
	.end_amdhsa_kernel
	.section	.text._ZL32rocblas_gemvt_warp_reduce_kernelILb0ELi1024ElDF16_PKffEviiT3_lPKT2_lT1_lS5_lS6_lS2_lPT4_lS6_li,"axG",@progbits,_ZL32rocblas_gemvt_warp_reduce_kernelILb0ELi1024ElDF16_PKffEviiT3_lPKT2_lT1_lS5_lS6_lS2_lPT4_lS6_li,comdat
.Lfunc_end493:
	.size	_ZL32rocblas_gemvt_warp_reduce_kernelILb0ELi1024ElDF16_PKffEviiT3_lPKT2_lT1_lS5_lS6_lS2_lPT4_lS6_li, .Lfunc_end493-_ZL32rocblas_gemvt_warp_reduce_kernelILb0ELi1024ElDF16_PKffEviiT3_lPKT2_lT1_lS5_lS6_lS2_lPT4_lS6_li
                                        ; -- End function
	.section	.AMDGPU.csdata,"",@progbits
; Kernel info:
; codeLenInByte = 1416
; NumSgprs: 58
; NumVgprs: 11
; NumAgprs: 0
; TotalNumVgprs: 11
; ScratchSize: 0
; MemoryBound: 0
; FloatMode: 240
; IeeeMode: 1
; LDSByteSize: 256 bytes/workgroup (compile time only)
; SGPRBlocks: 7
; VGPRBlocks: 1
; NumSGPRsForWavesPerEU: 58
; NumVGPRsForWavesPerEU: 11
; AccumOffset: 12
; Occupancy: 8
; WaveLimiterHint : 0
; COMPUTE_PGM_RSRC2:SCRATCH_EN: 0
; COMPUTE_PGM_RSRC2:USER_SGPR: 2
; COMPUTE_PGM_RSRC2:TRAP_HANDLER: 0
; COMPUTE_PGM_RSRC2:TGID_X_EN: 1
; COMPUTE_PGM_RSRC2:TGID_Y_EN: 0
; COMPUTE_PGM_RSRC2:TGID_Z_EN: 1
; COMPUTE_PGM_RSRC2:TIDIG_COMP_CNT: 0
; COMPUTE_PGM_RSRC3_GFX90A:ACCUM_OFFSET: 2
; COMPUTE_PGM_RSRC3_GFX90A:TG_SPLIT: 0
	.section	.text._ZL32rocblas_gemvt_warp_reduce_kernelILb0ELi1024EiDF16_ffEviiT3_lPKT2_lT1_lS3_lS4_lS0_lPT4_lS4_li,"axG",@progbits,_ZL32rocblas_gemvt_warp_reduce_kernelILb0ELi1024EiDF16_ffEviiT3_lPKT2_lT1_lS3_lS4_lS0_lPT4_lS4_li,comdat
	.globl	_ZL32rocblas_gemvt_warp_reduce_kernelILb0ELi1024EiDF16_ffEviiT3_lPKT2_lT1_lS3_lS4_lS0_lPT4_lS4_li ; -- Begin function _ZL32rocblas_gemvt_warp_reduce_kernelILb0ELi1024EiDF16_ffEviiT3_lPKT2_lT1_lS3_lS4_lS0_lPT4_lS4_li
	.p2align	8
	.type	_ZL32rocblas_gemvt_warp_reduce_kernelILb0ELi1024EiDF16_ffEviiT3_lPKT2_lT1_lS3_lS4_lS0_lPT4_lS4_li,@function
_ZL32rocblas_gemvt_warp_reduce_kernelILb0ELi1024EiDF16_ffEviiT3_lPKT2_lT1_lS3_lS4_lS0_lPT4_lS4_li: ; @_ZL32rocblas_gemvt_warp_reduce_kernelILb0ELi1024EiDF16_ffEviiT3_lPKT2_lT1_lS3_lS4_lS0_lPT4_lS4_li
; %bb.0:
	s_load_dword s17, s[0:1], 0x8
	s_load_dword s16, s[0:1], 0x58
	s_waitcnt lgkmcnt(0)
	v_cmp_eq_f32_e64 s[4:5], s17, 0
	v_cmp_eq_f32_e64 s[6:7], s16, 1.0
	s_and_b64 s[4:5], s[4:5], s[6:7]
	s_and_b64 vcc, exec, s[4:5]
	s_cbranch_vccnz .LBB494_29
; %bb.1:
	s_load_dwordx2 s[8:9], s[0:1], 0x80
	s_load_dwordx4 s[4:7], s[0:1], 0x68
	s_load_dword s18, s[0:1], 0x78
	s_waitcnt lgkmcnt(0)
	s_mul_i32 s9, s3, s9
	s_mul_hi_u32 s10, s3, s8
	s_mul_i32 s8, s3, s8
	s_add_i32 s9, s10, s9
	s_lshl_b64 s[8:9], s[8:9], 2
	s_add_u32 s8, s4, s8
	s_addc_u32 s9, s5, s9
	s_lshl_b64 s[4:5], s[6:7], 2
	s_add_u32 s14, s8, s4
	s_addc_u32 s15, s9, s5
	v_cmp_neq_f32_e64 s[4:5], s17, 0
	s_and_b64 vcc, exec, s[4:5]
	v_cmp_eq_u32_e64 s[4:5], 0, v0
	s_cbranch_vccnz .LBB494_6
; %bb.2:
	s_mov_b64 s[10:11], 0
	s_mov_b64 s[6:7], 0
                                        ; implicit-def: $vgpr1
                                        ; implicit-def: $sgpr8_sgpr9
	s_and_saveexec_b64 s[12:13], s[4:5]
	s_cbranch_execz .LBB494_7
; %bb.3:
	v_cmp_eq_f32_e64 s[4:5], s16, 0
	s_mul_i32 s8, s2, s18
	v_mov_b32_e32 v1, 0
	s_ashr_i32 s9, s8, 31
	s_and_b64 vcc, exec, s[4:5]
	s_cbranch_vccnz .LBB494_5
; %bb.4:
	s_lshl_b64 s[4:5], s[8:9], 2
	s_add_u32 s4, s14, s4
	s_addc_u32 s5, s15, s5
	s_load_dword s4, s[4:5], 0x0
	v_mov_b32_e32 v1, s16
	s_waitcnt lgkmcnt(0)
	v_mul_f32_e32 v1, s4, v1
.LBB494_5:
	s_mov_b64 s[6:7], exec
	s_or_b64 exec, exec, s[12:13]
	s_and_b64 vcc, exec, s[10:11]
	s_cbranch_vccnz .LBB494_8
	s_branch .LBB494_27
.LBB494_6:
	s_mov_b64 s[6:7], 0
                                        ; implicit-def: $vgpr1
                                        ; implicit-def: $sgpr8_sgpr9
	s_cbranch_execnz .LBB494_8
	s_branch .LBB494_27
.LBB494_7:
	s_or_b64 exec, exec, s[12:13]
	s_and_b64 vcc, exec, s[10:11]
	s_cbranch_vccz .LBB494_27
.LBB494_8:
	s_load_dwordx2 s[12:13], s[0:1], 0x50
	s_load_dword s5, s[0:1], 0x0
	s_load_dwordx4 s[8:11], s[0:1], 0x18
	s_load_dword s4, s[0:1], 0x28
	s_load_dwordx4 s[20:23], s[0:1], 0x30
	s_load_dwordx2 s[24:25], s[0:1], 0x40
	s_load_dword s19, s[0:1], 0x48
	s_waitcnt lgkmcnt(0)
	s_mul_i32 s0, s3, s13
	s_mul_hi_u32 s1, s3, s12
	s_add_i32 s1, s1, s0
	s_mul_i32 s0, s3, s12
	s_lshl_b64 s[0:1], s[0:1], 1
	s_add_u32 s12, s22, s0
	s_addc_u32 s13, s23, s1
	s_lshl_b64 s[0:1], s[24:25], 1
	s_add_u32 s0, s12, s0
	s_addc_u32 s1, s13, s1
	s_mul_i32 s12, s3, s21
	s_mul_hi_u32 s13, s3, s20
	s_add_i32 s13, s13, s12
	s_mul_i32 s12, s3, s20
	s_lshl_b64 s[12:13], s[12:13], 1
	s_add_u32 s3, s8, s12
	s_addc_u32 s12, s9, s13
	s_lshl_b64 s[8:9], s[10:11], 1
	s_add_u32 s3, s3, s8
	s_mul_i32 s8, s2, s4
	s_addc_u32 s10, s12, s9
	s_ashr_i32 s9, s8, 31
	s_lshl_b64 s[8:9], s[8:9], 1
	s_add_u32 s8, s8, s3
	s_addc_u32 s9, s9, s10
	s_ashr_i32 s3, s5, 31
	v_cmp_gt_i32_e32 vcc, s5, v0
	s_lshr_b32 s3, s3, 22
	s_add_i32 s3, s5, s3
	v_cndmask_b32_e32 v1, 0, v0, vcc
	v_lshlrev_b32_e32 v2, 1, v1
	v_mov_b32_e32 v3, 0
	s_and_b32 s4, s3, 0xfffffc00
	v_lshl_add_u64 v[4:5], s[8:9], 0, v[2:3]
	v_cmp_gt_i32_e32 vcc, s4, v0
	s_and_saveexec_b64 s[8:9], vcc
	s_cbranch_execz .LBB494_12
; %bb.9:
	v_mul_lo_u32 v6, v0, s19
	s_lshl_b32 s3, s19, 10
	s_mov_b64 s[10:11], 0
	v_mov_b32_e32 v3, 0
	s_mov_b64 s[12:13], 0x800
	v_mov_b64_e32 v[8:9], v[4:5]
	v_mov_b32_e32 v1, v0
.LBB494_10:                             ; =>This Inner Loop Header: Depth=1
	v_ashrrev_i32_e32 v7, 31, v6
	v_lshl_add_u64 v[10:11], v[6:7], 1, s[0:1]
	global_load_ushort v2, v[8:9], off
	global_load_ushort v7, v[10:11], off
	v_add_u32_e32 v1, 0x400, v1
	v_cmp_le_i32_e32 vcc, s4, v1
	v_lshl_add_u64 v[8:9], v[8:9], 0, s[12:13]
	v_add_u32_e32 v6, s3, v6
	s_or_b64 s[10:11], vcc, s[10:11]
	s_waitcnt vmcnt(0)
	v_mul_f16_e32 v2, v2, v7
	v_cvt_f32_f16_e32 v2, v2
	v_add_f32_e32 v3, v3, v2
	s_andn2_b64 exec, exec, s[10:11]
	s_cbranch_execnz .LBB494_10
; %bb.11:
	s_or_b64 exec, exec, s[10:11]
.LBB494_12:
	s_or_b64 exec, exec, s[8:9]
	v_or_b32_e32 v1, s4, v0
	v_cmp_gt_i32_e32 vcc, s5, v1
	s_and_saveexec_b64 s[8:9], vcc
	s_cbranch_execz .LBB494_14
; %bb.13:
	s_ashr_i32 s5, s4, 31
	v_lshl_add_u64 v[4:5], s[4:5], 1, v[4:5]
	global_load_ushort v2, v[4:5], off
	v_mul_lo_u32 v4, v1, s19
	v_ashrrev_i32_e32 v5, 31, v4
	v_lshl_add_u64 v[4:5], v[4:5], 1, s[0:1]
	global_load_ushort v1, v[4:5], off
	s_waitcnt vmcnt(0)
	v_mul_f16_e32 v1, v2, v1
	v_cvt_f32_f16_e32 v1, v1
	v_add_f32_e32 v3, v3, v1
.LBB494_14:
	s_or_b64 exec, exec, s[8:9]
	v_and_b32_e32 v2, 63, v0
	v_cmp_gt_u32_e32 vcc, 64, v0
	v_lshlrev_b32_e32 v1, 2, v2
	s_and_saveexec_b64 s[0:1], vcc
	s_cbranch_execz .LBB494_16
; %bb.15:
	v_mov_b32_e32 v4, 0
	ds_write_b32 v1, v4
.LBB494_16:
	s_or_b64 exec, exec, s[0:1]
	v_mbcnt_lo_u32_b32 v4, -1, 0
	v_mbcnt_hi_u32_b32 v6, -1, v4
	v_and_b32_e32 v7, 63, v6
	v_cmp_gt_u32_e64 s[0:1], 32, v7
	s_waitcnt lgkmcnt(0)
	s_barrier
	v_cndmask_b32_e64 v4, 0, 1, s[0:1]
	v_lshlrev_b32_e32 v4, 5, v4
	v_add_lshl_u32 v4, v4, v6, 2
	ds_bpermute_b32 v4, v4, v3
	v_cmp_gt_u32_e64 s[0:1], 48, v7
	s_waitcnt lgkmcnt(0)
	v_add_f32_e32 v3, v3, v4
	v_cndmask_b32_e64 v5, 0, 1, s[0:1]
	v_lshlrev_b32_e32 v5, 4, v5
	v_add_lshl_u32 v4, v5, v6, 2
	ds_bpermute_b32 v4, v4, v3
	v_cmp_gt_u32_e64 s[0:1], 56, v7
	s_waitcnt lgkmcnt(0)
	v_add_f32_e32 v4, v3, v4
	;; [unrolled: 7-line block ×4, first 2 shown]
	v_cndmask_b32_e64 v9, 0, 1, s[0:1]
	v_lshlrev_b32_e32 v9, 1, v9
	v_add_lshl_u32 v5, v9, v6, 2
	ds_bpermute_b32 v9, v5, v8
	v_cmp_ne_u32_e64 s[0:1], 63, v7
	s_waitcnt lgkmcnt(0)
	v_add_f32_e32 v7, v8, v9
	v_addc_co_u32_e64 v6, s[0:1], 0, v6, s[0:1]
	v_lshlrev_b32_e32 v6, 2, v6
	ds_bpermute_b32 v8, v6, v7
	v_cmp_eq_u32_e64 s[0:1], 0, v2
	s_and_saveexec_b64 s[4:5], s[0:1]
	s_cbranch_execz .LBB494_18
; %bb.17:
	v_lshrrev_b32_e32 v2, 4, v0
	v_and_b32_e32 v2, 60, v2
	s_waitcnt lgkmcnt(0)
	v_add_f32_e32 v7, v7, v8
	ds_write_b32 v2, v7
.LBB494_18:
	s_or_b64 exec, exec, s[4:5]
	v_cmp_gt_u32_e64 s[0:1], 16, v0
	v_mov_b32_e32 v2, 0
	s_waitcnt lgkmcnt(0)
	s_barrier
	s_and_saveexec_b64 s[4:5], s[0:1]
	s_cbranch_execz .LBB494_20
; %bb.19:
	ds_read_b32 v2, v1
	s_or_b64 exec, exec, s[4:5]
	s_and_saveexec_b64 s[0:1], vcc
	s_cbranch_execz .LBB494_22
	s_branch .LBB494_21
.LBB494_20:
	s_or_b64 exec, exec, s[4:5]
	s_and_saveexec_b64 s[0:1], vcc
	s_cbranch_execz .LBB494_22
.LBB494_21:
	s_waitcnt lgkmcnt(0)
	ds_bpermute_b32 v1, v3, v2
	s_waitcnt lgkmcnt(0)
	v_add_f32_e32 v1, v2, v1
	ds_bpermute_b32 v2, v4, v1
	s_waitcnt lgkmcnt(0)
	v_add_f32_e32 v1, v1, v2
	;; [unrolled: 3-line block ×4, first 2 shown]
.LBB494_22:
	s_or_b64 exec, exec, s[0:1]
	v_cmp_eq_u32_e32 vcc, 0, v0
                                        ; implicit-def: $vgpr1
                                        ; implicit-def: $sgpr8_sgpr9
	s_and_saveexec_b64 s[0:1], vcc
	s_cbranch_execz .LBB494_26
; %bb.23:
	v_cmp_eq_f32_e64 s[4:5], s16, 0
	s_mul_i32 s8, s2, s18
	s_waitcnt lgkmcnt(0)
	v_mul_f32_e32 v1, s17, v2
	s_ashr_i32 s9, s8, 31
	s_and_b64 vcc, exec, s[4:5]
	s_cbranch_vccnz .LBB494_25
; %bb.24:
	s_lshl_b64 s[2:3], s[8:9], 2
	s_add_u32 s2, s14, s2
	s_addc_u32 s3, s15, s3
	s_load_dword s2, s[2:3], 0x0
	v_mov_b32_e32 v0, s16
	s_waitcnt lgkmcnt(0)
	v_fmac_f32_e32 v1, s2, v0
.LBB494_25:
	s_or_b64 s[6:7], s[6:7], exec
.LBB494_26:
	s_or_b64 exec, exec, s[0:1]
.LBB494_27:
	s_and_saveexec_b64 s[0:1], s[6:7]
	s_cbranch_execz .LBB494_29
; %bb.28:
	s_lshl_b64 s[0:1], s[8:9], 2
	s_add_u32 s0, s14, s0
	s_addc_u32 s1, s15, s1
	v_mov_b32_e32 v0, 0
	global_store_dword v0, v1, s[0:1]
.LBB494_29:
	s_endpgm
	.section	.rodata,"a",@progbits
	.p2align	6, 0x0
	.amdhsa_kernel _ZL32rocblas_gemvt_warp_reduce_kernelILb0ELi1024EiDF16_ffEviiT3_lPKT2_lT1_lS3_lS4_lS0_lPT4_lS4_li
		.amdhsa_group_segment_fixed_size 256
		.amdhsa_private_segment_fixed_size 0
		.amdhsa_kernarg_size 140
		.amdhsa_user_sgpr_count 2
		.amdhsa_user_sgpr_dispatch_ptr 0
		.amdhsa_user_sgpr_queue_ptr 0
		.amdhsa_user_sgpr_kernarg_segment_ptr 1
		.amdhsa_user_sgpr_dispatch_id 0
		.amdhsa_user_sgpr_kernarg_preload_length 0
		.amdhsa_user_sgpr_kernarg_preload_offset 0
		.amdhsa_user_sgpr_private_segment_size 0
		.amdhsa_uses_dynamic_stack 0
		.amdhsa_enable_private_segment 0
		.amdhsa_system_sgpr_workgroup_id_x 1
		.amdhsa_system_sgpr_workgroup_id_y 0
		.amdhsa_system_sgpr_workgroup_id_z 1
		.amdhsa_system_sgpr_workgroup_info 0
		.amdhsa_system_vgpr_workitem_id 0
		.amdhsa_next_free_vgpr 12
		.amdhsa_next_free_sgpr 26
		.amdhsa_accum_offset 12
		.amdhsa_reserve_vcc 1
		.amdhsa_float_round_mode_32 0
		.amdhsa_float_round_mode_16_64 0
		.amdhsa_float_denorm_mode_32 3
		.amdhsa_float_denorm_mode_16_64 3
		.amdhsa_dx10_clamp 1
		.amdhsa_ieee_mode 1
		.amdhsa_fp16_overflow 0
		.amdhsa_tg_split 0
		.amdhsa_exception_fp_ieee_invalid_op 0
		.amdhsa_exception_fp_denorm_src 0
		.amdhsa_exception_fp_ieee_div_zero 0
		.amdhsa_exception_fp_ieee_overflow 0
		.amdhsa_exception_fp_ieee_underflow 0
		.amdhsa_exception_fp_ieee_inexact 0
		.amdhsa_exception_int_div_zero 0
	.end_amdhsa_kernel
	.section	.text._ZL32rocblas_gemvt_warp_reduce_kernelILb0ELi1024EiDF16_ffEviiT3_lPKT2_lT1_lS3_lS4_lS0_lPT4_lS4_li,"axG",@progbits,_ZL32rocblas_gemvt_warp_reduce_kernelILb0ELi1024EiDF16_ffEviiT3_lPKT2_lT1_lS3_lS4_lS0_lPT4_lS4_li,comdat
.Lfunc_end494:
	.size	_ZL32rocblas_gemvt_warp_reduce_kernelILb0ELi1024EiDF16_ffEviiT3_lPKT2_lT1_lS3_lS4_lS0_lPT4_lS4_li, .Lfunc_end494-_ZL32rocblas_gemvt_warp_reduce_kernelILb0ELi1024EiDF16_ffEviiT3_lPKT2_lT1_lS3_lS4_lS0_lPT4_lS4_li
                                        ; -- End function
	.section	.AMDGPU.csdata,"",@progbits
; Kernel info:
; codeLenInByte = 1296
; NumSgprs: 32
; NumVgprs: 12
; NumAgprs: 0
; TotalNumVgprs: 12
; ScratchSize: 0
; MemoryBound: 0
; FloatMode: 240
; IeeeMode: 1
; LDSByteSize: 256 bytes/workgroup (compile time only)
; SGPRBlocks: 3
; VGPRBlocks: 1
; NumSGPRsForWavesPerEU: 32
; NumVGPRsForWavesPerEU: 12
; AccumOffset: 12
; Occupancy: 8
; WaveLimiterHint : 1
; COMPUTE_PGM_RSRC2:SCRATCH_EN: 0
; COMPUTE_PGM_RSRC2:USER_SGPR: 2
; COMPUTE_PGM_RSRC2:TRAP_HANDLER: 0
; COMPUTE_PGM_RSRC2:TGID_X_EN: 1
; COMPUTE_PGM_RSRC2:TGID_Y_EN: 0
; COMPUTE_PGM_RSRC2:TGID_Z_EN: 1
; COMPUTE_PGM_RSRC2:TIDIG_COMP_CNT: 0
; COMPUTE_PGM_RSRC3_GFX90A:ACCUM_OFFSET: 2
; COMPUTE_PGM_RSRC3_GFX90A:TG_SPLIT: 0
	.section	.text._ZL32rocblas_gemvt_warp_reduce_kernelILb0ELi1024ElDF16_ffEviiT3_lPKT2_lT1_lS3_lS4_lS0_lPT4_lS4_li,"axG",@progbits,_ZL32rocblas_gemvt_warp_reduce_kernelILb0ELi1024ElDF16_ffEviiT3_lPKT2_lT1_lS3_lS4_lS0_lPT4_lS4_li,comdat
	.globl	_ZL32rocblas_gemvt_warp_reduce_kernelILb0ELi1024ElDF16_ffEviiT3_lPKT2_lT1_lS3_lS4_lS0_lPT4_lS4_li ; -- Begin function _ZL32rocblas_gemvt_warp_reduce_kernelILb0ELi1024ElDF16_ffEviiT3_lPKT2_lT1_lS3_lS4_lS0_lPT4_lS4_li
	.p2align	8
	.type	_ZL32rocblas_gemvt_warp_reduce_kernelILb0ELi1024ElDF16_ffEviiT3_lPKT2_lT1_lS3_lS4_lS0_lPT4_lS4_li,@function
_ZL32rocblas_gemvt_warp_reduce_kernelILb0ELi1024ElDF16_ffEviiT3_lPKT2_lT1_lS3_lS4_lS0_lPT4_lS4_li: ; @_ZL32rocblas_gemvt_warp_reduce_kernelILb0ELi1024ElDF16_ffEviiT3_lPKT2_lT1_lS3_lS4_lS0_lPT4_lS4_li
; %bb.0:
	s_load_dword s27, s[0:1], 0x8
	s_load_dword s26, s[0:1], 0x58
	s_waitcnt lgkmcnt(0)
	v_cmp_eq_f32_e64 s[4:5], s27, 0
	v_cmp_eq_f32_e64 s[6:7], s26, 1.0
	s_and_b64 s[4:5], s[4:5], s[6:7]
	s_and_b64 vcc, exec, s[4:5]
	s_cbranch_vccnz .LBB495_29
; %bb.1:
	s_load_dwordx8 s[16:23], s[0:1], 0x68
	v_cmp_neq_f32_e64 s[4:5], s27, 0
	s_waitcnt lgkmcnt(0)
	s_mul_i32 s7, s3, s23
	s_mul_hi_u32 s8, s3, s22
	s_mul_i32 s6, s3, s22
	s_add_i32 s7, s8, s7
	s_lshl_b64 s[6:7], s[6:7], 2
	s_add_u32 s8, s16, s6
	s_addc_u32 s9, s17, s7
	s_lshl_b64 s[6:7], s[18:19], 2
	s_add_u32 s24, s8, s6
	s_addc_u32 s25, s9, s7
	s_and_b64 vcc, exec, s[4:5]
	v_cmp_eq_u32_e64 s[4:5], 0, v0
	s_cbranch_vccnz .LBB495_6
; %bb.2:
	s_mov_b64 s[8:9], 0
	s_mov_b64 s[22:23], 0
                                        ; implicit-def: $vgpr1
                                        ; implicit-def: $sgpr6_sgpr7
	s_and_saveexec_b64 s[10:11], s[4:5]
	s_cbranch_execz .LBB495_7
; %bb.3:
	s_ashr_i32 s6, s2, 31
	s_mul_i32 s7, s2, s21
	s_mul_hi_u32 s12, s2, s20
	v_cmp_eq_f32_e64 s[4:5], s26, 0
	s_add_i32 s7, s12, s7
	s_mul_i32 s6, s6, s20
	v_mov_b32_e32 v1, 0
	s_add_i32 s7, s7, s6
	s_mul_i32 s6, s2, s20
	s_and_b64 vcc, exec, s[4:5]
	s_cbranch_vccnz .LBB495_5
; %bb.4:
	s_lshl_b64 s[4:5], s[6:7], 2
	s_add_u32 s4, s24, s4
	s_addc_u32 s5, s25, s5
	s_load_dword s4, s[4:5], 0x0
	v_mov_b32_e32 v1, s26
	s_waitcnt lgkmcnt(0)
	v_mul_f32_e32 v1, s4, v1
.LBB495_5:
	s_mov_b64 s[22:23], exec
	s_or_b64 exec, exec, s[10:11]
	s_and_b64 vcc, exec, s[8:9]
	s_cbranch_vccnz .LBB495_8
	s_branch .LBB495_27
.LBB495_6:
	s_mov_b64 s[22:23], 0
                                        ; implicit-def: $vgpr1
                                        ; implicit-def: $sgpr6_sgpr7
	s_cbranch_execnz .LBB495_8
	s_branch .LBB495_27
.LBB495_7:
	s_or_b64 exec, exec, s[10:11]
	s_and_b64 vcc, exec, s[8:9]
	s_cbranch_vccz .LBB495_27
.LBB495_8:
	s_load_dwordx16 s[4:19], s[0:1], 0x18
	s_load_dword s28, s[0:1], 0x0
	v_mov_b32_e32 v3, 0
	s_waitcnt lgkmcnt(0)
	s_mul_i32 s1, s3, s19
	s_mul_hi_u32 s19, s3, s18
	s_mul_i32 s0, s3, s18
	s_mul_i32 s11, s3, s11
	s_mul_hi_u32 s18, s3, s10
	s_add_i32 s11, s18, s11
	s_mul_i32 s10, s3, s10
	s_add_i32 s1, s19, s1
	s_lshl_b64 s[10:11], s[10:11], 1
	s_add_u32 s3, s4, s10
	s_addc_u32 s10, s5, s11
	s_lshl_b64 s[4:5], s[6:7], 1
	s_add_u32 s6, s3, s4
	s_addc_u32 s7, s10, s5
	s_ashr_i32 s3, s2, 31
	s_mul_i32 s4, s2, s9
	s_mul_hi_u32 s5, s2, s8
	s_add_i32 s4, s5, s4
	s_mul_i32 s5, s3, s8
	s_add_i32 s5, s4, s5
	s_mul_i32 s4, s2, s8
	v_cmp_gt_i32_e32 vcc, s28, v0
	s_lshl_b64 s[4:5], s[4:5], 1
	s_add_u32 s4, s4, s6
	v_cndmask_b32_e32 v1, 0, v0, vcc
	v_lshlrev_b32_e32 v2, 1, v1
	s_addc_u32 s5, s5, s7
	v_lshl_add_u64 v[4:5], s[4:5], 0, v[2:3]
	s_ashr_i32 s4, s28, 31
	s_lshr_b32 s4, s4, 22
	s_add_i32 s4, s28, s4
	s_and_b32 s4, s4, 0xfffffc00
	v_cmp_gt_i32_e32 vcc, s4, v0
	s_and_saveexec_b64 s[6:7], vcc
	s_cbranch_execz .LBB495_12
; %bb.9:
	v_mad_u64_u32 v[2:3], s[10:11], s16, v0, 0
	v_mov_b32_e32 v6, v3
	v_mad_u64_u32 v[6:7], s[10:11], s17, v0, v[6:7]
	s_lshl_b64 s[8:9], s[0:1], 1
	s_lshl_b64 s[10:11], s[14:15], 1
	s_add_u32 s5, s12, s10
	s_addc_u32 s10, s13, s11
	s_add_u32 s8, s5, s8
	v_mov_b32_e32 v3, v6
	s_addc_u32 s9, s10, s9
	v_lshl_add_u64 v[6:7], v[2:3], 1, s[8:9]
	s_lshl_b64 s[10:11], s[16:17], 11
	s_mov_b64 s[8:9], 0
	v_mov_b32_e32 v3, 0
	s_mov_b64 s[18:19], 0x800
	v_mov_b64_e32 v[8:9], v[4:5]
	v_mov_b32_e32 v1, v0
.LBB495_10:                             ; =>This Inner Loop Header: Depth=1
	global_load_ushort v2, v[8:9], off
	global_load_ushort v10, v[6:7], off
	v_add_u32_e32 v1, 0x400, v1
	v_cmp_le_i32_e32 vcc, s4, v1
	v_lshl_add_u64 v[8:9], v[8:9], 0, s[18:19]
	v_lshl_add_u64 v[6:7], v[6:7], 0, s[10:11]
	s_or_b64 s[8:9], vcc, s[8:9]
	s_waitcnt vmcnt(0)
	v_mul_f16_e32 v2, v2, v10
	v_cvt_f32_f16_e32 v2, v2
	v_add_f32_e32 v3, v3, v2
	s_andn2_b64 exec, exec, s[8:9]
	s_cbranch_execnz .LBB495_10
; %bb.11:
	s_or_b64 exec, exec, s[8:9]
.LBB495_12:
	s_or_b64 exec, exec, s[6:7]
	v_or_b32_e32 v1, s4, v0
	v_cmp_gt_i32_e32 vcc, s28, v1
	s_and_saveexec_b64 s[6:7], vcc
	s_cbranch_execz .LBB495_14
; %bb.13:
	s_lshl_b64 s[0:1], s[0:1], 1
	s_add_u32 s5, s12, s0
	s_addc_u32 s8, s13, s1
	s_lshl_b64 s[0:1], s[14:15], 1
	s_add_u32 s0, s5, s0
	s_addc_u32 s1, s8, s1
	s_ashr_i32 s5, s4, 31
	v_lshl_add_u64 v[4:5], s[4:5], 1, v[4:5]
	global_load_ushort v2, v[4:5], off
	v_ashrrev_i32_e32 v4, 31, v1
	v_mul_lo_u32 v6, v1, s17
	v_mul_lo_u32 v7, v4, s16
	v_mad_u64_u32 v[4:5], s[4:5], v1, s16, 0
	v_add3_u32 v5, v5, v6, v7
	v_lshl_add_u64 v[4:5], v[4:5], 1, s[0:1]
	global_load_ushort v1, v[4:5], off
	s_waitcnt vmcnt(0)
	v_mul_f16_e32 v1, v2, v1
	v_cvt_f32_f16_e32 v1, v1
	v_add_f32_e32 v3, v3, v1
.LBB495_14:
	s_or_b64 exec, exec, s[6:7]
	v_and_b32_e32 v2, 63, v0
	v_cmp_gt_u32_e32 vcc, 64, v0
	v_lshlrev_b32_e32 v1, 2, v2
	s_and_saveexec_b64 s[0:1], vcc
	s_cbranch_execz .LBB495_16
; %bb.15:
	v_mov_b32_e32 v4, 0
	ds_write_b32 v1, v4
.LBB495_16:
	s_or_b64 exec, exec, s[0:1]
	v_mbcnt_lo_u32_b32 v4, -1, 0
	v_mbcnt_hi_u32_b32 v6, -1, v4
	v_and_b32_e32 v7, 63, v6
	v_cmp_gt_u32_e64 s[0:1], 32, v7
	s_waitcnt lgkmcnt(0)
	s_barrier
	v_cndmask_b32_e64 v4, 0, 1, s[0:1]
	v_lshlrev_b32_e32 v4, 5, v4
	v_add_lshl_u32 v4, v4, v6, 2
	ds_bpermute_b32 v4, v4, v3
	v_cmp_gt_u32_e64 s[0:1], 48, v7
	s_waitcnt lgkmcnt(0)
	v_add_f32_e32 v3, v3, v4
	v_cndmask_b32_e64 v5, 0, 1, s[0:1]
	v_lshlrev_b32_e32 v5, 4, v5
	v_add_lshl_u32 v4, v5, v6, 2
	ds_bpermute_b32 v4, v4, v3
	v_cmp_gt_u32_e64 s[0:1], 56, v7
	s_waitcnt lgkmcnt(0)
	v_add_f32_e32 v4, v3, v4
	;; [unrolled: 7-line block ×4, first 2 shown]
	v_cndmask_b32_e64 v9, 0, 1, s[0:1]
	v_lshlrev_b32_e32 v9, 1, v9
	v_add_lshl_u32 v5, v9, v6, 2
	ds_bpermute_b32 v9, v5, v8
	v_cmp_ne_u32_e64 s[0:1], 63, v7
	s_waitcnt lgkmcnt(0)
	v_add_f32_e32 v7, v8, v9
	v_addc_co_u32_e64 v6, s[0:1], 0, v6, s[0:1]
	v_lshlrev_b32_e32 v6, 2, v6
	ds_bpermute_b32 v8, v6, v7
	v_cmp_eq_u32_e64 s[0:1], 0, v2
	s_and_saveexec_b64 s[4:5], s[0:1]
	s_cbranch_execz .LBB495_18
; %bb.17:
	v_lshrrev_b32_e32 v2, 4, v0
	v_and_b32_e32 v2, 60, v2
	s_waitcnt lgkmcnt(0)
	v_add_f32_e32 v7, v7, v8
	ds_write_b32 v2, v7
.LBB495_18:
	s_or_b64 exec, exec, s[4:5]
	v_cmp_gt_u32_e64 s[0:1], 16, v0
	v_mov_b32_e32 v2, 0
	s_waitcnt lgkmcnt(0)
	s_barrier
	s_and_saveexec_b64 s[4:5], s[0:1]
	s_cbranch_execz .LBB495_20
; %bb.19:
	ds_read_b32 v2, v1
	s_or_b64 exec, exec, s[4:5]
	s_and_saveexec_b64 s[0:1], vcc
	s_cbranch_execz .LBB495_22
	s_branch .LBB495_21
.LBB495_20:
	s_or_b64 exec, exec, s[4:5]
	s_and_saveexec_b64 s[0:1], vcc
	s_cbranch_execz .LBB495_22
.LBB495_21:
	s_waitcnt lgkmcnt(0)
	ds_bpermute_b32 v1, v3, v2
	s_waitcnt lgkmcnt(0)
	v_add_f32_e32 v1, v2, v1
	ds_bpermute_b32 v2, v4, v1
	s_waitcnt lgkmcnt(0)
	v_add_f32_e32 v1, v1, v2
	ds_bpermute_b32 v2, v5, v1
	s_waitcnt lgkmcnt(0)
	v_add_f32_e32 v1, v1, v2
	ds_bpermute_b32 v2, v6, v1
	s_waitcnt lgkmcnt(0)
	v_add_f32_e32 v2, v1, v2
.LBB495_22:
	s_or_b64 exec, exec, s[0:1]
	v_cmp_eq_u32_e32 vcc, 0, v0
                                        ; implicit-def: $vgpr1
                                        ; implicit-def: $sgpr6_sgpr7
	s_and_saveexec_b64 s[0:1], vcc
	s_cbranch_execz .LBB495_26
; %bb.23:
	s_mul_i32 s6, s2, s21
	s_mul_hi_u32 s7, s2, s20
	v_cmp_eq_f32_e64 s[4:5], s26, 0
	s_add_i32 s6, s7, s6
	s_mul_i32 s3, s3, s20
	s_waitcnt lgkmcnt(0)
	v_mul_f32_e32 v1, s27, v2
	s_add_i32 s7, s6, s3
	s_mul_i32 s6, s2, s20
	s_and_b64 vcc, exec, s[4:5]
	s_cbranch_vccnz .LBB495_25
; %bb.24:
	s_lshl_b64 s[2:3], s[6:7], 2
	s_add_u32 s2, s24, s2
	s_addc_u32 s3, s25, s3
	s_load_dword s2, s[2:3], 0x0
	v_mov_b32_e32 v0, s26
	s_waitcnt lgkmcnt(0)
	v_fmac_f32_e32 v1, s2, v0
.LBB495_25:
	s_or_b64 s[22:23], s[22:23], exec
.LBB495_26:
	s_or_b64 exec, exec, s[0:1]
.LBB495_27:
	s_and_saveexec_b64 s[0:1], s[22:23]
	s_cbranch_execz .LBB495_29
; %bb.28:
	s_lshl_b64 s[0:1], s[6:7], 2
	s_add_u32 s0, s24, s0
	s_addc_u32 s1, s25, s1
	v_mov_b32_e32 v0, 0
	global_store_dword v0, v1, s[0:1]
.LBB495_29:
	s_endpgm
	.section	.rodata,"a",@progbits
	.p2align	6, 0x0
	.amdhsa_kernel _ZL32rocblas_gemvt_warp_reduce_kernelILb0ELi1024ElDF16_ffEviiT3_lPKT2_lT1_lS3_lS4_lS0_lPT4_lS4_li
		.amdhsa_group_segment_fixed_size 256
		.amdhsa_private_segment_fixed_size 0
		.amdhsa_kernarg_size 140
		.amdhsa_user_sgpr_count 2
		.amdhsa_user_sgpr_dispatch_ptr 0
		.amdhsa_user_sgpr_queue_ptr 0
		.amdhsa_user_sgpr_kernarg_segment_ptr 1
		.amdhsa_user_sgpr_dispatch_id 0
		.amdhsa_user_sgpr_kernarg_preload_length 0
		.amdhsa_user_sgpr_kernarg_preload_offset 0
		.amdhsa_user_sgpr_private_segment_size 0
		.amdhsa_uses_dynamic_stack 0
		.amdhsa_enable_private_segment 0
		.amdhsa_system_sgpr_workgroup_id_x 1
		.amdhsa_system_sgpr_workgroup_id_y 0
		.amdhsa_system_sgpr_workgroup_id_z 1
		.amdhsa_system_sgpr_workgroup_info 0
		.amdhsa_system_vgpr_workitem_id 0
		.amdhsa_next_free_vgpr 11
		.amdhsa_next_free_sgpr 29
		.amdhsa_accum_offset 12
		.amdhsa_reserve_vcc 1
		.amdhsa_float_round_mode_32 0
		.amdhsa_float_round_mode_16_64 0
		.amdhsa_float_denorm_mode_32 3
		.amdhsa_float_denorm_mode_16_64 3
		.amdhsa_dx10_clamp 1
		.amdhsa_ieee_mode 1
		.amdhsa_fp16_overflow 0
		.amdhsa_tg_split 0
		.amdhsa_exception_fp_ieee_invalid_op 0
		.amdhsa_exception_fp_denorm_src 0
		.amdhsa_exception_fp_ieee_div_zero 0
		.amdhsa_exception_fp_ieee_overflow 0
		.amdhsa_exception_fp_ieee_underflow 0
		.amdhsa_exception_fp_ieee_inexact 0
		.amdhsa_exception_int_div_zero 0
	.end_amdhsa_kernel
	.section	.text._ZL32rocblas_gemvt_warp_reduce_kernelILb0ELi1024ElDF16_ffEviiT3_lPKT2_lT1_lS3_lS4_lS0_lPT4_lS4_li,"axG",@progbits,_ZL32rocblas_gemvt_warp_reduce_kernelILb0ELi1024ElDF16_ffEviiT3_lPKT2_lT1_lS3_lS4_lS0_lPT4_lS4_li,comdat
.Lfunc_end495:
	.size	_ZL32rocblas_gemvt_warp_reduce_kernelILb0ELi1024ElDF16_ffEviiT3_lPKT2_lT1_lS3_lS4_lS0_lPT4_lS4_li, .Lfunc_end495-_ZL32rocblas_gemvt_warp_reduce_kernelILb0ELi1024ElDF16_ffEviiT3_lPKT2_lT1_lS3_lS4_lS0_lPT4_lS4_li
                                        ; -- End function
	.section	.AMDGPU.csdata,"",@progbits
; Kernel info:
; codeLenInByte = 1360
; NumSgprs: 35
; NumVgprs: 11
; NumAgprs: 0
; TotalNumVgprs: 11
; ScratchSize: 0
; MemoryBound: 0
; FloatMode: 240
; IeeeMode: 1
; LDSByteSize: 256 bytes/workgroup (compile time only)
; SGPRBlocks: 4
; VGPRBlocks: 1
; NumSGPRsForWavesPerEU: 35
; NumVGPRsForWavesPerEU: 11
; AccumOffset: 12
; Occupancy: 8
; WaveLimiterHint : 1
; COMPUTE_PGM_RSRC2:SCRATCH_EN: 0
; COMPUTE_PGM_RSRC2:USER_SGPR: 2
; COMPUTE_PGM_RSRC2:TRAP_HANDLER: 0
; COMPUTE_PGM_RSRC2:TGID_X_EN: 1
; COMPUTE_PGM_RSRC2:TGID_Y_EN: 0
; COMPUTE_PGM_RSRC2:TGID_Z_EN: 1
; COMPUTE_PGM_RSRC2:TIDIG_COMP_CNT: 0
; COMPUTE_PGM_RSRC3_GFX90A:ACCUM_OFFSET: 2
; COMPUTE_PGM_RSRC3_GFX90A:TG_SPLIT: 0
	.section	.text._ZL22rocblas_gemvtsm_kernelILb1ELi256EDF16_PKffEviiT2_lPKT1_lilS5_lilS2_lPT3_lil,"axG",@progbits,_ZL22rocblas_gemvtsm_kernelILb1ELi256EDF16_PKffEviiT2_lPKT1_lilS5_lilS2_lPT3_lil,comdat
	.globl	_ZL22rocblas_gemvtsm_kernelILb1ELi256EDF16_PKffEviiT2_lPKT1_lilS5_lilS2_lPT3_lil ; -- Begin function _ZL22rocblas_gemvtsm_kernelILb1ELi256EDF16_PKffEviiT2_lPKT1_lilS5_lilS2_lPT3_lil
	.p2align	8
	.type	_ZL22rocblas_gemvtsm_kernelILb1ELi256EDF16_PKffEviiT2_lPKT1_lilS5_lilS2_lPT3_lil,@function
_ZL22rocblas_gemvtsm_kernelILb1ELi256EDF16_PKffEviiT2_lPKT1_lilS5_lilS2_lPT3_lil: ; @_ZL22rocblas_gemvtsm_kernelILb1ELi256EDF16_PKffEviiT2_lPKT1_lilS5_lilS2_lPT3_lil
; %bb.0:
	s_load_dwordx8 s[4:11], s[0:1], 0x8
	s_load_dwordx8 s[12:19], s[0:1], 0x50
	s_waitcnt lgkmcnt(0)
	s_mul_i32 s3, s2, s7
	s_mul_hi_u32 s7, s2, s6
	s_add_i32 s7, s7, s3
	s_mul_i32 s6, s2, s6
	s_lshl_b64 s[6:7], s[6:7], 2
	s_add_u32 s4, s4, s6
	s_addc_u32 s5, s5, s7
	s_load_dword s3, s[4:5], 0x0
	s_mul_i32 s4, s2, s17
	s_mul_hi_u32 s5, s2, s16
	s_add_i32 s5, s5, s4
	s_mul_i32 s4, s2, s16
	s_lshl_b64 s[4:5], s[4:5], 2
	s_add_u32 s4, s14, s4
	s_addc_u32 s5, s15, s5
	s_load_dword s28, s[4:5], 0x0
	s_waitcnt lgkmcnt(0)
	v_cmp_eq_f32_e64 s[4:5], s3, 0
	v_cmp_eq_f32_e64 s[6:7], s28, 1.0
	s_and_b64 s[4:5], s[4:5], s[6:7]
	s_and_b64 vcc, exec, s[4:5]
	s_cbranch_vccnz .LBB496_34
; %bb.1:
	s_load_dwordx2 s[4:5], s[0:1], 0x80
	s_load_dword s14, s[0:1], 0x78
	s_load_dwordx2 s[20:21], s[0:1], 0x70
	s_load_dwordx2 s[16:17], s[0:1], 0x0
	s_waitcnt lgkmcnt(0)
	s_mul_i32 s5, s2, s5
	s_mul_hi_u32 s6, s2, s4
	s_add_i32 s23, s6, s5
	s_mul_i32 s22, s2, s4
	v_cmp_neq_f32_e64 s[4:5], s3, 0
	s_and_b64 vcc, exec, s[4:5]
	s_cbranch_vccnz .LBB496_9
; %bb.2:
	s_cmp_gt_i32 s17, 0
	s_cselect_b64 s[6:7], -1, 0
	v_cmp_neq_f32_e64 s[4:5], s28, 0
	v_cndmask_b32_e64 v1, 0, 1, s[6:7]
	s_and_b64 vcc, exec, s[4:5]
	v_cmp_ne_u32_e64 s[4:5], 1, v1
	s_cbranch_vccnz .LBB496_10
; %bb.3:
	s_and_b64 vcc, exec, s[4:5]
	s_cbranch_vccnz .LBB496_8
; %bb.4:
	v_mad_i64_i32 v[2:3], s[24:25], s14, v0, 0
	s_ashr_i32 s15, s14, 31
	s_lshl_b64 s[6:7], s[22:23], 2
	s_lshl_b64 s[24:25], s[20:21], 2
	s_add_u32 s24, s18, s24
	s_addc_u32 s25, s19, s25
	s_add_u32 s6, s24, s6
	s_addc_u32 s7, s25, s7
	v_lshl_add_u64 v[2:3], v[2:3], 2, s[6:7]
	s_lshl_b64 s[6:7], s[14:15], 10
	s_mov_b32 s15, 0
	v_mov_b32_e32 v1, 0
	s_branch .LBB496_6
.LBB496_5:                              ;   in Loop: Header=BB496_6 Depth=1
	s_or_b64 exec, exec, s[24:25]
	s_addk_i32 s15, 0x100
	s_cmp_ge_i32 s15, s17
	v_lshl_add_u64 v[2:3], v[2:3], 0, s[6:7]
	s_cbranch_scc1 .LBB496_8
.LBB496_6:                              ; =>This Inner Loop Header: Depth=1
	v_add_u32_e32 v4, s15, v0
	v_cmp_gt_i32_e32 vcc, s17, v4
	s_and_saveexec_b64 s[24:25], vcc
	s_cbranch_execz .LBB496_5
; %bb.7:                                ;   in Loop: Header=BB496_6 Depth=1
	global_store_dword v[2:3], v1, off
	s_branch .LBB496_5
.LBB496_8:
	s_cbranch_execz .LBB496_11
	s_branch .LBB496_16
.LBB496_9:
	s_branch .LBB496_17
.LBB496_10:
.LBB496_11:
	s_and_b64 vcc, exec, s[4:5]
	s_cbranch_vccnz .LBB496_16
; %bb.12:
	v_mad_i64_i32 v[2:3], s[6:7], s14, v0, 0
	s_ashr_i32 s15, s14, 31
	s_lshl_b64 s[4:5], s[22:23], 2
	s_lshl_b64 s[6:7], s[20:21], 2
	s_add_u32 s6, s18, s6
	s_addc_u32 s7, s19, s7
	s_add_u32 s4, s6, s4
	s_addc_u32 s5, s7, s5
	v_lshl_add_u64 v[2:3], v[2:3], 2, s[4:5]
	s_lshl_b64 s[4:5], s[14:15], 10
	s_mov_b32 s15, 0
	s_branch .LBB496_14
.LBB496_13:                             ;   in Loop: Header=BB496_14 Depth=1
	s_or_b64 exec, exec, s[6:7]
	s_addk_i32 s15, 0x100
	s_cmp_ge_i32 s15, s17
	v_lshl_add_u64 v[2:3], v[2:3], 0, s[4:5]
	s_cbranch_scc1 .LBB496_16
.LBB496_14:                             ; =>This Inner Loop Header: Depth=1
	v_add_u32_e32 v1, s15, v0
	v_cmp_gt_i32_e32 vcc, s17, v1
	s_and_saveexec_b64 s[6:7], vcc
	s_cbranch_execz .LBB496_13
; %bb.15:                               ;   in Loop: Header=BB496_14 Depth=1
	global_load_dword v1, v[2:3], off
	s_waitcnt vmcnt(0)
	v_mul_f32_e32 v1, s28, v1
	global_store_dword v[2:3], v1, off
	s_branch .LBB496_13
.LBB496_16:
	s_cbranch_execnz .LBB496_34
.LBB496_17:
	s_load_dwordx4 s[4:7], s[0:1], 0x30
	s_load_dwordx2 s[26:27], s[0:1], 0x40
	v_cmp_gt_i32_e32 vcc, s16, v0
	s_and_saveexec_b64 s[24:25], vcc
	s_cbranch_execz .LBB496_19
; %bb.18:
	s_mul_i32 s13, s2, s13
	s_mul_hi_u32 s15, s2, s12
	s_add_i32 s13, s15, s13
	s_mul_i32 s12, s2, s12
	s_load_dword s15, s[0:1], 0x48
	s_lshl_b64 s[12:13], s[12:13], 1
	s_waitcnt lgkmcnt(0)
	s_add_u32 s12, s6, s12
	s_addc_u32 s13, s7, s13
	s_lshl_b64 s[6:7], s[26:27], 1
	s_add_u32 s6, s12, s6
	s_addc_u32 s7, s13, s7
	v_mad_i64_i32 v[2:3], s[12:13], s15, v0, 0
	v_lshl_add_u64 v[2:3], v[2:3], 1, s[6:7]
	global_load_ushort v1, v[2:3], off
	v_lshlrev_b32_e32 v2, 2, v0
	s_waitcnt vmcnt(0)
	v_cvt_f32_f16_e32 v1, v1
	v_mul_f32_e32 v1, s3, v1
	ds_write_b32 v2, v1
.LBB496_19:
	s_or_b64 exec, exec, s[24:25]
	s_cmp_lt_i32 s17, 1
	s_waitcnt lgkmcnt(0)
	s_barrier
	s_cbranch_scc1 .LBB496_34
; %bb.20:
	s_load_dword s0, s[0:1], 0x28
	s_lshl_b64 s[6:7], s[22:23], 2
	s_add_u32 s3, s18, s6
	s_addc_u32 s1, s19, s7
	s_lshl_b64 s[6:7], s[20:21], 2
	s_add_u32 s12, s3, s6
	s_addc_u32 s13, s1, s7
	s_waitcnt lgkmcnt(0)
	s_ashr_i32 s1, s0, 31
	s_ashr_i32 s15, s14, 31
	s_cmp_gt_i32 s16, 0
	s_cselect_b64 s[6:7], -1, 0
	s_and_b32 s20, s16, 7
	s_cmp_gt_u32 s16, 7
	s_cselect_b64 s[22:23], -1, 0
	s_and_b32 s16, s16, 0x7ffffff8
	s_cmp_lg_u32 s20, 0
	s_mul_i32 s3, s5, s2
	s_mul_hi_u32 s5, s4, s2
	s_cselect_b64 s[24:25], -1, 0
	s_add_i32 s3, s5, s3
	s_mul_i32 s2, s4, s2
	v_mad_i64_i32 v[2:3], s[4:5], s0, v0, 0
	s_lshl_b64 s[2:3], s[2:3], 1
	s_lshl_b64 s[4:5], s[10:11], 1
	s_add_u32 s4, s8, s4
	s_addc_u32 s5, s9, s5
	s_add_u32 s2, s4, s2
	s_addc_u32 s3, s5, s3
	s_lshl_b64 s[8:9], s[0:1], 9
	v_cmp_neq_f32_e64 s[0:1], s28, 0
	v_cndmask_b32_e64 v6, 0, 1, s[22:23]
	v_lshl_add_u64 v[2:3], v[2:3], 1, s[2:3]
	v_cndmask_b32_e64 v1, 0, 1, s[0:1]
	v_cmp_ne_u32_e64 s[0:1], 1, v1
	v_cndmask_b32_e64 v1, 0, 1, s[6:7]
	v_cmp_ne_u32_e64 s[2:3], 1, v6
	v_cndmask_b32_e64 v6, 0, 1, s[24:25]
	s_mov_b32 s19, 0
	v_lshl_add_u64 v[4:5], v[2:3], 0, 14
	v_cmp_ne_u32_e64 s[4:5], 1, v1
	v_cmp_ne_u32_e64 s[6:7], 1, v6
	s_mov_b32 s21, 0
	s_branch .LBB496_23
.LBB496_21:                             ;   in Loop: Header=BB496_23 Depth=1
	global_store_dword v[6:7], v1, off
.LBB496_22:                             ;   in Loop: Header=BB496_23 Depth=1
	s_or_b64 exec, exec, s[10:11]
	s_addk_i32 s21, 0x100
	v_lshl_add_u64 v[4:5], v[4:5], 0, s[8:9]
	s_cmp_ge_i32 s21, s17
	v_lshl_add_u64 v[2:3], v[2:3], 0, s[8:9]
	s_cbranch_scc1 .LBB496_34
.LBB496_23:                             ; =>This Loop Header: Depth=1
                                        ;     Child Loop BB496_29 Depth 2
                                        ;     Child Loop BB496_33 Depth 2
	v_add_u32_e32 v1, s21, v0
	v_cmp_gt_i32_e32 vcc, s17, v1
	s_and_saveexec_b64 s[10:11], vcc
	s_cbranch_execz .LBB496_22
; %bb.24:                               ;   in Loop: Header=BB496_23 Depth=1
	v_mad_u64_u32 v[6:7], s[22:23], v1, s14, 0
	v_mov_b32_e32 v8, v7
	v_mad_u64_u32 v[8:9], s[22:23], v1, s15, v[8:9]
	v_mov_b32_e32 v7, v8
	s_and_b64 vcc, exec, s[0:1]
	v_lshl_add_u64 v[6:7], v[6:7], 2, s[12:13]
	s_cbranch_vccnz .LBB496_26
; %bb.25:                               ;   in Loop: Header=BB496_23 Depth=1
	global_load_dword v1, v[6:7], off
	s_waitcnt vmcnt(0)
	v_mul_f32_e32 v1, s28, v1
	s_and_b64 vcc, exec, s[4:5]
	s_cbranch_vccz .LBB496_27
	s_branch .LBB496_21
.LBB496_26:                             ;   in Loop: Header=BB496_23 Depth=1
	v_mov_b32_e32 v1, 0
	s_and_b64 vcc, exec, s[4:5]
	s_cbranch_vccnz .LBB496_21
.LBB496_27:                             ;   in Loop: Header=BB496_23 Depth=1
	s_mov_b32 s18, 0
	s_and_b64 vcc, exec, s[2:3]
	s_cbranch_vccnz .LBB496_31
; %bb.28:                               ;   in Loop: Header=BB496_23 Depth=1
	s_mov_b32 s22, 0
	v_mov_b64_e32 v[8:9], v[4:5]
.LBB496_29:                             ;   Parent Loop BB496_23 Depth=1
                                        ; =>  This Inner Loop Header: Depth=2
	global_load_dwordx4 v[10:13], v[8:9], off offset:-14
	v_mov_b32_e32 v18, s18
	ds_read_b128 v[14:17], v18
	ds_read_b128 v[18:21], v18 offset:16
	s_add_i32 s22, s22, 8
	s_add_i32 s18, s18, 32
	v_lshl_add_u64 v[8:9], v[8:9], 0, 16
	s_cmp_eq_u32 s16, s22
	s_waitcnt vmcnt(0) lgkmcnt(1)
	v_fma_mix_f32 v1, v14, v10, v1 op_sel_hi:[0,1,0]
	v_fma_mix_f32 v1, v15, v10, v1 op_sel:[0,1,0] op_sel_hi:[0,1,0]
	v_fma_mix_f32 v1, v16, v11, v1 op_sel_hi:[0,1,0]
	v_fma_mix_f32 v1, v17, v11, v1 op_sel:[0,1,0] op_sel_hi:[0,1,0]
	s_waitcnt lgkmcnt(0)
	v_fma_mix_f32 v1, v18, v12, v1 op_sel_hi:[0,1,0]
	v_fma_mix_f32 v1, v19, v12, v1 op_sel:[0,1,0] op_sel_hi:[0,1,0]
	v_fma_mix_f32 v1, v20, v13, v1 op_sel_hi:[0,1,0]
	v_fma_mix_f32 v1, v21, v13, v1 op_sel:[0,1,0] op_sel_hi:[0,1,0]
	s_cbranch_scc0 .LBB496_29
; %bb.30:                               ;   in Loop: Header=BB496_23 Depth=1
	s_mov_b32 s18, s16
.LBB496_31:                             ;   in Loop: Header=BB496_23 Depth=1
	s_and_b64 vcc, exec, s[6:7]
	s_cbranch_vccnz .LBB496_21
; %bb.32:                               ;   in Loop: Header=BB496_23 Depth=1
	s_lshl_b32 s22, s18, 2
	s_lshl_b32 s18, s18, 1
	v_lshl_add_u64 v[8:9], v[2:3], 0, s[18:19]
	s_mov_b32 s18, s20
.LBB496_33:                             ;   Parent Loop BB496_23 Depth=1
                                        ; =>  This Inner Loop Header: Depth=2
	global_load_ushort v10, v[8:9], off
	v_mov_b32_e32 v11, s22
	ds_read_b32 v11, v11
	s_add_i32 s22, s22, 4
	s_add_i32 s18, s18, -1
	v_lshl_add_u64 v[8:9], v[8:9], 0, 2
	s_cmp_lg_u32 s18, 0
	s_waitcnt vmcnt(0) lgkmcnt(0)
	v_fma_mix_f32 v1, v11, v10, v1 op_sel_hi:[0,1,0]
	s_cbranch_scc1 .LBB496_33
	s_branch .LBB496_21
.LBB496_34:
	s_endpgm
	.section	.rodata,"a",@progbits
	.p2align	6, 0x0
	.amdhsa_kernel _ZL22rocblas_gemvtsm_kernelILb1ELi256EDF16_PKffEviiT2_lPKT1_lilS5_lilS2_lPT3_lil
		.amdhsa_group_segment_fixed_size 256
		.amdhsa_private_segment_fixed_size 0
		.amdhsa_kernarg_size 136
		.amdhsa_user_sgpr_count 2
		.amdhsa_user_sgpr_dispatch_ptr 0
		.amdhsa_user_sgpr_queue_ptr 0
		.amdhsa_user_sgpr_kernarg_segment_ptr 1
		.amdhsa_user_sgpr_dispatch_id 0
		.amdhsa_user_sgpr_kernarg_preload_length 0
		.amdhsa_user_sgpr_kernarg_preload_offset 0
		.amdhsa_user_sgpr_private_segment_size 0
		.amdhsa_uses_dynamic_stack 0
		.amdhsa_enable_private_segment 0
		.amdhsa_system_sgpr_workgroup_id_x 1
		.amdhsa_system_sgpr_workgroup_id_y 0
		.amdhsa_system_sgpr_workgroup_id_z 0
		.amdhsa_system_sgpr_workgroup_info 0
		.amdhsa_system_vgpr_workitem_id 0
		.amdhsa_next_free_vgpr 22
		.amdhsa_next_free_sgpr 29
		.amdhsa_accum_offset 24
		.amdhsa_reserve_vcc 1
		.amdhsa_float_round_mode_32 0
		.amdhsa_float_round_mode_16_64 0
		.amdhsa_float_denorm_mode_32 3
		.amdhsa_float_denorm_mode_16_64 3
		.amdhsa_dx10_clamp 1
		.amdhsa_ieee_mode 1
		.amdhsa_fp16_overflow 0
		.amdhsa_tg_split 0
		.amdhsa_exception_fp_ieee_invalid_op 0
		.amdhsa_exception_fp_denorm_src 0
		.amdhsa_exception_fp_ieee_div_zero 0
		.amdhsa_exception_fp_ieee_overflow 0
		.amdhsa_exception_fp_ieee_underflow 0
		.amdhsa_exception_fp_ieee_inexact 0
		.amdhsa_exception_int_div_zero 0
	.end_amdhsa_kernel
	.section	.text._ZL22rocblas_gemvtsm_kernelILb1ELi256EDF16_PKffEviiT2_lPKT1_lilS5_lilS2_lPT3_lil,"axG",@progbits,_ZL22rocblas_gemvtsm_kernelILb1ELi256EDF16_PKffEviiT2_lPKT1_lilS5_lilS2_lPT3_lil,comdat
.Lfunc_end496:
	.size	_ZL22rocblas_gemvtsm_kernelILb1ELi256EDF16_PKffEviiT2_lPKT1_lilS5_lilS2_lPT3_lil, .Lfunc_end496-_ZL22rocblas_gemvtsm_kernelILb1ELi256EDF16_PKffEviiT2_lPKT1_lilS5_lilS2_lPT3_lil
                                        ; -- End function
	.section	.AMDGPU.csdata,"",@progbits
; Kernel info:
; codeLenInByte = 1256
; NumSgprs: 35
; NumVgprs: 22
; NumAgprs: 0
; TotalNumVgprs: 22
; ScratchSize: 0
; MemoryBound: 0
; FloatMode: 240
; IeeeMode: 1
; LDSByteSize: 256 bytes/workgroup (compile time only)
; SGPRBlocks: 4
; VGPRBlocks: 2
; NumSGPRsForWavesPerEU: 35
; NumVGPRsForWavesPerEU: 22
; AccumOffset: 24
; Occupancy: 8
; WaveLimiterHint : 1
; COMPUTE_PGM_RSRC2:SCRATCH_EN: 0
; COMPUTE_PGM_RSRC2:USER_SGPR: 2
; COMPUTE_PGM_RSRC2:TRAP_HANDLER: 0
; COMPUTE_PGM_RSRC2:TGID_X_EN: 1
; COMPUTE_PGM_RSRC2:TGID_Y_EN: 0
; COMPUTE_PGM_RSRC2:TGID_Z_EN: 0
; COMPUTE_PGM_RSRC2:TIDIG_COMP_CNT: 0
; COMPUTE_PGM_RSRC3_GFX90A:ACCUM_OFFSET: 5
; COMPUTE_PGM_RSRC3_GFX90A:TG_SPLIT: 0
	.section	.text._ZL22rocblas_gemvtsm_kernelILb1ELi256EDF16_ffEviiT2_lPKT1_lilS3_lilS0_lPT3_lil,"axG",@progbits,_ZL22rocblas_gemvtsm_kernelILb1ELi256EDF16_ffEviiT2_lPKT1_lilS3_lilS0_lPT3_lil,comdat
	.globl	_ZL22rocblas_gemvtsm_kernelILb1ELi256EDF16_ffEviiT2_lPKT1_lilS3_lilS0_lPT3_lil ; -- Begin function _ZL22rocblas_gemvtsm_kernelILb1ELi256EDF16_ffEviiT2_lPKT1_lilS3_lilS0_lPT3_lil
	.p2align	8
	.type	_ZL22rocblas_gemvtsm_kernelILb1ELi256EDF16_ffEviiT2_lPKT1_lilS3_lilS0_lPT3_lil,@function
_ZL22rocblas_gemvtsm_kernelILb1ELi256EDF16_ffEviiT2_lPKT1_lilS3_lilS0_lPT3_lil: ; @_ZL22rocblas_gemvtsm_kernelILb1ELi256EDF16_ffEviiT2_lPKT1_lilS3_lilS0_lPT3_lil
; %bb.0:
	s_load_dwordx4 s[8:11], s[0:1], 0x0
	s_load_dword s24, s[0:1], 0x58
	s_waitcnt lgkmcnt(0)
	v_cmp_eq_f32_e64 s[4:5], s10, 0
	v_cmp_eq_f32_e64 s[6:7], s24, 1.0
	s_and_b64 s[4:5], s[4:5], s[6:7]
	s_and_b64 vcc, exec, s[4:5]
	s_cbranch_vccnz .LBB497_34
; %bb.1:
	s_load_dwordx2 s[4:5], s[0:1], 0x80
	s_load_dwordx4 s[12:15], s[0:1], 0x68
	s_load_dword s16, s[0:1], 0x78
	s_waitcnt lgkmcnt(0)
	s_mul_i32 s3, s2, s5
	s_mul_hi_u32 s5, s2, s4
	s_mul_i32 s18, s2, s4
	s_add_i32 s19, s5, s3
	v_cmp_neq_f32_e64 s[4:5], s10, 0
	s_and_b64 vcc, exec, s[4:5]
	s_cbranch_vccnz .LBB497_9
; %bb.2:
	s_cmp_gt_i32 s9, 0
	s_cselect_b64 s[6:7], -1, 0
	v_cmp_neq_f32_e64 s[4:5], s24, 0
	v_cndmask_b32_e64 v1, 0, 1, s[6:7]
	s_and_b64 vcc, exec, s[4:5]
	v_cmp_ne_u32_e64 s[4:5], 1, v1
	s_cbranch_vccnz .LBB497_10
; %bb.3:
	s_and_b64 vcc, exec, s[4:5]
	s_cbranch_vccnz .LBB497_8
; %bb.4:
	v_mad_i64_i32 v[2:3], s[20:21], s16, v0, 0
	s_ashr_i32 s17, s16, 31
	s_lshl_b64 s[6:7], s[18:19], 2
	s_lshl_b64 s[20:21], s[14:15], 2
	s_add_u32 s3, s12, s20
	s_addc_u32 s11, s13, s21
	s_add_u32 s6, s3, s6
	s_addc_u32 s7, s11, s7
	v_lshl_add_u64 v[2:3], v[2:3], 2, s[6:7]
	s_lshl_b64 s[6:7], s[16:17], 10
	s_mov_b32 s3, 0
	v_mov_b32_e32 v1, 0
	s_branch .LBB497_6
.LBB497_5:                              ;   in Loop: Header=BB497_6 Depth=1
	s_or_b64 exec, exec, s[20:21]
	s_addk_i32 s3, 0x100
	s_cmp_ge_i32 s3, s9
	v_lshl_add_u64 v[2:3], v[2:3], 0, s[6:7]
	s_cbranch_scc1 .LBB497_8
.LBB497_6:                              ; =>This Inner Loop Header: Depth=1
	v_add_u32_e32 v4, s3, v0
	v_cmp_gt_i32_e32 vcc, s9, v4
	s_and_saveexec_b64 s[20:21], vcc
	s_cbranch_execz .LBB497_5
; %bb.7:                                ;   in Loop: Header=BB497_6 Depth=1
	global_store_dword v[2:3], v1, off
	s_branch .LBB497_5
.LBB497_8:
	s_cbranch_execz .LBB497_11
	s_branch .LBB497_16
.LBB497_9:
	s_branch .LBB497_17
.LBB497_10:
.LBB497_11:
	s_and_b64 vcc, exec, s[4:5]
	s_cbranch_vccnz .LBB497_16
; %bb.12:
	v_mad_i64_i32 v[2:3], s[6:7], s16, v0, 0
	s_ashr_i32 s17, s16, 31
	s_lshl_b64 s[4:5], s[18:19], 2
	s_lshl_b64 s[6:7], s[14:15], 2
	s_add_u32 s3, s12, s6
	s_addc_u32 s6, s13, s7
	s_add_u32 s4, s3, s4
	s_addc_u32 s5, s6, s5
	v_lshl_add_u64 v[2:3], v[2:3], 2, s[4:5]
	s_lshl_b64 s[4:5], s[16:17], 10
	s_mov_b32 s3, 0
	s_branch .LBB497_14
.LBB497_13:                             ;   in Loop: Header=BB497_14 Depth=1
	s_or_b64 exec, exec, s[6:7]
	s_addk_i32 s3, 0x100
	s_cmp_ge_i32 s3, s9
	v_lshl_add_u64 v[2:3], v[2:3], 0, s[4:5]
	s_cbranch_scc1 .LBB497_16
.LBB497_14:                             ; =>This Inner Loop Header: Depth=1
	v_add_u32_e32 v1, s3, v0
	v_cmp_gt_i32_e32 vcc, s9, v1
	s_and_saveexec_b64 s[6:7], vcc
	s_cbranch_execz .LBB497_13
; %bb.15:                               ;   in Loop: Header=BB497_14 Depth=1
	global_load_dword v1, v[2:3], off
	s_waitcnt vmcnt(0)
	v_mul_f32_e32 v1, s24, v1
	global_store_dword v[2:3], v1, off
	s_branch .LBB497_13
.LBB497_16:
	s_cbranch_execnz .LBB497_34
.LBB497_17:
	s_load_dwordx4 s[4:7], s[0:1], 0x30
	s_load_dwordx2 s[22:23], s[0:1], 0x40
	v_cmp_gt_i32_e32 vcc, s8, v0
	s_and_saveexec_b64 s[20:21], vcc
	s_cbranch_execz .LBB497_19
; %bb.18:
	s_load_dwordx2 s[26:27], s[0:1], 0x50
	s_load_dword s3, s[0:1], 0x48
	s_waitcnt lgkmcnt(0)
	s_mul_i32 s11, s2, s27
	s_mul_hi_u32 s17, s2, s26
	s_mul_i32 s26, s2, s26
	s_add_i32 s27, s17, s11
	s_lshl_b64 s[26:27], s[26:27], 1
	s_add_u32 s11, s6, s26
	s_addc_u32 s17, s7, s27
	s_lshl_b64 s[6:7], s[22:23], 1
	s_add_u32 s6, s11, s6
	s_addc_u32 s7, s17, s7
	v_mad_i64_i32 v[2:3], s[22:23], s3, v0, 0
	v_lshl_add_u64 v[2:3], v[2:3], 1, s[6:7]
	global_load_ushort v1, v[2:3], off
	v_lshlrev_b32_e32 v2, 2, v0
	s_waitcnt vmcnt(0)
	v_cvt_f32_f16_e32 v1, v1
	v_mul_f32_e32 v1, s10, v1
	ds_write_b32 v2, v1
.LBB497_19:
	s_or_b64 exec, exec, s[20:21]
	s_cmp_lt_i32 s9, 1
	s_waitcnt lgkmcnt(0)
	s_barrier
	s_cbranch_scc1 .LBB497_34
; %bb.20:
	s_lshl_b64 s[6:7], s[18:19], 2
	s_add_u32 s3, s12, s6
	s_load_dwordx4 s[28:31], s[0:1], 0x18
	s_load_dword s6, s[0:1], 0x28
	s_addc_u32 s7, s13, s7
	s_lshl_b64 s[0:1], s[14:15], 2
	s_add_u32 s10, s3, s0
	s_addc_u32 s11, s7, s1
	s_waitcnt lgkmcnt(0)
	s_ashr_i32 s7, s6, 31
	s_ashr_i32 s17, s16, 31
	s_cmp_gt_i32 s8, 0
	s_cselect_b64 s[18:19], -1, 0
	s_and_b32 s20, s8, 7
	s_cmp_gt_u32 s8, 7
	s_cselect_b64 s[22:23], -1, 0
	s_and_b32 s8, s8, 0x7ffffff8
	s_cmp_lg_u32 s20, 0
	s_mul_i32 s0, s5, s2
	s_mul_hi_u32 s1, s4, s2
	s_cselect_b64 s[26:27], -1, 0
	s_add_i32 s1, s1, s0
	s_mul_i32 s0, s4, s2
	v_mad_i64_i32 v[2:3], s[2:3], s6, v0, 0
	s_lshl_b64 s[0:1], s[0:1], 1
	s_lshl_b64 s[2:3], s[30:31], 1
	s_add_u32 s2, s28, s2
	s_addc_u32 s3, s29, s3
	s_add_u32 s0, s2, s0
	s_addc_u32 s1, s3, s1
	v_lshl_add_u64 v[2:3], v[2:3], 1, s[0:1]
	v_cmp_neq_f32_e64 s[0:1], s24, 0
	s_mov_b32 s13, 0
	v_lshl_add_u64 v[4:5], v[2:3], 0, 14
	v_cndmask_b32_e64 v1, 0, 1, s[0:1]
	v_cmp_ne_u32_e64 s[0:1], 1, v1
	v_cndmask_b32_e64 v1, 0, 1, s[18:19]
	v_cmp_ne_u32_e64 s[2:3], 1, v1
	;; [unrolled: 2-line block ×3, first 2 shown]
	v_cndmask_b32_e64 v1, 0, 1, s[26:27]
	s_lshl_b64 s[14:15], s[6:7], 9
	v_cmp_ne_u32_e64 s[6:7], 1, v1
	s_mov_b32 s21, 0
	s_branch .LBB497_23
.LBB497_21:                             ;   in Loop: Header=BB497_23 Depth=1
	global_store_dword v[6:7], v1, off
.LBB497_22:                             ;   in Loop: Header=BB497_23 Depth=1
	s_or_b64 exec, exec, s[18:19]
	s_addk_i32 s21, 0x100
	v_lshl_add_u64 v[4:5], v[4:5], 0, s[14:15]
	s_cmp_ge_i32 s21, s9
	v_lshl_add_u64 v[2:3], v[2:3], 0, s[14:15]
	s_cbranch_scc1 .LBB497_34
.LBB497_23:                             ; =>This Loop Header: Depth=1
                                        ;     Child Loop BB497_29 Depth 2
                                        ;     Child Loop BB497_33 Depth 2
	v_add_u32_e32 v1, s21, v0
	v_cmp_gt_i32_e32 vcc, s9, v1
	s_and_saveexec_b64 s[18:19], vcc
	s_cbranch_execz .LBB497_22
; %bb.24:                               ;   in Loop: Header=BB497_23 Depth=1
	v_mad_u64_u32 v[6:7], s[22:23], v1, s16, 0
	v_mov_b32_e32 v8, v7
	v_mad_u64_u32 v[8:9], s[22:23], v1, s17, v[8:9]
	v_mov_b32_e32 v7, v8
	s_and_b64 vcc, exec, s[0:1]
	v_lshl_add_u64 v[6:7], v[6:7], 2, s[10:11]
	s_cbranch_vccnz .LBB497_26
; %bb.25:                               ;   in Loop: Header=BB497_23 Depth=1
	global_load_dword v1, v[6:7], off
	s_waitcnt vmcnt(0)
	v_mul_f32_e32 v1, s24, v1
	s_and_b64 vcc, exec, s[2:3]
	s_cbranch_vccz .LBB497_27
	s_branch .LBB497_21
.LBB497_26:                             ;   in Loop: Header=BB497_23 Depth=1
	v_mov_b32_e32 v1, 0
	s_and_b64 vcc, exec, s[2:3]
	s_cbranch_vccnz .LBB497_21
.LBB497_27:                             ;   in Loop: Header=BB497_23 Depth=1
	s_mov_b32 s12, 0
	s_and_b64 vcc, exec, s[4:5]
	s_cbranch_vccnz .LBB497_31
; %bb.28:                               ;   in Loop: Header=BB497_23 Depth=1
	s_mov_b32 s22, 0
	v_mov_b64_e32 v[8:9], v[4:5]
.LBB497_29:                             ;   Parent Loop BB497_23 Depth=1
                                        ; =>  This Inner Loop Header: Depth=2
	global_load_dwordx4 v[10:13], v[8:9], off offset:-14
	v_mov_b32_e32 v18, s12
	ds_read_b128 v[14:17], v18
	ds_read_b128 v[18:21], v18 offset:16
	s_add_i32 s22, s22, 8
	s_add_i32 s12, s12, 32
	v_lshl_add_u64 v[8:9], v[8:9], 0, 16
	s_cmp_eq_u32 s8, s22
	s_waitcnt vmcnt(0) lgkmcnt(1)
	v_fma_mix_f32 v1, v14, v10, v1 op_sel_hi:[0,1,0]
	v_fma_mix_f32 v1, v15, v10, v1 op_sel:[0,1,0] op_sel_hi:[0,1,0]
	v_fma_mix_f32 v1, v16, v11, v1 op_sel_hi:[0,1,0]
	v_fma_mix_f32 v1, v17, v11, v1 op_sel:[0,1,0] op_sel_hi:[0,1,0]
	s_waitcnt lgkmcnt(0)
	v_fma_mix_f32 v1, v18, v12, v1 op_sel_hi:[0,1,0]
	v_fma_mix_f32 v1, v19, v12, v1 op_sel:[0,1,0] op_sel_hi:[0,1,0]
	v_fma_mix_f32 v1, v20, v13, v1 op_sel_hi:[0,1,0]
	v_fma_mix_f32 v1, v21, v13, v1 op_sel:[0,1,0] op_sel_hi:[0,1,0]
	s_cbranch_scc0 .LBB497_29
; %bb.30:                               ;   in Loop: Header=BB497_23 Depth=1
	s_mov_b32 s12, s8
.LBB497_31:                             ;   in Loop: Header=BB497_23 Depth=1
	s_and_b64 vcc, exec, s[6:7]
	s_cbranch_vccnz .LBB497_21
; %bb.32:                               ;   in Loop: Header=BB497_23 Depth=1
	s_lshl_b32 s22, s12, 2
	s_lshl_b32 s12, s12, 1
	v_lshl_add_u64 v[8:9], v[2:3], 0, s[12:13]
	s_mov_b32 s12, s20
.LBB497_33:                             ;   Parent Loop BB497_23 Depth=1
                                        ; =>  This Inner Loop Header: Depth=2
	global_load_ushort v10, v[8:9], off
	v_mov_b32_e32 v11, s22
	ds_read_b32 v11, v11
	s_add_i32 s22, s22, 4
	s_add_i32 s12, s12, -1
	v_lshl_add_u64 v[8:9], v[8:9], 0, 2
	s_cmp_lg_u32 s12, 0
	s_waitcnt vmcnt(0) lgkmcnt(0)
	v_fma_mix_f32 v1, v11, v10, v1 op_sel_hi:[0,1,0]
	s_cbranch_scc1 .LBB497_33
	s_branch .LBB497_21
.LBB497_34:
	s_endpgm
	.section	.rodata,"a",@progbits
	.p2align	6, 0x0
	.amdhsa_kernel _ZL22rocblas_gemvtsm_kernelILb1ELi256EDF16_ffEviiT2_lPKT1_lilS3_lilS0_lPT3_lil
		.amdhsa_group_segment_fixed_size 256
		.amdhsa_private_segment_fixed_size 0
		.amdhsa_kernarg_size 136
		.amdhsa_user_sgpr_count 2
		.amdhsa_user_sgpr_dispatch_ptr 0
		.amdhsa_user_sgpr_queue_ptr 0
		.amdhsa_user_sgpr_kernarg_segment_ptr 1
		.amdhsa_user_sgpr_dispatch_id 0
		.amdhsa_user_sgpr_kernarg_preload_length 0
		.amdhsa_user_sgpr_kernarg_preload_offset 0
		.amdhsa_user_sgpr_private_segment_size 0
		.amdhsa_uses_dynamic_stack 0
		.amdhsa_enable_private_segment 0
		.amdhsa_system_sgpr_workgroup_id_x 1
		.amdhsa_system_sgpr_workgroup_id_y 0
		.amdhsa_system_sgpr_workgroup_id_z 0
		.amdhsa_system_sgpr_workgroup_info 0
		.amdhsa_system_vgpr_workitem_id 0
		.amdhsa_next_free_vgpr 22
		.amdhsa_next_free_sgpr 32
		.amdhsa_accum_offset 24
		.amdhsa_reserve_vcc 1
		.amdhsa_float_round_mode_32 0
		.amdhsa_float_round_mode_16_64 0
		.amdhsa_float_denorm_mode_32 3
		.amdhsa_float_denorm_mode_16_64 3
		.amdhsa_dx10_clamp 1
		.amdhsa_ieee_mode 1
		.amdhsa_fp16_overflow 0
		.amdhsa_tg_split 0
		.amdhsa_exception_fp_ieee_invalid_op 0
		.amdhsa_exception_fp_denorm_src 0
		.amdhsa_exception_fp_ieee_div_zero 0
		.amdhsa_exception_fp_ieee_overflow 0
		.amdhsa_exception_fp_ieee_underflow 0
		.amdhsa_exception_fp_ieee_inexact 0
		.amdhsa_exception_int_div_zero 0
	.end_amdhsa_kernel
	.section	.text._ZL22rocblas_gemvtsm_kernelILb1ELi256EDF16_ffEviiT2_lPKT1_lilS3_lilS0_lPT3_lil,"axG",@progbits,_ZL22rocblas_gemvtsm_kernelILb1ELi256EDF16_ffEviiT2_lPKT1_lilS3_lilS0_lPT3_lil,comdat
.Lfunc_end497:
	.size	_ZL22rocblas_gemvtsm_kernelILb1ELi256EDF16_ffEviiT2_lPKT1_lilS3_lilS0_lPT3_lil, .Lfunc_end497-_ZL22rocblas_gemvtsm_kernelILb1ELi256EDF16_ffEviiT2_lPKT1_lilS3_lilS0_lPT3_lil
                                        ; -- End function
	.section	.AMDGPU.csdata,"",@progbits
; Kernel info:
; codeLenInByte = 1188
; NumSgprs: 38
; NumVgprs: 22
; NumAgprs: 0
; TotalNumVgprs: 22
; ScratchSize: 0
; MemoryBound: 0
; FloatMode: 240
; IeeeMode: 1
; LDSByteSize: 256 bytes/workgroup (compile time only)
; SGPRBlocks: 4
; VGPRBlocks: 2
; NumSGPRsForWavesPerEU: 38
; NumVGPRsForWavesPerEU: 22
; AccumOffset: 24
; Occupancy: 8
; WaveLimiterHint : 1
; COMPUTE_PGM_RSRC2:SCRATCH_EN: 0
; COMPUTE_PGM_RSRC2:USER_SGPR: 2
; COMPUTE_PGM_RSRC2:TRAP_HANDLER: 0
; COMPUTE_PGM_RSRC2:TGID_X_EN: 1
; COMPUTE_PGM_RSRC2:TGID_Y_EN: 0
; COMPUTE_PGM_RSRC2:TGID_Z_EN: 0
; COMPUTE_PGM_RSRC2:TIDIG_COMP_CNT: 0
; COMPUTE_PGM_RSRC3_GFX90A:ACCUM_OFFSET: 5
; COMPUTE_PGM_RSRC3_GFX90A:TG_SPLIT: 0
	.section	.text._ZL20rocblas_gemvt_kernelILb1ELi256EDF16_PKffEviiT2_lPKT1_lilS5_lilS2_lPT3_lili,"axG",@progbits,_ZL20rocblas_gemvt_kernelILb1ELi256EDF16_PKffEviiT2_lPKT1_lilS5_lilS2_lPT3_lili,comdat
	.globl	_ZL20rocblas_gemvt_kernelILb1ELi256EDF16_PKffEviiT2_lPKT1_lilS5_lilS2_lPT3_lili ; -- Begin function _ZL20rocblas_gemvt_kernelILb1ELi256EDF16_PKffEviiT2_lPKT1_lilS5_lilS2_lPT3_lili
	.p2align	8
	.type	_ZL20rocblas_gemvt_kernelILb1ELi256EDF16_PKffEviiT2_lPKT1_lilS5_lilS2_lPT3_lili,@function
_ZL20rocblas_gemvt_kernelILb1ELi256EDF16_PKffEviiT2_lPKT1_lilS5_lilS2_lPT3_lili: ; @_ZL20rocblas_gemvt_kernelILb1ELi256EDF16_PKffEviiT2_lPKT1_lilS5_lilS2_lPT3_lili
; %bb.0:
	s_load_dwordx8 s[4:11], s[0:1], 0x8
	s_load_dwordx8 s[12:19], s[0:1], 0x50
	s_waitcnt lgkmcnt(0)
	s_mul_i32 s7, s3, s7
	s_mul_hi_u32 s20, s3, s6
	s_add_i32 s7, s20, s7
	s_mul_i32 s6, s3, s6
	s_lshl_b64 s[6:7], s[6:7], 2
	s_add_u32 s4, s4, s6
	s_addc_u32 s5, s5, s7
	s_load_dword s22, s[4:5], 0x0
	s_mul_i32 s4, s3, s17
	s_mul_hi_u32 s5, s3, s16
	s_add_i32 s5, s5, s4
	s_mul_i32 s4, s3, s16
	s_lshl_b64 s[4:5], s[4:5], 2
	s_add_u32 s4, s14, s4
	s_addc_u32 s5, s15, s5
	s_load_dword s23, s[4:5], 0x0
	s_waitcnt lgkmcnt(0)
	v_cmp_eq_f32_e64 s[4:5], s22, 0
	v_cmp_eq_f32_e64 s[6:7], s23, 1.0
	s_and_b64 s[4:5], s[4:5], s[6:7]
	s_and_b64 vcc, exec, s[4:5]
	s_cbranch_vccnz .LBB498_36
; %bb.1:
	s_load_dwordx2 s[4:5], s[0:1], 0x80
	s_load_dwordx2 s[6:7], s[0:1], 0x70
	s_load_dword s24, s[0:1], 0x78
	s_waitcnt lgkmcnt(0)
	s_mul_i32 s5, s3, s5
	s_mul_hi_u32 s14, s3, s4
	s_mul_i32 s4, s3, s4
	s_add_i32 s5, s14, s5
	s_lshl_b64 s[4:5], s[4:5], 2
	s_add_u32 s14, s18, s4
	s_addc_u32 s15, s19, s5
	s_lshl_b64 s[4:5], s[6:7], 2
	s_add_u32 s20, s14, s4
	s_addc_u32 s21, s15, s5
	v_cmp_neq_f32_e64 s[4:5], s22, 0
	s_and_b64 vcc, exec, s[4:5]
	v_cmp_eq_u32_e64 s[4:5], 0, v0
	s_cbranch_vccnz .LBB498_6
; %bb.2:
	s_mov_b64 s[16:17], 0
	s_mov_b64 s[14:15], 0
                                        ; implicit-def: $vgpr1
                                        ; implicit-def: $sgpr6_sgpr7
	s_and_saveexec_b64 s[18:19], s[4:5]
	s_cbranch_execz .LBB498_7
; %bb.3:
	v_cmp_eq_f32_e64 s[4:5], s23, 0
	v_mov_b32_e32 v1, 0
	s_mul_hi_i32 s7, s24, s2
	s_mul_i32 s6, s24, s2
	s_and_b64 vcc, exec, s[4:5]
	s_cbranch_vccnz .LBB498_5
; %bb.4:
	s_lshl_b64 s[4:5], s[6:7], 2
	s_add_u32 s4, s20, s4
	s_addc_u32 s5, s21, s5
	s_load_dword s4, s[4:5], 0x0
	s_waitcnt lgkmcnt(0)
	v_mov_b32_e32 v1, s4
	v_mul_f32_e32 v1, s23, v1
.LBB498_5:
	s_mov_b64 s[14:15], exec
	s_or_b64 exec, exec, s[18:19]
	s_and_b64 vcc, exec, s[16:17]
	s_cbranch_vccnz .LBB498_8
	s_branch .LBB498_34
.LBB498_6:
	s_mov_b64 s[14:15], 0
                                        ; implicit-def: $vgpr1
                                        ; implicit-def: $sgpr6_sgpr7
	s_cbranch_execnz .LBB498_8
	s_branch .LBB498_34
.LBB498_7:
	s_or_b64 exec, exec, s[18:19]
	s_and_b64 vcc, exec, s[16:17]
	s_cbranch_vccz .LBB498_34
.LBB498_8:
	s_load_dword s18, s[0:1], 0x0
	s_load_dword s19, s[0:1], 0x28
	s_load_dwordx4 s[4:7], s[0:1], 0x30
	s_load_dwordx2 s[16:17], s[0:1], 0x40
	s_mul_i32 s13, s3, s13
	s_load_dword s0, s[0:1], 0x48
	s_mul_hi_u32 s25, s3, s12
	s_waitcnt lgkmcnt(0)
	s_mul_i32 s1, s3, s5
	s_mul_hi_u32 s5, s3, s4
	s_add_i32 s5, s5, s1
	s_mul_i32 s4, s3, s4
	s_add_i32 s13, s25, s13
	s_lshl_b64 s[4:5], s[4:5], 1
	s_add_u32 s1, s8, s4
	s_mul_i32 s12, s3, s12
	s_addc_u32 s3, s9, s5
	s_lshl_b64 s[4:5], s[10:11], 1
	s_add_u32 s1, s1, s4
	s_addc_u32 s9, s3, s5
	s_mul_hi_i32 s5, s19, s2
	s_mul_i32 s4, s19, s2
	s_lshl_b64 s[4:5], s[4:5], 1
	s_add_u32 s8, s4, s1
	s_addc_u32 s9, s5, s9
	s_ashr_i32 s1, s18, 31
	v_cmp_gt_i32_e32 vcc, s18, v0
	s_lshr_b32 s1, s1, 24
	s_add_i32 s1, s18, s1
	v_cndmask_b32_e32 v1, 0, v0, vcc
	v_lshlrev_b32_e32 v2, 1, v1
	v_mov_b32_e32 v3, 0
	s_and_b32 s4, s1, 0xffffff00
	s_mov_b32 s3, 0
	s_cmpk_lt_i32 s18, 0x100
	v_lshl_add_u64 v[4:5], s[8:9], 0, v[2:3]
	s_cbranch_scc1 .LBB498_11
; %bb.9:
	v_mad_i64_i32 v[2:3], s[10:11], s0, v0, 0
	s_ashr_i32 s1, s0, 31
	s_lshl_b64 s[8:9], s[12:13], 1
	s_lshl_b64 s[10:11], s[16:17], 1
	s_add_u32 s5, s6, s10
	s_addc_u32 s10, s7, s11
	s_add_u32 s8, s5, s8
	s_addc_u32 s9, s10, s9
	v_lshl_add_u64 v[6:7], v[2:3], 1, s[8:9]
	s_lshl_b64 s[8:9], s[0:1], 9
	v_mov_b32_e32 v3, 0
	s_mov_b64 s[10:11], 0x200
	v_mov_b64_e32 v[8:9], v[4:5]
.LBB498_10:                             ; =>This Inner Loop Header: Depth=1
	global_load_ushort v1, v[8:9], off
	global_load_ushort v2, v[6:7], off
	s_addk_i32 s3, 0x100
	v_lshl_add_u64 v[6:7], v[6:7], 0, s[8:9]
	v_lshl_add_u64 v[8:9], v[8:9], 0, s[10:11]
	s_cmp_ge_i32 s3, s4
	s_waitcnt vmcnt(0)
	v_mul_f16_e32 v1, v1, v2
	v_cvt_f32_f16_e32 v1, v1
	v_add_f32_e32 v3, v3, v1
	s_cbranch_scc0 .LBB498_10
.LBB498_11:
	v_add_u32_e32 v1, s4, v0
	v_cmp_gt_i32_e32 vcc, s18, v1
	s_and_saveexec_b64 s[8:9], vcc
	s_cbranch_execz .LBB498_13
; %bb.12:
	s_lshl_b64 s[10:11], s[12:13], 1
	s_add_u32 s1, s6, s10
	s_addc_u32 s3, s7, s11
	s_lshl_b64 s[6:7], s[16:17], 1
	s_add_u32 s6, s1, s6
	s_addc_u32 s7, s3, s7
	s_ashr_i32 s5, s4, 31
	v_lshl_add_u64 v[4:5], s[4:5], 1, v[4:5]
	global_load_ushort v2, v[4:5], off
	v_mad_i64_i32 v[4:5], s[0:1], s0, v1, 0
	v_lshl_add_u64 v[4:5], v[4:5], 1, s[6:7]
	global_load_ushort v1, v[4:5], off
	s_waitcnt vmcnt(0)
	v_mul_f16_e32 v1, v2, v1
	v_cvt_f32_f16_e32 v1, v1
	v_add_f32_e32 v3, v3, v1
.LBB498_13:
	s_or_b64 exec, exec, s[8:9]
	s_movk_i32 s0, 0x80
	v_lshlrev_b32_e32 v1, 2, v0
	v_cmp_gt_u32_e32 vcc, s0, v0
	ds_write_b32 v1, v3
	s_waitcnt lgkmcnt(0)
	s_barrier
	s_and_saveexec_b64 s[0:1], vcc
	s_cbranch_execz .LBB498_15
; %bb.14:
	ds_read2st64_b32 v[2:3], v1 offset1:2
	s_waitcnt lgkmcnt(0)
	v_add_f32_e32 v2, v3, v2
	ds_write_b32 v1, v2
.LBB498_15:
	s_or_b64 exec, exec, s[0:1]
	v_cmp_gt_u32_e32 vcc, 64, v0
	s_waitcnt lgkmcnt(0)
	s_barrier
	s_and_saveexec_b64 s[0:1], vcc
	s_cbranch_execz .LBB498_17
; %bb.16:
	ds_read2st64_b32 v[2:3], v1 offset1:1
	s_waitcnt lgkmcnt(0)
	v_add_f32_e32 v2, v3, v2
	ds_write_b32 v1, v2
.LBB498_17:
	s_or_b64 exec, exec, s[0:1]
	v_cmp_gt_u32_e32 vcc, 32, v0
	s_waitcnt lgkmcnt(0)
	s_barrier
	s_and_saveexec_b64 s[0:1], vcc
	s_cbranch_execz .LBB498_19
; %bb.18:
	ds_read2_b32 v[2:3], v1 offset1:32
	s_waitcnt lgkmcnt(0)
	v_add_f32_e32 v2, v3, v2
	ds_write_b32 v1, v2
.LBB498_19:
	s_or_b64 exec, exec, s[0:1]
	v_cmp_gt_u32_e32 vcc, 16, v0
	s_waitcnt lgkmcnt(0)
	s_barrier
	s_and_saveexec_b64 s[0:1], vcc
	s_cbranch_execz .LBB498_21
; %bb.20:
	ds_read2_b32 v[2:3], v1 offset1:16
	s_waitcnt lgkmcnt(0)
	v_add_f32_e32 v2, v3, v2
	ds_write_b32 v1, v2
.LBB498_21:
	;; [unrolled: 12-line block ×5, first 2 shown]
	s_or_b64 exec, exec, s[0:1]
	v_cmp_eq_u32_e32 vcc, 0, v0
	s_waitcnt lgkmcnt(0)
	s_barrier
	s_and_saveexec_b64 s[0:1], vcc
	s_cbranch_execz .LBB498_29
; %bb.28:
	v_mov_b32_e32 v2, 0
	ds_read_b64 v[0:1], v2
	s_waitcnt lgkmcnt(0)
	v_add_f32_e32 v0, v1, v0
	ds_write_b32 v2, v0
.LBB498_29:
	s_or_b64 exec, exec, s[0:1]
	s_waitcnt lgkmcnt(0)
	s_barrier
	s_waitcnt lgkmcnt(0)
                                        ; implicit-def: $vgpr1
                                        ; implicit-def: $sgpr6_sgpr7
	s_and_saveexec_b64 s[0:1], vcc
	s_cbranch_execz .LBB498_33
; %bb.30:
	v_mov_b32_e32 v0, 0
	ds_read_b32 v0, v0
	v_cmp_eq_f32_e64 s[4:5], s23, 0
	s_mul_hi_i32 s7, s24, s2
	s_mul_i32 s6, s24, s2
	s_and_b64 vcc, exec, s[4:5]
	s_waitcnt lgkmcnt(0)
	v_mul_f32_e32 v1, s22, v0
	s_cbranch_vccnz .LBB498_32
; %bb.31:
	s_lshl_b64 s[2:3], s[6:7], 2
	s_add_u32 s2, s20, s2
	s_addc_u32 s3, s21, s3
	s_load_dword s2, s[2:3], 0x0
	s_waitcnt lgkmcnt(0)
	v_mov_b32_e32 v0, s2
	v_fmac_f32_e32 v1, s23, v0
.LBB498_32:
	s_or_b64 s[14:15], s[14:15], exec
.LBB498_33:
	s_or_b64 exec, exec, s[0:1]
.LBB498_34:
	s_and_saveexec_b64 s[0:1], s[14:15]
	s_cbranch_execz .LBB498_36
; %bb.35:
	s_lshl_b64 s[0:1], s[6:7], 2
	s_add_u32 s0, s20, s0
	s_addc_u32 s1, s21, s1
	v_mov_b32_e32 v0, 0
	global_store_dword v0, v1, s[0:1]
.LBB498_36:
	s_endpgm
	.section	.rodata,"a",@progbits
	.p2align	6, 0x0
	.amdhsa_kernel _ZL20rocblas_gemvt_kernelILb1ELi256EDF16_PKffEviiT2_lPKT1_lilS5_lilS2_lPT3_lili
		.amdhsa_group_segment_fixed_size 1024
		.amdhsa_private_segment_fixed_size 0
		.amdhsa_kernarg_size 140
		.amdhsa_user_sgpr_count 2
		.amdhsa_user_sgpr_dispatch_ptr 0
		.amdhsa_user_sgpr_queue_ptr 0
		.amdhsa_user_sgpr_kernarg_segment_ptr 1
		.amdhsa_user_sgpr_dispatch_id 0
		.amdhsa_user_sgpr_kernarg_preload_length 0
		.amdhsa_user_sgpr_kernarg_preload_offset 0
		.amdhsa_user_sgpr_private_segment_size 0
		.amdhsa_uses_dynamic_stack 0
		.amdhsa_enable_private_segment 0
		.amdhsa_system_sgpr_workgroup_id_x 1
		.amdhsa_system_sgpr_workgroup_id_y 0
		.amdhsa_system_sgpr_workgroup_id_z 1
		.amdhsa_system_sgpr_workgroup_info 0
		.amdhsa_system_vgpr_workitem_id 0
		.amdhsa_next_free_vgpr 10
		.amdhsa_next_free_sgpr 26
		.amdhsa_accum_offset 12
		.amdhsa_reserve_vcc 1
		.amdhsa_float_round_mode_32 0
		.amdhsa_float_round_mode_16_64 0
		.amdhsa_float_denorm_mode_32 3
		.amdhsa_float_denorm_mode_16_64 3
		.amdhsa_dx10_clamp 1
		.amdhsa_ieee_mode 1
		.amdhsa_fp16_overflow 0
		.amdhsa_tg_split 0
		.amdhsa_exception_fp_ieee_invalid_op 0
		.amdhsa_exception_fp_denorm_src 0
		.amdhsa_exception_fp_ieee_div_zero 0
		.amdhsa_exception_fp_ieee_overflow 0
		.amdhsa_exception_fp_ieee_underflow 0
		.amdhsa_exception_fp_ieee_inexact 0
		.amdhsa_exception_int_div_zero 0
	.end_amdhsa_kernel
	.section	.text._ZL20rocblas_gemvt_kernelILb1ELi256EDF16_PKffEviiT2_lPKT1_lilS5_lilS2_lPT3_lili,"axG",@progbits,_ZL20rocblas_gemvt_kernelILb1ELi256EDF16_PKffEviiT2_lPKT1_lilS5_lilS2_lPT3_lili,comdat
.Lfunc_end498:
	.size	_ZL20rocblas_gemvt_kernelILb1ELi256EDF16_PKffEviiT2_lPKT1_lilS5_lilS2_lPT3_lili, .Lfunc_end498-_ZL20rocblas_gemvt_kernelILb1ELi256EDF16_PKffEviiT2_lPKT1_lilS5_lilS2_lPT3_lili
                                        ; -- End function
	.section	.AMDGPU.csdata,"",@progbits
; Kernel info:
; codeLenInByte = 1284
; NumSgprs: 32
; NumVgprs: 10
; NumAgprs: 0
; TotalNumVgprs: 10
; ScratchSize: 0
; MemoryBound: 0
; FloatMode: 240
; IeeeMode: 1
; LDSByteSize: 1024 bytes/workgroup (compile time only)
; SGPRBlocks: 3
; VGPRBlocks: 1
; NumSGPRsForWavesPerEU: 32
; NumVGPRsForWavesPerEU: 10
; AccumOffset: 12
; Occupancy: 8
; WaveLimiterHint : 1
; COMPUTE_PGM_RSRC2:SCRATCH_EN: 0
; COMPUTE_PGM_RSRC2:USER_SGPR: 2
; COMPUTE_PGM_RSRC2:TRAP_HANDLER: 0
; COMPUTE_PGM_RSRC2:TGID_X_EN: 1
; COMPUTE_PGM_RSRC2:TGID_Y_EN: 0
; COMPUTE_PGM_RSRC2:TGID_Z_EN: 1
; COMPUTE_PGM_RSRC2:TIDIG_COMP_CNT: 0
; COMPUTE_PGM_RSRC3_GFX90A:ACCUM_OFFSET: 2
; COMPUTE_PGM_RSRC3_GFX90A:TG_SPLIT: 0
	.section	.text._ZL20rocblas_gemvt_kernelILb1ELi256EDF16_ffEviiT2_lPKT1_lilS3_lilS0_lPT3_lili,"axG",@progbits,_ZL20rocblas_gemvt_kernelILb1ELi256EDF16_ffEviiT2_lPKT1_lilS3_lilS0_lPT3_lili,comdat
	.globl	_ZL20rocblas_gemvt_kernelILb1ELi256EDF16_ffEviiT2_lPKT1_lilS3_lilS0_lPT3_lili ; -- Begin function _ZL20rocblas_gemvt_kernelILb1ELi256EDF16_ffEviiT2_lPKT1_lilS3_lilS0_lPT3_lili
	.p2align	8
	.type	_ZL20rocblas_gemvt_kernelILb1ELi256EDF16_ffEviiT2_lPKT1_lilS3_lilS0_lPT3_lili,@function
_ZL20rocblas_gemvt_kernelILb1ELi256EDF16_ffEviiT2_lPKT1_lilS3_lilS0_lPT3_lili: ; @_ZL20rocblas_gemvt_kernelILb1ELi256EDF16_ffEviiT2_lPKT1_lilS3_lilS0_lPT3_lili
; %bb.0:
	s_load_dword s21, s[0:1], 0x8
	s_load_dword s20, s[0:1], 0x58
	s_waitcnt lgkmcnt(0)
	v_cmp_eq_f32_e64 s[4:5], s21, 0
	v_cmp_eq_f32_e64 s[6:7], s20, 1.0
	s_and_b64 s[4:5], s[4:5], s[6:7]
	s_and_b64 vcc, exec, s[4:5]
	s_cbranch_vccnz .LBB499_36
; %bb.1:
	s_load_dwordx2 s[8:9], s[0:1], 0x80
	s_load_dwordx4 s[4:7], s[0:1], 0x68
	s_load_dword s22, s[0:1], 0x78
	s_waitcnt lgkmcnt(0)
	s_mul_i32 s9, s3, s9
	s_mul_hi_u32 s10, s3, s8
	s_mul_i32 s8, s3, s8
	s_add_i32 s9, s10, s9
	s_lshl_b64 s[8:9], s[8:9], 2
	s_add_u32 s8, s4, s8
	s_addc_u32 s9, s5, s9
	s_lshl_b64 s[4:5], s[6:7], 2
	s_add_u32 s18, s8, s4
	s_addc_u32 s19, s9, s5
	v_cmp_neq_f32_e64 s[4:5], s21, 0
	s_and_b64 vcc, exec, s[4:5]
	v_cmp_eq_u32_e64 s[4:5], 0, v0
	s_cbranch_vccnz .LBB499_6
; %bb.2:
	s_mov_b64 s[10:11], 0
	s_mov_b64 s[8:9], 0
                                        ; implicit-def: $vgpr1
                                        ; implicit-def: $sgpr6_sgpr7
	s_and_saveexec_b64 s[12:13], s[4:5]
	s_cbranch_execz .LBB499_7
; %bb.3:
	v_cmp_eq_f32_e64 s[4:5], s20, 0
	v_mov_b32_e32 v1, 0
	s_mul_hi_i32 s7, s22, s2
	s_mul_i32 s6, s22, s2
	s_and_b64 vcc, exec, s[4:5]
	s_cbranch_vccnz .LBB499_5
; %bb.4:
	s_lshl_b64 s[4:5], s[6:7], 2
	s_add_u32 s4, s18, s4
	s_addc_u32 s5, s19, s5
	s_load_dword s4, s[4:5], 0x0
	v_mov_b32_e32 v1, s20
	s_waitcnt lgkmcnt(0)
	v_mul_f32_e32 v1, s4, v1
.LBB499_5:
	s_mov_b64 s[8:9], exec
	s_or_b64 exec, exec, s[12:13]
	s_and_b64 vcc, exec, s[10:11]
	s_cbranch_vccnz .LBB499_8
	s_branch .LBB499_34
.LBB499_6:
	s_mov_b64 s[8:9], 0
                                        ; implicit-def: $vgpr1
                                        ; implicit-def: $sgpr6_sgpr7
	s_cbranch_execnz .LBB499_8
	s_branch .LBB499_34
.LBB499_7:
	s_or_b64 exec, exec, s[12:13]
	s_and_b64 vcc, exec, s[10:11]
	s_cbranch_vccz .LBB499_34
.LBB499_8:
	s_load_dwordx2 s[14:15], s[0:1], 0x50
	s_load_dword s23, s[0:1], 0x0
	s_load_dwordx4 s[24:27], s[0:1], 0x18
	s_load_dword s13, s[0:1], 0x28
	s_load_dwordx4 s[4:7], s[0:1], 0x30
	s_load_dwordx2 s[10:11], s[0:1], 0x40
	s_load_dword s12, s[0:1], 0x48
	s_waitcnt lgkmcnt(0)
	s_mul_i32 s0, s3, s15
	s_mul_hi_u32 s1, s3, s14
	s_add_i32 s1, s1, s0
	s_mul_i32 s0, s3, s14
	s_mul_i32 s5, s3, s5
	s_mul_hi_u32 s14, s3, s4
	s_add_i32 s5, s14, s5
	s_mul_i32 s4, s3, s4
	s_lshl_b64 s[4:5], s[4:5], 1
	s_add_u32 s3, s24, s4
	s_addc_u32 s14, s25, s5
	s_lshl_b64 s[4:5], s[26:27], 1
	s_add_u32 s15, s3, s4
	s_addc_u32 s16, s14, s5
	s_mul_hi_i32 s5, s13, s2
	s_mul_i32 s4, s13, s2
	s_lshl_b64 s[4:5], s[4:5], 1
	s_add_u32 s14, s4, s15
	s_addc_u32 s15, s5, s16
	s_ashr_i32 s4, s23, 31
	v_cmp_gt_i32_e32 vcc, s23, v0
	s_lshr_b32 s4, s4, 24
	s_add_i32 s4, s23, s4
	v_cndmask_b32_e32 v1, 0, v0, vcc
	v_lshlrev_b32_e32 v2, 1, v1
	v_mov_b32_e32 v3, 0
	s_and_b32 s4, s4, 0xffffff00
	s_mov_b32 s3, 0
	s_cmpk_lt_i32 s23, 0x100
	v_lshl_add_u64 v[4:5], s[14:15], 0, v[2:3]
	s_cbranch_scc1 .LBB499_11
; %bb.9:
	v_mad_i64_i32 v[2:3], s[16:17], s12, v0, 0
	s_ashr_i32 s13, s12, 31
	s_lshl_b64 s[14:15], s[0:1], 1
	s_lshl_b64 s[16:17], s[10:11], 1
	s_add_u32 s5, s6, s16
	s_addc_u32 s16, s7, s17
	s_add_u32 s14, s5, s14
	s_addc_u32 s15, s16, s15
	v_lshl_add_u64 v[6:7], v[2:3], 1, s[14:15]
	s_lshl_b64 s[14:15], s[12:13], 9
	v_mov_b32_e32 v3, 0
	s_mov_b64 s[16:17], 0x200
	v_mov_b64_e32 v[8:9], v[4:5]
.LBB499_10:                             ; =>This Inner Loop Header: Depth=1
	global_load_ushort v1, v[8:9], off
	global_load_ushort v2, v[6:7], off
	s_addk_i32 s3, 0x100
	v_lshl_add_u64 v[6:7], v[6:7], 0, s[14:15]
	v_lshl_add_u64 v[8:9], v[8:9], 0, s[16:17]
	s_cmp_ge_i32 s3, s4
	s_waitcnt vmcnt(0)
	v_mul_f16_e32 v1, v1, v2
	v_cvt_f32_f16_e32 v1, v1
	v_add_f32_e32 v3, v3, v1
	s_cbranch_scc0 .LBB499_10
.LBB499_11:
	v_add_u32_e32 v1, s4, v0
	v_cmp_gt_i32_e32 vcc, s23, v1
	s_and_saveexec_b64 s[14:15], vcc
	s_cbranch_execz .LBB499_13
; %bb.12:
	s_lshl_b64 s[0:1], s[0:1], 1
	s_add_u32 s3, s6, s0
	s_addc_u32 s5, s7, s1
	s_lshl_b64 s[0:1], s[10:11], 1
	s_add_u32 s0, s3, s0
	s_addc_u32 s1, s5, s1
	s_ashr_i32 s5, s4, 31
	v_lshl_add_u64 v[4:5], s[4:5], 1, v[4:5]
	global_load_ushort v2, v[4:5], off
	v_mad_i64_i32 v[4:5], s[4:5], s12, v1, 0
	v_lshl_add_u64 v[4:5], v[4:5], 1, s[0:1]
	global_load_ushort v1, v[4:5], off
	s_waitcnt vmcnt(0)
	v_mul_f16_e32 v1, v2, v1
	v_cvt_f32_f16_e32 v1, v1
	v_add_f32_e32 v3, v3, v1
.LBB499_13:
	s_or_b64 exec, exec, s[14:15]
	s_movk_i32 s0, 0x80
	v_lshlrev_b32_e32 v1, 2, v0
	v_cmp_gt_u32_e32 vcc, s0, v0
	ds_write_b32 v1, v3
	s_waitcnt lgkmcnt(0)
	s_barrier
	s_and_saveexec_b64 s[0:1], vcc
	s_cbranch_execz .LBB499_15
; %bb.14:
	ds_read2st64_b32 v[2:3], v1 offset1:2
	s_waitcnt lgkmcnt(0)
	v_add_f32_e32 v2, v3, v2
	ds_write_b32 v1, v2
.LBB499_15:
	s_or_b64 exec, exec, s[0:1]
	v_cmp_gt_u32_e32 vcc, 64, v0
	s_waitcnt lgkmcnt(0)
	s_barrier
	s_and_saveexec_b64 s[0:1], vcc
	s_cbranch_execz .LBB499_17
; %bb.16:
	ds_read2st64_b32 v[2:3], v1 offset1:1
	s_waitcnt lgkmcnt(0)
	v_add_f32_e32 v2, v3, v2
	ds_write_b32 v1, v2
.LBB499_17:
	s_or_b64 exec, exec, s[0:1]
	v_cmp_gt_u32_e32 vcc, 32, v0
	s_waitcnt lgkmcnt(0)
	s_barrier
	s_and_saveexec_b64 s[0:1], vcc
	s_cbranch_execz .LBB499_19
; %bb.18:
	ds_read2_b32 v[2:3], v1 offset1:32
	s_waitcnt lgkmcnt(0)
	v_add_f32_e32 v2, v3, v2
	ds_write_b32 v1, v2
.LBB499_19:
	s_or_b64 exec, exec, s[0:1]
	v_cmp_gt_u32_e32 vcc, 16, v0
	s_waitcnt lgkmcnt(0)
	s_barrier
	s_and_saveexec_b64 s[0:1], vcc
	s_cbranch_execz .LBB499_21
; %bb.20:
	ds_read2_b32 v[2:3], v1 offset1:16
	s_waitcnt lgkmcnt(0)
	v_add_f32_e32 v2, v3, v2
	ds_write_b32 v1, v2
.LBB499_21:
	;; [unrolled: 12-line block ×5, first 2 shown]
	s_or_b64 exec, exec, s[0:1]
	v_cmp_eq_u32_e32 vcc, 0, v0
	s_waitcnt lgkmcnt(0)
	s_barrier
	s_and_saveexec_b64 s[0:1], vcc
	s_cbranch_execz .LBB499_29
; %bb.28:
	v_mov_b32_e32 v2, 0
	ds_read_b64 v[0:1], v2
	s_waitcnt lgkmcnt(0)
	v_add_f32_e32 v0, v1, v0
	ds_write_b32 v2, v0
.LBB499_29:
	s_or_b64 exec, exec, s[0:1]
	s_waitcnt lgkmcnt(0)
	s_barrier
	s_waitcnt lgkmcnt(0)
                                        ; implicit-def: $vgpr1
                                        ; implicit-def: $sgpr6_sgpr7
	s_and_saveexec_b64 s[0:1], vcc
	s_cbranch_execz .LBB499_33
; %bb.30:
	v_mov_b32_e32 v0, 0
	ds_read_b32 v0, v0
	v_cmp_eq_f32_e64 s[4:5], s20, 0
	s_mul_hi_i32 s7, s22, s2
	s_mul_i32 s6, s22, s2
	s_and_b64 vcc, exec, s[4:5]
	s_waitcnt lgkmcnt(0)
	v_mul_f32_e32 v1, s21, v0
	s_cbranch_vccnz .LBB499_32
; %bb.31:
	s_lshl_b64 s[2:3], s[6:7], 2
	s_add_u32 s2, s18, s2
	s_addc_u32 s3, s19, s3
	s_load_dword s2, s[2:3], 0x0
	v_mov_b32_e32 v0, s20
	s_waitcnt lgkmcnt(0)
	v_fmac_f32_e32 v1, s2, v0
.LBB499_32:
	s_or_b64 s[8:9], s[8:9], exec
.LBB499_33:
	s_or_b64 exec, exec, s[0:1]
.LBB499_34:
	s_and_saveexec_b64 s[0:1], s[8:9]
	s_cbranch_execz .LBB499_36
; %bb.35:
	s_lshl_b64 s[0:1], s[6:7], 2
	s_add_u32 s0, s18, s0
	s_addc_u32 s1, s19, s1
	v_mov_b32_e32 v0, 0
	global_store_dword v0, v1, s[0:1]
.LBB499_36:
	s_endpgm
	.section	.rodata,"a",@progbits
	.p2align	6, 0x0
	.amdhsa_kernel _ZL20rocblas_gemvt_kernelILb1ELi256EDF16_ffEviiT2_lPKT1_lilS3_lilS0_lPT3_lili
		.amdhsa_group_segment_fixed_size 1024
		.amdhsa_private_segment_fixed_size 0
		.amdhsa_kernarg_size 140
		.amdhsa_user_sgpr_count 2
		.amdhsa_user_sgpr_dispatch_ptr 0
		.amdhsa_user_sgpr_queue_ptr 0
		.amdhsa_user_sgpr_kernarg_segment_ptr 1
		.amdhsa_user_sgpr_dispatch_id 0
		.amdhsa_user_sgpr_kernarg_preload_length 0
		.amdhsa_user_sgpr_kernarg_preload_offset 0
		.amdhsa_user_sgpr_private_segment_size 0
		.amdhsa_uses_dynamic_stack 0
		.amdhsa_enable_private_segment 0
		.amdhsa_system_sgpr_workgroup_id_x 1
		.amdhsa_system_sgpr_workgroup_id_y 0
		.amdhsa_system_sgpr_workgroup_id_z 1
		.amdhsa_system_sgpr_workgroup_info 0
		.amdhsa_system_vgpr_workitem_id 0
		.amdhsa_next_free_vgpr 10
		.amdhsa_next_free_sgpr 28
		.amdhsa_accum_offset 12
		.amdhsa_reserve_vcc 1
		.amdhsa_float_round_mode_32 0
		.amdhsa_float_round_mode_16_64 0
		.amdhsa_float_denorm_mode_32 3
		.amdhsa_float_denorm_mode_16_64 3
		.amdhsa_dx10_clamp 1
		.amdhsa_ieee_mode 1
		.amdhsa_fp16_overflow 0
		.amdhsa_tg_split 0
		.amdhsa_exception_fp_ieee_invalid_op 0
		.amdhsa_exception_fp_denorm_src 0
		.amdhsa_exception_fp_ieee_div_zero 0
		.amdhsa_exception_fp_ieee_overflow 0
		.amdhsa_exception_fp_ieee_underflow 0
		.amdhsa_exception_fp_ieee_inexact 0
		.amdhsa_exception_int_div_zero 0
	.end_amdhsa_kernel
	.section	.text._ZL20rocblas_gemvt_kernelILb1ELi256EDF16_ffEviiT2_lPKT1_lilS3_lilS0_lPT3_lili,"axG",@progbits,_ZL20rocblas_gemvt_kernelILb1ELi256EDF16_ffEviiT2_lPKT1_lilS3_lilS0_lPT3_lili,comdat
.Lfunc_end499:
	.size	_ZL20rocblas_gemvt_kernelILb1ELi256EDF16_ffEviiT2_lPKT1_lilS3_lilS0_lPT3_lili, .Lfunc_end499-_ZL20rocblas_gemvt_kernelILb1ELi256EDF16_ffEviiT2_lPKT1_lilS3_lilS0_lPT3_lili
                                        ; -- End function
	.section	.AMDGPU.csdata,"",@progbits
; Kernel info:
; codeLenInByte = 1224
; NumSgprs: 34
; NumVgprs: 10
; NumAgprs: 0
; TotalNumVgprs: 10
; ScratchSize: 0
; MemoryBound: 0
; FloatMode: 240
; IeeeMode: 1
; LDSByteSize: 1024 bytes/workgroup (compile time only)
; SGPRBlocks: 4
; VGPRBlocks: 1
; NumSGPRsForWavesPerEU: 34
; NumVGPRsForWavesPerEU: 10
; AccumOffset: 12
; Occupancy: 8
; WaveLimiterHint : 1
; COMPUTE_PGM_RSRC2:SCRATCH_EN: 0
; COMPUTE_PGM_RSRC2:USER_SGPR: 2
; COMPUTE_PGM_RSRC2:TRAP_HANDLER: 0
; COMPUTE_PGM_RSRC2:TGID_X_EN: 1
; COMPUTE_PGM_RSRC2:TGID_Y_EN: 0
; COMPUTE_PGM_RSRC2:TGID_Z_EN: 1
; COMPUTE_PGM_RSRC2:TIDIG_COMP_CNT: 0
; COMPUTE_PGM_RSRC3_GFX90A:ACCUM_OFFSET: 2
; COMPUTE_PGM_RSRC3_GFX90A:TG_SPLIT: 0
	.section	.text._ZL32rocblas_gemvt_warp_reduce_kernelILb1ELi1024EiDF16_PKffEviiT3_lPKT2_lT1_lS5_lS6_lS2_lPT4_lS6_li,"axG",@progbits,_ZL32rocblas_gemvt_warp_reduce_kernelILb1ELi1024EiDF16_PKffEviiT3_lPKT2_lT1_lS5_lS6_lS2_lPT4_lS6_li,comdat
	.globl	_ZL32rocblas_gemvt_warp_reduce_kernelILb1ELi1024EiDF16_PKffEviiT3_lPKT2_lT1_lS5_lS6_lS2_lPT4_lS6_li ; -- Begin function _ZL32rocblas_gemvt_warp_reduce_kernelILb1ELi1024EiDF16_PKffEviiT3_lPKT2_lT1_lS5_lS6_lS2_lPT4_lS6_li
	.p2align	8
	.type	_ZL32rocblas_gemvt_warp_reduce_kernelILb1ELi1024EiDF16_PKffEviiT3_lPKT2_lT1_lS5_lS6_lS2_lPT4_lS6_li,@function
_ZL32rocblas_gemvt_warp_reduce_kernelILb1ELi1024EiDF16_PKffEviiT3_lPKT2_lT1_lS5_lS6_lS2_lPT4_lS6_li: ; @_ZL32rocblas_gemvt_warp_reduce_kernelILb1ELi1024EiDF16_PKffEviiT3_lPKT2_lT1_lS5_lS6_lS2_lPT4_lS6_li
; %bb.0:
	s_load_dwordx8 s[4:11], s[0:1], 0x8
	s_load_dwordx8 s[12:19], s[0:1], 0x50
	s_waitcnt lgkmcnt(0)
	s_mul_i32 s7, s3, s7
	s_mul_hi_u32 s20, s3, s6
	s_add_i32 s7, s20, s7
	s_mul_i32 s6, s3, s6
	s_lshl_b64 s[6:7], s[6:7], 2
	s_add_u32 s4, s4, s6
	s_addc_u32 s5, s5, s7
	s_load_dword s23, s[4:5], 0x0
	s_mul_i32 s4, s3, s17
	s_mul_hi_u32 s5, s3, s16
	s_add_i32 s5, s5, s4
	s_mul_i32 s4, s3, s16
	s_lshl_b64 s[4:5], s[4:5], 2
	s_add_u32 s4, s14, s4
	s_addc_u32 s5, s15, s5
	s_load_dword s22, s[4:5], 0x0
	s_waitcnt lgkmcnt(0)
	v_cmp_eq_f32_e64 s[4:5], s23, 0
	v_cmp_eq_f32_e64 s[6:7], s22, 1.0
	s_and_b64 s[4:5], s[4:5], s[6:7]
	s_and_b64 vcc, exec, s[4:5]
	s_cbranch_vccnz .LBB500_29
; %bb.1:
	s_load_dwordx2 s[4:5], s[0:1], 0x80
	s_load_dwordx2 s[6:7], s[0:1], 0x70
	s_load_dword s24, s[0:1], 0x78
	s_waitcnt lgkmcnt(0)
	s_mul_i32 s5, s3, s5
	s_mul_hi_u32 s14, s3, s4
	s_mul_i32 s4, s3, s4
	s_add_i32 s5, s14, s5
	s_lshl_b64 s[4:5], s[4:5], 2
	s_add_u32 s14, s18, s4
	s_addc_u32 s15, s19, s5
	s_lshl_b64 s[4:5], s[6:7], 2
	s_add_u32 s20, s14, s4
	s_addc_u32 s21, s15, s5
	v_cmp_neq_f32_e64 s[4:5], s23, 0
	s_and_b64 vcc, exec, s[4:5]
	v_cmp_eq_u32_e64 s[4:5], 0, v0
	s_cbranch_vccnz .LBB500_6
; %bb.2:
	s_mov_b64 s[16:17], 0
	s_mov_b64 s[6:7], 0
                                        ; implicit-def: $vgpr1
                                        ; implicit-def: $sgpr14_sgpr15
	s_and_saveexec_b64 s[18:19], s[4:5]
	s_cbranch_execz .LBB500_7
; %bb.3:
	v_cmp_eq_f32_e64 s[4:5], s22, 0
	s_mul_i32 s14, s2, s24
	v_mov_b32_e32 v1, 0
	s_ashr_i32 s15, s14, 31
	s_and_b64 vcc, exec, s[4:5]
	s_cbranch_vccnz .LBB500_5
; %bb.4:
	s_lshl_b64 s[4:5], s[14:15], 2
	s_add_u32 s4, s20, s4
	s_addc_u32 s5, s21, s5
	s_load_dword s4, s[4:5], 0x0
	s_waitcnt lgkmcnt(0)
	v_mov_b32_e32 v1, s4
	v_mul_f32_e32 v1, s22, v1
.LBB500_5:
	s_mov_b64 s[6:7], exec
	s_or_b64 exec, exec, s[18:19]
	s_and_b64 vcc, exec, s[16:17]
	s_cbranch_vccnz .LBB500_8
	s_branch .LBB500_27
.LBB500_6:
	s_mov_b64 s[6:7], 0
                                        ; implicit-def: $vgpr1
                                        ; implicit-def: $sgpr14_sgpr15
	s_cbranch_execnz .LBB500_8
	s_branch .LBB500_27
.LBB500_7:
	s_or_b64 exec, exec, s[18:19]
	s_and_b64 vcc, exec, s[16:17]
	s_cbranch_vccz .LBB500_27
.LBB500_8:
	s_load_dword s14, s[0:1], 0x0
	s_load_dword s25, s[0:1], 0x28
	s_load_dwordx4 s[16:19], s[0:1], 0x30
	s_load_dwordx2 s[4:5], s[0:1], 0x40
	s_mul_i32 s13, s3, s13
	s_mul_hi_u32 s15, s3, s12
	s_add_i32 s13, s15, s13
	s_mul_i32 s12, s3, s12
	s_lshl_b64 s[12:13], s[12:13], 1
	s_waitcnt lgkmcnt(0)
	s_add_u32 s12, s18, s12
	s_addc_u32 s13, s19, s13
	s_lshl_b64 s[4:5], s[4:5], 1
	s_add_u32 s4, s12, s4
	s_load_dword s15, s[0:1], 0x48
	s_mul_i32 s0, s3, s17
	s_mul_hi_u32 s1, s3, s16
	s_addc_u32 s5, s13, s5
	s_add_i32 s1, s1, s0
	s_mul_i32 s0, s3, s16
	s_lshl_b64 s[0:1], s[0:1], 1
	s_add_u32 s3, s8, s0
	s_addc_u32 s8, s9, s1
	s_lshl_b64 s[0:1], s[10:11], 1
	s_add_u32 s3, s3, s0
	s_mul_i32 s0, s2, s25
	s_addc_u32 s8, s8, s1
	s_ashr_i32 s1, s0, 31
	v_cmp_gt_i32_e32 vcc, s14, v0
	s_lshl_b64 s[0:1], s[0:1], 1
	s_add_u32 s0, s0, s3
	v_cndmask_b32_e32 v1, 0, v0, vcc
	v_lshlrev_b32_e32 v2, 1, v1
	v_mov_b32_e32 v3, 0
	s_addc_u32 s1, s1, s8
	v_lshl_add_u64 v[4:5], s[0:1], 0, v[2:3]
	s_ashr_i32 s0, s14, 31
	s_lshr_b32 s0, s0, 22
	s_add_i32 s0, s14, s0
	s_and_b32 s0, s0, 0xfffffc00
	v_cmp_gt_i32_e32 vcc, s0, v0
	s_and_saveexec_b64 s[8:9], vcc
	s_cbranch_execz .LBB500_12
; %bb.9:
	s_waitcnt lgkmcnt(0)
	v_mul_lo_u32 v6, v0, s15
	s_lshl_b32 s1, s15, 10
	s_mov_b64 s[10:11], 0
	v_mov_b32_e32 v3, 0
	s_mov_b64 s[12:13], 0x800
	v_mov_b64_e32 v[8:9], v[4:5]
	v_mov_b32_e32 v1, v0
.LBB500_10:                             ; =>This Inner Loop Header: Depth=1
	v_ashrrev_i32_e32 v7, 31, v6
	v_lshl_add_u64 v[10:11], v[6:7], 1, s[4:5]
	global_load_ushort v2, v[8:9], off
	global_load_ushort v7, v[10:11], off
	v_add_u32_e32 v1, 0x400, v1
	v_cmp_le_i32_e32 vcc, s0, v1
	v_lshl_add_u64 v[8:9], v[8:9], 0, s[12:13]
	v_add_u32_e32 v6, s1, v6
	s_or_b64 s[10:11], vcc, s[10:11]
	s_waitcnt vmcnt(0)
	v_mul_f16_e32 v2, v2, v7
	v_cvt_f32_f16_e32 v2, v2
	v_add_f32_e32 v3, v3, v2
	s_andn2_b64 exec, exec, s[10:11]
	s_cbranch_execnz .LBB500_10
; %bb.11:
	s_or_b64 exec, exec, s[10:11]
.LBB500_12:
	s_or_b64 exec, exec, s[8:9]
	v_or_b32_e32 v1, s0, v0
	v_cmp_gt_i32_e32 vcc, s14, v1
	s_and_saveexec_b64 s[8:9], vcc
	s_cbranch_execz .LBB500_14
; %bb.13:
	s_ashr_i32 s1, s0, 31
	v_lshl_add_u64 v[4:5], s[0:1], 1, v[4:5]
	global_load_ushort v2, v[4:5], off
	s_waitcnt lgkmcnt(0)
	v_mul_lo_u32 v4, v1, s15
	v_ashrrev_i32_e32 v5, 31, v4
	v_lshl_add_u64 v[4:5], v[4:5], 1, s[4:5]
	global_load_ushort v1, v[4:5], off
	s_waitcnt vmcnt(0)
	v_mul_f16_e32 v1, v2, v1
	v_cvt_f32_f16_e32 v1, v1
	v_add_f32_e32 v3, v3, v1
.LBB500_14:
	s_or_b64 exec, exec, s[8:9]
	v_and_b32_e32 v2, 63, v0
	v_cmp_gt_u32_e32 vcc, 64, v0
	v_lshlrev_b32_e32 v1, 2, v2
	s_and_saveexec_b64 s[0:1], vcc
	s_cbranch_execz .LBB500_16
; %bb.15:
	v_mov_b32_e32 v4, 0
	ds_write_b32 v1, v4
.LBB500_16:
	s_or_b64 exec, exec, s[0:1]
	v_mbcnt_lo_u32_b32 v4, -1, 0
	v_mbcnt_hi_u32_b32 v6, -1, v4
	v_and_b32_e32 v7, 63, v6
	v_cmp_gt_u32_e64 s[0:1], 32, v7
	s_waitcnt lgkmcnt(0)
	s_barrier
	v_cndmask_b32_e64 v4, 0, 1, s[0:1]
	v_lshlrev_b32_e32 v4, 5, v4
	v_add_lshl_u32 v4, v4, v6, 2
	ds_bpermute_b32 v4, v4, v3
	v_cmp_gt_u32_e64 s[0:1], 48, v7
	s_waitcnt lgkmcnt(0)
	v_add_f32_e32 v3, v3, v4
	v_cndmask_b32_e64 v5, 0, 1, s[0:1]
	v_lshlrev_b32_e32 v5, 4, v5
	v_add_lshl_u32 v4, v5, v6, 2
	ds_bpermute_b32 v4, v4, v3
	v_cmp_gt_u32_e64 s[0:1], 56, v7
	s_waitcnt lgkmcnt(0)
	v_add_f32_e32 v4, v3, v4
	;; [unrolled: 7-line block ×4, first 2 shown]
	v_cndmask_b32_e64 v9, 0, 1, s[0:1]
	v_lshlrev_b32_e32 v9, 1, v9
	v_add_lshl_u32 v5, v9, v6, 2
	ds_bpermute_b32 v9, v5, v8
	v_cmp_ne_u32_e64 s[0:1], 63, v7
	s_waitcnt lgkmcnt(0)
	v_add_f32_e32 v7, v8, v9
	v_addc_co_u32_e64 v6, s[0:1], 0, v6, s[0:1]
	v_lshlrev_b32_e32 v6, 2, v6
	ds_bpermute_b32 v8, v6, v7
	v_cmp_eq_u32_e64 s[0:1], 0, v2
	s_and_saveexec_b64 s[4:5], s[0:1]
	s_cbranch_execz .LBB500_18
; %bb.17:
	v_lshrrev_b32_e32 v2, 4, v0
	v_and_b32_e32 v2, 60, v2
	s_waitcnt lgkmcnt(0)
	v_add_f32_e32 v7, v7, v8
	ds_write_b32 v2, v7
.LBB500_18:
	s_or_b64 exec, exec, s[4:5]
	v_cmp_gt_u32_e64 s[0:1], 16, v0
	v_mov_b32_e32 v2, 0
	s_waitcnt lgkmcnt(0)
	s_barrier
	s_and_saveexec_b64 s[4:5], s[0:1]
	s_cbranch_execz .LBB500_20
; %bb.19:
	ds_read_b32 v2, v1
	s_or_b64 exec, exec, s[4:5]
	s_and_saveexec_b64 s[0:1], vcc
	s_cbranch_execz .LBB500_22
	s_branch .LBB500_21
.LBB500_20:
	s_or_b64 exec, exec, s[4:5]
	s_and_saveexec_b64 s[0:1], vcc
	s_cbranch_execz .LBB500_22
.LBB500_21:
	s_waitcnt lgkmcnt(0)
	ds_bpermute_b32 v1, v3, v2
	s_waitcnt lgkmcnt(0)
	v_add_f32_e32 v1, v2, v1
	ds_bpermute_b32 v2, v4, v1
	s_waitcnt lgkmcnt(0)
	v_add_f32_e32 v1, v1, v2
	;; [unrolled: 3-line block ×4, first 2 shown]
.LBB500_22:
	s_or_b64 exec, exec, s[0:1]
	v_cmp_eq_u32_e32 vcc, 0, v0
                                        ; implicit-def: $vgpr1
                                        ; implicit-def: $sgpr14_sgpr15
	s_and_saveexec_b64 s[0:1], vcc
	s_cbranch_execz .LBB500_26
; %bb.23:
	v_cmp_eq_f32_e64 s[4:5], s22, 0
	s_mul_i32 s14, s2, s24
	s_waitcnt lgkmcnt(0)
	v_mul_f32_e32 v1, s23, v2
	s_ashr_i32 s15, s14, 31
	s_and_b64 vcc, exec, s[4:5]
	s_cbranch_vccnz .LBB500_25
; %bb.24:
	s_lshl_b64 s[2:3], s[14:15], 2
	s_add_u32 s2, s20, s2
	s_addc_u32 s3, s21, s3
	s_load_dword s2, s[2:3], 0x0
	s_waitcnt lgkmcnt(0)
	v_mov_b32_e32 v0, s2
	v_fmac_f32_e32 v1, s22, v0
.LBB500_25:
	s_or_b64 s[6:7], s[6:7], exec
.LBB500_26:
	s_or_b64 exec, exec, s[0:1]
.LBB500_27:
	s_and_saveexec_b64 s[0:1], s[6:7]
	s_cbranch_execz .LBB500_29
; %bb.28:
	s_lshl_b64 s[0:1], s[14:15], 2
	s_add_u32 s0, s20, s0
	s_addc_u32 s1, s21, s1
	v_mov_b32_e32 v0, 0
	global_store_dword v0, v1, s[0:1]
.LBB500_29:
	s_endpgm
	.section	.rodata,"a",@progbits
	.p2align	6, 0x0
	.amdhsa_kernel _ZL32rocblas_gemvt_warp_reduce_kernelILb1ELi1024EiDF16_PKffEviiT3_lPKT2_lT1_lS5_lS6_lS2_lPT4_lS6_li
		.amdhsa_group_segment_fixed_size 256
		.amdhsa_private_segment_fixed_size 0
		.amdhsa_kernarg_size 140
		.amdhsa_user_sgpr_count 2
		.amdhsa_user_sgpr_dispatch_ptr 0
		.amdhsa_user_sgpr_queue_ptr 0
		.amdhsa_user_sgpr_kernarg_segment_ptr 1
		.amdhsa_user_sgpr_dispatch_id 0
		.amdhsa_user_sgpr_kernarg_preload_length 0
		.amdhsa_user_sgpr_kernarg_preload_offset 0
		.amdhsa_user_sgpr_private_segment_size 0
		.amdhsa_uses_dynamic_stack 0
		.amdhsa_enable_private_segment 0
		.amdhsa_system_sgpr_workgroup_id_x 1
		.amdhsa_system_sgpr_workgroup_id_y 0
		.amdhsa_system_sgpr_workgroup_id_z 1
		.amdhsa_system_sgpr_workgroup_info 0
		.amdhsa_system_vgpr_workitem_id 0
		.amdhsa_next_free_vgpr 12
		.amdhsa_next_free_sgpr 26
		.amdhsa_accum_offset 12
		.amdhsa_reserve_vcc 1
		.amdhsa_float_round_mode_32 0
		.amdhsa_float_round_mode_16_64 0
		.amdhsa_float_denorm_mode_32 3
		.amdhsa_float_denorm_mode_16_64 3
		.amdhsa_dx10_clamp 1
		.amdhsa_ieee_mode 1
		.amdhsa_fp16_overflow 0
		.amdhsa_tg_split 0
		.amdhsa_exception_fp_ieee_invalid_op 0
		.amdhsa_exception_fp_denorm_src 0
		.amdhsa_exception_fp_ieee_div_zero 0
		.amdhsa_exception_fp_ieee_overflow 0
		.amdhsa_exception_fp_ieee_underflow 0
		.amdhsa_exception_fp_ieee_inexact 0
		.amdhsa_exception_int_div_zero 0
	.end_amdhsa_kernel
	.section	.text._ZL32rocblas_gemvt_warp_reduce_kernelILb1ELi1024EiDF16_PKffEviiT3_lPKT2_lT1_lS5_lS6_lS2_lPT4_lS6_li,"axG",@progbits,_ZL32rocblas_gemvt_warp_reduce_kernelILb1ELi1024EiDF16_PKffEviiT3_lPKT2_lT1_lS5_lS6_lS2_lPT4_lS6_li,comdat
.Lfunc_end500:
	.size	_ZL32rocblas_gemvt_warp_reduce_kernelILb1ELi1024EiDF16_PKffEviiT3_lPKT2_lT1_lS5_lS6_lS2_lPT4_lS6_li, .Lfunc_end500-_ZL32rocblas_gemvt_warp_reduce_kernelILb1ELi1024EiDF16_PKffEviiT3_lPKT2_lT1_lS5_lS6_lS2_lPT4_lS6_li
                                        ; -- End function
	.section	.AMDGPU.csdata,"",@progbits
; Kernel info:
; codeLenInByte = 1364
; NumSgprs: 32
; NumVgprs: 12
; NumAgprs: 0
; TotalNumVgprs: 12
; ScratchSize: 0
; MemoryBound: 0
; FloatMode: 240
; IeeeMode: 1
; LDSByteSize: 256 bytes/workgroup (compile time only)
; SGPRBlocks: 3
; VGPRBlocks: 1
; NumSGPRsForWavesPerEU: 32
; NumVGPRsForWavesPerEU: 12
; AccumOffset: 12
; Occupancy: 8
; WaveLimiterHint : 1
; COMPUTE_PGM_RSRC2:SCRATCH_EN: 0
; COMPUTE_PGM_RSRC2:USER_SGPR: 2
; COMPUTE_PGM_RSRC2:TRAP_HANDLER: 0
; COMPUTE_PGM_RSRC2:TGID_X_EN: 1
; COMPUTE_PGM_RSRC2:TGID_Y_EN: 0
; COMPUTE_PGM_RSRC2:TGID_Z_EN: 1
; COMPUTE_PGM_RSRC2:TIDIG_COMP_CNT: 0
; COMPUTE_PGM_RSRC3_GFX90A:ACCUM_OFFSET: 2
; COMPUTE_PGM_RSRC3_GFX90A:TG_SPLIT: 0
	.section	.text._ZL32rocblas_gemvt_warp_reduce_kernelILb1ELi1024ElDF16_PKffEviiT3_lPKT2_lT1_lS5_lS6_lS2_lPT4_lS6_li,"axG",@progbits,_ZL32rocblas_gemvt_warp_reduce_kernelILb1ELi1024ElDF16_PKffEviiT3_lPKT2_lT1_lS5_lS6_lS2_lPT4_lS6_li,comdat
	.globl	_ZL32rocblas_gemvt_warp_reduce_kernelILb1ELi1024ElDF16_PKffEviiT3_lPKT2_lT1_lS5_lS6_lS2_lPT4_lS6_li ; -- Begin function _ZL32rocblas_gemvt_warp_reduce_kernelILb1ELi1024ElDF16_PKffEviiT3_lPKT2_lT1_lS5_lS6_lS2_lPT4_lS6_li
	.p2align	8
	.type	_ZL32rocblas_gemvt_warp_reduce_kernelILb1ELi1024ElDF16_PKffEviiT3_lPKT2_lT1_lS5_lS6_lS2_lPT4_lS6_li,@function
_ZL32rocblas_gemvt_warp_reduce_kernelILb1ELi1024ElDF16_PKffEviiT3_lPKT2_lT1_lS5_lS6_lS2_lPT4_lS6_li: ; @_ZL32rocblas_gemvt_warp_reduce_kernelILb1ELi1024ElDF16_PKffEviiT3_lPKT2_lT1_lS5_lS6_lS2_lPT4_lS6_li
; %bb.0:
	s_load_dwordx16 s[36:51], s[0:1], 0x8
	s_load_dwordx16 s[8:23], s[0:1], 0x48
	s_waitcnt lgkmcnt(0)
	s_mul_i32 s4, s3, s39
	s_mul_hi_u32 s5, s3, s38
	s_add_i32 s5, s5, s4
	s_mul_i32 s4, s3, s38
	s_lshl_b64 s[4:5], s[4:5], 2
	s_add_u32 s4, s36, s4
	s_addc_u32 s5, s37, s5
	s_load_dword s25, s[4:5], 0x0
	s_mul_i32 s4, s3, s15
	s_mul_hi_u32 s5, s3, s14
	s_add_i32 s5, s5, s4
	s_mul_i32 s4, s3, s14
	s_lshl_b64 s[4:5], s[4:5], 2
	s_add_u32 s4, s12, s4
	s_addc_u32 s5, s13, s5
	s_load_dword s24, s[4:5], 0x0
	s_waitcnt lgkmcnt(0)
	v_cmp_eq_f32_e64 s[4:5], s25, 0
	v_cmp_eq_f32_e64 s[6:7], s24, 1.0
	s_and_b64 s[4:5], s[4:5], s[6:7]
	s_and_b64 vcc, exec, s[4:5]
	s_cbranch_vccnz .LBB501_29
; %bb.1:
	s_mul_i32 s4, s3, s23
	s_mul_hi_u32 s5, s3, s22
	s_add_i32 s5, s5, s4
	s_mul_i32 s4, s3, s22
	s_lshl_b64 s[4:5], s[4:5], 2
	s_add_u32 s6, s16, s4
	s_addc_u32 s7, s17, s5
	s_lshl_b64 s[4:5], s[18:19], 2
	s_add_u32 s18, s6, s4
	s_addc_u32 s19, s7, s5
	v_cmp_neq_f32_e64 s[4:5], s25, 0
	s_and_b64 vcc, exec, s[4:5]
	v_cmp_eq_u32_e64 s[4:5], 0, v0
	s_cbranch_vccnz .LBB501_6
; %bb.2:
	s_mov_b64 s[14:15], 0
	s_mov_b64 s[6:7], 0
                                        ; implicit-def: $vgpr1
                                        ; implicit-def: $sgpr12_sgpr13
	s_and_saveexec_b64 s[16:17], s[4:5]
	s_cbranch_execz .LBB501_7
; %bb.3:
	s_ashr_i32 s6, s2, 31
	s_mul_i32 s7, s2, s21
	s_mul_hi_u32 s12, s2, s20
	v_cmp_eq_f32_e64 s[4:5], s24, 0
	s_add_i32 s7, s12, s7
	s_mul_i32 s6, s6, s20
	v_mov_b32_e32 v1, 0
	s_add_i32 s13, s7, s6
	s_mul_i32 s12, s2, s20
	s_and_b64 vcc, exec, s[4:5]
	s_cbranch_vccnz .LBB501_5
; %bb.4:
	s_lshl_b64 s[4:5], s[12:13], 2
	s_add_u32 s4, s18, s4
	s_addc_u32 s5, s19, s5
	s_load_dword s4, s[4:5], 0x0
	s_waitcnt lgkmcnt(0)
	v_mov_b32_e32 v1, s4
	v_mul_f32_e32 v1, s24, v1
.LBB501_5:
	s_mov_b64 s[6:7], exec
	s_or_b64 exec, exec, s[16:17]
	s_and_b64 vcc, exec, s[14:15]
	s_cbranch_vccnz .LBB501_8
	s_branch .LBB501_27
.LBB501_6:
	s_mov_b64 s[6:7], 0
                                        ; implicit-def: $vgpr1
                                        ; implicit-def: $sgpr12_sgpr13
	s_cbranch_execnz .LBB501_8
	s_branch .LBB501_27
.LBB501_7:
	s_or_b64 exec, exec, s[16:17]
	s_and_b64 vcc, exec, s[14:15]
	s_cbranch_vccz .LBB501_27
.LBB501_8:
	s_mul_i32 s4, s3, s11
	s_mul_hi_u32 s5, s3, s10
	s_add_i32 s5, s5, s4
	s_mul_i32 s4, s3, s10
	s_load_dword s1, s[0:1], 0x0
	s_mul_i32 s0, s3, s47
	s_mul_hi_u32 s10, s3, s46
	s_add_i32 s11, s10, s0
	s_mul_i32 s10, s3, s46
	s_lshl_b64 s[10:11], s[10:11], 1
	s_add_u32 s0, s40, s10
	s_addc_u32 s3, s41, s11
	s_lshl_b64 s[10:11], s[42:43], 1
	s_add_u32 s0, s0, s10
	s_addc_u32 s12, s3, s11
	s_ashr_i32 s3, s2, 31
	s_mul_i32 s10, s2, s45
	s_mul_hi_u32 s11, s2, s44
	s_add_i32 s10, s11, s10
	s_mul_i32 s11, s3, s44
	s_add_i32 s11, s10, s11
	s_mul_i32 s10, s2, s44
	s_lshl_b64 s[10:11], s[10:11], 1
	s_add_u32 s10, s10, s0
	s_addc_u32 s11, s11, s12
	s_waitcnt lgkmcnt(0)
	s_ashr_i32 s0, s1, 31
	v_cmp_gt_i32_e32 vcc, s1, v0
	s_lshr_b32 s0, s0, 22
	s_add_i32 s0, s1, s0
	v_cndmask_b32_e32 v1, 0, v0, vcc
	v_lshlrev_b32_e32 v2, 1, v1
	v_mov_b32_e32 v3, 0
	s_and_b32 s0, s0, 0xfffffc00
	v_lshl_add_u64 v[4:5], s[10:11], 0, v[2:3]
	v_cmp_gt_i32_e32 vcc, s0, v0
	s_and_saveexec_b64 s[10:11], vcc
	s_cbranch_execz .LBB501_12
; %bb.9:
	v_mad_u64_u32 v[2:3], s[14:15], s8, v0, 0
	v_mov_b32_e32 v6, v3
	v_mad_u64_u32 v[6:7], s[14:15], s9, v0, v[6:7]
	s_lshl_b64 s[12:13], s[4:5], 1
	s_lshl_b64 s[14:15], s[50:51], 1
	s_add_u32 s14, s48, s14
	s_addc_u32 s15, s49, s15
	s_add_u32 s12, s14, s12
	v_mov_b32_e32 v3, v6
	s_addc_u32 s13, s15, s13
	v_lshl_add_u64 v[6:7], v[2:3], 1, s[12:13]
	s_lshl_b64 s[14:15], s[8:9], 11
	s_mov_b64 s[12:13], 0
	v_mov_b32_e32 v3, 0
	s_mov_b64 s[16:17], 0x800
	v_mov_b64_e32 v[8:9], v[4:5]
	v_mov_b32_e32 v1, v0
.LBB501_10:                             ; =>This Inner Loop Header: Depth=1
	global_load_ushort v2, v[8:9], off
	global_load_ushort v10, v[6:7], off
	v_add_u32_e32 v1, 0x400, v1
	v_cmp_le_i32_e32 vcc, s0, v1
	v_lshl_add_u64 v[8:9], v[8:9], 0, s[16:17]
	v_lshl_add_u64 v[6:7], v[6:7], 0, s[14:15]
	s_or_b64 s[12:13], vcc, s[12:13]
	s_waitcnt vmcnt(0)
	v_mul_f16_e32 v2, v2, v10
	v_cvt_f32_f16_e32 v2, v2
	v_add_f32_e32 v3, v3, v2
	s_andn2_b64 exec, exec, s[12:13]
	s_cbranch_execnz .LBB501_10
; %bb.11:
	s_or_b64 exec, exec, s[12:13]
.LBB501_12:
	s_or_b64 exec, exec, s[10:11]
	v_or_b32_e32 v1, s0, v0
	v_cmp_gt_i32_e32 vcc, s1, v1
	s_and_saveexec_b64 s[10:11], vcc
	s_cbranch_execz .LBB501_14
; %bb.13:
	s_lshl_b64 s[4:5], s[4:5], 1
	s_add_u32 s1, s48, s4
	s_addc_u32 s12, s49, s5
	s_lshl_b64 s[4:5], s[50:51], 1
	s_add_u32 s4, s1, s4
	s_addc_u32 s5, s12, s5
	s_ashr_i32 s1, s0, 31
	v_lshl_add_u64 v[4:5], s[0:1], 1, v[4:5]
	global_load_ushort v2, v[4:5], off
	v_ashrrev_i32_e32 v4, 31, v1
	v_mul_lo_u32 v6, v1, s9
	v_mul_lo_u32 v7, v4, s8
	v_mad_u64_u32 v[4:5], s[0:1], v1, s8, 0
	v_add3_u32 v5, v5, v6, v7
	v_lshl_add_u64 v[4:5], v[4:5], 1, s[4:5]
	global_load_ushort v1, v[4:5], off
	s_waitcnt vmcnt(0)
	v_mul_f16_e32 v1, v2, v1
	v_cvt_f32_f16_e32 v1, v1
	v_add_f32_e32 v3, v3, v1
.LBB501_14:
	s_or_b64 exec, exec, s[10:11]
	v_and_b32_e32 v2, 63, v0
	v_cmp_gt_u32_e32 vcc, 64, v0
	v_lshlrev_b32_e32 v1, 2, v2
	s_and_saveexec_b64 s[0:1], vcc
	s_cbranch_execz .LBB501_16
; %bb.15:
	v_mov_b32_e32 v4, 0
	ds_write_b32 v1, v4
.LBB501_16:
	s_or_b64 exec, exec, s[0:1]
	v_mbcnt_lo_u32_b32 v4, -1, 0
	v_mbcnt_hi_u32_b32 v6, -1, v4
	v_and_b32_e32 v7, 63, v6
	v_cmp_gt_u32_e64 s[0:1], 32, v7
	s_waitcnt lgkmcnt(0)
	s_barrier
	v_cndmask_b32_e64 v4, 0, 1, s[0:1]
	v_lshlrev_b32_e32 v4, 5, v4
	v_add_lshl_u32 v4, v4, v6, 2
	ds_bpermute_b32 v4, v4, v3
	v_cmp_gt_u32_e64 s[0:1], 48, v7
	s_waitcnt lgkmcnt(0)
	v_add_f32_e32 v3, v3, v4
	v_cndmask_b32_e64 v5, 0, 1, s[0:1]
	v_lshlrev_b32_e32 v5, 4, v5
	v_add_lshl_u32 v4, v5, v6, 2
	ds_bpermute_b32 v4, v4, v3
	v_cmp_gt_u32_e64 s[0:1], 56, v7
	s_waitcnt lgkmcnt(0)
	v_add_f32_e32 v4, v3, v4
	;; [unrolled: 7-line block ×4, first 2 shown]
	v_cndmask_b32_e64 v9, 0, 1, s[0:1]
	v_lshlrev_b32_e32 v9, 1, v9
	v_add_lshl_u32 v5, v9, v6, 2
	ds_bpermute_b32 v9, v5, v8
	v_cmp_ne_u32_e64 s[0:1], 63, v7
	s_waitcnt lgkmcnt(0)
	v_add_f32_e32 v7, v8, v9
	v_addc_co_u32_e64 v6, s[0:1], 0, v6, s[0:1]
	v_lshlrev_b32_e32 v6, 2, v6
	ds_bpermute_b32 v8, v6, v7
	v_cmp_eq_u32_e64 s[0:1], 0, v2
	s_and_saveexec_b64 s[4:5], s[0:1]
	s_cbranch_execz .LBB501_18
; %bb.17:
	v_lshrrev_b32_e32 v2, 4, v0
	v_and_b32_e32 v2, 60, v2
	s_waitcnt lgkmcnt(0)
	v_add_f32_e32 v7, v7, v8
	ds_write_b32 v2, v7
.LBB501_18:
	s_or_b64 exec, exec, s[4:5]
	v_cmp_gt_u32_e64 s[0:1], 16, v0
	v_mov_b32_e32 v2, 0
	s_waitcnt lgkmcnt(0)
	s_barrier
	s_and_saveexec_b64 s[4:5], s[0:1]
	s_cbranch_execz .LBB501_20
; %bb.19:
	ds_read_b32 v2, v1
	s_or_b64 exec, exec, s[4:5]
	s_and_saveexec_b64 s[0:1], vcc
	s_cbranch_execz .LBB501_22
	s_branch .LBB501_21
.LBB501_20:
	s_or_b64 exec, exec, s[4:5]
	s_and_saveexec_b64 s[0:1], vcc
	s_cbranch_execz .LBB501_22
.LBB501_21:
	s_waitcnt lgkmcnt(0)
	ds_bpermute_b32 v1, v3, v2
	s_waitcnt lgkmcnt(0)
	v_add_f32_e32 v1, v2, v1
	ds_bpermute_b32 v2, v4, v1
	s_waitcnt lgkmcnt(0)
	v_add_f32_e32 v1, v1, v2
	;; [unrolled: 3-line block ×4, first 2 shown]
.LBB501_22:
	s_or_b64 exec, exec, s[0:1]
	v_cmp_eq_u32_e32 vcc, 0, v0
                                        ; implicit-def: $vgpr1
                                        ; implicit-def: $sgpr12_sgpr13
	s_and_saveexec_b64 s[0:1], vcc
	s_cbranch_execz .LBB501_26
; %bb.23:
	s_mul_i32 s8, s2, s21
	s_mul_hi_u32 s9, s2, s20
	v_cmp_eq_f32_e64 s[4:5], s24, 0
	s_add_i32 s8, s9, s8
	s_mul_i32 s3, s3, s20
	s_waitcnt lgkmcnt(0)
	v_mul_f32_e32 v1, s25, v2
	s_add_i32 s13, s8, s3
	s_mul_i32 s12, s2, s20
	s_and_b64 vcc, exec, s[4:5]
	s_cbranch_vccnz .LBB501_25
; %bb.24:
	s_lshl_b64 s[2:3], s[12:13], 2
	s_add_u32 s2, s18, s2
	s_addc_u32 s3, s19, s3
	s_load_dword s2, s[2:3], 0x0
	s_waitcnt lgkmcnt(0)
	v_mov_b32_e32 v0, s2
	v_fmac_f32_e32 v1, s24, v0
.LBB501_25:
	s_or_b64 s[6:7], s[6:7], exec
.LBB501_26:
	s_or_b64 exec, exec, s[0:1]
.LBB501_27:
	s_and_saveexec_b64 s[0:1], s[6:7]
	s_cbranch_execz .LBB501_29
; %bb.28:
	s_lshl_b64 s[0:1], s[12:13], 2
	s_add_u32 s0, s18, s0
	s_addc_u32 s1, s19, s1
	v_mov_b32_e32 v0, 0
	global_store_dword v0, v1, s[0:1]
.LBB501_29:
	s_endpgm
	.section	.rodata,"a",@progbits
	.p2align	6, 0x0
	.amdhsa_kernel _ZL32rocblas_gemvt_warp_reduce_kernelILb1ELi1024ElDF16_PKffEviiT3_lPKT2_lT1_lS5_lS6_lS2_lPT4_lS6_li
		.amdhsa_group_segment_fixed_size 256
		.amdhsa_private_segment_fixed_size 0
		.amdhsa_kernarg_size 140
		.amdhsa_user_sgpr_count 2
		.amdhsa_user_sgpr_dispatch_ptr 0
		.amdhsa_user_sgpr_queue_ptr 0
		.amdhsa_user_sgpr_kernarg_segment_ptr 1
		.amdhsa_user_sgpr_dispatch_id 0
		.amdhsa_user_sgpr_kernarg_preload_length 0
		.amdhsa_user_sgpr_kernarg_preload_offset 0
		.amdhsa_user_sgpr_private_segment_size 0
		.amdhsa_uses_dynamic_stack 0
		.amdhsa_enable_private_segment 0
		.amdhsa_system_sgpr_workgroup_id_x 1
		.amdhsa_system_sgpr_workgroup_id_y 0
		.amdhsa_system_sgpr_workgroup_id_z 1
		.amdhsa_system_sgpr_workgroup_info 0
		.amdhsa_system_vgpr_workitem_id 0
		.amdhsa_next_free_vgpr 11
		.amdhsa_next_free_sgpr 52
		.amdhsa_accum_offset 12
		.amdhsa_reserve_vcc 1
		.amdhsa_float_round_mode_32 0
		.amdhsa_float_round_mode_16_64 0
		.amdhsa_float_denorm_mode_32 3
		.amdhsa_float_denorm_mode_16_64 3
		.amdhsa_dx10_clamp 1
		.amdhsa_ieee_mode 1
		.amdhsa_fp16_overflow 0
		.amdhsa_tg_split 0
		.amdhsa_exception_fp_ieee_invalid_op 0
		.amdhsa_exception_fp_denorm_src 0
		.amdhsa_exception_fp_ieee_div_zero 0
		.amdhsa_exception_fp_ieee_overflow 0
		.amdhsa_exception_fp_ieee_underflow 0
		.amdhsa_exception_fp_ieee_inexact 0
		.amdhsa_exception_int_div_zero 0
	.end_amdhsa_kernel
	.section	.text._ZL32rocblas_gemvt_warp_reduce_kernelILb1ELi1024ElDF16_PKffEviiT3_lPKT2_lT1_lS5_lS6_lS2_lPT4_lS6_li,"axG",@progbits,_ZL32rocblas_gemvt_warp_reduce_kernelILb1ELi1024ElDF16_PKffEviiT3_lPKT2_lT1_lS5_lS6_lS2_lPT4_lS6_li,comdat
.Lfunc_end501:
	.size	_ZL32rocblas_gemvt_warp_reduce_kernelILb1ELi1024ElDF16_PKffEviiT3_lPKT2_lT1_lS5_lS6_lS2_lPT4_lS6_li, .Lfunc_end501-_ZL32rocblas_gemvt_warp_reduce_kernelILb1ELi1024ElDF16_PKffEviiT3_lPKT2_lT1_lS5_lS6_lS2_lPT4_lS6_li
                                        ; -- End function
	.section	.AMDGPU.csdata,"",@progbits
; Kernel info:
; codeLenInByte = 1416
; NumSgprs: 58
; NumVgprs: 11
; NumAgprs: 0
; TotalNumVgprs: 11
; ScratchSize: 0
; MemoryBound: 0
; FloatMode: 240
; IeeeMode: 1
; LDSByteSize: 256 bytes/workgroup (compile time only)
; SGPRBlocks: 7
; VGPRBlocks: 1
; NumSGPRsForWavesPerEU: 58
; NumVGPRsForWavesPerEU: 11
; AccumOffset: 12
; Occupancy: 8
; WaveLimiterHint : 0
; COMPUTE_PGM_RSRC2:SCRATCH_EN: 0
; COMPUTE_PGM_RSRC2:USER_SGPR: 2
; COMPUTE_PGM_RSRC2:TRAP_HANDLER: 0
; COMPUTE_PGM_RSRC2:TGID_X_EN: 1
; COMPUTE_PGM_RSRC2:TGID_Y_EN: 0
; COMPUTE_PGM_RSRC2:TGID_Z_EN: 1
; COMPUTE_PGM_RSRC2:TIDIG_COMP_CNT: 0
; COMPUTE_PGM_RSRC3_GFX90A:ACCUM_OFFSET: 2
; COMPUTE_PGM_RSRC3_GFX90A:TG_SPLIT: 0
	.section	.text._ZL32rocblas_gemvt_warp_reduce_kernelILb1ELi1024EiDF16_ffEviiT3_lPKT2_lT1_lS3_lS4_lS0_lPT4_lS4_li,"axG",@progbits,_ZL32rocblas_gemvt_warp_reduce_kernelILb1ELi1024EiDF16_ffEviiT3_lPKT2_lT1_lS3_lS4_lS0_lPT4_lS4_li,comdat
	.globl	_ZL32rocblas_gemvt_warp_reduce_kernelILb1ELi1024EiDF16_ffEviiT3_lPKT2_lT1_lS3_lS4_lS0_lPT4_lS4_li ; -- Begin function _ZL32rocblas_gemvt_warp_reduce_kernelILb1ELi1024EiDF16_ffEviiT3_lPKT2_lT1_lS3_lS4_lS0_lPT4_lS4_li
	.p2align	8
	.type	_ZL32rocblas_gemvt_warp_reduce_kernelILb1ELi1024EiDF16_ffEviiT3_lPKT2_lT1_lS3_lS4_lS0_lPT4_lS4_li,@function
_ZL32rocblas_gemvt_warp_reduce_kernelILb1ELi1024EiDF16_ffEviiT3_lPKT2_lT1_lS3_lS4_lS0_lPT4_lS4_li: ; @_ZL32rocblas_gemvt_warp_reduce_kernelILb1ELi1024EiDF16_ffEviiT3_lPKT2_lT1_lS3_lS4_lS0_lPT4_lS4_li
; %bb.0:
	s_load_dword s17, s[0:1], 0x8
	s_load_dword s16, s[0:1], 0x58
	s_waitcnt lgkmcnt(0)
	v_cmp_eq_f32_e64 s[4:5], s17, 0
	v_cmp_eq_f32_e64 s[6:7], s16, 1.0
	s_and_b64 s[4:5], s[4:5], s[6:7]
	s_and_b64 vcc, exec, s[4:5]
	s_cbranch_vccnz .LBB502_29
; %bb.1:
	s_load_dwordx2 s[8:9], s[0:1], 0x80
	s_load_dwordx4 s[4:7], s[0:1], 0x68
	s_load_dword s18, s[0:1], 0x78
	s_waitcnt lgkmcnt(0)
	s_mul_i32 s9, s3, s9
	s_mul_hi_u32 s10, s3, s8
	s_mul_i32 s8, s3, s8
	s_add_i32 s9, s10, s9
	s_lshl_b64 s[8:9], s[8:9], 2
	s_add_u32 s8, s4, s8
	s_addc_u32 s9, s5, s9
	s_lshl_b64 s[4:5], s[6:7], 2
	s_add_u32 s14, s8, s4
	s_addc_u32 s15, s9, s5
	v_cmp_neq_f32_e64 s[4:5], s17, 0
	s_and_b64 vcc, exec, s[4:5]
	v_cmp_eq_u32_e64 s[4:5], 0, v0
	s_cbranch_vccnz .LBB502_6
; %bb.2:
	s_mov_b64 s[10:11], 0
	s_mov_b64 s[6:7], 0
                                        ; implicit-def: $vgpr1
                                        ; implicit-def: $sgpr8_sgpr9
	s_and_saveexec_b64 s[12:13], s[4:5]
	s_cbranch_execz .LBB502_7
; %bb.3:
	v_cmp_eq_f32_e64 s[4:5], s16, 0
	s_mul_i32 s8, s2, s18
	v_mov_b32_e32 v1, 0
	s_ashr_i32 s9, s8, 31
	s_and_b64 vcc, exec, s[4:5]
	s_cbranch_vccnz .LBB502_5
; %bb.4:
	s_lshl_b64 s[4:5], s[8:9], 2
	s_add_u32 s4, s14, s4
	s_addc_u32 s5, s15, s5
	s_load_dword s4, s[4:5], 0x0
	v_mov_b32_e32 v1, s16
	s_waitcnt lgkmcnt(0)
	v_mul_f32_e32 v1, s4, v1
.LBB502_5:
	s_mov_b64 s[6:7], exec
	s_or_b64 exec, exec, s[12:13]
	s_and_b64 vcc, exec, s[10:11]
	s_cbranch_vccnz .LBB502_8
	s_branch .LBB502_27
.LBB502_6:
	s_mov_b64 s[6:7], 0
                                        ; implicit-def: $vgpr1
                                        ; implicit-def: $sgpr8_sgpr9
	s_cbranch_execnz .LBB502_8
	s_branch .LBB502_27
.LBB502_7:
	s_or_b64 exec, exec, s[12:13]
	s_and_b64 vcc, exec, s[10:11]
	s_cbranch_vccz .LBB502_27
.LBB502_8:
	s_load_dwordx2 s[12:13], s[0:1], 0x50
	s_load_dword s5, s[0:1], 0x0
	s_load_dwordx4 s[8:11], s[0:1], 0x18
	s_load_dword s4, s[0:1], 0x28
	s_load_dwordx4 s[20:23], s[0:1], 0x30
	s_load_dwordx2 s[24:25], s[0:1], 0x40
	s_load_dword s19, s[0:1], 0x48
	s_waitcnt lgkmcnt(0)
	s_mul_i32 s0, s3, s13
	s_mul_hi_u32 s1, s3, s12
	s_add_i32 s1, s1, s0
	s_mul_i32 s0, s3, s12
	s_lshl_b64 s[0:1], s[0:1], 1
	s_add_u32 s12, s22, s0
	s_addc_u32 s13, s23, s1
	s_lshl_b64 s[0:1], s[24:25], 1
	s_add_u32 s0, s12, s0
	s_addc_u32 s1, s13, s1
	s_mul_i32 s12, s3, s21
	s_mul_hi_u32 s13, s3, s20
	s_add_i32 s13, s13, s12
	s_mul_i32 s12, s3, s20
	s_lshl_b64 s[12:13], s[12:13], 1
	s_add_u32 s3, s8, s12
	s_addc_u32 s12, s9, s13
	s_lshl_b64 s[8:9], s[10:11], 1
	s_add_u32 s3, s3, s8
	s_mul_i32 s8, s2, s4
	s_addc_u32 s10, s12, s9
	s_ashr_i32 s9, s8, 31
	s_lshl_b64 s[8:9], s[8:9], 1
	s_add_u32 s8, s8, s3
	s_addc_u32 s9, s9, s10
	s_ashr_i32 s3, s5, 31
	v_cmp_gt_i32_e32 vcc, s5, v0
	s_lshr_b32 s3, s3, 22
	s_add_i32 s3, s5, s3
	v_cndmask_b32_e32 v1, 0, v0, vcc
	v_lshlrev_b32_e32 v2, 1, v1
	v_mov_b32_e32 v3, 0
	s_and_b32 s4, s3, 0xfffffc00
	v_lshl_add_u64 v[4:5], s[8:9], 0, v[2:3]
	v_cmp_gt_i32_e32 vcc, s4, v0
	s_and_saveexec_b64 s[8:9], vcc
	s_cbranch_execz .LBB502_12
; %bb.9:
	v_mul_lo_u32 v6, v0, s19
	s_lshl_b32 s3, s19, 10
	s_mov_b64 s[10:11], 0
	v_mov_b32_e32 v3, 0
	s_mov_b64 s[12:13], 0x800
	v_mov_b64_e32 v[8:9], v[4:5]
	v_mov_b32_e32 v1, v0
.LBB502_10:                             ; =>This Inner Loop Header: Depth=1
	v_ashrrev_i32_e32 v7, 31, v6
	v_lshl_add_u64 v[10:11], v[6:7], 1, s[0:1]
	global_load_ushort v2, v[8:9], off
	global_load_ushort v7, v[10:11], off
	v_add_u32_e32 v1, 0x400, v1
	v_cmp_le_i32_e32 vcc, s4, v1
	v_lshl_add_u64 v[8:9], v[8:9], 0, s[12:13]
	v_add_u32_e32 v6, s3, v6
	s_or_b64 s[10:11], vcc, s[10:11]
	s_waitcnt vmcnt(0)
	v_mul_f16_e32 v2, v2, v7
	v_cvt_f32_f16_e32 v2, v2
	v_add_f32_e32 v3, v3, v2
	s_andn2_b64 exec, exec, s[10:11]
	s_cbranch_execnz .LBB502_10
; %bb.11:
	s_or_b64 exec, exec, s[10:11]
.LBB502_12:
	s_or_b64 exec, exec, s[8:9]
	v_or_b32_e32 v1, s4, v0
	v_cmp_gt_i32_e32 vcc, s5, v1
	s_and_saveexec_b64 s[8:9], vcc
	s_cbranch_execz .LBB502_14
; %bb.13:
	s_ashr_i32 s5, s4, 31
	v_lshl_add_u64 v[4:5], s[4:5], 1, v[4:5]
	global_load_ushort v2, v[4:5], off
	v_mul_lo_u32 v4, v1, s19
	v_ashrrev_i32_e32 v5, 31, v4
	v_lshl_add_u64 v[4:5], v[4:5], 1, s[0:1]
	global_load_ushort v1, v[4:5], off
	s_waitcnt vmcnt(0)
	v_mul_f16_e32 v1, v2, v1
	v_cvt_f32_f16_e32 v1, v1
	v_add_f32_e32 v3, v3, v1
.LBB502_14:
	s_or_b64 exec, exec, s[8:9]
	v_and_b32_e32 v2, 63, v0
	v_cmp_gt_u32_e32 vcc, 64, v0
	v_lshlrev_b32_e32 v1, 2, v2
	s_and_saveexec_b64 s[0:1], vcc
	s_cbranch_execz .LBB502_16
; %bb.15:
	v_mov_b32_e32 v4, 0
	ds_write_b32 v1, v4
.LBB502_16:
	s_or_b64 exec, exec, s[0:1]
	v_mbcnt_lo_u32_b32 v4, -1, 0
	v_mbcnt_hi_u32_b32 v6, -1, v4
	v_and_b32_e32 v7, 63, v6
	v_cmp_gt_u32_e64 s[0:1], 32, v7
	s_waitcnt lgkmcnt(0)
	s_barrier
	v_cndmask_b32_e64 v4, 0, 1, s[0:1]
	v_lshlrev_b32_e32 v4, 5, v4
	v_add_lshl_u32 v4, v4, v6, 2
	ds_bpermute_b32 v4, v4, v3
	v_cmp_gt_u32_e64 s[0:1], 48, v7
	s_waitcnt lgkmcnt(0)
	v_add_f32_e32 v3, v3, v4
	v_cndmask_b32_e64 v5, 0, 1, s[0:1]
	v_lshlrev_b32_e32 v5, 4, v5
	v_add_lshl_u32 v4, v5, v6, 2
	ds_bpermute_b32 v4, v4, v3
	v_cmp_gt_u32_e64 s[0:1], 56, v7
	s_waitcnt lgkmcnt(0)
	v_add_f32_e32 v4, v3, v4
	;; [unrolled: 7-line block ×4, first 2 shown]
	v_cndmask_b32_e64 v9, 0, 1, s[0:1]
	v_lshlrev_b32_e32 v9, 1, v9
	v_add_lshl_u32 v5, v9, v6, 2
	ds_bpermute_b32 v9, v5, v8
	v_cmp_ne_u32_e64 s[0:1], 63, v7
	s_waitcnt lgkmcnt(0)
	v_add_f32_e32 v7, v8, v9
	v_addc_co_u32_e64 v6, s[0:1], 0, v6, s[0:1]
	v_lshlrev_b32_e32 v6, 2, v6
	ds_bpermute_b32 v8, v6, v7
	v_cmp_eq_u32_e64 s[0:1], 0, v2
	s_and_saveexec_b64 s[4:5], s[0:1]
	s_cbranch_execz .LBB502_18
; %bb.17:
	v_lshrrev_b32_e32 v2, 4, v0
	v_and_b32_e32 v2, 60, v2
	s_waitcnt lgkmcnt(0)
	v_add_f32_e32 v7, v7, v8
	ds_write_b32 v2, v7
.LBB502_18:
	s_or_b64 exec, exec, s[4:5]
	v_cmp_gt_u32_e64 s[0:1], 16, v0
	v_mov_b32_e32 v2, 0
	s_waitcnt lgkmcnt(0)
	s_barrier
	s_and_saveexec_b64 s[4:5], s[0:1]
	s_cbranch_execz .LBB502_20
; %bb.19:
	ds_read_b32 v2, v1
	s_or_b64 exec, exec, s[4:5]
	s_and_saveexec_b64 s[0:1], vcc
	s_cbranch_execz .LBB502_22
	s_branch .LBB502_21
.LBB502_20:
	s_or_b64 exec, exec, s[4:5]
	s_and_saveexec_b64 s[0:1], vcc
	s_cbranch_execz .LBB502_22
.LBB502_21:
	s_waitcnt lgkmcnt(0)
	ds_bpermute_b32 v1, v3, v2
	s_waitcnt lgkmcnt(0)
	v_add_f32_e32 v1, v2, v1
	ds_bpermute_b32 v2, v4, v1
	s_waitcnt lgkmcnt(0)
	v_add_f32_e32 v1, v1, v2
	;; [unrolled: 3-line block ×4, first 2 shown]
.LBB502_22:
	s_or_b64 exec, exec, s[0:1]
	v_cmp_eq_u32_e32 vcc, 0, v0
                                        ; implicit-def: $vgpr1
                                        ; implicit-def: $sgpr8_sgpr9
	s_and_saveexec_b64 s[0:1], vcc
	s_cbranch_execz .LBB502_26
; %bb.23:
	v_cmp_eq_f32_e64 s[4:5], s16, 0
	s_mul_i32 s8, s2, s18
	s_waitcnt lgkmcnt(0)
	v_mul_f32_e32 v1, s17, v2
	s_ashr_i32 s9, s8, 31
	s_and_b64 vcc, exec, s[4:5]
	s_cbranch_vccnz .LBB502_25
; %bb.24:
	s_lshl_b64 s[2:3], s[8:9], 2
	s_add_u32 s2, s14, s2
	s_addc_u32 s3, s15, s3
	s_load_dword s2, s[2:3], 0x0
	v_mov_b32_e32 v0, s16
	s_waitcnt lgkmcnt(0)
	v_fmac_f32_e32 v1, s2, v0
.LBB502_25:
	s_or_b64 s[6:7], s[6:7], exec
.LBB502_26:
	s_or_b64 exec, exec, s[0:1]
.LBB502_27:
	s_and_saveexec_b64 s[0:1], s[6:7]
	s_cbranch_execz .LBB502_29
; %bb.28:
	s_lshl_b64 s[0:1], s[8:9], 2
	s_add_u32 s0, s14, s0
	s_addc_u32 s1, s15, s1
	v_mov_b32_e32 v0, 0
	global_store_dword v0, v1, s[0:1]
.LBB502_29:
	s_endpgm
	.section	.rodata,"a",@progbits
	.p2align	6, 0x0
	.amdhsa_kernel _ZL32rocblas_gemvt_warp_reduce_kernelILb1ELi1024EiDF16_ffEviiT3_lPKT2_lT1_lS3_lS4_lS0_lPT4_lS4_li
		.amdhsa_group_segment_fixed_size 256
		.amdhsa_private_segment_fixed_size 0
		.amdhsa_kernarg_size 140
		.amdhsa_user_sgpr_count 2
		.amdhsa_user_sgpr_dispatch_ptr 0
		.amdhsa_user_sgpr_queue_ptr 0
		.amdhsa_user_sgpr_kernarg_segment_ptr 1
		.amdhsa_user_sgpr_dispatch_id 0
		.amdhsa_user_sgpr_kernarg_preload_length 0
		.amdhsa_user_sgpr_kernarg_preload_offset 0
		.amdhsa_user_sgpr_private_segment_size 0
		.amdhsa_uses_dynamic_stack 0
		.amdhsa_enable_private_segment 0
		.amdhsa_system_sgpr_workgroup_id_x 1
		.amdhsa_system_sgpr_workgroup_id_y 0
		.amdhsa_system_sgpr_workgroup_id_z 1
		.amdhsa_system_sgpr_workgroup_info 0
		.amdhsa_system_vgpr_workitem_id 0
		.amdhsa_next_free_vgpr 12
		.amdhsa_next_free_sgpr 26
		.amdhsa_accum_offset 12
		.amdhsa_reserve_vcc 1
		.amdhsa_float_round_mode_32 0
		.amdhsa_float_round_mode_16_64 0
		.amdhsa_float_denorm_mode_32 3
		.amdhsa_float_denorm_mode_16_64 3
		.amdhsa_dx10_clamp 1
		.amdhsa_ieee_mode 1
		.amdhsa_fp16_overflow 0
		.amdhsa_tg_split 0
		.amdhsa_exception_fp_ieee_invalid_op 0
		.amdhsa_exception_fp_denorm_src 0
		.amdhsa_exception_fp_ieee_div_zero 0
		.amdhsa_exception_fp_ieee_overflow 0
		.amdhsa_exception_fp_ieee_underflow 0
		.amdhsa_exception_fp_ieee_inexact 0
		.amdhsa_exception_int_div_zero 0
	.end_amdhsa_kernel
	.section	.text._ZL32rocblas_gemvt_warp_reduce_kernelILb1ELi1024EiDF16_ffEviiT3_lPKT2_lT1_lS3_lS4_lS0_lPT4_lS4_li,"axG",@progbits,_ZL32rocblas_gemvt_warp_reduce_kernelILb1ELi1024EiDF16_ffEviiT3_lPKT2_lT1_lS3_lS4_lS0_lPT4_lS4_li,comdat
.Lfunc_end502:
	.size	_ZL32rocblas_gemvt_warp_reduce_kernelILb1ELi1024EiDF16_ffEviiT3_lPKT2_lT1_lS3_lS4_lS0_lPT4_lS4_li, .Lfunc_end502-_ZL32rocblas_gemvt_warp_reduce_kernelILb1ELi1024EiDF16_ffEviiT3_lPKT2_lT1_lS3_lS4_lS0_lPT4_lS4_li
                                        ; -- End function
	.section	.AMDGPU.csdata,"",@progbits
; Kernel info:
; codeLenInByte = 1296
; NumSgprs: 32
; NumVgprs: 12
; NumAgprs: 0
; TotalNumVgprs: 12
; ScratchSize: 0
; MemoryBound: 0
; FloatMode: 240
; IeeeMode: 1
; LDSByteSize: 256 bytes/workgroup (compile time only)
; SGPRBlocks: 3
; VGPRBlocks: 1
; NumSGPRsForWavesPerEU: 32
; NumVGPRsForWavesPerEU: 12
; AccumOffset: 12
; Occupancy: 8
; WaveLimiterHint : 1
; COMPUTE_PGM_RSRC2:SCRATCH_EN: 0
; COMPUTE_PGM_RSRC2:USER_SGPR: 2
; COMPUTE_PGM_RSRC2:TRAP_HANDLER: 0
; COMPUTE_PGM_RSRC2:TGID_X_EN: 1
; COMPUTE_PGM_RSRC2:TGID_Y_EN: 0
; COMPUTE_PGM_RSRC2:TGID_Z_EN: 1
; COMPUTE_PGM_RSRC2:TIDIG_COMP_CNT: 0
; COMPUTE_PGM_RSRC3_GFX90A:ACCUM_OFFSET: 2
; COMPUTE_PGM_RSRC3_GFX90A:TG_SPLIT: 0
	.section	.text._ZL32rocblas_gemvt_warp_reduce_kernelILb1ELi1024ElDF16_ffEviiT3_lPKT2_lT1_lS3_lS4_lS0_lPT4_lS4_li,"axG",@progbits,_ZL32rocblas_gemvt_warp_reduce_kernelILb1ELi1024ElDF16_ffEviiT3_lPKT2_lT1_lS3_lS4_lS0_lPT4_lS4_li,comdat
	.globl	_ZL32rocblas_gemvt_warp_reduce_kernelILb1ELi1024ElDF16_ffEviiT3_lPKT2_lT1_lS3_lS4_lS0_lPT4_lS4_li ; -- Begin function _ZL32rocblas_gemvt_warp_reduce_kernelILb1ELi1024ElDF16_ffEviiT3_lPKT2_lT1_lS3_lS4_lS0_lPT4_lS4_li
	.p2align	8
	.type	_ZL32rocblas_gemvt_warp_reduce_kernelILb1ELi1024ElDF16_ffEviiT3_lPKT2_lT1_lS3_lS4_lS0_lPT4_lS4_li,@function
_ZL32rocblas_gemvt_warp_reduce_kernelILb1ELi1024ElDF16_ffEviiT3_lPKT2_lT1_lS3_lS4_lS0_lPT4_lS4_li: ; @_ZL32rocblas_gemvt_warp_reduce_kernelILb1ELi1024ElDF16_ffEviiT3_lPKT2_lT1_lS3_lS4_lS0_lPT4_lS4_li
; %bb.0:
	s_load_dword s27, s[0:1], 0x8
	s_load_dword s26, s[0:1], 0x58
	s_waitcnt lgkmcnt(0)
	v_cmp_eq_f32_e64 s[4:5], s27, 0
	v_cmp_eq_f32_e64 s[6:7], s26, 1.0
	s_and_b64 s[4:5], s[4:5], s[6:7]
	s_and_b64 vcc, exec, s[4:5]
	s_cbranch_vccnz .LBB503_29
; %bb.1:
	s_load_dwordx8 s[16:23], s[0:1], 0x68
	v_cmp_neq_f32_e64 s[4:5], s27, 0
	s_waitcnt lgkmcnt(0)
	s_mul_i32 s7, s3, s23
	s_mul_hi_u32 s8, s3, s22
	s_mul_i32 s6, s3, s22
	s_add_i32 s7, s8, s7
	s_lshl_b64 s[6:7], s[6:7], 2
	s_add_u32 s8, s16, s6
	s_addc_u32 s9, s17, s7
	s_lshl_b64 s[6:7], s[18:19], 2
	s_add_u32 s24, s8, s6
	s_addc_u32 s25, s9, s7
	s_and_b64 vcc, exec, s[4:5]
	v_cmp_eq_u32_e64 s[4:5], 0, v0
	s_cbranch_vccnz .LBB503_6
; %bb.2:
	s_mov_b64 s[8:9], 0
	s_mov_b64 s[22:23], 0
                                        ; implicit-def: $vgpr1
                                        ; implicit-def: $sgpr6_sgpr7
	s_and_saveexec_b64 s[10:11], s[4:5]
	s_cbranch_execz .LBB503_7
; %bb.3:
	s_ashr_i32 s6, s2, 31
	s_mul_i32 s7, s2, s21
	s_mul_hi_u32 s12, s2, s20
	v_cmp_eq_f32_e64 s[4:5], s26, 0
	s_add_i32 s7, s12, s7
	s_mul_i32 s6, s6, s20
	v_mov_b32_e32 v1, 0
	s_add_i32 s7, s7, s6
	s_mul_i32 s6, s2, s20
	s_and_b64 vcc, exec, s[4:5]
	s_cbranch_vccnz .LBB503_5
; %bb.4:
	s_lshl_b64 s[4:5], s[6:7], 2
	s_add_u32 s4, s24, s4
	s_addc_u32 s5, s25, s5
	s_load_dword s4, s[4:5], 0x0
	v_mov_b32_e32 v1, s26
	s_waitcnt lgkmcnt(0)
	v_mul_f32_e32 v1, s4, v1
.LBB503_5:
	s_mov_b64 s[22:23], exec
	s_or_b64 exec, exec, s[10:11]
	s_and_b64 vcc, exec, s[8:9]
	s_cbranch_vccnz .LBB503_8
	s_branch .LBB503_27
.LBB503_6:
	s_mov_b64 s[22:23], 0
                                        ; implicit-def: $vgpr1
                                        ; implicit-def: $sgpr6_sgpr7
	s_cbranch_execnz .LBB503_8
	s_branch .LBB503_27
.LBB503_7:
	s_or_b64 exec, exec, s[10:11]
	s_and_b64 vcc, exec, s[8:9]
	s_cbranch_vccz .LBB503_27
.LBB503_8:
	s_load_dwordx16 s[4:19], s[0:1], 0x18
	s_load_dword s28, s[0:1], 0x0
	v_mov_b32_e32 v3, 0
	s_waitcnt lgkmcnt(0)
	s_mul_i32 s1, s3, s19
	s_mul_hi_u32 s19, s3, s18
	s_mul_i32 s0, s3, s18
	s_mul_i32 s11, s3, s11
	s_mul_hi_u32 s18, s3, s10
	s_add_i32 s11, s18, s11
	s_mul_i32 s10, s3, s10
	s_add_i32 s1, s19, s1
	s_lshl_b64 s[10:11], s[10:11], 1
	s_add_u32 s3, s4, s10
	s_addc_u32 s10, s5, s11
	s_lshl_b64 s[4:5], s[6:7], 1
	s_add_u32 s6, s3, s4
	s_addc_u32 s7, s10, s5
	s_ashr_i32 s3, s2, 31
	s_mul_i32 s4, s2, s9
	s_mul_hi_u32 s5, s2, s8
	s_add_i32 s4, s5, s4
	s_mul_i32 s5, s3, s8
	s_add_i32 s5, s4, s5
	s_mul_i32 s4, s2, s8
	v_cmp_gt_i32_e32 vcc, s28, v0
	s_lshl_b64 s[4:5], s[4:5], 1
	s_add_u32 s4, s4, s6
	v_cndmask_b32_e32 v1, 0, v0, vcc
	v_lshlrev_b32_e32 v2, 1, v1
	s_addc_u32 s5, s5, s7
	v_lshl_add_u64 v[4:5], s[4:5], 0, v[2:3]
	s_ashr_i32 s4, s28, 31
	s_lshr_b32 s4, s4, 22
	s_add_i32 s4, s28, s4
	s_and_b32 s4, s4, 0xfffffc00
	v_cmp_gt_i32_e32 vcc, s4, v0
	s_and_saveexec_b64 s[6:7], vcc
	s_cbranch_execz .LBB503_12
; %bb.9:
	v_mad_u64_u32 v[2:3], s[10:11], s16, v0, 0
	v_mov_b32_e32 v6, v3
	v_mad_u64_u32 v[6:7], s[10:11], s17, v0, v[6:7]
	s_lshl_b64 s[8:9], s[0:1], 1
	s_lshl_b64 s[10:11], s[14:15], 1
	s_add_u32 s5, s12, s10
	s_addc_u32 s10, s13, s11
	s_add_u32 s8, s5, s8
	v_mov_b32_e32 v3, v6
	s_addc_u32 s9, s10, s9
	v_lshl_add_u64 v[6:7], v[2:3], 1, s[8:9]
	s_lshl_b64 s[10:11], s[16:17], 11
	s_mov_b64 s[8:9], 0
	v_mov_b32_e32 v3, 0
	s_mov_b64 s[18:19], 0x800
	v_mov_b64_e32 v[8:9], v[4:5]
	v_mov_b32_e32 v1, v0
.LBB503_10:                             ; =>This Inner Loop Header: Depth=1
	global_load_ushort v2, v[8:9], off
	global_load_ushort v10, v[6:7], off
	v_add_u32_e32 v1, 0x400, v1
	v_cmp_le_i32_e32 vcc, s4, v1
	v_lshl_add_u64 v[8:9], v[8:9], 0, s[18:19]
	v_lshl_add_u64 v[6:7], v[6:7], 0, s[10:11]
	s_or_b64 s[8:9], vcc, s[8:9]
	s_waitcnt vmcnt(0)
	v_mul_f16_e32 v2, v2, v10
	v_cvt_f32_f16_e32 v2, v2
	v_add_f32_e32 v3, v3, v2
	s_andn2_b64 exec, exec, s[8:9]
	s_cbranch_execnz .LBB503_10
; %bb.11:
	s_or_b64 exec, exec, s[8:9]
.LBB503_12:
	s_or_b64 exec, exec, s[6:7]
	v_or_b32_e32 v1, s4, v0
	v_cmp_gt_i32_e32 vcc, s28, v1
	s_and_saveexec_b64 s[6:7], vcc
	s_cbranch_execz .LBB503_14
; %bb.13:
	s_lshl_b64 s[0:1], s[0:1], 1
	s_add_u32 s5, s12, s0
	s_addc_u32 s8, s13, s1
	s_lshl_b64 s[0:1], s[14:15], 1
	s_add_u32 s0, s5, s0
	s_addc_u32 s1, s8, s1
	s_ashr_i32 s5, s4, 31
	v_lshl_add_u64 v[4:5], s[4:5], 1, v[4:5]
	global_load_ushort v2, v[4:5], off
	v_ashrrev_i32_e32 v4, 31, v1
	v_mul_lo_u32 v6, v1, s17
	v_mul_lo_u32 v7, v4, s16
	v_mad_u64_u32 v[4:5], s[4:5], v1, s16, 0
	v_add3_u32 v5, v5, v6, v7
	v_lshl_add_u64 v[4:5], v[4:5], 1, s[0:1]
	global_load_ushort v1, v[4:5], off
	s_waitcnt vmcnt(0)
	v_mul_f16_e32 v1, v2, v1
	v_cvt_f32_f16_e32 v1, v1
	v_add_f32_e32 v3, v3, v1
.LBB503_14:
	s_or_b64 exec, exec, s[6:7]
	v_and_b32_e32 v2, 63, v0
	v_cmp_gt_u32_e32 vcc, 64, v0
	v_lshlrev_b32_e32 v1, 2, v2
	s_and_saveexec_b64 s[0:1], vcc
	s_cbranch_execz .LBB503_16
; %bb.15:
	v_mov_b32_e32 v4, 0
	ds_write_b32 v1, v4
.LBB503_16:
	s_or_b64 exec, exec, s[0:1]
	v_mbcnt_lo_u32_b32 v4, -1, 0
	v_mbcnt_hi_u32_b32 v6, -1, v4
	v_and_b32_e32 v7, 63, v6
	v_cmp_gt_u32_e64 s[0:1], 32, v7
	s_waitcnt lgkmcnt(0)
	s_barrier
	v_cndmask_b32_e64 v4, 0, 1, s[0:1]
	v_lshlrev_b32_e32 v4, 5, v4
	v_add_lshl_u32 v4, v4, v6, 2
	ds_bpermute_b32 v4, v4, v3
	v_cmp_gt_u32_e64 s[0:1], 48, v7
	s_waitcnt lgkmcnt(0)
	v_add_f32_e32 v3, v3, v4
	v_cndmask_b32_e64 v5, 0, 1, s[0:1]
	v_lshlrev_b32_e32 v5, 4, v5
	v_add_lshl_u32 v4, v5, v6, 2
	ds_bpermute_b32 v4, v4, v3
	v_cmp_gt_u32_e64 s[0:1], 56, v7
	s_waitcnt lgkmcnt(0)
	v_add_f32_e32 v4, v3, v4
	;; [unrolled: 7-line block ×4, first 2 shown]
	v_cndmask_b32_e64 v9, 0, 1, s[0:1]
	v_lshlrev_b32_e32 v9, 1, v9
	v_add_lshl_u32 v5, v9, v6, 2
	ds_bpermute_b32 v9, v5, v8
	v_cmp_ne_u32_e64 s[0:1], 63, v7
	s_waitcnt lgkmcnt(0)
	v_add_f32_e32 v7, v8, v9
	v_addc_co_u32_e64 v6, s[0:1], 0, v6, s[0:1]
	v_lshlrev_b32_e32 v6, 2, v6
	ds_bpermute_b32 v8, v6, v7
	v_cmp_eq_u32_e64 s[0:1], 0, v2
	s_and_saveexec_b64 s[4:5], s[0:1]
	s_cbranch_execz .LBB503_18
; %bb.17:
	v_lshrrev_b32_e32 v2, 4, v0
	v_and_b32_e32 v2, 60, v2
	s_waitcnt lgkmcnt(0)
	v_add_f32_e32 v7, v7, v8
	ds_write_b32 v2, v7
.LBB503_18:
	s_or_b64 exec, exec, s[4:5]
	v_cmp_gt_u32_e64 s[0:1], 16, v0
	v_mov_b32_e32 v2, 0
	s_waitcnt lgkmcnt(0)
	s_barrier
	s_and_saveexec_b64 s[4:5], s[0:1]
	s_cbranch_execz .LBB503_20
; %bb.19:
	ds_read_b32 v2, v1
	s_or_b64 exec, exec, s[4:5]
	s_and_saveexec_b64 s[0:1], vcc
	s_cbranch_execz .LBB503_22
	s_branch .LBB503_21
.LBB503_20:
	s_or_b64 exec, exec, s[4:5]
	s_and_saveexec_b64 s[0:1], vcc
	s_cbranch_execz .LBB503_22
.LBB503_21:
	s_waitcnt lgkmcnt(0)
	ds_bpermute_b32 v1, v3, v2
	s_waitcnt lgkmcnt(0)
	v_add_f32_e32 v1, v2, v1
	ds_bpermute_b32 v2, v4, v1
	s_waitcnt lgkmcnt(0)
	v_add_f32_e32 v1, v1, v2
	;; [unrolled: 3-line block ×4, first 2 shown]
.LBB503_22:
	s_or_b64 exec, exec, s[0:1]
	v_cmp_eq_u32_e32 vcc, 0, v0
                                        ; implicit-def: $vgpr1
                                        ; implicit-def: $sgpr6_sgpr7
	s_and_saveexec_b64 s[0:1], vcc
	s_cbranch_execz .LBB503_26
; %bb.23:
	s_mul_i32 s6, s2, s21
	s_mul_hi_u32 s7, s2, s20
	v_cmp_eq_f32_e64 s[4:5], s26, 0
	s_add_i32 s6, s7, s6
	s_mul_i32 s3, s3, s20
	s_waitcnt lgkmcnt(0)
	v_mul_f32_e32 v1, s27, v2
	s_add_i32 s7, s6, s3
	s_mul_i32 s6, s2, s20
	s_and_b64 vcc, exec, s[4:5]
	s_cbranch_vccnz .LBB503_25
; %bb.24:
	s_lshl_b64 s[2:3], s[6:7], 2
	s_add_u32 s2, s24, s2
	s_addc_u32 s3, s25, s3
	s_load_dword s2, s[2:3], 0x0
	v_mov_b32_e32 v0, s26
	s_waitcnt lgkmcnt(0)
	v_fmac_f32_e32 v1, s2, v0
.LBB503_25:
	s_or_b64 s[22:23], s[22:23], exec
.LBB503_26:
	s_or_b64 exec, exec, s[0:1]
.LBB503_27:
	s_and_saveexec_b64 s[0:1], s[22:23]
	s_cbranch_execz .LBB503_29
; %bb.28:
	s_lshl_b64 s[0:1], s[6:7], 2
	s_add_u32 s0, s24, s0
	s_addc_u32 s1, s25, s1
	v_mov_b32_e32 v0, 0
	global_store_dword v0, v1, s[0:1]
.LBB503_29:
	s_endpgm
	.section	.rodata,"a",@progbits
	.p2align	6, 0x0
	.amdhsa_kernel _ZL32rocblas_gemvt_warp_reduce_kernelILb1ELi1024ElDF16_ffEviiT3_lPKT2_lT1_lS3_lS4_lS0_lPT4_lS4_li
		.amdhsa_group_segment_fixed_size 256
		.amdhsa_private_segment_fixed_size 0
		.amdhsa_kernarg_size 140
		.amdhsa_user_sgpr_count 2
		.amdhsa_user_sgpr_dispatch_ptr 0
		.amdhsa_user_sgpr_queue_ptr 0
		.amdhsa_user_sgpr_kernarg_segment_ptr 1
		.amdhsa_user_sgpr_dispatch_id 0
		.amdhsa_user_sgpr_kernarg_preload_length 0
		.amdhsa_user_sgpr_kernarg_preload_offset 0
		.amdhsa_user_sgpr_private_segment_size 0
		.amdhsa_uses_dynamic_stack 0
		.amdhsa_enable_private_segment 0
		.amdhsa_system_sgpr_workgroup_id_x 1
		.amdhsa_system_sgpr_workgroup_id_y 0
		.amdhsa_system_sgpr_workgroup_id_z 1
		.amdhsa_system_sgpr_workgroup_info 0
		.amdhsa_system_vgpr_workitem_id 0
		.amdhsa_next_free_vgpr 11
		.amdhsa_next_free_sgpr 29
		.amdhsa_accum_offset 12
		.amdhsa_reserve_vcc 1
		.amdhsa_float_round_mode_32 0
		.amdhsa_float_round_mode_16_64 0
		.amdhsa_float_denorm_mode_32 3
		.amdhsa_float_denorm_mode_16_64 3
		.amdhsa_dx10_clamp 1
		.amdhsa_ieee_mode 1
		.amdhsa_fp16_overflow 0
		.amdhsa_tg_split 0
		.amdhsa_exception_fp_ieee_invalid_op 0
		.amdhsa_exception_fp_denorm_src 0
		.amdhsa_exception_fp_ieee_div_zero 0
		.amdhsa_exception_fp_ieee_overflow 0
		.amdhsa_exception_fp_ieee_underflow 0
		.amdhsa_exception_fp_ieee_inexact 0
		.amdhsa_exception_int_div_zero 0
	.end_amdhsa_kernel
	.section	.text._ZL32rocblas_gemvt_warp_reduce_kernelILb1ELi1024ElDF16_ffEviiT3_lPKT2_lT1_lS3_lS4_lS0_lPT4_lS4_li,"axG",@progbits,_ZL32rocblas_gemvt_warp_reduce_kernelILb1ELi1024ElDF16_ffEviiT3_lPKT2_lT1_lS3_lS4_lS0_lPT4_lS4_li,comdat
.Lfunc_end503:
	.size	_ZL32rocblas_gemvt_warp_reduce_kernelILb1ELi1024ElDF16_ffEviiT3_lPKT2_lT1_lS3_lS4_lS0_lPT4_lS4_li, .Lfunc_end503-_ZL32rocblas_gemvt_warp_reduce_kernelILb1ELi1024ElDF16_ffEviiT3_lPKT2_lT1_lS3_lS4_lS0_lPT4_lS4_li
                                        ; -- End function
	.section	.AMDGPU.csdata,"",@progbits
; Kernel info:
; codeLenInByte = 1360
; NumSgprs: 35
; NumVgprs: 11
; NumAgprs: 0
; TotalNumVgprs: 11
; ScratchSize: 0
; MemoryBound: 0
; FloatMode: 240
; IeeeMode: 1
; LDSByteSize: 256 bytes/workgroup (compile time only)
; SGPRBlocks: 4
; VGPRBlocks: 1
; NumSGPRsForWavesPerEU: 35
; NumVGPRsForWavesPerEU: 11
; AccumOffset: 12
; Occupancy: 8
; WaveLimiterHint : 1
; COMPUTE_PGM_RSRC2:SCRATCH_EN: 0
; COMPUTE_PGM_RSRC2:USER_SGPR: 2
; COMPUTE_PGM_RSRC2:TRAP_HANDLER: 0
; COMPUTE_PGM_RSRC2:TGID_X_EN: 1
; COMPUTE_PGM_RSRC2:TGID_Y_EN: 0
; COMPUTE_PGM_RSRC2:TGID_Z_EN: 1
; COMPUTE_PGM_RSRC2:TIDIG_COMP_CNT: 0
; COMPUTE_PGM_RSRC3_GFX90A:ACCUM_OFFSET: 2
; COMPUTE_PGM_RSRC3_GFX90A:TG_SPLIT: 0
	.section	.text._ZL34rocblas_gemvn_sm_mn_batched_kernelILi32ELi24EPKDF16_PKfKPfEviiT2_lPKT1_lilS9_lilS6_lPT3_lili,"axG",@progbits,_ZL34rocblas_gemvn_sm_mn_batched_kernelILi32ELi24EPKDF16_PKfKPfEviiT2_lPKT1_lilS9_lilS6_lPT3_lili,comdat
	.globl	_ZL34rocblas_gemvn_sm_mn_batched_kernelILi32ELi24EPKDF16_PKfKPfEviiT2_lPKT1_lilS9_lilS6_lPT3_lili ; -- Begin function _ZL34rocblas_gemvn_sm_mn_batched_kernelILi32ELi24EPKDF16_PKfKPfEviiT2_lPKT1_lilS9_lilS6_lPT3_lili
	.p2align	8
	.type	_ZL34rocblas_gemvn_sm_mn_batched_kernelILi32ELi24EPKDF16_PKfKPfEviiT2_lPKT1_lilS9_lilS6_lPT3_lili,@function
_ZL34rocblas_gemvn_sm_mn_batched_kernelILi32ELi24EPKDF16_PKfKPfEviiT2_lPKT1_lilS9_lilS6_lPT3_lili: ; @_ZL34rocblas_gemvn_sm_mn_batched_kernelILi32ELi24EPKDF16_PKfKPfEviiT2_lPKT1_lilS9_lilS6_lPT3_lili
; %bb.0:
	s_load_dword s3, s[0:1], 0x9c
	s_load_dword s4, s[0:1], 0x88
	v_bfe_u32 v1, v0, 10, 10
	s_waitcnt lgkmcnt(0)
	s_lshr_b32 s3, s3, 16
	s_mul_i32 s2, s2, s3
	v_add_u32_e32 v2, s2, v1
	v_cmp_gt_i32_e32 vcc, s4, v2
	s_and_saveexec_b64 s[2:3], vcc
	s_cbranch_execz .LBB504_121
; %bb.1:
	s_load_dwordx8 s[12:19], s[0:1], 0x8
	s_load_dwordx8 s[4:11], s[0:1], 0x58
	s_waitcnt lgkmcnt(0)
	v_mad_u64_u32 v[8:9], s[2:3], v2, s14, 0
	v_mov_b32_e32 v10, v9
	v_mad_u64_u32 v[10:11], s[2:3], v2, s15, v[10:11]
	v_mov_b32_e32 v4, s12
	v_mov_b32_e32 v5, s13
	;; [unrolled: 1-line block ×3, first 2 shown]
	v_lshl_add_u64 v[4:5], v[8:9], 2, v[4:5]
	global_load_dword v11, v[4:5], off
	v_mad_u64_u32 v[4:5], s[2:3], v2, s6, 0
	v_mov_b32_e32 v8, v5
	v_mad_u64_u32 v[8:9], s[2:3], v2, s7, v[8:9]
	v_mov_b32_e32 v6, s4
	v_mov_b32_e32 v7, s5
	;; [unrolled: 1-line block ×3, first 2 shown]
	v_lshl_add_u64 v[4:5], v[4:5], 2, v[6:7]
	global_load_dword v10, v[4:5], off
	s_waitcnt vmcnt(1)
	v_cmp_neq_f32_e32 vcc, 0, v11
	s_waitcnt vmcnt(0)
	v_cmp_neq_f32_e64 s[2:3], 1.0, v10
	s_or_b64 s[2:3], vcc, s[2:3]
	s_and_b64 exec, exec, s[2:3]
	s_cbranch_execz .LBB504_121
; %bb.2:
	v_mov_b64_e32 v[6:7], 0
	v_mov_b32_e32 v3, 0
	v_cmp_eq_f32_e32 vcc, 0, v11
	v_cmp_neq_f32_e64 s[2:3], 0, v11
	v_mov_b64_e32 v[4:5], v[6:7]
	s_and_saveexec_b64 s[4:5], s[2:3]
	s_cbranch_execz .LBB504_4
; %bb.3:
	v_mov_b32_e32 v4, s16
	v_mov_b32_e32 v5, s17
	v_lshl_add_u64 v[4:5], v[2:3], 3, v[4:5]
	global_load_dwordx2 v[4:5], v[4:5], off
	s_waitcnt vmcnt(0)
	v_lshl_add_u64 v[4:5], s[18:19], 1, v[4:5]
.LBB504_4:
	s_or_b64 exec, exec, s[4:5]
	s_and_saveexec_b64 s[4:5], s[2:3]
	s_cbranch_execz .LBB504_6
; %bb.5:
	s_load_dwordx4 s[12:15], s[0:1], 0x38
	s_waitcnt lgkmcnt(0)
	v_mov_b32_e32 v6, s12
	v_mov_b32_e32 v7, s13
	v_lshl_add_u64 v[6:7], v[2:3], 3, v[6:7]
	global_load_dwordx2 v[6:7], v[6:7], off
	s_waitcnt vmcnt(0)
	v_lshl_add_u64 v[6:7], s[14:15], 1, v[6:7]
.LBB504_6:
	s_or_b64 exec, exec, s[4:5]
	v_mov_b32_e32 v8, s8
	v_mov_b32_e32 v9, s9
	v_lshl_add_u64 v[2:3], v[2:3], 3, v[8:9]
	global_load_dwordx2 v[2:3], v[2:3], off
	s_load_dwordx2 s[4:5], s[0:1], 0x0
	s_load_dword s33, s[0:1], 0x78
	v_and_b32_e32 v8, 0x3ff, v0
	s_waitcnt vmcnt(0)
	v_lshl_add_u64 v[2:3], s[10:11], 2, v[2:3]
	s_and_saveexec_b64 s[2:3], vcc
	s_xor_b64 s[6:7], exec, s[2:3]
	s_cbranch_execz .LBB504_16
; %bb.7:
	v_cmp_eq_f32_e64 s[2:3], 0, v10
	s_waitcnt lgkmcnt(0)
	v_cmp_gt_i32_e32 vcc, s4, v8
	s_and_saveexec_b64 s[8:9], s[2:3]
	s_xor_b64 s[2:3], exec, s[8:9]
	s_cbranch_execz .LBB504_11
; %bb.8:
	s_and_saveexec_b64 s[8:9], vcc
	s_cbranch_execz .LBB504_10
; %bb.9:
	v_mad_i64_i32 v[0:1], s[10:11], s33, v8, 0
	v_lshl_add_u64 v[0:1], v[0:1], 2, v[2:3]
	v_mov_b32_e32 v2, 0
	global_store_dword v[0:1], v2, off
.LBB504_10:
	s_or_b64 exec, exec, s[8:9]
                                        ; implicit-def: $vgpr8
                                        ; implicit-def: $vgpr2_vgpr3
                                        ; implicit-def: $vgpr10
.LBB504_11:
	s_andn2_saveexec_b64 s[2:3], s[2:3]
	s_cbranch_execz .LBB504_15
; %bb.12:
	s_and_saveexec_b64 s[8:9], vcc
	s_cbranch_execz .LBB504_14
; %bb.13:
	v_mad_i64_i32 v[0:1], s[10:11], s33, v8, 0
	v_lshl_add_u64 v[0:1], v[0:1], 2, v[2:3]
	global_load_dword v2, v[0:1], off
	s_waitcnt vmcnt(0)
	v_mul_f32_e32 v2, v10, v2
	global_store_dword v[0:1], v2, off
.LBB504_14:
	s_or_b64 exec, exec, s[8:9]
.LBB504_15:
	s_or_b64 exec, exec, s[2:3]
                                        ; implicit-def: $vgpr8
                                        ; implicit-def: $vgpr2_vgpr3
                                        ; implicit-def: $vgpr1
                                        ; implicit-def: $vgpr6_vgpr7
                                        ; implicit-def: $vgpr11
                                        ; implicit-def: $vgpr4_vgpr5
                                        ; implicit-def: $vgpr10
.LBB504_16:
	s_andn2_saveexec_b64 s[2:3], s[6:7]
	s_cbranch_execz .LBB504_121
; %bb.17:
	v_lshlrev_b32_e32 v9, 7, v1
	s_waitcnt lgkmcnt(0)
	v_cmp_gt_i32_e32 vcc, s5, v8
	s_and_saveexec_b64 s[2:3], vcc
	s_cbranch_execz .LBB504_19
; %bb.18:
	s_load_dword s6, s[0:1], 0x48
	s_waitcnt lgkmcnt(0)
	v_mad_i64_i32 v[0:1], s[6:7], s6, v8, 0
	v_lshl_add_u64 v[0:1], v[0:1], 1, v[6:7]
	flat_load_ushort v0, v[0:1]
	v_lshl_add_u32 v1, v8, 2, v9
	s_waitcnt vmcnt(0) lgkmcnt(0)
	v_cvt_f32_f16_e32 v0, v0
	v_mul_f32_e32 v0, v11, v0
	ds_write_b32 v1, v0
.LBB504_19:
	s_or_b64 exec, exec, s[2:3]
	v_cmp_gt_i32_e32 vcc, s4, v8
	s_waitcnt lgkmcnt(0)
	s_barrier
	s_and_saveexec_b64 s[2:3], vcc
	s_cbranch_execz .LBB504_121
; %bb.20:
	v_cmp_neq_f32_e32 vcc, 0, v10
	v_mov_b32_e32 v1, 0
	v_mov_b32_e32 v6, 0
	s_and_saveexec_b64 s[2:3], vcc
	s_cbranch_execz .LBB504_22
; %bb.21:
	v_mad_i64_i32 v[6:7], s[6:7], s33, v8, 0
	v_lshl_add_u64 v[6:7], v[6:7], 2, v[2:3]
	global_load_dword v0, v[6:7], off
	s_waitcnt vmcnt(0)
	v_mul_f32_e32 v6, v10, v0
.LBB504_22:
	s_or_b64 exec, exec, s[2:3]
	v_lshlrev_b32_e32 v0, 1, v8
	s_cmp_gt_i32 s5, 0
	s_cselect_b64 s[2:3], -1, 0
	s_cmp_lt_i32 s5, 1
	v_lshl_add_u64 v[4:5], v[4:5], 0, v[0:1]
	s_cbranch_scc1 .LBB504_24
; %bb.23:
	flat_load_ushort v0, v[4:5]
	s_waitcnt vmcnt(0) lgkmcnt(0)
	v_cvt_f32_f16_e32 v1, v0
.LBB504_24:
	s_load_dword s36, s[0:1], 0x28
	v_mov_b32_e32 v0, 0
	v_mov_b32_e32 v15, 0
	s_waitcnt lgkmcnt(0)
	s_ashr_i32 s37, s36, 31
	s_cmp_gt_i32 s5, 1
	s_cselect_b64 s[0:1], -1, 0
	s_cmp_lt_i32 s5, 2
	s_cbranch_scc1 .LBB504_26
; %bb.25:
	v_lshl_add_u64 v[10:11], s[36:37], 1, v[4:5]
	flat_load_ushort v7, v[10:11]
	s_waitcnt vmcnt(0) lgkmcnt(0)
	v_cvt_f32_f16_e32 v15, v7
.LBB504_26:
	s_cmp_gt_i32 s5, 2
	s_cselect_b64 s[6:7], -1, 0
	s_cmp_lt_i32 s5, 3
	s_cbranch_scc1 .LBB504_28
; %bb.27:
	v_lshl_add_u64 v[10:11], s[36:37], 2, v[4:5]
	flat_load_ushort v0, v[10:11]
	s_waitcnt vmcnt(0) lgkmcnt(0)
	v_cvt_f32_f16_e32 v0, v0
.LBB504_28:
	s_cmp_gt_i32 s5, 3
	s_cselect_b64 s[8:9], -1, 0
	s_cmp_lt_i32 s5, 4
	v_mov_b32_e32 v7, 0
	v_mov_b32_e32 v16, 0
	s_cbranch_scc1 .LBB504_30
; %bb.29:
	v_mad_i64_i32 v[10:11], s[10:11], s36, 6, v[4:5]
	flat_load_ushort v10, v[10:11]
	s_waitcnt vmcnt(0) lgkmcnt(0)
	v_cvt_f32_f16_e32 v16, v10
.LBB504_30:
	s_cmp_gt_i32 s5, 4
	s_cselect_b64 s[10:11], -1, 0
	s_cmp_lt_i32 s5, 5
	s_cbranch_scc1 .LBB504_32
; %bb.31:
	v_lshl_add_u64 v[10:11], s[36:37], 3, v[4:5]
	flat_load_ushort v7, v[10:11]
	s_waitcnt vmcnt(0) lgkmcnt(0)
	v_cvt_f32_f16_e32 v7, v7
.LBB504_32:
	s_cmp_gt_i32 s5, 5
	s_cselect_b64 s[12:13], -1, 0
	s_cmp_lt_i32 s5, 6
	v_mov_b32_e32 v10, 0
	v_mov_b32_e32 v18, 0
	s_cbranch_scc1 .LBB504_34
; %bb.33:
	v_mad_i64_i32 v[12:13], s[14:15], s36, 10, v[4:5]
	flat_load_ushort v11, v[12:13]
	s_waitcnt vmcnt(0) lgkmcnt(0)
	v_cvt_f32_f16_e32 v18, v11
.LBB504_34:
	s_cmp_gt_i32 s5, 6
	s_cselect_b64 s[14:15], -1, 0
	s_cmp_lt_i32 s5, 7
	s_cbranch_scc1 .LBB504_36
; %bb.35:
	v_mad_i64_i32 v[10:11], s[16:17], s36, 12, v[4:5]
	flat_load_ushort v10, v[10:11]
	s_waitcnt vmcnt(0) lgkmcnt(0)
	v_cvt_f32_f16_e32 v10, v10
.LBB504_36:
	s_cmp_gt_i32 s5, 7
	s_cselect_b64 s[16:17], -1, 0
	s_cmp_lt_i32 s5, 8
	v_mov_b32_e32 v11, 0
	v_mov_b32_e32 v20, 0
	s_cbranch_scc1 .LBB504_38
; %bb.37:
	v_mad_i64_i32 v[12:13], s[18:19], s36, 14, v[4:5]
	flat_load_ushort v12, v[12:13]
	s_waitcnt vmcnt(0) lgkmcnt(0)
	v_cvt_f32_f16_e32 v20, v12
.LBB504_38:
	s_cmp_gt_i32 s5, 8
	s_cselect_b64 s[18:19], -1, 0
	s_cmp_lt_i32 s5, 9
	s_cbranch_scc1 .LBB504_40
; %bb.39:
	v_lshl_add_u64 v[12:13], s[36:37], 4, v[4:5]
	flat_load_ushort v11, v[12:13]
	s_waitcnt vmcnt(0) lgkmcnt(0)
	v_cvt_f32_f16_e32 v11, v11
.LBB504_40:
	s_cmp_gt_i32 s5, 9
	s_cselect_b64 s[20:21], -1, 0
	s_cmp_lt_i32 s5, 10
	v_mov_b32_e32 v12, 0
	v_mov_b32_e32 v22, 0
	s_cbranch_scc1 .LBB504_42
; %bb.41:
	v_mad_i64_i32 v[22:23], s[22:23], s36, 18, v[4:5]
	flat_load_ushort v13, v[22:23]
	s_waitcnt vmcnt(0) lgkmcnt(0)
	v_cvt_f32_f16_e32 v22, v13
.LBB504_42:
	s_cmp_gt_i32 s5, 10
	s_cselect_b64 s[22:23], -1, 0
	s_cmp_lt_i32 s5, 11
	s_cbranch_scc1 .LBB504_44
; %bb.43:
	v_mad_i64_i32 v[12:13], s[24:25], s36, 20, v[4:5]
	flat_load_ushort v12, v[12:13]
	s_waitcnt vmcnt(0) lgkmcnt(0)
	v_cvt_f32_f16_e32 v12, v12
.LBB504_44:
	s_cmp_gt_i32 s5, 11
	s_cselect_b64 s[24:25], -1, 0
	s_cmp_lt_i32 s5, 12
	v_mov_b32_e32 v13, 0
	v_mov_b32_e32 v24, 0
	s_cbranch_scc1 .LBB504_46
; %bb.45:
	v_mad_i64_i32 v[24:25], s[26:27], s36, 22, v[4:5]
	flat_load_ushort v14, v[24:25]
	s_waitcnt vmcnt(0) lgkmcnt(0)
	v_cvt_f32_f16_e32 v24, v14
.LBB504_46:
	s_cmp_gt_i32 s5, 12
	s_cselect_b64 s[26:27], -1, 0
	s_cmp_lt_i32 s5, 13
	s_cbranch_scc1 .LBB504_48
; %bb.47:
	v_mad_i64_i32 v[26:27], s[28:29], s36, 24, v[4:5]
	flat_load_ushort v13, v[26:27]
	s_waitcnt vmcnt(0) lgkmcnt(0)
	v_cvt_f32_f16_e32 v13, v13
.LBB504_48:
	;; [unrolled: 22-line block ×3, first 2 shown]
	s_cmp_gt_i32 s5, 15
	s_cselect_b64 s[34:35], -1, 0
	s_cmp_lt_i32 s5, 16
	v_mov_b32_e32 v17, 0
	v_mov_b32_e32 v28, 0
	s_cbranch_scc1 .LBB504_54
; %bb.53:
	v_mad_i64_i32 v[28:29], s[38:39], s36, 30, v[4:5]
	flat_load_ushort v19, v[28:29]
	s_waitcnt vmcnt(0) lgkmcnt(0)
	v_cvt_f32_f16_e32 v28, v19
.LBB504_54:
	s_cmp_gt_i32 s5, 16
	s_cselect_b64 s[38:39], -1, 0
	s_cmp_lt_i32 s5, 17
	s_cbranch_scc1 .LBB504_56
; %bb.55:
	s_lshl_b64 s[40:41], s[36:37], 5
	v_lshl_add_u64 v[30:31], v[4:5], 0, s[40:41]
	flat_load_ushort v17, v[30:31]
	s_waitcnt vmcnt(0) lgkmcnt(0)
	v_cvt_f32_f16_e32 v17, v17
.LBB504_56:
	s_cmp_gt_i32 s5, 17
	s_cselect_b64 s[40:41], -1, 0
	s_cmp_lt_i32 s5, 18
	v_mov_b32_e32 v19, 0
	v_mov_b32_e32 v31, 0
	s_cbranch_scc1 .LBB504_58
; %bb.57:
	v_mad_i64_i32 v[30:31], s[42:43], s36, 34, v[4:5]
	flat_load_ushort v21, v[30:31]
	s_waitcnt vmcnt(0) lgkmcnt(0)
	v_cvt_f32_f16_e32 v31, v21
.LBB504_58:
	s_cmp_gt_i32 s5, 18
	s_cselect_b64 s[42:43], -1, 0
	s_cmp_lt_i32 s5, 19
	s_cbranch_scc1 .LBB504_60
; %bb.59:
	v_mad_i64_i32 v[32:33], s[44:45], s36, 36, v[4:5]
	flat_load_ushort v19, v[32:33]
	s_waitcnt vmcnt(0) lgkmcnt(0)
	v_cvt_f32_f16_e32 v19, v19
.LBB504_60:
	s_cmp_gt_i32 s5, 19
	s_cselect_b64 s[44:45], -1, 0
	s_cmp_lt_i32 s5, 20
	v_mov_b32_e32 v21, 0
	v_mov_b32_e32 v32, 0
	s_cbranch_scc1 .LBB504_62
; %bb.61:
	v_mad_i64_i32 v[32:33], s[46:47], s36, 38, v[4:5]
	flat_load_ushort v23, v[32:33]
	s_waitcnt vmcnt(0) lgkmcnt(0)
	v_cvt_f32_f16_e32 v32, v23
.LBB504_62:
	s_cmp_gt_i32 s5, 20
	s_cselect_b64 s[46:47], -1, 0
	s_cmp_lt_i32 s5, 21
	s_cbranch_scc1 .LBB504_64
; %bb.63:
	v_mad_i64_i32 v[34:35], s[48:49], s36, 40, v[4:5]
	flat_load_ushort v21, v[34:35]
	s_waitcnt vmcnt(0) lgkmcnt(0)
	v_cvt_f32_f16_e32 v21, v21
.LBB504_64:
	s_cmp_gt_i32 s5, 21
	s_cselect_b64 s[48:49], -1, 0
	s_cmp_lt_i32 s5, 22
	v_mov_b32_e32 v23, 0
	v_mov_b32_e32 v33, 0
	s_cbranch_scc1 .LBB504_66
; %bb.65:
	v_mad_i64_i32 v[34:35], s[50:51], s36, 42, v[4:5]
	flat_load_ushort v25, v[34:35]
	s_waitcnt vmcnt(0) lgkmcnt(0)
	v_cvt_f32_f16_e32 v33, v25
.LBB504_66:
	s_cmp_gt_i32 s5, 22
	s_cselect_b64 s[50:51], -1, 0
	s_cmp_lt_i32 s5, 23
	s_cbranch_scc1 .LBB504_68
; %bb.67:
	v_mad_i64_i32 v[34:35], s[52:53], s36, 44, v[4:5]
	flat_load_ushort v23, v[34:35]
	s_waitcnt vmcnt(0) lgkmcnt(0)
	v_cvt_f32_f16_e32 v23, v23
.LBB504_68:
	s_cmp_gt_i32 s5, 23
	s_cselect_b64 s[52:53], -1, 0
	s_cmp_lt_i32 s5, 24
	v_mov_b32_e32 v25, 0
	v_mov_b32_e32 v34, 0
	s_cbranch_scc1 .LBB504_70
; %bb.69:
	v_mad_i64_i32 v[34:35], s[54:55], s36, 46, v[4:5]
	flat_load_ushort v27, v[34:35]
	s_waitcnt vmcnt(0) lgkmcnt(0)
	v_cvt_f32_f16_e32 v34, v27
.LBB504_70:
	s_cmp_gt_i32 s5, 24
	s_cselect_b64 s[54:55], -1, 0
	s_cmp_lt_i32 s5, 25
	s_cbranch_scc1 .LBB504_72
; %bb.71:
	v_mad_i64_i32 v[36:37], s[56:57], s36, 48, v[4:5]
	flat_load_ushort v25, v[36:37]
	s_waitcnt vmcnt(0) lgkmcnt(0)
	v_cvt_f32_f16_e32 v25, v25
.LBB504_72:
	s_cmp_gt_i32 s5, 25
	s_cselect_b64 s[56:57], -1, 0
	s_cmp_lt_i32 s5, 26
	v_mov_b32_e32 v27, 0
	v_mov_b32_e32 v35, 0
	s_cbranch_scc1 .LBB504_74
; %bb.73:
	v_mad_i64_i32 v[36:37], s[58:59], s36, 50, v[4:5]
	flat_load_ushort v29, v[36:37]
	s_waitcnt vmcnt(0) lgkmcnt(0)
	v_cvt_f32_f16_e32 v35, v29
.LBB504_74:
	s_cmp_gt_i32 s5, 26
	s_cselect_b64 s[58:59], -1, 0
	s_cmp_lt_i32 s5, 27
	s_cbranch_scc1 .LBB504_76
; %bb.75:
	v_mad_i64_i32 v[36:37], s[60:61], s36, 52, v[4:5]
	flat_load_ushort v27, v[36:37]
	s_waitcnt vmcnt(0) lgkmcnt(0)
	v_cvt_f32_f16_e32 v27, v27
.LBB504_76:
	s_cmp_gt_i32 s5, 27
	s_cselect_b64 s[60:61], -1, 0
	s_cmp_lt_i32 s5, 28
	v_mov_b32_e32 v29, 0
	v_mov_b32_e32 v37, 0
	s_cbranch_scc1 .LBB504_78
; %bb.77:
	v_mad_i64_i32 v[36:37], s[62:63], s36, 54, v[4:5]
	flat_load_ushort v30, v[36:37]
	s_waitcnt vmcnt(0) lgkmcnt(0)
	v_cvt_f32_f16_e32 v37, v30
.LBB504_78:
	s_cmp_gt_i32 s5, 28
	s_cselect_b64 s[62:63], -1, 0
	s_cmp_lt_i32 s5, 29
	s_cbranch_scc1 .LBB504_80
; %bb.79:
	v_mad_i64_i32 v[38:39], s[64:65], s36, 56, v[4:5]
	flat_load_ushort v29, v[38:39]
	s_waitcnt vmcnt(0) lgkmcnt(0)
	v_cvt_f32_f16_e32 v29, v29
.LBB504_80:
	s_cmp_gt_i32 s5, 29
	s_cselect_b64 s[64:65], -1, 0
	s_cmp_lt_i32 s5, 30
	v_mov_b32_e32 v30, 0
	v_mov_b32_e32 v38, 0
	s_cbranch_scc1 .LBB504_82
; %bb.81:
	v_mad_i64_i32 v[38:39], s[66:67], s36, 58, v[4:5]
	flat_load_ushort v36, v[38:39]
	s_waitcnt vmcnt(0) lgkmcnt(0)
	v_cvt_f32_f16_e32 v38, v36
.LBB504_82:
	s_cmp_gt_i32 s5, 30
	s_cselect_b64 s[66:67], -1, 0
	s_cmp_lt_i32 s5, 31
	s_cbranch_scc1 .LBB504_84
; %bb.83:
	v_mad_i64_i32 v[40:41], s[68:69], s36, 60, v[4:5]
	flat_load_ushort v30, v[40:41]
	s_waitcnt vmcnt(0) lgkmcnt(0)
	v_cvt_f32_f16_e32 v30, v30
.LBB504_84:
	s_cmp_gt_i32 s5, 31
	s_cselect_b64 s[68:69], -1, 0
	s_cmp_lt_i32 s5, 32
	v_mov_b32_e32 v36, 0
	v_mov_b32_e32 v39, 0
	s_cbranch_scc1 .LBB504_86
; %bb.85:
	v_mad_i64_i32 v[4:5], s[4:5], s36, 62, v[4:5]
	flat_load_ushort v4, v[4:5]
	s_waitcnt vmcnt(0) lgkmcnt(0)
	v_cvt_f32_f16_e32 v39, v4
.LBB504_86:
	s_andn2_b64 vcc, exec, s[2:3]
	s_cbranch_vccnz .LBB504_88
; %bb.87:
	ds_read_b32 v4, v9
	s_waitcnt lgkmcnt(0)
	v_mul_f32_e32 v36, v1, v4
.LBB504_88:
	s_andn2_b64 vcc, exec, s[0:1]
	v_mov_b32_e32 v1, 0
	v_mov_b32_e32 v4, 0
	s_cbranch_vccz .LBB504_122
; %bb.89:
	s_andn2_b64 vcc, exec, s[6:7]
	s_cbranch_vccz .LBB504_123
.LBB504_90:
	s_andn2_b64 vcc, exec, s[8:9]
	v_mov_b32_e32 v0, 0
	v_mov_b32_e32 v5, 0
	s_cbranch_vccz .LBB504_124
.LBB504_91:
	s_andn2_b64 vcc, exec, s[10:11]
	s_cbranch_vccz .LBB504_125
.LBB504_92:
	s_andn2_b64 vcc, exec, s[12:13]
	v_mov_b32_e32 v7, 0
	v_mov_b32_e32 v15, 0
	s_cbranch_vccz .LBB504_126
.LBB504_93:
	s_andn2_b64 vcc, exec, s[14:15]
	s_cbranch_vccz .LBB504_127
.LBB504_94:
	s_andn2_b64 vcc, exec, s[16:17]
	v_mov_b32_e32 v10, 0
	v_mov_b32_e32 v16, 0
	s_cbranch_vccz .LBB504_128
.LBB504_95:
	s_andn2_b64 vcc, exec, s[18:19]
	s_cbranch_vccz .LBB504_129
.LBB504_96:
	s_andn2_b64 vcc, exec, s[20:21]
	v_mov_b32_e32 v11, 0
	v_mov_b32_e32 v18, 0
	s_cbranch_vccz .LBB504_130
.LBB504_97:
	s_andn2_b64 vcc, exec, s[22:23]
	s_cbranch_vccz .LBB504_131
.LBB504_98:
	s_andn2_b64 vcc, exec, s[24:25]
	v_mov_b32_e32 v12, 0
	v_mov_b32_e32 v20, 0
	s_cbranch_vccz .LBB504_132
.LBB504_99:
	s_andn2_b64 vcc, exec, s[26:27]
	s_cbranch_vccz .LBB504_133
.LBB504_100:
	s_andn2_b64 vcc, exec, s[28:29]
	v_mov_b32_e32 v13, 0
	v_mov_b32_e32 v22, 0
	s_cbranch_vccz .LBB504_134
.LBB504_101:
	s_andn2_b64 vcc, exec, s[30:31]
	s_cbranch_vccz .LBB504_135
.LBB504_102:
	s_andn2_b64 vcc, exec, s[34:35]
	v_mov_b32_e32 v14, 0
	v_mov_b32_e32 v24, 0
	s_cbranch_vccz .LBB504_136
.LBB504_103:
	s_andn2_b64 vcc, exec, s[38:39]
	s_cbranch_vccz .LBB504_137
.LBB504_104:
	s_andn2_b64 vcc, exec, s[40:41]
	v_mov_b32_e32 v17, 0
	v_mov_b32_e32 v26, 0
	s_cbranch_vccz .LBB504_138
.LBB504_105:
	s_andn2_b64 vcc, exec, s[42:43]
	s_cbranch_vccz .LBB504_139
.LBB504_106:
	s_andn2_b64 vcc, exec, s[44:45]
	v_mov_b32_e32 v19, 0
	v_mov_b32_e32 v28, 0
	s_cbranch_vccz .LBB504_140
.LBB504_107:
	s_andn2_b64 vcc, exec, s[46:47]
	s_cbranch_vccz .LBB504_141
.LBB504_108:
	s_andn2_b64 vcc, exec, s[48:49]
	v_mov_b32_e32 v21, 0
	v_mov_b32_e32 v31, 0
	s_cbranch_vccz .LBB504_142
.LBB504_109:
	s_andn2_b64 vcc, exec, s[50:51]
	s_cbranch_vccz .LBB504_143
.LBB504_110:
	s_andn2_b64 vcc, exec, s[52:53]
	v_mov_b32_e32 v23, 0
	v_mov_b32_e32 v32, 0
	s_cbranch_vccz .LBB504_144
.LBB504_111:
	s_andn2_b64 vcc, exec, s[54:55]
	s_cbranch_vccz .LBB504_145
.LBB504_112:
	s_andn2_b64 vcc, exec, s[56:57]
	v_mov_b32_e32 v25, 0
	v_mov_b32_e32 v33, 0
	s_cbranch_vccz .LBB504_146
.LBB504_113:
	s_andn2_b64 vcc, exec, s[58:59]
	s_cbranch_vccz .LBB504_147
.LBB504_114:
	s_andn2_b64 vcc, exec, s[60:61]
	v_mov_b32_e32 v27, 0
	v_mov_b32_e32 v34, 0
	s_cbranch_vccz .LBB504_148
.LBB504_115:
	s_andn2_b64 vcc, exec, s[62:63]
	s_cbranch_vccz .LBB504_149
.LBB504_116:
	s_andn2_b64 vcc, exec, s[64:65]
	v_mov_b32_e32 v29, 0
	v_mov_b32_e32 v35, 0
	s_cbranch_vccz .LBB504_150
.LBB504_117:
	s_andn2_b64 vcc, exec, s[66:67]
	s_cbranch_vccz .LBB504_151
.LBB504_118:
	s_andn2_b64 vcc, exec, s[68:69]
	v_mov_b32_e32 v30, 0
	s_cbranch_vccnz .LBB504_120
.LBB504_119:
	ds_read_b32 v9, v9 offset:124
	s_waitcnt lgkmcnt(0)
	v_mul_f32_e32 v30, v39, v9
.LBB504_120:
	v_add_f32_e32 v6, v6, v36
	v_add_f32_e32 v4, v6, v4
	;; [unrolled: 1-line block ×32, first 2 shown]
	v_mad_i64_i32 v[0:1], s[0:1], s33, v8, 0
	v_lshl_add_u64 v[0:1], v[0:1], 2, v[2:3]
	global_store_dword v[0:1], v4, off
.LBB504_121:
	s_endpgm
.LBB504_122:
	ds_read_b32 v4, v9 offset:4
	s_waitcnt lgkmcnt(0)
	v_mul_f32_e32 v4, v15, v4
	s_andn2_b64 vcc, exec, s[6:7]
	s_cbranch_vccnz .LBB504_90
.LBB504_123:
	ds_read_b32 v1, v9 offset:8
	s_waitcnt lgkmcnt(0)
	v_mul_f32_e32 v1, v0, v1
	s_andn2_b64 vcc, exec, s[8:9]
	v_mov_b32_e32 v0, 0
	v_mov_b32_e32 v5, 0
	s_cbranch_vccnz .LBB504_91
.LBB504_124:
	ds_read_b32 v5, v9 offset:12
	s_waitcnt lgkmcnt(0)
	v_mul_f32_e32 v5, v16, v5
	s_andn2_b64 vcc, exec, s[10:11]
	s_cbranch_vccnz .LBB504_92
.LBB504_125:
	ds_read_b32 v0, v9 offset:16
	s_waitcnt lgkmcnt(0)
	v_mul_f32_e32 v0, v7, v0
	s_andn2_b64 vcc, exec, s[12:13]
	v_mov_b32_e32 v7, 0
	v_mov_b32_e32 v15, 0
	s_cbranch_vccnz .LBB504_93
.LBB504_126:
	ds_read_b32 v15, v9 offset:20
	s_waitcnt lgkmcnt(0)
	v_mul_f32_e32 v15, v18, v15
	s_andn2_b64 vcc, exec, s[14:15]
	s_cbranch_vccnz .LBB504_94
.LBB504_127:
	ds_read_b32 v7, v9 offset:24
	s_waitcnt lgkmcnt(0)
	v_mul_f32_e32 v7, v10, v7
	s_andn2_b64 vcc, exec, s[16:17]
	v_mov_b32_e32 v10, 0
	v_mov_b32_e32 v16, 0
	s_cbranch_vccnz .LBB504_95
.LBB504_128:
	ds_read_b32 v16, v9 offset:28
	s_waitcnt lgkmcnt(0)
	v_mul_f32_e32 v16, v20, v16
	s_andn2_b64 vcc, exec, s[18:19]
	s_cbranch_vccnz .LBB504_96
.LBB504_129:
	ds_read_b32 v10, v9 offset:32
	s_waitcnt lgkmcnt(0)
	v_mul_f32_e32 v10, v11, v10
	s_andn2_b64 vcc, exec, s[20:21]
	v_mov_b32_e32 v11, 0
	v_mov_b32_e32 v18, 0
	s_cbranch_vccnz .LBB504_97
.LBB504_130:
	ds_read_b32 v18, v9 offset:36
	s_waitcnt lgkmcnt(0)
	v_mul_f32_e32 v18, v22, v18
	s_andn2_b64 vcc, exec, s[22:23]
	s_cbranch_vccnz .LBB504_98
.LBB504_131:
	ds_read_b32 v11, v9 offset:40
	s_waitcnt lgkmcnt(0)
	v_mul_f32_e32 v11, v12, v11
	s_andn2_b64 vcc, exec, s[24:25]
	v_mov_b32_e32 v12, 0
	v_mov_b32_e32 v20, 0
	s_cbranch_vccnz .LBB504_99
.LBB504_132:
	ds_read_b32 v20, v9 offset:44
	s_waitcnt lgkmcnt(0)
	v_mul_f32_e32 v20, v24, v20
	s_andn2_b64 vcc, exec, s[26:27]
	s_cbranch_vccnz .LBB504_100
.LBB504_133:
	ds_read_b32 v12, v9 offset:48
	s_waitcnt lgkmcnt(0)
	v_mul_f32_e32 v12, v13, v12
	s_andn2_b64 vcc, exec, s[28:29]
	v_mov_b32_e32 v13, 0
	v_mov_b32_e32 v22, 0
	s_cbranch_vccnz .LBB504_101
.LBB504_134:
	ds_read_b32 v22, v9 offset:52
	s_waitcnt lgkmcnt(0)
	v_mul_f32_e32 v22, v26, v22
	s_andn2_b64 vcc, exec, s[30:31]
	s_cbranch_vccnz .LBB504_102
.LBB504_135:
	ds_read_b32 v13, v9 offset:56
	s_waitcnt lgkmcnt(0)
	v_mul_f32_e32 v13, v14, v13
	s_andn2_b64 vcc, exec, s[34:35]
	v_mov_b32_e32 v14, 0
	v_mov_b32_e32 v24, 0
	s_cbranch_vccnz .LBB504_103
.LBB504_136:
	ds_read_b32 v24, v9 offset:60
	s_waitcnt lgkmcnt(0)
	v_mul_f32_e32 v24, v28, v24
	s_andn2_b64 vcc, exec, s[38:39]
	s_cbranch_vccnz .LBB504_104
.LBB504_137:
	ds_read_b32 v14, v9 offset:64
	s_waitcnt lgkmcnt(0)
	v_mul_f32_e32 v14, v17, v14
	s_andn2_b64 vcc, exec, s[40:41]
	v_mov_b32_e32 v17, 0
	v_mov_b32_e32 v26, 0
	s_cbranch_vccnz .LBB504_105
.LBB504_138:
	ds_read_b32 v26, v9 offset:68
	s_waitcnt lgkmcnt(0)
	v_mul_f32_e32 v26, v31, v26
	s_andn2_b64 vcc, exec, s[42:43]
	s_cbranch_vccnz .LBB504_106
.LBB504_139:
	ds_read_b32 v17, v9 offset:72
	s_waitcnt lgkmcnt(0)
	v_mul_f32_e32 v17, v19, v17
	s_andn2_b64 vcc, exec, s[44:45]
	v_mov_b32_e32 v19, 0
	v_mov_b32_e32 v28, 0
	s_cbranch_vccnz .LBB504_107
.LBB504_140:
	ds_read_b32 v28, v9 offset:76
	s_waitcnt lgkmcnt(0)
	v_mul_f32_e32 v28, v32, v28
	s_andn2_b64 vcc, exec, s[46:47]
	s_cbranch_vccnz .LBB504_108
.LBB504_141:
	ds_read_b32 v19, v9 offset:80
	s_waitcnt lgkmcnt(0)
	v_mul_f32_e32 v19, v21, v19
	s_andn2_b64 vcc, exec, s[48:49]
	v_mov_b32_e32 v21, 0
	v_mov_b32_e32 v31, 0
	s_cbranch_vccnz .LBB504_109
.LBB504_142:
	ds_read_b32 v31, v9 offset:84
	s_waitcnt lgkmcnt(0)
	v_mul_f32_e32 v31, v33, v31
	s_andn2_b64 vcc, exec, s[50:51]
	s_cbranch_vccnz .LBB504_110
.LBB504_143:
	ds_read_b32 v21, v9 offset:88
	s_waitcnt lgkmcnt(0)
	v_mul_f32_e32 v21, v23, v21
	s_andn2_b64 vcc, exec, s[52:53]
	v_mov_b32_e32 v23, 0
	v_mov_b32_e32 v32, 0
	s_cbranch_vccnz .LBB504_111
.LBB504_144:
	ds_read_b32 v32, v9 offset:92
	s_waitcnt lgkmcnt(0)
	v_mul_f32_e32 v32, v34, v32
	s_andn2_b64 vcc, exec, s[54:55]
	s_cbranch_vccnz .LBB504_112
.LBB504_145:
	ds_read_b32 v23, v9 offset:96
	s_waitcnt lgkmcnt(0)
	v_mul_f32_e32 v23, v25, v23
	s_andn2_b64 vcc, exec, s[56:57]
	v_mov_b32_e32 v25, 0
	v_mov_b32_e32 v33, 0
	s_cbranch_vccnz .LBB504_113
.LBB504_146:
	ds_read_b32 v33, v9 offset:100
	s_waitcnt lgkmcnt(0)
	v_mul_f32_e32 v33, v35, v33
	s_andn2_b64 vcc, exec, s[58:59]
	s_cbranch_vccnz .LBB504_114
.LBB504_147:
	ds_read_b32 v25, v9 offset:104
	s_waitcnt lgkmcnt(0)
	v_mul_f32_e32 v25, v27, v25
	s_andn2_b64 vcc, exec, s[60:61]
	v_mov_b32_e32 v27, 0
	v_mov_b32_e32 v34, 0
	s_cbranch_vccnz .LBB504_115
.LBB504_148:
	ds_read_b32 v34, v9 offset:108
	s_waitcnt lgkmcnt(0)
	v_mul_f32_e32 v34, v37, v34
	s_andn2_b64 vcc, exec, s[62:63]
	s_cbranch_vccnz .LBB504_116
.LBB504_149:
	ds_read_b32 v27, v9 offset:112
	s_waitcnt lgkmcnt(0)
	v_mul_f32_e32 v27, v29, v27
	s_andn2_b64 vcc, exec, s[64:65]
	v_mov_b32_e32 v29, 0
	v_mov_b32_e32 v35, 0
	s_cbranch_vccnz .LBB504_117
.LBB504_150:
	ds_read_b32 v35, v9 offset:116
	s_waitcnt lgkmcnt(0)
	v_mul_f32_e32 v35, v38, v35
	s_andn2_b64 vcc, exec, s[66:67]
	s_cbranch_vccnz .LBB504_118
.LBB504_151:
	ds_read_b32 v29, v9 offset:120
	s_waitcnt lgkmcnt(0)
	v_mul_f32_e32 v29, v30, v29
	s_andn2_b64 vcc, exec, s[68:69]
	v_mov_b32_e32 v30, 0
	s_cbranch_vccz .LBB504_119
	s_branch .LBB504_120
	.section	.rodata,"a",@progbits
	.p2align	6, 0x0
	.amdhsa_kernel _ZL34rocblas_gemvn_sm_mn_batched_kernelILi32ELi24EPKDF16_PKfKPfEviiT2_lPKT1_lilS9_lilS6_lPT3_lili
		.amdhsa_group_segment_fixed_size 3072
		.amdhsa_private_segment_fixed_size 0
		.amdhsa_kernarg_size 400
		.amdhsa_user_sgpr_count 2
		.amdhsa_user_sgpr_dispatch_ptr 0
		.amdhsa_user_sgpr_queue_ptr 0
		.amdhsa_user_sgpr_kernarg_segment_ptr 1
		.amdhsa_user_sgpr_dispatch_id 0
		.amdhsa_user_sgpr_kernarg_preload_length 0
		.amdhsa_user_sgpr_kernarg_preload_offset 0
		.amdhsa_user_sgpr_private_segment_size 0
		.amdhsa_uses_dynamic_stack 0
		.amdhsa_enable_private_segment 0
		.amdhsa_system_sgpr_workgroup_id_x 1
		.amdhsa_system_sgpr_workgroup_id_y 0
		.amdhsa_system_sgpr_workgroup_id_z 0
		.amdhsa_system_sgpr_workgroup_info 0
		.amdhsa_system_vgpr_workitem_id 1
		.amdhsa_next_free_vgpr 42
		.amdhsa_next_free_sgpr 70
		.amdhsa_accum_offset 44
		.amdhsa_reserve_vcc 1
		.amdhsa_float_round_mode_32 0
		.amdhsa_float_round_mode_16_64 0
		.amdhsa_float_denorm_mode_32 3
		.amdhsa_float_denorm_mode_16_64 3
		.amdhsa_dx10_clamp 1
		.amdhsa_ieee_mode 1
		.amdhsa_fp16_overflow 0
		.amdhsa_tg_split 0
		.amdhsa_exception_fp_ieee_invalid_op 0
		.amdhsa_exception_fp_denorm_src 0
		.amdhsa_exception_fp_ieee_div_zero 0
		.amdhsa_exception_fp_ieee_overflow 0
		.amdhsa_exception_fp_ieee_underflow 0
		.amdhsa_exception_fp_ieee_inexact 0
		.amdhsa_exception_int_div_zero 0
	.end_amdhsa_kernel
	.section	.text._ZL34rocblas_gemvn_sm_mn_batched_kernelILi32ELi24EPKDF16_PKfKPfEviiT2_lPKT1_lilS9_lilS6_lPT3_lili,"axG",@progbits,_ZL34rocblas_gemvn_sm_mn_batched_kernelILi32ELi24EPKDF16_PKfKPfEviiT2_lPKT1_lilS9_lilS6_lPT3_lili,comdat
.Lfunc_end504:
	.size	_ZL34rocblas_gemvn_sm_mn_batched_kernelILi32ELi24EPKDF16_PKfKPfEviiT2_lPKT1_lilS9_lilS6_lPT3_lili, .Lfunc_end504-_ZL34rocblas_gemvn_sm_mn_batched_kernelILi32ELi24EPKDF16_PKfKPfEviiT2_lPKT1_lilS9_lilS6_lPT3_lili
                                        ; -- End function
	.section	.AMDGPU.csdata,"",@progbits
; Kernel info:
; codeLenInByte = 3548
; NumSgprs: 76
; NumVgprs: 42
; NumAgprs: 0
; TotalNumVgprs: 42
; ScratchSize: 0
; MemoryBound: 0
; FloatMode: 240
; IeeeMode: 1
; LDSByteSize: 3072 bytes/workgroup (compile time only)
; SGPRBlocks: 9
; VGPRBlocks: 5
; NumSGPRsForWavesPerEU: 76
; NumVGPRsForWavesPerEU: 42
; AccumOffset: 44
; Occupancy: 6
; WaveLimiterHint : 1
; COMPUTE_PGM_RSRC2:SCRATCH_EN: 0
; COMPUTE_PGM_RSRC2:USER_SGPR: 2
; COMPUTE_PGM_RSRC2:TRAP_HANDLER: 0
; COMPUTE_PGM_RSRC2:TGID_X_EN: 1
; COMPUTE_PGM_RSRC2:TGID_Y_EN: 0
; COMPUTE_PGM_RSRC2:TGID_Z_EN: 0
; COMPUTE_PGM_RSRC2:TIDIG_COMP_CNT: 1
; COMPUTE_PGM_RSRC3_GFX90A:ACCUM_OFFSET: 10
; COMPUTE_PGM_RSRC3_GFX90A:TG_SPLIT: 0
	.section	.text._ZL34rocblas_gemvn_sm_mn_batched_kernelILi32ELi24EPKDF16_fKPfEviiT2_lPKT1_lilS7_lilS4_lPT3_lili,"axG",@progbits,_ZL34rocblas_gemvn_sm_mn_batched_kernelILi32ELi24EPKDF16_fKPfEviiT2_lPKT1_lilS7_lilS4_lPT3_lili,comdat
	.globl	_ZL34rocblas_gemvn_sm_mn_batched_kernelILi32ELi24EPKDF16_fKPfEviiT2_lPKT1_lilS7_lilS4_lPT3_lili ; -- Begin function _ZL34rocblas_gemvn_sm_mn_batched_kernelILi32ELi24EPKDF16_fKPfEviiT2_lPKT1_lilS7_lilS4_lPT3_lili
	.p2align	8
	.type	_ZL34rocblas_gemvn_sm_mn_batched_kernelILi32ELi24EPKDF16_fKPfEviiT2_lPKT1_lilS7_lilS4_lPT3_lili,@function
_ZL34rocblas_gemvn_sm_mn_batched_kernelILi32ELi24EPKDF16_fKPfEviiT2_lPKT1_lilS7_lilS4_lPT3_lili: ; @_ZL34rocblas_gemvn_sm_mn_batched_kernelILi32ELi24EPKDF16_fKPfEviiT2_lPKT1_lilS7_lilS4_lPT3_lili
; %bb.0:
	s_load_dword s3, s[0:1], 0x9c
	s_load_dword s4, s[0:1], 0x88
	v_bfe_u32 v9, v0, 10, 10
	s_waitcnt lgkmcnt(0)
	s_lshr_b32 s3, s3, 16
	s_mul_i32 s2, s2, s3
	v_add_u32_e32 v2, s2, v9
	v_cmp_gt_i32_e32 vcc, s4, v2
	s_and_saveexec_b64 s[2:3], vcc
	s_cbranch_execz .LBB505_124
; %bb.1:
	s_load_dwordx4 s[4:7], s[0:1], 0x0
	s_waitcnt lgkmcnt(0)
	s_load_dword s7, s[0:1], 0x58
	v_cmp_eq_f32_e64 s[2:3], s6, 0
	s_waitcnt lgkmcnt(0)
	v_cmp_eq_f32_e64 s[8:9], s7, 1.0
	s_and_b64 s[8:9], s[2:3], s[8:9]
	s_and_b64 vcc, exec, s[8:9]
	s_cbranch_vccnz .LBB505_124
; %bb.2:
	v_cmp_neq_f32_e64 s[8:9], s6, 0
	s_and_b64 vcc, exec, s[8:9]
	s_cbranch_vccnz .LBB505_4
; %bb.3:
	v_mov_b32_e32 v3, 0
	s_mov_b64 s[12:13], 0
	v_mov_b64_e32 v[4:5], s[12:13]
	s_cbranch_execz .LBB505_5
	s_branch .LBB505_6
.LBB505_4:
                                        ; implicit-def: $sgpr12_sgpr13
	v_mov_b64_e32 v[4:5], s[12:13]
.LBB505_5:
	s_load_dwordx4 s[12:15], s[0:1], 0x18
	v_mov_b32_e32 v3, 0
	s_waitcnt lgkmcnt(0)
	v_mov_b32_e32 v4, s12
	v_mov_b32_e32 v5, s13
	v_lshl_add_u64 v[4:5], v[2:3], 3, v[4:5]
	global_load_dwordx2 v[4:5], v[4:5], off
	s_waitcnt vmcnt(0)
	v_lshl_add_u64 v[4:5], s[14:15], 1, v[4:5]
.LBB505_6:
	s_andn2_b64 vcc, exec, s[8:9]
	s_cbranch_vccnz .LBB505_8
; %bb.7:
	s_load_dwordx4 s[8:11], s[0:1], 0x38
	s_waitcnt lgkmcnt(0)
	v_mov_b32_e32 v6, s8
	v_mov_b32_e32 v7, s9
	v_lshl_add_u64 v[6:7], v[2:3], 3, v[6:7]
	global_load_dwordx2 v[6:7], v[6:7], off
	s_waitcnt vmcnt(0)
	v_lshl_add_u64 v[6:7], s[10:11], 1, v[6:7]
	s_branch .LBB505_9
.LBB505_8:
	v_mov_b64_e32 v[6:7], 0
.LBB505_9:
	s_load_dwordx4 s[8:11], s[0:1], 0x68
	s_load_dword s33, s[0:1], 0x78
	v_and_b32_e32 v8, 0x3ff, v0
	s_andn2_b64 vcc, exec, s[2:3]
	v_cmp_gt_i32_e64 s[2:3], s4, v8
	s_waitcnt lgkmcnt(0)
	v_mov_b32_e32 v10, s8
	v_mov_b32_e32 v11, s9
	v_lshl_add_u64 v[2:3], v[2:3], 3, v[10:11]
	global_load_dwordx2 v[2:3], v[2:3], off
	s_mov_b64 s[8:9], -1
	s_waitcnt vmcnt(0)
	v_lshl_add_u64 v[0:1], s[10:11], 2, v[2:3]
	s_cbranch_vccnz .LBB505_19
; %bb.10:
	v_cmp_eq_f32_e64 s[8:9], s7, 0
	s_and_b64 vcc, exec, s[8:9]
	s_cbranch_vccz .LBB505_14
; %bb.11:
	s_and_saveexec_b64 s[8:9], s[2:3]
	s_cbranch_execz .LBB505_13
; %bb.12:
	v_mad_i64_i32 v[2:3], s[10:11], s33, v8, 0
	v_lshl_add_u64 v[2:3], v[2:3], 2, v[0:1]
	v_mov_b32_e32 v10, 0
	global_store_dword v[2:3], v10, off
.LBB505_13:
	s_or_b64 exec, exec, s[8:9]
	s_cbranch_execz .LBB505_15
	s_branch .LBB505_18
.LBB505_14:
.LBB505_15:
	s_and_saveexec_b64 s[8:9], s[2:3]
	s_cbranch_execz .LBB505_17
; %bb.16:
	v_mad_i64_i32 v[2:3], s[2:3], s33, v8, 0
	v_lshl_add_u64 v[2:3], v[2:3], 2, v[0:1]
	global_load_dword v10, v[2:3], off
	s_waitcnt vmcnt(0)
	v_mul_f32_e32 v10, s7, v10
	global_store_dword v[2:3], v10, off
.LBB505_17:
	s_or_b64 exec, exec, s[8:9]
.LBB505_18:
	s_mov_b64 s[8:9], 0
.LBB505_19:
	s_andn2_b64 vcc, exec, s[8:9]
	s_cbranch_vccnz .LBB505_124
; %bb.20:
	v_lshlrev_b32_e32 v9, 7, v9
	v_cmp_gt_i32_e32 vcc, s5, v8
	s_and_saveexec_b64 s[2:3], vcc
	s_cbranch_execz .LBB505_22
; %bb.21:
	s_load_dword s8, s[0:1], 0x48
	s_waitcnt lgkmcnt(0)
	v_mad_i64_i32 v[2:3], s[8:9], s8, v8, 0
	v_lshl_add_u64 v[2:3], v[2:3], 1, v[6:7]
	flat_load_ushort v2, v[2:3]
	v_lshl_add_u32 v3, v8, 2, v9
	s_waitcnt vmcnt(0) lgkmcnt(0)
	v_cvt_f32_f16_e32 v2, v2
	v_mul_f32_e32 v2, s6, v2
	ds_write_b32 v3, v2
.LBB505_22:
	s_or_b64 exec, exec, s[2:3]
	v_cmp_gt_i32_e32 vcc, s4, v8
	s_waitcnt lgkmcnt(0)
	s_barrier
	s_and_b64 exec, exec, vcc
	s_cbranch_execz .LBB505_124
; %bb.23:
	v_cmp_eq_f32_e64 s[2:3], s7, 0
	v_mov_b32_e32 v6, 0
	v_mov_b32_e32 v3, 0
	s_and_b64 vcc, exec, s[2:3]
	s_cbranch_vccnz .LBB505_25
; %bb.24:
	v_mad_i64_i32 v[6:7], s[2:3], s33, v8, 0
	v_lshl_add_u64 v[6:7], v[6:7], 2, v[0:1]
	global_load_dword v2, v[6:7], off
	s_waitcnt vmcnt(0)
	v_mul_f32_e32 v6, s7, v2
.LBB505_25:
	v_lshlrev_b32_e32 v2, 1, v8
	s_cmp_gt_i32 s5, 0
	s_cselect_b64 s[2:3], -1, 0
	s_cmp_lt_i32 s5, 1
	v_lshl_add_u64 v[4:5], v[4:5], 0, v[2:3]
	s_cbranch_scc1 .LBB505_27
; %bb.26:
	flat_load_ushort v2, v[4:5]
	s_waitcnt vmcnt(0) lgkmcnt(0)
	v_cvt_f32_f16_e32 v3, v2
.LBB505_27:
	s_load_dword s36, s[0:1], 0x28
	v_mov_b32_e32 v2, 0
	v_mov_b32_e32 v15, 0
	s_waitcnt lgkmcnt(0)
	s_ashr_i32 s37, s36, 31
	s_cmp_gt_i32 s5, 1
	s_cselect_b64 s[0:1], -1, 0
	s_cmp_lt_i32 s5, 2
	s_cbranch_scc1 .LBB505_29
; %bb.28:
	v_lshl_add_u64 v[10:11], s[36:37], 1, v[4:5]
	flat_load_ushort v7, v[10:11]
	s_waitcnt vmcnt(0) lgkmcnt(0)
	v_cvt_f32_f16_e32 v15, v7
.LBB505_29:
	s_cmp_gt_i32 s5, 2
	s_cselect_b64 s[6:7], -1, 0
	s_cmp_lt_i32 s5, 3
	s_cbranch_scc1 .LBB505_31
; %bb.30:
	v_lshl_add_u64 v[10:11], s[36:37], 2, v[4:5]
	flat_load_ushort v2, v[10:11]
	s_waitcnt vmcnt(0) lgkmcnt(0)
	v_cvt_f32_f16_e32 v2, v2
.LBB505_31:
	s_cmp_gt_i32 s5, 3
	s_cselect_b64 s[8:9], -1, 0
	s_cmp_lt_i32 s5, 4
	v_mov_b32_e32 v7, 0
	v_mov_b32_e32 v16, 0
	s_cbranch_scc1 .LBB505_33
; %bb.32:
	v_mad_i64_i32 v[10:11], s[10:11], s36, 6, v[4:5]
	flat_load_ushort v10, v[10:11]
	s_waitcnt vmcnt(0) lgkmcnt(0)
	v_cvt_f32_f16_e32 v16, v10
.LBB505_33:
	s_cmp_gt_i32 s5, 4
	s_cselect_b64 s[10:11], -1, 0
	s_cmp_lt_i32 s5, 5
	s_cbranch_scc1 .LBB505_35
; %bb.34:
	v_lshl_add_u64 v[10:11], s[36:37], 3, v[4:5]
	flat_load_ushort v7, v[10:11]
	s_waitcnt vmcnt(0) lgkmcnt(0)
	v_cvt_f32_f16_e32 v7, v7
.LBB505_35:
	s_cmp_gt_i32 s5, 5
	s_cselect_b64 s[12:13], -1, 0
	s_cmp_lt_i32 s5, 6
	v_mov_b32_e32 v10, 0
	v_mov_b32_e32 v18, 0
	s_cbranch_scc1 .LBB505_37
; %bb.36:
	v_mad_i64_i32 v[12:13], s[14:15], s36, 10, v[4:5]
	flat_load_ushort v11, v[12:13]
	s_waitcnt vmcnt(0) lgkmcnt(0)
	v_cvt_f32_f16_e32 v18, v11
.LBB505_37:
	s_cmp_gt_i32 s5, 6
	s_cselect_b64 s[14:15], -1, 0
	s_cmp_lt_i32 s5, 7
	s_cbranch_scc1 .LBB505_39
; %bb.38:
	v_mad_i64_i32 v[10:11], s[16:17], s36, 12, v[4:5]
	flat_load_ushort v10, v[10:11]
	s_waitcnt vmcnt(0) lgkmcnt(0)
	v_cvt_f32_f16_e32 v10, v10
.LBB505_39:
	s_cmp_gt_i32 s5, 7
	s_cselect_b64 s[16:17], -1, 0
	s_cmp_lt_i32 s5, 8
	v_mov_b32_e32 v11, 0
	v_mov_b32_e32 v20, 0
	s_cbranch_scc1 .LBB505_41
; %bb.40:
	v_mad_i64_i32 v[12:13], s[18:19], s36, 14, v[4:5]
	flat_load_ushort v12, v[12:13]
	s_waitcnt vmcnt(0) lgkmcnt(0)
	v_cvt_f32_f16_e32 v20, v12
.LBB505_41:
	s_cmp_gt_i32 s5, 8
	s_cselect_b64 s[18:19], -1, 0
	s_cmp_lt_i32 s5, 9
	s_cbranch_scc1 .LBB505_43
; %bb.42:
	v_lshl_add_u64 v[12:13], s[36:37], 4, v[4:5]
	flat_load_ushort v11, v[12:13]
	s_waitcnt vmcnt(0) lgkmcnt(0)
	v_cvt_f32_f16_e32 v11, v11
.LBB505_43:
	s_cmp_gt_i32 s5, 9
	s_cselect_b64 s[20:21], -1, 0
	s_cmp_lt_i32 s5, 10
	v_mov_b32_e32 v12, 0
	v_mov_b32_e32 v22, 0
	s_cbranch_scc1 .LBB505_45
; %bb.44:
	v_mad_i64_i32 v[22:23], s[22:23], s36, 18, v[4:5]
	flat_load_ushort v13, v[22:23]
	s_waitcnt vmcnt(0) lgkmcnt(0)
	v_cvt_f32_f16_e32 v22, v13
.LBB505_45:
	s_cmp_gt_i32 s5, 10
	s_cselect_b64 s[22:23], -1, 0
	s_cmp_lt_i32 s5, 11
	s_cbranch_scc1 .LBB505_47
; %bb.46:
	v_mad_i64_i32 v[12:13], s[24:25], s36, 20, v[4:5]
	flat_load_ushort v12, v[12:13]
	s_waitcnt vmcnt(0) lgkmcnt(0)
	v_cvt_f32_f16_e32 v12, v12
.LBB505_47:
	s_cmp_gt_i32 s5, 11
	s_cselect_b64 s[24:25], -1, 0
	s_cmp_lt_i32 s5, 12
	v_mov_b32_e32 v13, 0
	v_mov_b32_e32 v24, 0
	s_cbranch_scc1 .LBB505_49
; %bb.48:
	v_mad_i64_i32 v[24:25], s[26:27], s36, 22, v[4:5]
	flat_load_ushort v14, v[24:25]
	s_waitcnt vmcnt(0) lgkmcnt(0)
	v_cvt_f32_f16_e32 v24, v14
.LBB505_49:
	s_cmp_gt_i32 s5, 12
	s_cselect_b64 s[26:27], -1, 0
	s_cmp_lt_i32 s5, 13
	s_cbranch_scc1 .LBB505_51
; %bb.50:
	v_mad_i64_i32 v[26:27], s[28:29], s36, 24, v[4:5]
	flat_load_ushort v13, v[26:27]
	s_waitcnt vmcnt(0) lgkmcnt(0)
	v_cvt_f32_f16_e32 v13, v13
.LBB505_51:
	;; [unrolled: 22-line block ×3, first 2 shown]
	s_cmp_gt_i32 s5, 15
	s_cselect_b64 s[34:35], -1, 0
	s_cmp_lt_i32 s5, 16
	v_mov_b32_e32 v17, 0
	v_mov_b32_e32 v28, 0
	s_cbranch_scc1 .LBB505_57
; %bb.56:
	v_mad_i64_i32 v[28:29], s[38:39], s36, 30, v[4:5]
	flat_load_ushort v19, v[28:29]
	s_waitcnt vmcnt(0) lgkmcnt(0)
	v_cvt_f32_f16_e32 v28, v19
.LBB505_57:
	s_cmp_gt_i32 s5, 16
	s_cselect_b64 s[38:39], -1, 0
	s_cmp_lt_i32 s5, 17
	s_cbranch_scc1 .LBB505_59
; %bb.58:
	s_lshl_b64 s[40:41], s[36:37], 5
	v_lshl_add_u64 v[30:31], v[4:5], 0, s[40:41]
	flat_load_ushort v17, v[30:31]
	s_waitcnt vmcnt(0) lgkmcnt(0)
	v_cvt_f32_f16_e32 v17, v17
.LBB505_59:
	s_cmp_gt_i32 s5, 17
	s_cselect_b64 s[40:41], -1, 0
	s_cmp_lt_i32 s5, 18
	v_mov_b32_e32 v19, 0
	v_mov_b32_e32 v31, 0
	s_cbranch_scc1 .LBB505_61
; %bb.60:
	v_mad_i64_i32 v[30:31], s[42:43], s36, 34, v[4:5]
	flat_load_ushort v21, v[30:31]
	s_waitcnt vmcnt(0) lgkmcnt(0)
	v_cvt_f32_f16_e32 v31, v21
.LBB505_61:
	s_cmp_gt_i32 s5, 18
	s_cselect_b64 s[42:43], -1, 0
	s_cmp_lt_i32 s5, 19
	s_cbranch_scc1 .LBB505_63
; %bb.62:
	v_mad_i64_i32 v[32:33], s[44:45], s36, 36, v[4:5]
	flat_load_ushort v19, v[32:33]
	s_waitcnt vmcnt(0) lgkmcnt(0)
	v_cvt_f32_f16_e32 v19, v19
.LBB505_63:
	s_cmp_gt_i32 s5, 19
	s_cselect_b64 s[44:45], -1, 0
	s_cmp_lt_i32 s5, 20
	v_mov_b32_e32 v21, 0
	v_mov_b32_e32 v32, 0
	s_cbranch_scc1 .LBB505_65
; %bb.64:
	v_mad_i64_i32 v[32:33], s[46:47], s36, 38, v[4:5]
	flat_load_ushort v23, v[32:33]
	s_waitcnt vmcnt(0) lgkmcnt(0)
	v_cvt_f32_f16_e32 v32, v23
.LBB505_65:
	s_cmp_gt_i32 s5, 20
	s_cselect_b64 s[46:47], -1, 0
	s_cmp_lt_i32 s5, 21
	s_cbranch_scc1 .LBB505_67
; %bb.66:
	v_mad_i64_i32 v[34:35], s[48:49], s36, 40, v[4:5]
	flat_load_ushort v21, v[34:35]
	s_waitcnt vmcnt(0) lgkmcnt(0)
	v_cvt_f32_f16_e32 v21, v21
.LBB505_67:
	s_cmp_gt_i32 s5, 21
	s_cselect_b64 s[48:49], -1, 0
	s_cmp_lt_i32 s5, 22
	v_mov_b32_e32 v23, 0
	v_mov_b32_e32 v33, 0
	s_cbranch_scc1 .LBB505_69
; %bb.68:
	v_mad_i64_i32 v[34:35], s[50:51], s36, 42, v[4:5]
	flat_load_ushort v25, v[34:35]
	s_waitcnt vmcnt(0) lgkmcnt(0)
	v_cvt_f32_f16_e32 v33, v25
.LBB505_69:
	s_cmp_gt_i32 s5, 22
	s_cselect_b64 s[50:51], -1, 0
	s_cmp_lt_i32 s5, 23
	s_cbranch_scc1 .LBB505_71
; %bb.70:
	v_mad_i64_i32 v[34:35], s[52:53], s36, 44, v[4:5]
	flat_load_ushort v23, v[34:35]
	s_waitcnt vmcnt(0) lgkmcnt(0)
	v_cvt_f32_f16_e32 v23, v23
.LBB505_71:
	s_cmp_gt_i32 s5, 23
	s_cselect_b64 s[52:53], -1, 0
	s_cmp_lt_i32 s5, 24
	v_mov_b32_e32 v25, 0
	v_mov_b32_e32 v34, 0
	s_cbranch_scc1 .LBB505_73
; %bb.72:
	v_mad_i64_i32 v[34:35], s[54:55], s36, 46, v[4:5]
	flat_load_ushort v27, v[34:35]
	s_waitcnt vmcnt(0) lgkmcnt(0)
	v_cvt_f32_f16_e32 v34, v27
.LBB505_73:
	s_cmp_gt_i32 s5, 24
	s_cselect_b64 s[54:55], -1, 0
	s_cmp_lt_i32 s5, 25
	s_cbranch_scc1 .LBB505_75
; %bb.74:
	v_mad_i64_i32 v[36:37], s[56:57], s36, 48, v[4:5]
	flat_load_ushort v25, v[36:37]
	s_waitcnt vmcnt(0) lgkmcnt(0)
	v_cvt_f32_f16_e32 v25, v25
.LBB505_75:
	s_cmp_gt_i32 s5, 25
	s_cselect_b64 s[56:57], -1, 0
	s_cmp_lt_i32 s5, 26
	v_mov_b32_e32 v27, 0
	v_mov_b32_e32 v35, 0
	s_cbranch_scc1 .LBB505_77
; %bb.76:
	v_mad_i64_i32 v[36:37], s[58:59], s36, 50, v[4:5]
	flat_load_ushort v29, v[36:37]
	s_waitcnt vmcnt(0) lgkmcnt(0)
	v_cvt_f32_f16_e32 v35, v29
.LBB505_77:
	s_cmp_gt_i32 s5, 26
	s_cselect_b64 s[58:59], -1, 0
	s_cmp_lt_i32 s5, 27
	s_cbranch_scc1 .LBB505_79
; %bb.78:
	v_mad_i64_i32 v[36:37], s[60:61], s36, 52, v[4:5]
	flat_load_ushort v27, v[36:37]
	s_waitcnt vmcnt(0) lgkmcnt(0)
	v_cvt_f32_f16_e32 v27, v27
.LBB505_79:
	s_cmp_gt_i32 s5, 27
	s_cselect_b64 s[60:61], -1, 0
	s_cmp_lt_i32 s5, 28
	v_mov_b32_e32 v29, 0
	v_mov_b32_e32 v37, 0
	s_cbranch_scc1 .LBB505_81
; %bb.80:
	v_mad_i64_i32 v[36:37], s[62:63], s36, 54, v[4:5]
	flat_load_ushort v30, v[36:37]
	s_waitcnt vmcnt(0) lgkmcnt(0)
	v_cvt_f32_f16_e32 v37, v30
.LBB505_81:
	s_cmp_gt_i32 s5, 28
	s_cselect_b64 s[62:63], -1, 0
	s_cmp_lt_i32 s5, 29
	s_cbranch_scc1 .LBB505_83
; %bb.82:
	v_mad_i64_i32 v[38:39], s[64:65], s36, 56, v[4:5]
	flat_load_ushort v29, v[38:39]
	s_waitcnt vmcnt(0) lgkmcnt(0)
	v_cvt_f32_f16_e32 v29, v29
.LBB505_83:
	s_cmp_gt_i32 s5, 29
	s_cselect_b64 s[64:65], -1, 0
	s_cmp_lt_i32 s5, 30
	v_mov_b32_e32 v30, 0
	v_mov_b32_e32 v38, 0
	s_cbranch_scc1 .LBB505_85
; %bb.84:
	v_mad_i64_i32 v[38:39], s[66:67], s36, 58, v[4:5]
	flat_load_ushort v36, v[38:39]
	s_waitcnt vmcnt(0) lgkmcnt(0)
	v_cvt_f32_f16_e32 v38, v36
.LBB505_85:
	s_cmp_gt_i32 s5, 30
	s_cselect_b64 s[66:67], -1, 0
	s_cmp_lt_i32 s5, 31
	s_cbranch_scc1 .LBB505_87
; %bb.86:
	v_mad_i64_i32 v[40:41], s[68:69], s36, 60, v[4:5]
	flat_load_ushort v30, v[40:41]
	s_waitcnt vmcnt(0) lgkmcnt(0)
	v_cvt_f32_f16_e32 v30, v30
.LBB505_87:
	s_cmp_gt_i32 s5, 31
	s_cselect_b64 s[68:69], -1, 0
	s_cmp_lt_i32 s5, 32
	v_mov_b32_e32 v36, 0
	v_mov_b32_e32 v39, 0
	s_cbranch_scc1 .LBB505_89
; %bb.88:
	v_mad_i64_i32 v[4:5], s[4:5], s36, 62, v[4:5]
	flat_load_ushort v4, v[4:5]
	s_waitcnt vmcnt(0) lgkmcnt(0)
	v_cvt_f32_f16_e32 v39, v4
.LBB505_89:
	s_andn2_b64 vcc, exec, s[2:3]
	s_cbranch_vccnz .LBB505_91
; %bb.90:
	ds_read_b32 v4, v9
	s_waitcnt lgkmcnt(0)
	v_mul_f32_e32 v36, v3, v4
.LBB505_91:
	s_andn2_b64 vcc, exec, s[0:1]
	v_mov_b32_e32 v3, 0
	v_mov_b32_e32 v4, 0
	s_cbranch_vccz .LBB505_125
; %bb.92:
	s_andn2_b64 vcc, exec, s[6:7]
	s_cbranch_vccz .LBB505_126
.LBB505_93:
	s_andn2_b64 vcc, exec, s[8:9]
	v_mov_b32_e32 v2, 0
	v_mov_b32_e32 v5, 0
	s_cbranch_vccz .LBB505_127
.LBB505_94:
	s_andn2_b64 vcc, exec, s[10:11]
	s_cbranch_vccz .LBB505_128
.LBB505_95:
	s_andn2_b64 vcc, exec, s[12:13]
	v_mov_b32_e32 v7, 0
	v_mov_b32_e32 v15, 0
	s_cbranch_vccz .LBB505_129
.LBB505_96:
	s_andn2_b64 vcc, exec, s[14:15]
	s_cbranch_vccz .LBB505_130
.LBB505_97:
	s_andn2_b64 vcc, exec, s[16:17]
	v_mov_b32_e32 v10, 0
	v_mov_b32_e32 v16, 0
	s_cbranch_vccz .LBB505_131
.LBB505_98:
	s_andn2_b64 vcc, exec, s[18:19]
	s_cbranch_vccz .LBB505_132
.LBB505_99:
	s_andn2_b64 vcc, exec, s[20:21]
	v_mov_b32_e32 v11, 0
	v_mov_b32_e32 v18, 0
	s_cbranch_vccz .LBB505_133
.LBB505_100:
	s_andn2_b64 vcc, exec, s[22:23]
	s_cbranch_vccz .LBB505_134
.LBB505_101:
	s_andn2_b64 vcc, exec, s[24:25]
	v_mov_b32_e32 v12, 0
	v_mov_b32_e32 v20, 0
	s_cbranch_vccz .LBB505_135
.LBB505_102:
	s_andn2_b64 vcc, exec, s[26:27]
	s_cbranch_vccz .LBB505_136
.LBB505_103:
	s_andn2_b64 vcc, exec, s[28:29]
	v_mov_b32_e32 v13, 0
	v_mov_b32_e32 v22, 0
	s_cbranch_vccz .LBB505_137
.LBB505_104:
	s_andn2_b64 vcc, exec, s[30:31]
	s_cbranch_vccz .LBB505_138
.LBB505_105:
	s_andn2_b64 vcc, exec, s[34:35]
	v_mov_b32_e32 v14, 0
	v_mov_b32_e32 v24, 0
	s_cbranch_vccz .LBB505_139
.LBB505_106:
	s_andn2_b64 vcc, exec, s[38:39]
	s_cbranch_vccz .LBB505_140
.LBB505_107:
	s_andn2_b64 vcc, exec, s[40:41]
	v_mov_b32_e32 v17, 0
	v_mov_b32_e32 v26, 0
	s_cbranch_vccz .LBB505_141
.LBB505_108:
	s_andn2_b64 vcc, exec, s[42:43]
	s_cbranch_vccz .LBB505_142
.LBB505_109:
	s_andn2_b64 vcc, exec, s[44:45]
	v_mov_b32_e32 v19, 0
	v_mov_b32_e32 v28, 0
	s_cbranch_vccz .LBB505_143
.LBB505_110:
	s_andn2_b64 vcc, exec, s[46:47]
	s_cbranch_vccz .LBB505_144
.LBB505_111:
	s_andn2_b64 vcc, exec, s[48:49]
	v_mov_b32_e32 v21, 0
	v_mov_b32_e32 v31, 0
	s_cbranch_vccz .LBB505_145
.LBB505_112:
	s_andn2_b64 vcc, exec, s[50:51]
	s_cbranch_vccz .LBB505_146
.LBB505_113:
	s_andn2_b64 vcc, exec, s[52:53]
	v_mov_b32_e32 v23, 0
	v_mov_b32_e32 v32, 0
	s_cbranch_vccz .LBB505_147
.LBB505_114:
	s_andn2_b64 vcc, exec, s[54:55]
	s_cbranch_vccz .LBB505_148
.LBB505_115:
	s_andn2_b64 vcc, exec, s[56:57]
	v_mov_b32_e32 v25, 0
	v_mov_b32_e32 v33, 0
	s_cbranch_vccz .LBB505_149
.LBB505_116:
	s_andn2_b64 vcc, exec, s[58:59]
	s_cbranch_vccz .LBB505_150
.LBB505_117:
	s_andn2_b64 vcc, exec, s[60:61]
	v_mov_b32_e32 v27, 0
	v_mov_b32_e32 v34, 0
	s_cbranch_vccz .LBB505_151
.LBB505_118:
	s_andn2_b64 vcc, exec, s[62:63]
	s_cbranch_vccz .LBB505_152
.LBB505_119:
	s_andn2_b64 vcc, exec, s[64:65]
	v_mov_b32_e32 v29, 0
	v_mov_b32_e32 v35, 0
	s_cbranch_vccz .LBB505_153
.LBB505_120:
	s_andn2_b64 vcc, exec, s[66:67]
	s_cbranch_vccz .LBB505_154
.LBB505_121:
	s_andn2_b64 vcc, exec, s[68:69]
	v_mov_b32_e32 v30, 0
	s_cbranch_vccnz .LBB505_123
.LBB505_122:
	ds_read_b32 v9, v9 offset:124
	s_waitcnt lgkmcnt(0)
	v_mul_f32_e32 v30, v39, v9
.LBB505_123:
	v_add_f32_e32 v6, v6, v36
	v_add_f32_e32 v4, v6, v4
	v_add_f32_e32 v3, v4, v3
	v_add_f32_e32 v3, v3, v5
	v_add_f32_e32 v2, v3, v2
	v_add_f32_e32 v2, v2, v15
	v_add_f32_e32 v2, v2, v7
	v_add_f32_e32 v2, v2, v16
	v_add_f32_e32 v2, v2, v10
	v_add_f32_e32 v2, v2, v18
	v_add_f32_e32 v2, v2, v11
	v_add_f32_e32 v2, v2, v20
	v_add_f32_e32 v2, v2, v12
	v_add_f32_e32 v2, v2, v22
	v_add_f32_e32 v2, v2, v13
	v_add_f32_e32 v2, v2, v24
	v_add_f32_e32 v2, v2, v14
	v_add_f32_e32 v2, v2, v26
	v_add_f32_e32 v2, v2, v17
	v_add_f32_e32 v2, v2, v28
	v_add_f32_e32 v2, v2, v19
	v_add_f32_e32 v2, v2, v31
	v_add_f32_e32 v2, v2, v21
	v_add_f32_e32 v2, v2, v32
	v_add_f32_e32 v2, v2, v23
	v_add_f32_e32 v2, v2, v33
	v_add_f32_e32 v2, v2, v25
	v_add_f32_e32 v2, v2, v34
	v_add_f32_e32 v2, v2, v27
	v_add_f32_e32 v2, v2, v35
	v_add_f32_e32 v2, v2, v29
	v_add_f32_e32 v4, v2, v30
	v_mad_i64_i32 v[2:3], s[0:1], s33, v8, 0
	v_lshl_add_u64 v[0:1], v[2:3], 2, v[0:1]
	global_store_dword v[0:1], v4, off
.LBB505_124:
	s_endpgm
.LBB505_125:
	ds_read_b32 v4, v9 offset:4
	s_waitcnt lgkmcnt(0)
	v_mul_f32_e32 v4, v15, v4
	s_andn2_b64 vcc, exec, s[6:7]
	s_cbranch_vccnz .LBB505_93
.LBB505_126:
	ds_read_b32 v3, v9 offset:8
	s_waitcnt lgkmcnt(0)
	v_mul_f32_e32 v3, v2, v3
	s_andn2_b64 vcc, exec, s[8:9]
	v_mov_b32_e32 v2, 0
	v_mov_b32_e32 v5, 0
	s_cbranch_vccnz .LBB505_94
.LBB505_127:
	ds_read_b32 v5, v9 offset:12
	s_waitcnt lgkmcnt(0)
	v_mul_f32_e32 v5, v16, v5
	s_andn2_b64 vcc, exec, s[10:11]
	s_cbranch_vccnz .LBB505_95
.LBB505_128:
	ds_read_b32 v2, v9 offset:16
	s_waitcnt lgkmcnt(0)
	v_mul_f32_e32 v2, v7, v2
	s_andn2_b64 vcc, exec, s[12:13]
	v_mov_b32_e32 v7, 0
	v_mov_b32_e32 v15, 0
	s_cbranch_vccnz .LBB505_96
.LBB505_129:
	ds_read_b32 v15, v9 offset:20
	s_waitcnt lgkmcnt(0)
	v_mul_f32_e32 v15, v18, v15
	s_andn2_b64 vcc, exec, s[14:15]
	s_cbranch_vccnz .LBB505_97
.LBB505_130:
	ds_read_b32 v7, v9 offset:24
	s_waitcnt lgkmcnt(0)
	v_mul_f32_e32 v7, v10, v7
	s_andn2_b64 vcc, exec, s[16:17]
	v_mov_b32_e32 v10, 0
	v_mov_b32_e32 v16, 0
	s_cbranch_vccnz .LBB505_98
.LBB505_131:
	ds_read_b32 v16, v9 offset:28
	s_waitcnt lgkmcnt(0)
	v_mul_f32_e32 v16, v20, v16
	s_andn2_b64 vcc, exec, s[18:19]
	s_cbranch_vccnz .LBB505_99
.LBB505_132:
	ds_read_b32 v10, v9 offset:32
	s_waitcnt lgkmcnt(0)
	v_mul_f32_e32 v10, v11, v10
	s_andn2_b64 vcc, exec, s[20:21]
	v_mov_b32_e32 v11, 0
	v_mov_b32_e32 v18, 0
	s_cbranch_vccnz .LBB505_100
.LBB505_133:
	ds_read_b32 v18, v9 offset:36
	s_waitcnt lgkmcnt(0)
	v_mul_f32_e32 v18, v22, v18
	s_andn2_b64 vcc, exec, s[22:23]
	s_cbranch_vccnz .LBB505_101
.LBB505_134:
	ds_read_b32 v11, v9 offset:40
	s_waitcnt lgkmcnt(0)
	v_mul_f32_e32 v11, v12, v11
	s_andn2_b64 vcc, exec, s[24:25]
	v_mov_b32_e32 v12, 0
	v_mov_b32_e32 v20, 0
	s_cbranch_vccnz .LBB505_102
.LBB505_135:
	ds_read_b32 v20, v9 offset:44
	s_waitcnt lgkmcnt(0)
	v_mul_f32_e32 v20, v24, v20
	s_andn2_b64 vcc, exec, s[26:27]
	s_cbranch_vccnz .LBB505_103
.LBB505_136:
	ds_read_b32 v12, v9 offset:48
	s_waitcnt lgkmcnt(0)
	v_mul_f32_e32 v12, v13, v12
	s_andn2_b64 vcc, exec, s[28:29]
	v_mov_b32_e32 v13, 0
	v_mov_b32_e32 v22, 0
	s_cbranch_vccnz .LBB505_104
.LBB505_137:
	ds_read_b32 v22, v9 offset:52
	s_waitcnt lgkmcnt(0)
	v_mul_f32_e32 v22, v26, v22
	s_andn2_b64 vcc, exec, s[30:31]
	s_cbranch_vccnz .LBB505_105
.LBB505_138:
	ds_read_b32 v13, v9 offset:56
	s_waitcnt lgkmcnt(0)
	v_mul_f32_e32 v13, v14, v13
	s_andn2_b64 vcc, exec, s[34:35]
	v_mov_b32_e32 v14, 0
	v_mov_b32_e32 v24, 0
	s_cbranch_vccnz .LBB505_106
.LBB505_139:
	ds_read_b32 v24, v9 offset:60
	s_waitcnt lgkmcnt(0)
	v_mul_f32_e32 v24, v28, v24
	s_andn2_b64 vcc, exec, s[38:39]
	s_cbranch_vccnz .LBB505_107
.LBB505_140:
	ds_read_b32 v14, v9 offset:64
	s_waitcnt lgkmcnt(0)
	v_mul_f32_e32 v14, v17, v14
	s_andn2_b64 vcc, exec, s[40:41]
	v_mov_b32_e32 v17, 0
	v_mov_b32_e32 v26, 0
	s_cbranch_vccnz .LBB505_108
.LBB505_141:
	ds_read_b32 v26, v9 offset:68
	s_waitcnt lgkmcnt(0)
	v_mul_f32_e32 v26, v31, v26
	s_andn2_b64 vcc, exec, s[42:43]
	s_cbranch_vccnz .LBB505_109
.LBB505_142:
	ds_read_b32 v17, v9 offset:72
	s_waitcnt lgkmcnt(0)
	v_mul_f32_e32 v17, v19, v17
	s_andn2_b64 vcc, exec, s[44:45]
	v_mov_b32_e32 v19, 0
	v_mov_b32_e32 v28, 0
	s_cbranch_vccnz .LBB505_110
.LBB505_143:
	ds_read_b32 v28, v9 offset:76
	s_waitcnt lgkmcnt(0)
	v_mul_f32_e32 v28, v32, v28
	s_andn2_b64 vcc, exec, s[46:47]
	s_cbranch_vccnz .LBB505_111
.LBB505_144:
	ds_read_b32 v19, v9 offset:80
	s_waitcnt lgkmcnt(0)
	v_mul_f32_e32 v19, v21, v19
	s_andn2_b64 vcc, exec, s[48:49]
	v_mov_b32_e32 v21, 0
	v_mov_b32_e32 v31, 0
	s_cbranch_vccnz .LBB505_112
.LBB505_145:
	ds_read_b32 v31, v9 offset:84
	s_waitcnt lgkmcnt(0)
	v_mul_f32_e32 v31, v33, v31
	s_andn2_b64 vcc, exec, s[50:51]
	s_cbranch_vccnz .LBB505_113
.LBB505_146:
	ds_read_b32 v21, v9 offset:88
	s_waitcnt lgkmcnt(0)
	v_mul_f32_e32 v21, v23, v21
	s_andn2_b64 vcc, exec, s[52:53]
	v_mov_b32_e32 v23, 0
	v_mov_b32_e32 v32, 0
	s_cbranch_vccnz .LBB505_114
.LBB505_147:
	ds_read_b32 v32, v9 offset:92
	s_waitcnt lgkmcnt(0)
	v_mul_f32_e32 v32, v34, v32
	s_andn2_b64 vcc, exec, s[54:55]
	s_cbranch_vccnz .LBB505_115
.LBB505_148:
	ds_read_b32 v23, v9 offset:96
	s_waitcnt lgkmcnt(0)
	v_mul_f32_e32 v23, v25, v23
	s_andn2_b64 vcc, exec, s[56:57]
	v_mov_b32_e32 v25, 0
	v_mov_b32_e32 v33, 0
	s_cbranch_vccnz .LBB505_116
.LBB505_149:
	ds_read_b32 v33, v9 offset:100
	s_waitcnt lgkmcnt(0)
	v_mul_f32_e32 v33, v35, v33
	s_andn2_b64 vcc, exec, s[58:59]
	s_cbranch_vccnz .LBB505_117
.LBB505_150:
	ds_read_b32 v25, v9 offset:104
	s_waitcnt lgkmcnt(0)
	v_mul_f32_e32 v25, v27, v25
	s_andn2_b64 vcc, exec, s[60:61]
	v_mov_b32_e32 v27, 0
	v_mov_b32_e32 v34, 0
	s_cbranch_vccnz .LBB505_118
.LBB505_151:
	ds_read_b32 v34, v9 offset:108
	s_waitcnt lgkmcnt(0)
	v_mul_f32_e32 v34, v37, v34
	s_andn2_b64 vcc, exec, s[62:63]
	s_cbranch_vccnz .LBB505_119
.LBB505_152:
	ds_read_b32 v27, v9 offset:112
	s_waitcnt lgkmcnt(0)
	v_mul_f32_e32 v27, v29, v27
	s_andn2_b64 vcc, exec, s[64:65]
	v_mov_b32_e32 v29, 0
	v_mov_b32_e32 v35, 0
	s_cbranch_vccnz .LBB505_120
.LBB505_153:
	ds_read_b32 v35, v9 offset:116
	s_waitcnt lgkmcnt(0)
	v_mul_f32_e32 v35, v38, v35
	s_andn2_b64 vcc, exec, s[66:67]
	s_cbranch_vccnz .LBB505_121
.LBB505_154:
	ds_read_b32 v29, v9 offset:120
	s_waitcnt lgkmcnt(0)
	v_mul_f32_e32 v29, v30, v29
	s_andn2_b64 vcc, exec, s[68:69]
	v_mov_b32_e32 v30, 0
	s_cbranch_vccz .LBB505_122
	s_branch .LBB505_123
	.section	.rodata,"a",@progbits
	.p2align	6, 0x0
	.amdhsa_kernel _ZL34rocblas_gemvn_sm_mn_batched_kernelILi32ELi24EPKDF16_fKPfEviiT2_lPKT1_lilS7_lilS4_lPT3_lili
		.amdhsa_group_segment_fixed_size 3072
		.amdhsa_private_segment_fixed_size 0
		.amdhsa_kernarg_size 400
		.amdhsa_user_sgpr_count 2
		.amdhsa_user_sgpr_dispatch_ptr 0
		.amdhsa_user_sgpr_queue_ptr 0
		.amdhsa_user_sgpr_kernarg_segment_ptr 1
		.amdhsa_user_sgpr_dispatch_id 0
		.amdhsa_user_sgpr_kernarg_preload_length 0
		.amdhsa_user_sgpr_kernarg_preload_offset 0
		.amdhsa_user_sgpr_private_segment_size 0
		.amdhsa_uses_dynamic_stack 0
		.amdhsa_enable_private_segment 0
		.amdhsa_system_sgpr_workgroup_id_x 1
		.amdhsa_system_sgpr_workgroup_id_y 0
		.amdhsa_system_sgpr_workgroup_id_z 0
		.amdhsa_system_sgpr_workgroup_info 0
		.amdhsa_system_vgpr_workitem_id 1
		.amdhsa_next_free_vgpr 42
		.amdhsa_next_free_sgpr 70
		.amdhsa_accum_offset 44
		.amdhsa_reserve_vcc 1
		.amdhsa_float_round_mode_32 0
		.amdhsa_float_round_mode_16_64 0
		.amdhsa_float_denorm_mode_32 3
		.amdhsa_float_denorm_mode_16_64 3
		.amdhsa_dx10_clamp 1
		.amdhsa_ieee_mode 1
		.amdhsa_fp16_overflow 0
		.amdhsa_tg_split 0
		.amdhsa_exception_fp_ieee_invalid_op 0
		.amdhsa_exception_fp_denorm_src 0
		.amdhsa_exception_fp_ieee_div_zero 0
		.amdhsa_exception_fp_ieee_overflow 0
		.amdhsa_exception_fp_ieee_underflow 0
		.amdhsa_exception_fp_ieee_inexact 0
		.amdhsa_exception_int_div_zero 0
	.end_amdhsa_kernel
	.section	.text._ZL34rocblas_gemvn_sm_mn_batched_kernelILi32ELi24EPKDF16_fKPfEviiT2_lPKT1_lilS7_lilS4_lPT3_lili,"axG",@progbits,_ZL34rocblas_gemvn_sm_mn_batched_kernelILi32ELi24EPKDF16_fKPfEviiT2_lPKT1_lilS7_lilS4_lPT3_lili,comdat
.Lfunc_end505:
	.size	_ZL34rocblas_gemvn_sm_mn_batched_kernelILi32ELi24EPKDF16_fKPfEviiT2_lPKT1_lilS7_lilS4_lPT3_lili, .Lfunc_end505-_ZL34rocblas_gemvn_sm_mn_batched_kernelILi32ELi24EPKDF16_fKPfEviiT2_lPKT1_lilS7_lilS4_lPT3_lili
                                        ; -- End function
	.section	.AMDGPU.csdata,"",@progbits
; Kernel info:
; codeLenInByte = 3472
; NumSgprs: 76
; NumVgprs: 42
; NumAgprs: 0
; TotalNumVgprs: 42
; ScratchSize: 0
; MemoryBound: 0
; FloatMode: 240
; IeeeMode: 1
; LDSByteSize: 3072 bytes/workgroup (compile time only)
; SGPRBlocks: 9
; VGPRBlocks: 5
; NumSGPRsForWavesPerEU: 76
; NumVGPRsForWavesPerEU: 42
; AccumOffset: 44
; Occupancy: 6
; WaveLimiterHint : 1
; COMPUTE_PGM_RSRC2:SCRATCH_EN: 0
; COMPUTE_PGM_RSRC2:USER_SGPR: 2
; COMPUTE_PGM_RSRC2:TRAP_HANDLER: 0
; COMPUTE_PGM_RSRC2:TGID_X_EN: 1
; COMPUTE_PGM_RSRC2:TGID_Y_EN: 0
; COMPUTE_PGM_RSRC2:TGID_Z_EN: 0
; COMPUTE_PGM_RSRC2:TIDIG_COMP_CNT: 1
; COMPUTE_PGM_RSRC3_GFX90A:ACCUM_OFFSET: 10
; COMPUTE_PGM_RSRC3_GFX90A:TG_SPLIT: 0
	.section	.text._ZL20rocblas_gemvn_kernelILi64ELi4EiPKDF16_PKfKPfEviiT3_lPKT2_lT1_lS9_lSA_lS6_lPT4_lSA_li,"axG",@progbits,_ZL20rocblas_gemvn_kernelILi64ELi4EiPKDF16_PKfKPfEviiT3_lPKT2_lT1_lS9_lSA_lS6_lPT4_lSA_li,comdat
	.globl	_ZL20rocblas_gemvn_kernelILi64ELi4EiPKDF16_PKfKPfEviiT3_lPKT2_lT1_lS9_lSA_lS6_lPT4_lSA_li ; -- Begin function _ZL20rocblas_gemvn_kernelILi64ELi4EiPKDF16_PKfKPfEviiT3_lPKT2_lT1_lS9_lSA_lS6_lPT4_lSA_li
	.p2align	8
	.type	_ZL20rocblas_gemvn_kernelILi64ELi4EiPKDF16_PKfKPfEviiT3_lPKT2_lT1_lS9_lSA_lS6_lPT4_lSA_li,@function
_ZL20rocblas_gemvn_kernelILi64ELi4EiPKDF16_PKfKPfEviiT3_lPKT2_lT1_lS9_lSA_lS6_lPT4_lSA_li: ; @_ZL20rocblas_gemvn_kernelILi64ELi4EiPKDF16_PKfKPfEviiT3_lPKT2_lT1_lS9_lSA_lS6_lPT4_lSA_li
; %bb.0:
	s_load_dwordx2 s[4:5], s[0:1], 0x9c
	s_mov_b32 s22, s3
	s_waitcnt lgkmcnt(0)
	s_and_b32 s3, s5, 0xffff
	s_lshr_b32 s5, s4, 16
	s_and_b32 s4, s4, 0xffff
	s_mul_i32 s4, s5, s4
	s_mul_i32 s4, s4, s3
	s_cmpk_lg_i32 s4, 0x100
	s_cbranch_scc1 .LBB506_54
; %bb.1:
	s_load_dwordx8 s[12:19], s[0:1], 0x8
	s_load_dwordx8 s[4:11], s[0:1], 0x58
	s_waitcnt lgkmcnt(0)
	s_mul_i32 s3, s22, s15
	s_mul_hi_u32 s15, s22, s14
	s_mul_i32 s14, s22, s14
	s_add_i32 s15, s15, s3
	s_lshl_b64 s[14:15], s[14:15], 2
	s_mul_i32 s7, s22, s7
	s_add_u32 s12, s12, s14
	s_mul_hi_u32 s3, s22, s6
	s_addc_u32 s13, s13, s15
	s_add_i32 s7, s3, s7
	s_mul_i32 s6, s22, s6
	s_lshl_b64 s[6:7], s[6:7], 2
	s_add_u32 s4, s4, s6
	s_addc_u32 s5, s5, s7
	s_load_dword s29, s[12:13], 0x0
	s_load_dword s28, s[4:5], 0x0
	s_waitcnt lgkmcnt(0)
	v_cmp_eq_f32_e64 s[4:5], s29, 0
	v_cmp_eq_f32_e64 s[6:7], s28, 1.0
	s_and_b64 s[6:7], s[4:5], s[6:7]
	s_and_b64 vcc, exec, s[6:7]
	s_cbranch_vccnz .LBB506_54
; %bb.2:
	s_mov_b32 s23, 0
	v_cmp_neq_f32_e64 s[6:7], s29, 0
	s_mov_b64 s[20:21], 0
	s_and_b64 vcc, exec, s[4:5]
	s_mov_b64 s[14:15], 0
	s_cbranch_vccnz .LBB506_4
; %bb.3:
	s_lshl_b64 s[12:13], s[22:23], 3
	s_add_u32 s12, s16, s12
	s_addc_u32 s13, s17, s13
	s_load_dwordx2 s[12:13], s[12:13], 0x0
	s_lshl_b64 s[14:15], s[18:19], 1
	s_waitcnt lgkmcnt(0)
	s_add_u32 s14, s12, s14
	s_addc_u32 s15, s13, s15
.LBB506_4:
	s_andn2_b64 vcc, exec, s[6:7]
	s_cbranch_vccnz .LBB506_6
; %bb.5:
	s_load_dwordx4 s[16:19], s[0:1], 0x38
	s_lshl_b64 s[6:7], s[22:23], 3
	s_waitcnt lgkmcnt(0)
	s_add_u32 s6, s16, s6
	s_addc_u32 s7, s17, s7
	s_load_dwordx2 s[6:7], s[6:7], 0x0
	s_lshl_b64 s[12:13], s[18:19], 1
	s_waitcnt lgkmcnt(0)
	s_add_u32 s20, s6, s12
	s_addc_u32 s21, s7, s13
.LBB506_6:
	s_lshl_b64 s[6:7], s[22:23], 3
	s_add_u32 s6, s8, s6
	s_addc_u32 s7, s9, s7
	s_load_dwordx2 s[8:9], s[6:7], 0x0
	s_load_dwordx2 s[12:13], s[0:1], 0x0
	s_load_dword s30, s[0:1], 0x78
	s_lshl_b64 s[6:7], s[10:11], 2
	v_and_b32_e32 v2, 0x3ff, v0
	s_waitcnt lgkmcnt(0)
	s_add_u32 s8, s8, s6
	v_bfe_u32 v14, v0, 10, 10
	s_addc_u32 s9, s9, s7
	s_andn2_b64 vcc, exec, s[4:5]
	v_lshl_add_u32 v3, v14, 6, v2
	s_cbranch_vccnz .LBB506_13
; %bb.7:
	s_movk_i32 s3, 0x100
	v_cmp_gt_u32_e32 vcc, s3, v3
	s_mov_b64 s[4:5], 0
	s_mov_b64 s[10:11], 0
                                        ; implicit-def: $vgpr1
                                        ; implicit-def: $vgpr4_vgpr5
	s_and_saveexec_b64 s[6:7], vcc
	s_cbranch_execz .LBB506_14
; %bb.8:
	v_lshl_or_b32 v0, s2, 8, v3
	v_mov_b32_e32 v1, 0
	s_ashr_i32 s11, s12, 31
	s_mov_b32 s10, s12
	v_cmp_gt_i64_e32 vcc, s[10:11], v[0:1]
	s_mov_b64 s[16:17], 0
                                        ; implicit-def: $vgpr4_vgpr5
	s_and_saveexec_b64 s[10:11], vcc
	s_cbranch_execz .LBB506_12
; %bb.9:
	v_mad_u64_u32 v[4:5], s[18:19], s30, v0, 0
	s_ashr_i32 s3, s30, 31
	v_mov_b32_e32 v6, v5
	v_cmp_eq_f32_e64 s[16:17], s28, 0
	v_mad_u64_u32 v[6:7], s[18:19], s3, v0, v[6:7]
	v_mov_b32_e32 v5, v6
	s_and_b64 vcc, exec, s[16:17]
	s_cbranch_vccnz .LBB506_11
; %bb.10:
	v_lshl_add_u64 v[0:1], v[4:5], 2, s[8:9]
	global_load_dword v0, v[0:1], off
	s_waitcnt vmcnt(0)
	v_mul_f32_e32 v1, s28, v0
.LBB506_11:
	s_mov_b64 s[16:17], exec
.LBB506_12:
	s_or_b64 exec, exec, s[10:11]
	s_and_b64 s[10:11], s[16:17], exec
	s_or_b64 exec, exec, s[6:7]
	s_and_b64 vcc, exec, s[4:5]
	s_cbranch_vccnz .LBB506_15
	s_branch .LBB506_52
.LBB506_13:
	s_mov_b64 s[10:11], 0
                                        ; implicit-def: $vgpr1
                                        ; implicit-def: $vgpr4_vgpr5
	s_cbranch_execnz .LBB506_15
	s_branch .LBB506_52
.LBB506_14:
	s_or_b64 exec, exec, s[6:7]
	s_and_b64 vcc, exec, s[4:5]
	s_cbranch_vccz .LBB506_52
.LBB506_15:
	s_load_dword s33, s[0:1], 0x28
	s_load_dword s34, s[0:1], 0x48
	s_ashr_i32 s0, s13, 31
	s_lshr_b32 s0, s0, 28
	s_add_i32 s0, s13, s0
	s_lshl_b32 s31, s2, 8
	s_and_b32 s35, s0, -16
	v_lshlrev_b32_e32 v20, 2, v14
	v_add_u32_e32 v16, s31, v2
	v_cmp_gt_i32_e32 vcc, s35, v20
	v_mov_b32_e32 v19, 0
	v_mov_b32_e32 v18, 0
	;; [unrolled: 1-line block ×4, first 2 shown]
	s_and_saveexec_b64 s[16:17], vcc
	s_cbranch_execz .LBB506_27
; %bb.16:
	v_add_u32_e32 v0, 64, v16
	v_cmp_gt_i32_e64 s[0:1], s12, v0
	v_add_u32_e32 v0, 0x80, v16
	v_cmp_gt_i32_e64 s[2:3], s12, v0
	;; [unrolled: 2-line block ×3, first 2 shown]
	s_waitcnt lgkmcnt(0)
	v_mul_lo_u32 v0, s33, v20
	v_add_u32_e32 v6, 2, v20
	v_add_u32_e32 v7, 3, v20
	v_add3_u32 v21, v0, s33, v2
	v_mad_u64_u32 v[0:1], s[6:7], s33, v6, v[2:3]
	v_mad_u64_u32 v[4:5], s[6:7], s33, v7, v[2:3]
	v_mul_lo_u32 v1, v14, s33
	v_mul_lo_u32 v5, s34, v20
	;; [unrolled: 1-line block ×4, first 2 shown]
	v_cmp_gt_i32_e32 vcc, s12, v16
	s_lshl_b32 s36, s33, 4
	v_lshl_add_u32 v1, v1, 2, v2
	v_add_u32_e32 v5, s34, v5
	s_lshl_b32 s37, s34, 4
	v_mul_lo_u32 v23, s34, v7
	v_lshlrev_b32_e32 v24, 2, v6
	s_mov_b32 s38, 0
	s_mov_b64 s[18:19], 0
	v_mov_b32_e32 v19, 0
	v_mov_b32_e32 v18, 0
	;; [unrolled: 1-line block ×4, first 2 shown]
	s_branch .LBB506_21
.LBB506_17:                             ;   in Loop: Header=BB506_21 Depth=1
	s_or_b64 exec, exec, s[26:27]
	s_waitcnt vmcnt(0) lgkmcnt(0)
	v_fma_mix_f32 v6, v37, v41, v17 op_sel_hi:[0,1,0]
	v_fma_mix_f32 v6, v38, v42, v6 op_sel_hi:[0,1,0]
	;; [unrolled: 1-line block ×4, first 2 shown]
.LBB506_18:                             ;   in Loop: Header=BB506_21 Depth=1
	s_or_b64 exec, exec, s[24:25]
	v_fma_mix_f32 v6, v37, v33, v18 op_sel_hi:[0,1,0]
	v_fma_mix_f32 v6, v38, v34, v6 op_sel_hi:[0,1,0]
	;; [unrolled: 1-line block ×4, first 2 shown]
.LBB506_19:                             ;   in Loop: Header=BB506_21 Depth=1
	s_or_b64 exec, exec, s[22:23]
	s_waitcnt vmcnt(0) lgkmcnt(0)
	v_fma_mix_f32 v6, v25, v29, v19 op_sel_hi:[1,1,0]
	s_nop 0
	v_fma_mix_f32 v6, v26, v30, v6 op_sel_hi:[1,1,0]
	s_nop 0
	;; [unrolled: 2-line block ×3, first 2 shown]
	v_fma_mix_f32 v19, v28, v32, v6 op_sel_hi:[1,1,0]
.LBB506_20:                             ;   in Loop: Header=BB506_21 Depth=1
	s_or_b64 exec, exec, s[6:7]
	v_add_u32_e32 v20, 16, v20
	s_add_i32 s38, s38, s37
	v_cmp_le_i32_e64 s[6:7], s35, v20
	v_add_u32_e32 v21, s36, v21
	v_add_u32_e32 v0, s36, v0
	;; [unrolled: 1-line block ×3, first 2 shown]
	s_or_b64 s[18:19], s[6:7], s[18:19]
	v_add_u32_e32 v1, s36, v1
	s_andn2_b64 exec, exec, s[18:19]
	s_cbranch_execz .LBB506_26
.LBB506_21:                             ; =>This Inner Loop Header: Depth=1
	s_and_saveexec_b64 s[6:7], vcc
	s_cbranch_execz .LBB506_20
; %bb.22:                               ;   in Loop: Header=BB506_21 Depth=1
	v_add_u32_e32 v6, s38, v24
	v_ashrrev_i32_e32 v7, 31, v6
	v_add_u32_e32 v8, s38, v5
	v_add_u32_e32 v10, s38, v22
	;; [unrolled: 1-line block ×3, first 2 shown]
	v_lshl_add_u64 v[6:7], v[6:7], 1, s[20:21]
	v_ashrrev_i32_e32 v9, 31, v8
	v_ashrrev_i32_e32 v11, 31, v10
	;; [unrolled: 1-line block ×3, first 2 shown]
	v_lshl_add_u64 v[8:9], v[8:9], 1, s[20:21]
	v_lshl_add_u64 v[10:11], v[10:11], 1, s[20:21]
	;; [unrolled: 1-line block ×3, first 2 shown]
	flat_load_ushort v25, v[6:7]
	flat_load_ushort v26, v[8:9]
	;; [unrolled: 1-line block ×4, first 2 shown]
	v_add_u32_e32 v6, s31, v1
	v_ashrrev_i32_e32 v7, 31, v6
	v_add_u32_e32 v8, s31, v21
	v_add_u32_e32 v10, s31, v0
	;; [unrolled: 1-line block ×3, first 2 shown]
	v_lshl_add_u64 v[6:7], v[6:7], 1, s[14:15]
	v_ashrrev_i32_e32 v9, 31, v8
	v_ashrrev_i32_e32 v11, 31, v10
	;; [unrolled: 1-line block ×3, first 2 shown]
	v_lshl_add_u64 v[8:9], v[8:9], 1, s[14:15]
	v_lshl_add_u64 v[10:11], v[10:11], 1, s[14:15]
	v_lshl_add_u64 v[12:13], v[12:13], 1, s[14:15]
	flat_load_ushort v29, v[6:7]
	flat_load_ushort v30, v[8:9]
	;; [unrolled: 1-line block ×4, first 2 shown]
	s_and_saveexec_b64 s[22:23], s[0:1]
	s_cbranch_execz .LBB506_19
; %bb.23:                               ;   in Loop: Header=BB506_21 Depth=1
	flat_load_ushort v33, v[6:7] offset:128
	flat_load_ushort v34, v[8:9] offset:128
	;; [unrolled: 1-line block ×4, first 2 shown]
	s_waitcnt vmcnt(0) lgkmcnt(0)
	v_cvt_f32_f16_e32 v37, v25
	v_cvt_f32_f16_e32 v38, v26
	;; [unrolled: 1-line block ×4, first 2 shown]
	s_and_saveexec_b64 s[24:25], s[2:3]
	s_cbranch_execz .LBB506_18
; %bb.24:                               ;   in Loop: Header=BB506_21 Depth=1
	flat_load_ushort v41, v[6:7] offset:256
	flat_load_ushort v42, v[8:9] offset:256
	;; [unrolled: 1-line block ×4, first 2 shown]
	s_and_saveexec_b64 s[26:27], s[4:5]
	s_cbranch_execz .LBB506_17
; %bb.25:                               ;   in Loop: Header=BB506_21 Depth=1
	flat_load_ushort v45, v[6:7] offset:384
	flat_load_ushort v46, v[8:9] offset:384
	;; [unrolled: 1-line block ×4, first 2 shown]
	s_waitcnt vmcnt(0) lgkmcnt(0)
	v_fma_mix_f32 v6, v37, v45, v15 op_sel_hi:[0,1,0]
	v_fma_mix_f32 v6, v38, v46, v6 op_sel_hi:[0,1,0]
	;; [unrolled: 1-line block ×4, first 2 shown]
	s_branch .LBB506_17
.LBB506_26:
	s_or_b64 exec, exec, s[18:19]
.LBB506_27:
	s_or_b64 exec, exec, s[16:17]
	s_sub_i32 s0, s13, s35
	s_cmp_lt_i32 s0, 1
	s_cbranch_scc1 .LBB506_45
; %bb.28:
	v_cmp_gt_i32_e32 vcc, s13, v20
	v_mov_b32_e32 v10, 0
	v_or_b32_e32 v4, 1, v20
	v_mov_b32_e32 v11, 0
	v_mov_b32_e32 v12, 0
	;; [unrolled: 1-line block ×3, first 2 shown]
	s_and_saveexec_b64 s[2:3], vcc
	s_cbranch_execz .LBB506_36
; %bb.29:
	s_waitcnt lgkmcnt(0)
	v_mul_lo_u32 v0, v20, s34
	v_ashrrev_i32_e32 v1, 31, v0
	v_lshl_add_u64 v[0:1], v[0:1], 1, s[20:21]
	flat_load_ushort v0, v[0:1]
	v_cmp_gt_i32_e64 s[0:1], s13, v4
	v_mov_b32_e32 v12, 0
	v_mov_b32_e32 v11, 0
	;; [unrolled: 1-line block ×3, first 2 shown]
	s_and_saveexec_b64 s[4:5], s[0:1]
	s_cbranch_execz .LBB506_35
; %bb.30:
	v_mul_lo_u32 v6, v4, s34
	v_ashrrev_i32_e32 v7, 31, v6
	v_lshl_add_u64 v[6:7], v[6:7], 1, s[20:21]
	flat_load_ushort v1, v[6:7]
	v_or_b32_e32 v5, 2, v20
	v_cmp_gt_i32_e64 s[0:1], s13, v5
	v_mov_b32_e32 v11, 0
	v_mov_b32_e32 v10, 0
	s_and_saveexec_b64 s[6:7], s[0:1]
	s_cbranch_execz .LBB506_34
; %bb.31:
	v_mul_lo_u32 v6, v5, s34
	v_ashrrev_i32_e32 v7, 31, v6
	v_lshl_add_u64 v[6:7], v[6:7], 1, s[20:21]
	flat_load_ushort v5, v[6:7]
	v_or_b32_e32 v6, 3, v20
	v_cmp_gt_i32_e64 s[0:1], s13, v6
	v_mov_b32_e32 v10, 0
	s_and_saveexec_b64 s[16:17], s[0:1]
	s_cbranch_execz .LBB506_33
; %bb.32:
	v_mul_lo_u32 v6, v6, s34
	v_ashrrev_i32_e32 v7, 31, v6
	v_lshl_add_u64 v[6:7], v[6:7], 1, s[20:21]
	flat_load_ushort v6, v[6:7]
	s_waitcnt vmcnt(0) lgkmcnt(0)
	v_cvt_f32_f16_e32 v10, v6
.LBB506_33:
	s_or_b64 exec, exec, s[16:17]
	s_waitcnt vmcnt(0) lgkmcnt(0)
	v_cvt_f32_f16_e32 v11, v5
.LBB506_34:
	s_or_b64 exec, exec, s[6:7]
	s_waitcnt vmcnt(0) lgkmcnt(0)
	v_cvt_f32_f16_e32 v12, v1
.LBB506_35:
	s_or_b64 exec, exec, s[4:5]
	s_waitcnt vmcnt(0) lgkmcnt(0)
	v_cvt_f32_f16_e32 v13, v0
.LBB506_36:
	s_or_b64 exec, exec, s[2:3]
	v_cmp_gt_i32_e64 s[0:1], s12, v16
	s_and_saveexec_b64 s[2:3], s[0:1]
	s_cbranch_execz .LBB506_44
; %bb.37:
	s_waitcnt lgkmcnt(0)
	v_mul_lo_u32 v0, v20, s33
	v_cndmask_b32_e32 v0, 0, v0, vcc
	v_mul_lo_u32 v5, v4, s33
	v_cmp_gt_i32_e32 vcc, s13, v4
	v_or_b32_e32 v6, 2, v20
	v_mul_lo_u32 v7, v6, s33
	v_cndmask_b32_e32 v4, 0, v5, vcc
	v_cmp_gt_i32_e32 vcc, s13, v6
	v_or_b32_e32 v8, 3, v20
	v_mul_lo_u32 v9, v8, s33
	v_cndmask_b32_e32 v6, 0, v7, vcc
	v_cmp_gt_i32_e32 vcc, s13, v8
	v_add_u32_e32 v0, v0, v16
	v_ashrrev_i32_e32 v1, 31, v0
	v_cndmask_b32_e32 v8, 0, v9, vcc
	v_add_u32_e32 v4, v4, v16
	v_add_u32_e32 v6, v6, v16
	;; [unrolled: 1-line block ×3, first 2 shown]
	v_lshl_add_u64 v[0:1], v[0:1], 1, s[14:15]
	v_ashrrev_i32_e32 v5, 31, v4
	v_ashrrev_i32_e32 v7, 31, v6
	;; [unrolled: 1-line block ×3, first 2 shown]
	v_lshl_add_u64 v[4:5], v[4:5], 1, s[14:15]
	v_lshl_add_u64 v[6:7], v[6:7], 1, s[14:15]
	flat_load_ushort v21, v[0:1]
	flat_load_ushort v22, v[4:5]
	;; [unrolled: 1-line block ×3, first 2 shown]
	v_lshl_add_u64 v[8:9], v[8:9], 1, s[14:15]
	flat_load_ushort v20, v[8:9]
	v_add_u32_e32 v24, 64, v16
	v_cmp_gt_i32_e32 vcc, s12, v24
	s_waitcnt vmcnt(0) lgkmcnt(0)
	v_fma_mix_f32 v19, v13, v21, v19 op_sel_hi:[0,1,0]
	v_fma_mix_f32 v19, v12, v22, v19 op_sel_hi:[0,1,0]
	v_fma_mix_f32 v19, v11, v23, v19 op_sel_hi:[0,1,0]
	s_and_saveexec_b64 s[0:1], vcc
	s_cbranch_execz .LBB506_43
; %bb.38:
	flat_load_ushort v22, v[0:1] offset:128
	flat_load_ushort v23, v[4:5] offset:128
	flat_load_ushort v24, v[6:7] offset:128
	flat_load_ushort v21, v[8:9] offset:128
	v_add_u32_e32 v25, 0x80, v16
	v_cmp_gt_i32_e32 vcc, s12, v25
	s_waitcnt vmcnt(0) lgkmcnt(0)
	v_fma_mix_f32 v18, v13, v22, v18 op_sel_hi:[0,1,0]
	v_fma_mix_f32 v18, v12, v23, v18 op_sel_hi:[0,1,0]
	v_fma_mix_f32 v18, v11, v24, v18 op_sel_hi:[0,1,0]
	s_and_saveexec_b64 s[4:5], vcc
	s_cbranch_execz .LBB506_42
; %bb.39:
	flat_load_ushort v23, v[0:1] offset:256
	flat_load_ushort v24, v[4:5] offset:256
	flat_load_ushort v25, v[6:7] offset:256
	flat_load_ushort v22, v[8:9] offset:256
	;; [unrolled: 13-line block ×3, first 2 shown]
	s_waitcnt vmcnt(0) lgkmcnt(0)
	v_fma_mix_f32 v0, v13, v17, v15 op_sel_hi:[0,1,0]
	v_fma_mix_f32 v0, v12, v23, v0 op_sel_hi:[0,1,0]
	;; [unrolled: 1-line block ×4, first 2 shown]
.LBB506_41:
	s_or_b64 exec, exec, s[6:7]
	v_fma_mix_f32 v17, v10, v22, v16 op_sel_hi:[0,1,0]
.LBB506_42:
	s_or_b64 exec, exec, s[4:5]
	v_fma_mix_f32 v18, v10, v21, v18 op_sel_hi:[0,1,0]
.LBB506_43:
	s_or_b64 exec, exec, s[0:1]
	v_fma_mix_f32 v19, v10, v20, v19 op_sel_hi:[0,1,0]
.LBB506_44:
	s_or_b64 exec, exec, s[2:3]
.LBB506_45:
	v_lshlrev_b32_e32 v0, 8, v14
	s_movk_i32 s0, 0x100
	v_add_lshl_u32 v0, v0, v2, 2
	v_cmp_gt_u32_e32 vcc, s0, v3
	ds_write2st64_b32 v0, v19, v18 offset1:1
	ds_write2st64_b32 v0, v17, v15 offset0:2 offset1:3
	s_waitcnt lgkmcnt(0)
	s_barrier
	s_waitcnt lgkmcnt(0)
                                        ; implicit-def: $vgpr1
                                        ; implicit-def: $vgpr4_vgpr5
	s_and_saveexec_b64 s[0:1], vcc
	s_cbranch_execz .LBB506_51
; %bb.46:
	v_lshlrev_b32_e32 v1, 2, v3
	ds_read2st64_b32 v[4:5], v1 offset1:4
	ds_read2st64_b32 v[6:7], v1 offset0:8 offset1:12
	v_or_b32_e32 v0, s31, v3
	v_cmp_gt_i32_e32 vcc, s12, v0
	s_mov_b64 s[4:5], s[10:11]
	s_waitcnt lgkmcnt(1)
	v_add_f32_e32 v2, v4, v5
	s_waitcnt lgkmcnt(0)
	v_add_f32_e32 v2, v6, v2
	v_add_f32_e32 v2, v7, v2
	ds_write_b32 v1, v2
                                        ; implicit-def: $vgpr1
                                        ; implicit-def: $vgpr4_vgpr5
	s_and_saveexec_b64 s[2:3], vcc
	s_cbranch_execz .LBB506_50
; %bb.47:
	v_cmp_eq_f32_e64 s[4:5], s28, 0
	v_mul_lo_u32 v4, v0, s30
	v_mul_f32_e32 v1, s29, v2
	v_ashrrev_i32_e32 v5, 31, v4
	s_and_b64 vcc, exec, s[4:5]
	s_cbranch_vccnz .LBB506_49
; %bb.48:
	v_lshl_add_u64 v[2:3], v[4:5], 2, s[8:9]
	global_load_dword v0, v[2:3], off
	s_waitcnt vmcnt(0)
	v_fmac_f32_e32 v1, s28, v0
.LBB506_49:
	s_or_b64 s[4:5], s[10:11], exec
.LBB506_50:
	s_or_b64 exec, exec, s[2:3]
	s_andn2_b64 s[2:3], s[10:11], exec
	s_and_b64 s[4:5], s[4:5], exec
	s_or_b64 s[10:11], s[2:3], s[4:5]
.LBB506_51:
	s_or_b64 exec, exec, s[0:1]
.LBB506_52:
	s_and_saveexec_b64 s[0:1], s[10:11]
	s_cbranch_execz .LBB506_54
; %bb.53:
	v_lshl_add_u64 v[2:3], v[4:5], 2, s[8:9]
	global_store_dword v[2:3], v1, off
.LBB506_54:
	s_endpgm
	.section	.rodata,"a",@progbits
	.p2align	6, 0x0
	.amdhsa_kernel _ZL20rocblas_gemvn_kernelILi64ELi4EiPKDF16_PKfKPfEviiT3_lPKT2_lT1_lS9_lSA_lS6_lPT4_lSA_li
		.amdhsa_group_segment_fixed_size 4096
		.amdhsa_private_segment_fixed_size 0
		.amdhsa_kernarg_size 400
		.amdhsa_user_sgpr_count 2
		.amdhsa_user_sgpr_dispatch_ptr 0
		.amdhsa_user_sgpr_queue_ptr 0
		.amdhsa_user_sgpr_kernarg_segment_ptr 1
		.amdhsa_user_sgpr_dispatch_id 0
		.amdhsa_user_sgpr_kernarg_preload_length 0
		.amdhsa_user_sgpr_kernarg_preload_offset 0
		.amdhsa_user_sgpr_private_segment_size 0
		.amdhsa_uses_dynamic_stack 0
		.amdhsa_enable_private_segment 0
		.amdhsa_system_sgpr_workgroup_id_x 1
		.amdhsa_system_sgpr_workgroup_id_y 0
		.amdhsa_system_sgpr_workgroup_id_z 1
		.amdhsa_system_sgpr_workgroup_info 0
		.amdhsa_system_vgpr_workitem_id 1
		.amdhsa_next_free_vgpr 49
		.amdhsa_next_free_sgpr 39
		.amdhsa_accum_offset 52
		.amdhsa_reserve_vcc 1
		.amdhsa_float_round_mode_32 0
		.amdhsa_float_round_mode_16_64 0
		.amdhsa_float_denorm_mode_32 3
		.amdhsa_float_denorm_mode_16_64 3
		.amdhsa_dx10_clamp 1
		.amdhsa_ieee_mode 1
		.amdhsa_fp16_overflow 0
		.amdhsa_tg_split 0
		.amdhsa_exception_fp_ieee_invalid_op 0
		.amdhsa_exception_fp_denorm_src 0
		.amdhsa_exception_fp_ieee_div_zero 0
		.amdhsa_exception_fp_ieee_overflow 0
		.amdhsa_exception_fp_ieee_underflow 0
		.amdhsa_exception_fp_ieee_inexact 0
		.amdhsa_exception_int_div_zero 0
	.end_amdhsa_kernel
	.section	.text._ZL20rocblas_gemvn_kernelILi64ELi4EiPKDF16_PKfKPfEviiT3_lPKT2_lT1_lS9_lSA_lS6_lPT4_lSA_li,"axG",@progbits,_ZL20rocblas_gemvn_kernelILi64ELi4EiPKDF16_PKfKPfEviiT3_lPKT2_lT1_lS9_lSA_lS6_lPT4_lSA_li,comdat
.Lfunc_end506:
	.size	_ZL20rocblas_gemvn_kernelILi64ELi4EiPKDF16_PKfKPfEviiT3_lPKT2_lT1_lS9_lSA_lS6_lPT4_lSA_li, .Lfunc_end506-_ZL20rocblas_gemvn_kernelILi64ELi4EiPKDF16_PKfKPfEviiT3_lPKT2_lT1_lS9_lSA_lS6_lPT4_lSA_li
                                        ; -- End function
	.section	.AMDGPU.csdata,"",@progbits
; Kernel info:
; codeLenInByte = 2396
; NumSgprs: 45
; NumVgprs: 49
; NumAgprs: 0
; TotalNumVgprs: 49
; ScratchSize: 0
; MemoryBound: 0
; FloatMode: 240
; IeeeMode: 1
; LDSByteSize: 4096 bytes/workgroup (compile time only)
; SGPRBlocks: 5
; VGPRBlocks: 6
; NumSGPRsForWavesPerEU: 45
; NumVGPRsForWavesPerEU: 49
; AccumOffset: 52
; Occupancy: 8
; WaveLimiterHint : 1
; COMPUTE_PGM_RSRC2:SCRATCH_EN: 0
; COMPUTE_PGM_RSRC2:USER_SGPR: 2
; COMPUTE_PGM_RSRC2:TRAP_HANDLER: 0
; COMPUTE_PGM_RSRC2:TGID_X_EN: 1
; COMPUTE_PGM_RSRC2:TGID_Y_EN: 0
; COMPUTE_PGM_RSRC2:TGID_Z_EN: 1
; COMPUTE_PGM_RSRC2:TIDIG_COMP_CNT: 1
; COMPUTE_PGM_RSRC3_GFX90A:ACCUM_OFFSET: 12
; COMPUTE_PGM_RSRC3_GFX90A:TG_SPLIT: 0
	.section	.text._ZL20rocblas_gemvn_kernelILi64ELi4ElPKDF16_PKfKPfEviiT3_lPKT2_lT1_lS9_lSA_lS6_lPT4_lSA_li,"axG",@progbits,_ZL20rocblas_gemvn_kernelILi64ELi4ElPKDF16_PKfKPfEviiT3_lPKT2_lT1_lS9_lSA_lS6_lPT4_lSA_li,comdat
	.globl	_ZL20rocblas_gemvn_kernelILi64ELi4ElPKDF16_PKfKPfEviiT3_lPKT2_lT1_lS9_lSA_lS6_lPT4_lSA_li ; -- Begin function _ZL20rocblas_gemvn_kernelILi64ELi4ElPKDF16_PKfKPfEviiT3_lPKT2_lT1_lS9_lSA_lS6_lPT4_lSA_li
	.p2align	8
	.type	_ZL20rocblas_gemvn_kernelILi64ELi4ElPKDF16_PKfKPfEviiT3_lPKT2_lT1_lS9_lSA_lS6_lPT4_lSA_li,@function
_ZL20rocblas_gemvn_kernelILi64ELi4ElPKDF16_PKfKPfEviiT3_lPKT2_lT1_lS9_lSA_lS6_lPT4_lSA_li: ; @_ZL20rocblas_gemvn_kernelILi64ELi4ElPKDF16_PKfKPfEviiT3_lPKT2_lT1_lS9_lSA_lS6_lPT4_lSA_li
; %bb.0:
	s_load_dwordx2 s[4:5], s[0:1], 0x9c
	s_mov_b32 s26, s3
	s_waitcnt lgkmcnt(0)
	s_and_b32 s3, s5, 0xffff
	s_lshr_b32 s5, s4, 16
	s_and_b32 s4, s4, 0xffff
	s_mul_i32 s4, s5, s4
	s_mul_i32 s4, s4, s3
	s_cmpk_lg_i32 s4, 0x100
	s_cbranch_scc1 .LBB507_54
; %bb.1:
	s_load_dwordx8 s[12:19], s[0:1], 0x8
	s_load_dwordx8 s[4:11], s[0:1], 0x58
	s_waitcnt lgkmcnt(0)
	s_mul_i32 s3, s26, s15
	s_mul_hi_u32 s15, s26, s14
	s_mul_i32 s14, s26, s14
	s_add_i32 s15, s15, s3
	s_lshl_b64 s[14:15], s[14:15], 2
	s_mul_i32 s7, s26, s7
	s_add_u32 s12, s12, s14
	s_mul_hi_u32 s3, s26, s6
	s_addc_u32 s13, s13, s15
	s_add_i32 s7, s3, s7
	s_mul_i32 s6, s26, s6
	s_lshl_b64 s[6:7], s[6:7], 2
	s_add_u32 s4, s4, s6
	s_addc_u32 s5, s5, s7
	s_load_dword s42, s[12:13], 0x0
	s_load_dword s33, s[4:5], 0x0
	s_waitcnt lgkmcnt(0)
	v_cmp_eq_f32_e64 s[28:29], s42, 0
	v_cmp_eq_f32_e64 s[4:5], s33, 1.0
	s_and_b64 s[4:5], s[28:29], s[4:5]
	s_and_b64 vcc, exec, s[4:5]
	s_cbranch_vccnz .LBB507_54
; %bb.2:
	s_load_dwordx2 s[20:21], s[0:1], 0x28
	s_load_dwordx2 s[12:13], s[0:1], 0x78
	s_mov_b32 s27, 0
	v_cmp_neq_f32_e64 s[14:15], s42, 0
	s_mov_b64 s[24:25], 0
	s_and_b64 vcc, exec, s[28:29]
	s_mov_b64 s[22:23], 0
	s_cbranch_vccnz .LBB507_4
; %bb.3:
	s_lshl_b64 s[4:5], s[26:27], 3
	s_add_u32 s4, s16, s4
	s_addc_u32 s5, s17, s5
	s_load_dwordx2 s[4:5], s[4:5], 0x0
	s_lshl_b64 s[6:7], s[18:19], 1
	s_waitcnt lgkmcnt(0)
	s_add_u32 s22, s4, s6
	s_addc_u32 s23, s5, s7
.LBB507_4:
	s_load_dwordx4 s[4:7], s[0:1], 0x38
	s_load_dwordx2 s[16:17], s[0:1], 0x48
	s_andn2_b64 vcc, exec, s[14:15]
	s_cbranch_vccnz .LBB507_6
; %bb.5:
	s_lshl_b64 s[14:15], s[26:27], 3
	s_waitcnt lgkmcnt(0)
	s_add_u32 s4, s4, s14
	s_addc_u32 s5, s5, s15
	s_load_dwordx2 s[4:5], s[4:5], 0x0
	s_lshl_b64 s[6:7], s[6:7], 1
	s_waitcnt lgkmcnt(0)
	s_add_u32 s24, s4, s6
	s_addc_u32 s25, s5, s7
.LBB507_6:
	s_waitcnt lgkmcnt(0)
	s_lshl_b64 s[4:5], s[26:27], 3
	s_add_u32 s4, s8, s4
	s_addc_u32 s5, s9, s5
	s_load_dwordx2 s[6:7], s[4:5], 0x0
	s_load_dwordx2 s[14:15], s[0:1], 0x0
	s_lshl_b64 s[0:1], s[10:11], 2
	v_and_b32_e32 v29, 0x3ff, v0
	v_bfe_u32 v30, v0, 10, 10
	s_waitcnt lgkmcnt(0)
	s_add_u32 s8, s6, s0
	s_addc_u32 s9, s7, s1
	s_andn2_b64 vcc, exec, s[28:29]
	v_lshl_add_u32 v28, v30, 6, v29
	s_cbranch_vccnz .LBB507_13
; %bb.7:
	s_movk_i32 s0, 0x100
	v_cmp_gt_u32_e32 vcc, s0, v28
	s_mov_b64 s[0:1], 0
	s_mov_b64 s[10:11], 0
                                        ; implicit-def: $vgpr1
                                        ; implicit-def: $vgpr2_vgpr3
	s_and_saveexec_b64 s[4:5], vcc
	s_cbranch_execz .LBB507_14
; %bb.8:
	v_lshl_or_b32 v0, s2, 8, v28
	v_mov_b32_e32 v1, 0
	s_ashr_i32 s7, s14, 31
	s_mov_b32 s6, s14
	v_cmp_gt_i64_e32 vcc, s[6:7], v[0:1]
                                        ; implicit-def: $vgpr2_vgpr3
	s_and_saveexec_b64 s[6:7], vcc
	s_cbranch_execz .LBB507_12
; %bb.9:
	v_mad_u64_u32 v[2:3], s[18:19], v0, s12, 0
	v_mov_b32_e32 v4, v3
	v_cmp_eq_f32_e64 s[10:11], s33, 0
	v_mad_u64_u32 v[4:5], s[18:19], v0, s13, v[4:5]
	v_mov_b32_e32 v3, v4
	s_and_b64 vcc, exec, s[10:11]
	s_cbranch_vccnz .LBB507_11
; %bb.10:
	v_lshl_add_u64 v[0:1], v[2:3], 2, s[8:9]
	global_load_dword v0, v[0:1], off
	s_waitcnt vmcnt(0)
	v_mul_f32_e32 v1, s33, v0
.LBB507_11:
	s_mov_b64 s[10:11], exec
.LBB507_12:
	s_or_b64 exec, exec, s[6:7]
	s_and_b64 s[10:11], s[10:11], exec
	s_or_b64 exec, exec, s[4:5]
	s_and_b64 vcc, exec, s[0:1]
	s_cbranch_vccnz .LBB507_15
	s_branch .LBB507_52
.LBB507_13:
	s_mov_b64 s[10:11], 0
                                        ; implicit-def: $vgpr1
                                        ; implicit-def: $vgpr2_vgpr3
	s_cbranch_execnz .LBB507_15
	s_branch .LBB507_52
.LBB507_14:
	s_or_b64 exec, exec, s[4:5]
	s_and_b64 vcc, exec, s[0:1]
	s_cbranch_vccz .LBB507_52
.LBB507_15:
	s_ashr_i32 s0, s15, 31
	s_lshr_b32 s0, s0, 28
	s_add_i32 s0, s15, s0
	s_lshl_b32 s43, s2, 8
	s_and_b32 s44, s0, -16
	v_lshlrev_b32_e32 v33, 2, v30
	v_add_u32_e32 v0, s43, v29
	v_cmp_gt_i32_e32 vcc, s44, v33
	v_mov_b32_e32 v35, 0
	v_mov_b32_e32 v34, 0
	;; [unrolled: 1-line block ×4, first 2 shown]
	s_and_saveexec_b64 s[18:19], vcc
	s_cbranch_execz .LBB507_27
; %bb.16:
	v_add_u32_e32 v2, 64, v0
	v_cmp_gt_i32_e64 s[0:1], s14, v2
	v_add_u32_e32 v2, 0x80, v0
	v_ashrrev_i32_e32 v1, 31, v0
	v_cmp_gt_i32_e64 s[2:3], s14, v2
	v_add_u32_e32 v2, 0xc0, v0
	v_cmp_gt_i32_e64 s[4:5], s14, v2
	v_lshlrev_b64 v[2:3], 1, v[0:1]
	v_lshlrev_b32_e32 v1, 2, v30
	v_or_b32_e32 v15, 3, v1
	v_mad_u64_u32 v[4:5], s[6:7], s20, v15, 0
	v_mov_b32_e32 v6, v5
	v_mad_u64_u32 v[6:7], s[6:7], s21, v15, v[6:7]
	v_mov_b32_e32 v5, v6
	;; [unrolled: 2-line block ×6, first 2 shown]
	v_mov_b64_e32 v[10:11], s[16:17]
	v_mad_u64_u32 v[10:11], s[6:7], s16, v1, v[10:11]
	v_mov_b32_e32 v12, v11
	v_mad_u64_u32 v[12:13], s[6:7], s17, v1, v[12:13]
	v_mov_b32_e32 v11, v12
	;; [unrolled: 2-line block ×3, first 2 shown]
	v_mad_u64_u32 v[14:15], s[6:7], s17, v15, v[14:15]
	v_or_b32_e32 v21, 2, v1
	v_mov_b32_e32 v13, v14
	v_mad_u64_u32 v[14:15], s[6:7], s20, v21, 0
	v_mov_b32_e32 v16, v15
	v_mad_u64_u32 v[16:17], s[6:7], s21, v21, v[16:17]
	v_mov_b32_e32 v15, v16
	v_mov_b64_e32 v[16:17], s[20:21]
	v_mad_u64_u32 v[16:17], s[6:7], s20, v1, v[16:17]
	v_mov_b32_e32 v18, v17
	v_mad_u64_u32 v[18:19], s[6:7], s21, v1, v[18:19]
	v_mov_b32_e32 v17, v18
	;; [unrolled: 2-line block ×4, first 2 shown]
	v_cmp_gt_i32_e32 vcc, s14, v0
	v_lshl_add_u64 v[4:5], v[4:5], 1, s[22:23]
	s_lshl_b64 s[26:27], s[20:21], 5
	v_lshlrev_b64 v[6:7], 3, v[6:7]
	s_lshl_b64 s[28:29], s[16:17], 5
	v_lshl_add_u64 v[8:9], v[8:9], 3, s[22:23]
	v_lshlrev_b64 v[10:11], 1, v[10:11]
	v_lshlrev_b64 v[12:13], 1, v[12:13]
	v_lshl_add_u64 v[14:15], v[14:15], 1, s[22:23]
	v_lshl_add_u64 v[16:17], v[16:17], 1, s[22:23]
	v_lshlrev_b64 v[18:19], 1, v[18:19]
	s_mov_b64 s[30:31], 0
	v_mov_b32_e32 v35, 0
	s_mov_b64 s[34:35], s[24:25]
	v_mov_b32_e32 v34, 0
	v_mov_b32_e32 v32, 0
	;; [unrolled: 1-line block ×3, first 2 shown]
	s_branch .LBB507_21
.LBB507_17:                             ;   in Loop: Header=BB507_21 Depth=1
	s_or_b64 exec, exec, s[40:41]
	s_waitcnt vmcnt(0) lgkmcnt(0)
	v_fma_mix_f32 v20, v47, v51, v32 op_sel_hi:[0,1,0]
	v_fma_mix_f32 v20, v48, v52, v20 op_sel_hi:[0,1,0]
	;; [unrolled: 1-line block ×4, first 2 shown]
.LBB507_18:                             ;   in Loop: Header=BB507_21 Depth=1
	s_or_b64 exec, exec, s[38:39]
	v_fma_mix_f32 v20, v47, v43, v34 op_sel_hi:[0,1,0]
	v_fma_mix_f32 v20, v48, v44, v20 op_sel_hi:[0,1,0]
	;; [unrolled: 1-line block ×4, first 2 shown]
.LBB507_19:                             ;   in Loop: Header=BB507_21 Depth=1
	s_or_b64 exec, exec, s[36:37]
	s_waitcnt vmcnt(0) lgkmcnt(0)
	v_fma_mix_f32 v1, v1, v39, v35 op_sel_hi:[1,1,0]
	s_nop 0
	v_fma_mix_f32 v1, v36, v40, v1 op_sel_hi:[1,1,0]
	s_nop 0
	v_fma_mix_f32 v1, v37, v41, v1 op_sel_hi:[1,1,0]
	s_nop 0
	v_fma_mix_f32 v35, v38, v42, v1 op_sel_hi:[1,1,0]
.LBB507_20:                             ;   in Loop: Header=BB507_21 Depth=1
	s_or_b64 exec, exec, s[6:7]
	v_add_u32_e32 v33, 16, v33
	s_add_u32 s34, s34, s28
	s_addc_u32 s35, s35, s29
	v_cmp_le_i32_e64 s[6:7], s44, v33
	v_lshl_add_u64 v[4:5], v[4:5], 0, s[26:27]
	v_lshl_add_u64 v[8:9], v[8:9], 0, s[26:27]
	;; [unrolled: 1-line block ×3, first 2 shown]
	s_or_b64 s[30:31], s[6:7], s[30:31]
	v_lshl_add_u64 v[16:17], v[16:17], 0, s[26:27]
	s_andn2_b64 exec, exec, s[30:31]
	s_cbranch_execz .LBB507_26
.LBB507_21:                             ; =>This Inner Loop Header: Depth=1
	s_and_saveexec_b64 s[6:7], vcc
	s_cbranch_execz .LBB507_20
; %bb.22:                               ;   in Loop: Header=BB507_21 Depth=1
	v_lshl_add_u64 v[20:21], s[34:35], 0, v[6:7]
	v_lshl_add_u64 v[22:23], s[34:35], 0, v[10:11]
	;; [unrolled: 1-line block ×4, first 2 shown]
	flat_load_ushort v1, v[20:21]
	flat_load_ushort v36, v[22:23]
	;; [unrolled: 1-line block ×4, first 2 shown]
	v_lshl_add_u64 v[20:21], v[8:9], 0, v[2:3]
	v_lshl_add_u64 v[22:23], v[16:17], 0, v[2:3]
	;; [unrolled: 1-line block ×4, first 2 shown]
	flat_load_ushort v39, v[20:21]
	flat_load_ushort v40, v[22:23]
	;; [unrolled: 1-line block ×4, first 2 shown]
	s_and_saveexec_b64 s[36:37], s[0:1]
	s_cbranch_execz .LBB507_19
; %bb.23:                               ;   in Loop: Header=BB507_21 Depth=1
	flat_load_ushort v43, v[20:21] offset:128
	flat_load_ushort v44, v[22:23] offset:128
	;; [unrolled: 1-line block ×4, first 2 shown]
	s_waitcnt vmcnt(0) lgkmcnt(0)
	v_cvt_f32_f16_e32 v47, v1
	v_cvt_f32_f16_e32 v48, v36
	;; [unrolled: 1-line block ×4, first 2 shown]
	s_and_saveexec_b64 s[38:39], s[2:3]
	s_cbranch_execz .LBB507_18
; %bb.24:                               ;   in Loop: Header=BB507_21 Depth=1
	flat_load_ushort v51, v[20:21] offset:256
	flat_load_ushort v52, v[22:23] offset:256
	;; [unrolled: 1-line block ×4, first 2 shown]
	s_and_saveexec_b64 s[40:41], s[4:5]
	s_cbranch_execz .LBB507_17
; %bb.25:                               ;   in Loop: Header=BB507_21 Depth=1
	flat_load_ushort v55, v[20:21] offset:384
	flat_load_ushort v56, v[22:23] offset:384
	;; [unrolled: 1-line block ×4, first 2 shown]
	s_waitcnt vmcnt(0) lgkmcnt(0)
	v_fma_mix_f32 v20, v47, v55, v31 op_sel_hi:[0,1,0]
	v_fma_mix_f32 v20, v48, v56, v20 op_sel_hi:[0,1,0]
	;; [unrolled: 1-line block ×4, first 2 shown]
	s_branch .LBB507_17
.LBB507_26:
	s_or_b64 exec, exec, s[30:31]
.LBB507_27:
	s_or_b64 exec, exec, s[18:19]
	s_sub_i32 s0, s15, s44
	s_cmp_lt_i32 s0, 1
	s_cbranch_scc1 .LBB507_45
; %bb.28:
	v_cmp_gt_i32_e32 vcc, s15, v33
	v_mov_b32_e32 v10, 0
	v_or_b32_e32 v4, 1, v33
	v_mov_b32_e32 v11, 0
	v_mov_b32_e32 v12, 0
	;; [unrolled: 1-line block ×3, first 2 shown]
	s_and_saveexec_b64 s[2:3], vcc
	s_cbranch_execz .LBB507_36
; %bb.29:
	v_mad_u64_u32 v[2:3], s[0:1], v33, s16, 0
	v_mov_b32_e32 v6, v3
	v_mad_u64_u32 v[6:7], s[0:1], v33, s17, v[6:7]
	v_mov_b32_e32 v3, v6
	v_lshl_add_u64 v[2:3], v[2:3], 1, s[24:25]
	flat_load_ushort v1, v[2:3]
	v_cmp_gt_i32_e64 s[0:1], s15, v4
	v_mov_b32_e32 v12, 0
	v_mov_b32_e32 v11, 0
	;; [unrolled: 1-line block ×3, first 2 shown]
	s_and_saveexec_b64 s[4:5], s[0:1]
	s_cbranch_execz .LBB507_35
; %bb.30:
	v_mad_u64_u32 v[2:3], s[0:1], v4, s16, 0
	v_mov_b32_e32 v6, v3
	v_mad_u64_u32 v[6:7], s[0:1], v4, s17, v[6:7]
	v_mov_b32_e32 v3, v6
	v_lshl_add_u64 v[2:3], v[2:3], 1, s[24:25]
	flat_load_ushort v2, v[2:3]
	v_or_b32_e32 v3, 2, v33
	v_cmp_gt_i32_e64 s[0:1], s15, v3
	v_mov_b32_e32 v11, 0
	v_mov_b32_e32 v10, 0
	s_and_saveexec_b64 s[6:7], s[0:1]
	s_cbranch_execz .LBB507_34
; %bb.31:
	v_mad_u64_u32 v[6:7], s[0:1], v3, s16, 0
	v_mov_b32_e32 v8, v7
	v_mad_u64_u32 v[8:9], s[0:1], v3, s17, v[8:9]
	v_mov_b32_e32 v7, v8
	v_lshl_add_u64 v[6:7], v[6:7], 1, s[24:25]
	flat_load_ushort v3, v[6:7]
	v_or_b32_e32 v5, 3, v33
	v_cmp_gt_i32_e64 s[0:1], s15, v5
	v_mov_b32_e32 v10, 0
	s_and_saveexec_b64 s[18:19], s[0:1]
	s_cbranch_execz .LBB507_33
; %bb.32:
	v_mad_u64_u32 v[6:7], s[0:1], v5, s16, 0
	v_mov_b32_e32 v8, v7
	v_mad_u64_u32 v[8:9], s[0:1], v5, s17, v[8:9]
	v_mov_b32_e32 v7, v8
	v_lshl_add_u64 v[6:7], v[6:7], 1, s[24:25]
	flat_load_ushort v5, v[6:7]
	s_waitcnt vmcnt(0) lgkmcnt(0)
	v_cvt_f32_f16_e32 v10, v5
.LBB507_33:
	s_or_b64 exec, exec, s[18:19]
	s_waitcnt vmcnt(0) lgkmcnt(0)
	v_cvt_f32_f16_e32 v11, v3
.LBB507_34:
	s_or_b64 exec, exec, s[6:7]
	s_waitcnt vmcnt(0) lgkmcnt(0)
	v_cvt_f32_f16_e32 v12, v2
.LBB507_35:
	s_or_b64 exec, exec, s[4:5]
	s_waitcnt vmcnt(0) lgkmcnt(0)
	v_cvt_f32_f16_e32 v13, v1
.LBB507_36:
	s_or_b64 exec, exec, s[2:3]
	v_cmp_gt_i32_e64 s[0:1], s14, v0
	s_and_saveexec_b64 s[2:3], s[0:1]
	s_cbranch_execz .LBB507_44
; %bb.37:
	v_mad_u64_u32 v[2:3], s[0:1], v33, s20, 0
	v_mov_b32_e32 v6, v3
	v_mad_u64_u32 v[6:7], s[0:1], v33, s21, v[6:7]
	v_ashrrev_i32_e32 v1, 31, v0
	v_cndmask_b32_e32 v3, 0, v6, vcc
	v_mad_u64_u32 v[6:7], s[0:1], v4, s20, 0
	v_cndmask_b32_e32 v2, 0, v2, vcc
	v_lshlrev_b64 v[8:9], 1, v[0:1]
	v_mov_b32_e32 v14, v7
	v_cmp_gt_i32_e32 vcc, s15, v4
	v_or_b32_e32 v1, 2, v33
	v_mad_u64_u32 v[14:15], s[0:1], v4, s21, v[14:15]
	v_cndmask_b32_e32 v4, 0, v6, vcc
	v_mad_u64_u32 v[6:7], s[0:1], v1, s20, 0
	v_cndmask_b32_e32 v5, 0, v14, vcc
	v_mov_b32_e32 v14, v7
	v_mad_u64_u32 v[14:15], s[0:1], v1, s21, v[14:15]
	v_cmp_gt_i32_e32 vcc, s15, v1
	v_or_b32_e32 v1, 3, v33
	v_lshl_add_u64 v[2:3], v[2:3], 1, s[22:23]
	v_cndmask_b32_e32 v7, 0, v14, vcc
	v_mad_u64_u32 v[14:15], s[0:1], v1, s20, 0
	v_mov_b32_e32 v16, v15
	v_cndmask_b32_e32 v6, 0, v6, vcc
	v_mad_u64_u32 v[16:17], s[0:1], v1, s21, v[16:17]
	v_cmp_gt_i32_e32 vcc, s15, v1
	v_lshl_add_u64 v[2:3], v[2:3], 0, v[8:9]
	v_lshl_add_u64 v[4:5], v[4:5], 1, s[22:23]
	v_cndmask_b32_e32 v14, 0, v14, vcc
	v_cndmask_b32_e32 v15, 0, v16, vcc
	v_lshl_add_u64 v[6:7], v[6:7], 1, s[22:23]
	v_lshl_add_u64 v[14:15], v[14:15], 1, s[22:23]
	;; [unrolled: 1-line block ×4, first 2 shown]
	flat_load_ushort v16, v[2:3]
	flat_load_ushort v17, v[4:5]
	;; [unrolled: 1-line block ×3, first 2 shown]
	v_lshl_add_u64 v[8:9], v[14:15], 0, v[8:9]
	flat_load_ushort v1, v[8:9]
	v_add_u32_e32 v15, 64, v0
	v_cmp_gt_i32_e32 vcc, s14, v15
	s_waitcnt vmcnt(0) lgkmcnt(0)
	v_fma_mix_f32 v14, v13, v16, v35 op_sel_hi:[0,1,0]
	v_fma_mix_f32 v14, v12, v17, v14 op_sel_hi:[0,1,0]
	v_fma_mix_f32 v14, v11, v18, v14 op_sel_hi:[0,1,0]
	s_and_saveexec_b64 s[0:1], vcc
	s_cbranch_execz .LBB507_43
; %bb.38:
	flat_load_ushort v16, v[2:3] offset:128
	flat_load_ushort v17, v[4:5] offset:128
	flat_load_ushort v18, v[6:7] offset:128
	flat_load_ushort v15, v[8:9] offset:128
	v_add_u32_e32 v19, 0x80, v0
	v_cmp_gt_i32_e32 vcc, s14, v19
	s_waitcnt vmcnt(0) lgkmcnt(0)
	v_fma_mix_f32 v16, v13, v16, v34 op_sel_hi:[0,1,0]
	v_fma_mix_f32 v16, v12, v17, v16 op_sel_hi:[0,1,0]
	v_fma_mix_f32 v16, v11, v18, v16 op_sel_hi:[0,1,0]
	s_and_saveexec_b64 s[4:5], vcc
	s_cbranch_execz .LBB507_42
; %bb.39:
	flat_load_ushort v18, v[2:3] offset:256
	flat_load_ushort v19, v[4:5] offset:256
	flat_load_ushort v20, v[6:7] offset:256
	flat_load_ushort v17, v[8:9] offset:256
	;; [unrolled: 13-line block ×3, first 2 shown]
	s_waitcnt vmcnt(0) lgkmcnt(0)
	v_fma_mix_f32 v2, v13, v18, v31 op_sel_hi:[0,1,0]
	v_fma_mix_f32 v2, v12, v19, v2 op_sel_hi:[0,1,0]
	;; [unrolled: 1-line block ×4, first 2 shown]
.LBB507_41:
	s_or_b64 exec, exec, s[6:7]
	v_fma_mix_f32 v32, v10, v17, v0 op_sel_hi:[0,1,0]
.LBB507_42:
	s_or_b64 exec, exec, s[4:5]
	v_fma_mix_f32 v34, v10, v15, v16 op_sel_hi:[0,1,0]
.LBB507_43:
	s_or_b64 exec, exec, s[0:1]
	v_fma_mix_f32 v35, v10, v1, v14 op_sel_hi:[0,1,0]
.LBB507_44:
	s_or_b64 exec, exec, s[2:3]
.LBB507_45:
	v_lshlrev_b32_e32 v0, 8, v30
	s_movk_i32 s0, 0x100
	v_add_lshl_u32 v0, v0, v29, 2
	v_cmp_gt_u32_e32 vcc, s0, v28
	ds_write2st64_b32 v0, v35, v34 offset1:1
	ds_write2st64_b32 v0, v32, v31 offset0:2 offset1:3
	s_waitcnt lgkmcnt(0)
	s_barrier
	s_waitcnt lgkmcnt(0)
                                        ; implicit-def: $vgpr1
                                        ; implicit-def: $vgpr2_vgpr3
	s_and_saveexec_b64 s[0:1], vcc
	s_cbranch_execz .LBB507_51
; %bb.46:
	v_lshlrev_b32_e32 v1, 2, v28
	ds_read2st64_b32 v[2:3], v1 offset1:4
	ds_read2st64_b32 v[4:5], v1 offset0:8 offset1:12
	v_or_b32_e32 v0, s43, v28
	v_cmp_gt_i32_e32 vcc, s14, v0
	s_mov_b64 s[4:5], s[10:11]
	s_waitcnt lgkmcnt(1)
	v_add_f32_e32 v2, v2, v3
	s_waitcnt lgkmcnt(0)
	v_add_f32_e32 v2, v4, v2
	v_add_f32_e32 v4, v5, v2
	ds_write_b32 v1, v4
                                        ; implicit-def: $vgpr1
                                        ; implicit-def: $vgpr2_vgpr3
	s_and_saveexec_b64 s[2:3], vcc
	s_cbranch_execz .LBB507_50
; %bb.47:
	v_ashrrev_i32_e32 v2, 31, v0
	v_cmp_eq_f32_e64 s[4:5], s33, 0
	v_mul_f32_e32 v1, s42, v4
	v_mul_lo_u32 v4, v0, s13
	v_mul_lo_u32 v5, v2, s12
	v_mad_u64_u32 v[2:3], s[6:7], v0, s12, 0
	v_add3_u32 v3, v3, v4, v5
	s_and_b64 vcc, exec, s[4:5]
	s_cbranch_vccnz .LBB507_49
; %bb.48:
	v_lshl_add_u64 v[4:5], v[2:3], 2, s[8:9]
	global_load_dword v0, v[4:5], off
	s_waitcnt vmcnt(0)
	v_fmac_f32_e32 v1, s33, v0
.LBB507_49:
	s_or_b64 s[4:5], s[10:11], exec
.LBB507_50:
	s_or_b64 exec, exec, s[2:3]
	s_andn2_b64 s[2:3], s[10:11], exec
	s_and_b64 s[4:5], s[4:5], exec
	s_or_b64 s[10:11], s[2:3], s[4:5]
.LBB507_51:
	s_or_b64 exec, exec, s[0:1]
.LBB507_52:
	s_and_saveexec_b64 s[0:1], s[10:11]
	s_cbranch_execz .LBB507_54
; %bb.53:
	v_lshl_add_u64 v[2:3], v[2:3], 2, s[8:9]
	global_store_dword v[2:3], v1, off
.LBB507_54:
	s_endpgm
	.section	.rodata,"a",@progbits
	.p2align	6, 0x0
	.amdhsa_kernel _ZL20rocblas_gemvn_kernelILi64ELi4ElPKDF16_PKfKPfEviiT3_lPKT2_lT1_lS9_lSA_lS6_lPT4_lSA_li
		.amdhsa_group_segment_fixed_size 4096
		.amdhsa_private_segment_fixed_size 0
		.amdhsa_kernarg_size 400
		.amdhsa_user_sgpr_count 2
		.amdhsa_user_sgpr_dispatch_ptr 0
		.amdhsa_user_sgpr_queue_ptr 0
		.amdhsa_user_sgpr_kernarg_segment_ptr 1
		.amdhsa_user_sgpr_dispatch_id 0
		.amdhsa_user_sgpr_kernarg_preload_length 0
		.amdhsa_user_sgpr_kernarg_preload_offset 0
		.amdhsa_user_sgpr_private_segment_size 0
		.amdhsa_uses_dynamic_stack 0
		.amdhsa_enable_private_segment 0
		.amdhsa_system_sgpr_workgroup_id_x 1
		.amdhsa_system_sgpr_workgroup_id_y 0
		.amdhsa_system_sgpr_workgroup_id_z 1
		.amdhsa_system_sgpr_workgroup_info 0
		.amdhsa_system_vgpr_workitem_id 1
		.amdhsa_next_free_vgpr 59
		.amdhsa_next_free_sgpr 45
		.amdhsa_accum_offset 60
		.amdhsa_reserve_vcc 1
		.amdhsa_float_round_mode_32 0
		.amdhsa_float_round_mode_16_64 0
		.amdhsa_float_denorm_mode_32 3
		.amdhsa_float_denorm_mode_16_64 3
		.amdhsa_dx10_clamp 1
		.amdhsa_ieee_mode 1
		.amdhsa_fp16_overflow 0
		.amdhsa_tg_split 0
		.amdhsa_exception_fp_ieee_invalid_op 0
		.amdhsa_exception_fp_denorm_src 0
		.amdhsa_exception_fp_ieee_div_zero 0
		.amdhsa_exception_fp_ieee_overflow 0
		.amdhsa_exception_fp_ieee_underflow 0
		.amdhsa_exception_fp_ieee_inexact 0
		.amdhsa_exception_int_div_zero 0
	.end_amdhsa_kernel
	.section	.text._ZL20rocblas_gemvn_kernelILi64ELi4ElPKDF16_PKfKPfEviiT3_lPKT2_lT1_lS9_lSA_lS6_lPT4_lSA_li,"axG",@progbits,_ZL20rocblas_gemvn_kernelILi64ELi4ElPKDF16_PKfKPfEviiT3_lPKT2_lT1_lS9_lSA_lS6_lPT4_lSA_li,comdat
.Lfunc_end507:
	.size	_ZL20rocblas_gemvn_kernelILi64ELi4ElPKDF16_PKfKPfEviiT3_lPKT2_lT1_lS9_lSA_lS6_lPT4_lSA_li, .Lfunc_end507-_ZL20rocblas_gemvn_kernelILi64ELi4ElPKDF16_PKfKPfEviiT3_lPKT2_lT1_lS9_lSA_lS6_lPT4_lSA_li
                                        ; -- End function
	.section	.AMDGPU.csdata,"",@progbits
; Kernel info:
; codeLenInByte = 2676
; NumSgprs: 51
; NumVgprs: 59
; NumAgprs: 0
; TotalNumVgprs: 59
; ScratchSize: 0
; MemoryBound: 0
; FloatMode: 240
; IeeeMode: 1
; LDSByteSize: 4096 bytes/workgroup (compile time only)
; SGPRBlocks: 6
; VGPRBlocks: 7
; NumSGPRsForWavesPerEU: 51
; NumVGPRsForWavesPerEU: 59
; AccumOffset: 60
; Occupancy: 8
; WaveLimiterHint : 1
; COMPUTE_PGM_RSRC2:SCRATCH_EN: 0
; COMPUTE_PGM_RSRC2:USER_SGPR: 2
; COMPUTE_PGM_RSRC2:TRAP_HANDLER: 0
; COMPUTE_PGM_RSRC2:TGID_X_EN: 1
; COMPUTE_PGM_RSRC2:TGID_Y_EN: 0
; COMPUTE_PGM_RSRC2:TGID_Z_EN: 1
; COMPUTE_PGM_RSRC2:TIDIG_COMP_CNT: 1
; COMPUTE_PGM_RSRC3_GFX90A:ACCUM_OFFSET: 14
; COMPUTE_PGM_RSRC3_GFX90A:TG_SPLIT: 0
	.section	.text._ZL20rocblas_gemvn_kernelILi64ELi4EiPKDF16_fKPfEviiT3_lPKT2_lT1_lS7_lS8_lS4_lPT4_lS8_li,"axG",@progbits,_ZL20rocblas_gemvn_kernelILi64ELi4EiPKDF16_fKPfEviiT3_lPKT2_lT1_lS7_lS8_lS4_lPT4_lS8_li,comdat
	.globl	_ZL20rocblas_gemvn_kernelILi64ELi4EiPKDF16_fKPfEviiT3_lPKT2_lT1_lS7_lS8_lS4_lPT4_lS8_li ; -- Begin function _ZL20rocblas_gemvn_kernelILi64ELi4EiPKDF16_fKPfEviiT3_lPKT2_lT1_lS7_lS8_lS4_lPT4_lS8_li
	.p2align	8
	.type	_ZL20rocblas_gemvn_kernelILi64ELi4EiPKDF16_fKPfEviiT3_lPKT2_lT1_lS7_lS8_lS4_lPT4_lS8_li,@function
_ZL20rocblas_gemvn_kernelILi64ELi4EiPKDF16_fKPfEviiT3_lPKT2_lT1_lS7_lS8_lS4_lPT4_lS8_li: ; @_ZL20rocblas_gemvn_kernelILi64ELi4EiPKDF16_fKPfEviiT3_lPKT2_lT1_lS7_lS8_lS4_lPT4_lS8_li
; %bb.0:
	s_load_dwordx2 s[4:5], s[0:1], 0x9c
	s_mov_b32 s6, s3
	s_waitcnt lgkmcnt(0)
	s_and_b32 s3, s5, 0xffff
	s_lshr_b32 s5, s4, 16
	s_and_b32 s4, s4, 0xffff
	s_mul_i32 s4, s5, s4
	s_mul_i32 s4, s4, s3
	s_cmpk_lg_i32 s4, 0x100
	s_cbranch_scc1 .LBB508_56
; %bb.1:
	s_load_dwordx4 s[8:11], s[0:1], 0x0
	s_waitcnt lgkmcnt(0)
	s_load_dword s11, s[0:1], 0x58
	v_cmp_eq_f32_e64 s[4:5], s10, 0
	s_waitcnt lgkmcnt(0)
	v_cmp_eq_f32_e64 s[12:13], s11, 1.0
	s_and_b64 s[12:13], s[4:5], s[12:13]
	s_and_b64 vcc, exec, s[12:13]
	s_cbranch_vccnz .LBB508_56
; %bb.2:
	v_cmp_neq_f32_e64 s[12:13], s10, 0
	s_mov_b32 s7, 0
	s_and_b64 vcc, exec, s[12:13]
	s_cbranch_vccnz .LBB508_4
; %bb.3:
	s_mov_b64 s[16:17], 0
	s_cbranch_execz .LBB508_5
	s_branch .LBB508_6
.LBB508_4:
                                        ; implicit-def: $sgpr16_sgpr17
.LBB508_5:
	s_load_dwordx4 s[16:19], s[0:1], 0x18
	s_lshl_b64 s[14:15], s[6:7], 3
	s_waitcnt lgkmcnt(0)
	s_add_u32 s14, s16, s14
	s_addc_u32 s15, s17, s15
	s_load_dwordx2 s[14:15], s[14:15], 0x0
	s_lshl_b64 s[16:17], s[18:19], 1
	s_waitcnt lgkmcnt(0)
	s_add_u32 s16, s14, s16
	s_addc_u32 s17, s15, s17
.LBB508_6:
	s_mov_b64 s[14:15], 0
	s_andn2_b64 vcc, exec, s[12:13]
	s_mov_b64 s[18:19], 0
	s_cbranch_vccnz .LBB508_8
; %bb.7:
	s_load_dwordx4 s[20:23], s[0:1], 0x38
	s_lshl_b64 s[12:13], s[6:7], 3
	s_waitcnt lgkmcnt(0)
	s_add_u32 s12, s20, s12
	s_addc_u32 s13, s21, s13
	s_load_dwordx2 s[12:13], s[12:13], 0x0
	s_lshl_b64 s[18:19], s[22:23], 1
	s_waitcnt lgkmcnt(0)
	s_add_u32 s18, s12, s18
	s_addc_u32 s19, s13, s19
.LBB508_8:
	s_load_dwordx4 s[20:23], s[0:1], 0x68
	s_load_dword s30, s[0:1], 0x78
	s_lshl_b64 s[6:7], s[6:7], 3
	v_and_b32_e32 v2, 0x3ff, v0
	v_bfe_u32 v14, v0, 10, 10
	s_waitcnt lgkmcnt(0)
	s_add_u32 s6, s20, s6
	s_addc_u32 s7, s21, s7
	s_load_dwordx2 s[6:7], s[6:7], 0x0
	s_lshl_b64 s[12:13], s[22:23], 2
	v_lshl_add_u32 v3, v14, 6, v2
	s_waitcnt lgkmcnt(0)
	s_add_u32 s12, s6, s12
	s_addc_u32 s13, s7, s13
	s_andn2_b64 vcc, exec, s[4:5]
	s_cbranch_vccnz .LBB508_15
; %bb.9:
	s_movk_i32 s3, 0x100
	v_cmp_gt_u32_e32 vcc, s3, v3
	s_mov_b64 s[4:5], 0
                                        ; implicit-def: $vgpr1
                                        ; implicit-def: $vgpr4_vgpr5
	s_and_saveexec_b64 s[6:7], vcc
	s_cbranch_execz .LBB508_16
; %bb.10:
	v_lshl_or_b32 v0, s2, 8, v3
	v_mov_b32_e32 v1, 0
	s_ashr_i32 s15, s8, 31
	s_mov_b32 s14, s8
	v_cmp_gt_i64_e32 vcc, s[14:15], v[0:1]
	s_mov_b64 s[20:21], 0
                                        ; implicit-def: $vgpr4_vgpr5
	s_and_saveexec_b64 s[14:15], vcc
	s_cbranch_execz .LBB508_14
; %bb.11:
	v_mad_u64_u32 v[4:5], s[22:23], s30, v0, 0
	s_ashr_i32 s3, s30, 31
	v_mov_b32_e32 v6, v5
	v_cmp_eq_f32_e64 s[20:21], s11, 0
	v_mad_u64_u32 v[6:7], s[22:23], s3, v0, v[6:7]
	v_mov_b32_e32 v5, v6
	s_and_b64 vcc, exec, s[20:21]
	s_cbranch_vccnz .LBB508_13
; %bb.12:
	v_lshl_add_u64 v[0:1], v[4:5], 2, s[12:13]
	global_load_dword v0, v[0:1], off
	s_waitcnt vmcnt(0)
	v_mul_f32_e32 v1, s11, v0
.LBB508_13:
	s_mov_b64 s[20:21], exec
.LBB508_14:
	s_or_b64 exec, exec, s[14:15]
	s_and_b64 s[14:15], s[20:21], exec
	s_or_b64 exec, exec, s[6:7]
	s_and_b64 vcc, exec, s[4:5]
	s_cbranch_vccnz .LBB508_17
	s_branch .LBB508_54
.LBB508_15:
                                        ; implicit-def: $vgpr1
                                        ; implicit-def: $vgpr4_vgpr5
	s_cbranch_execnz .LBB508_17
	s_branch .LBB508_54
.LBB508_16:
	s_or_b64 exec, exec, s[6:7]
	s_and_b64 vcc, exec, s[4:5]
	s_cbranch_vccz .LBB508_54
.LBB508_17:
	s_load_dword s33, s[0:1], 0x28
	s_load_dword s34, s[0:1], 0x48
	s_ashr_i32 s0, s9, 31
	s_lshr_b32 s0, s0, 28
	s_add_i32 s0, s9, s0
	s_lshl_b32 s31, s2, 8
	s_and_b32 s35, s0, -16
	v_lshlrev_b32_e32 v20, 2, v14
	v_add_u32_e32 v16, s31, v2
	v_cmp_gt_i32_e32 vcc, s35, v20
	v_mov_b32_e32 v19, 0
	v_mov_b32_e32 v18, 0
	;; [unrolled: 1-line block ×4, first 2 shown]
	s_and_saveexec_b64 s[20:21], vcc
	s_cbranch_execz .LBB508_29
; %bb.18:
	v_add_u32_e32 v0, 64, v16
	v_cmp_gt_i32_e64 s[0:1], s8, v0
	v_add_u32_e32 v0, 0x80, v16
	v_cmp_gt_i32_e64 s[2:3], s8, v0
	;; [unrolled: 2-line block ×3, first 2 shown]
	s_waitcnt lgkmcnt(0)
	v_mul_lo_u32 v0, s33, v20
	v_add_u32_e32 v6, 2, v20
	v_add_u32_e32 v7, 3, v20
	v_add3_u32 v21, v0, s33, v2
	v_mad_u64_u32 v[0:1], s[6:7], s33, v6, v[2:3]
	v_mad_u64_u32 v[4:5], s[6:7], s33, v7, v[2:3]
	v_mul_lo_u32 v1, v14, s33
	v_mul_lo_u32 v5, s34, v20
	;; [unrolled: 1-line block ×4, first 2 shown]
	v_cmp_gt_i32_e32 vcc, s8, v16
	s_lshl_b32 s36, s33, 4
	v_lshl_add_u32 v1, v1, 2, v2
	v_add_u32_e32 v5, s34, v5
	s_lshl_b32 s37, s34, 4
	v_mul_lo_u32 v23, s34, v7
	v_lshlrev_b32_e32 v24, 2, v6
	s_mov_b32 s38, 0
	s_mov_b64 s[22:23], 0
	v_mov_b32_e32 v19, 0
	v_mov_b32_e32 v18, 0
	;; [unrolled: 1-line block ×4, first 2 shown]
	s_branch .LBB508_23
.LBB508_19:                             ;   in Loop: Header=BB508_23 Depth=1
	s_or_b64 exec, exec, s[28:29]
	s_waitcnt vmcnt(0) lgkmcnt(0)
	v_fma_mix_f32 v6, v37, v41, v17 op_sel_hi:[0,1,0]
	v_fma_mix_f32 v6, v38, v42, v6 op_sel_hi:[0,1,0]
	v_fma_mix_f32 v6, v39, v43, v6 op_sel_hi:[0,1,0]
	v_fma_mix_f32 v17, v40, v44, v6 op_sel_hi:[0,1,0]
.LBB508_20:                             ;   in Loop: Header=BB508_23 Depth=1
	s_or_b64 exec, exec, s[26:27]
	v_fma_mix_f32 v6, v37, v33, v18 op_sel_hi:[0,1,0]
	v_fma_mix_f32 v6, v38, v34, v6 op_sel_hi:[0,1,0]
	;; [unrolled: 1-line block ×4, first 2 shown]
.LBB508_21:                             ;   in Loop: Header=BB508_23 Depth=1
	s_or_b64 exec, exec, s[24:25]
	s_waitcnt vmcnt(0) lgkmcnt(0)
	v_fma_mix_f32 v6, v25, v29, v19 op_sel_hi:[1,1,0]
	s_nop 0
	v_fma_mix_f32 v6, v26, v30, v6 op_sel_hi:[1,1,0]
	s_nop 0
	;; [unrolled: 2-line block ×3, first 2 shown]
	v_fma_mix_f32 v19, v28, v32, v6 op_sel_hi:[1,1,0]
.LBB508_22:                             ;   in Loop: Header=BB508_23 Depth=1
	s_or_b64 exec, exec, s[6:7]
	v_add_u32_e32 v20, 16, v20
	s_add_i32 s38, s38, s37
	v_cmp_le_i32_e64 s[6:7], s35, v20
	v_add_u32_e32 v21, s36, v21
	v_add_u32_e32 v0, s36, v0
	;; [unrolled: 1-line block ×3, first 2 shown]
	s_or_b64 s[22:23], s[6:7], s[22:23]
	v_add_u32_e32 v1, s36, v1
	s_andn2_b64 exec, exec, s[22:23]
	s_cbranch_execz .LBB508_28
.LBB508_23:                             ; =>This Inner Loop Header: Depth=1
	s_and_saveexec_b64 s[6:7], vcc
	s_cbranch_execz .LBB508_22
; %bb.24:                               ;   in Loop: Header=BB508_23 Depth=1
	v_add_u32_e32 v6, s38, v24
	v_ashrrev_i32_e32 v7, 31, v6
	v_add_u32_e32 v8, s38, v5
	v_add_u32_e32 v10, s38, v22
	;; [unrolled: 1-line block ×3, first 2 shown]
	v_lshl_add_u64 v[6:7], v[6:7], 1, s[18:19]
	v_ashrrev_i32_e32 v9, 31, v8
	v_ashrrev_i32_e32 v11, 31, v10
	;; [unrolled: 1-line block ×3, first 2 shown]
	v_lshl_add_u64 v[8:9], v[8:9], 1, s[18:19]
	v_lshl_add_u64 v[10:11], v[10:11], 1, s[18:19]
	;; [unrolled: 1-line block ×3, first 2 shown]
	flat_load_ushort v25, v[6:7]
	flat_load_ushort v26, v[8:9]
	;; [unrolled: 1-line block ×4, first 2 shown]
	v_add_u32_e32 v6, s31, v1
	v_ashrrev_i32_e32 v7, 31, v6
	v_add_u32_e32 v8, s31, v21
	v_add_u32_e32 v10, s31, v0
	;; [unrolled: 1-line block ×3, first 2 shown]
	v_lshl_add_u64 v[6:7], v[6:7], 1, s[16:17]
	v_ashrrev_i32_e32 v9, 31, v8
	v_ashrrev_i32_e32 v11, 31, v10
	;; [unrolled: 1-line block ×3, first 2 shown]
	v_lshl_add_u64 v[8:9], v[8:9], 1, s[16:17]
	v_lshl_add_u64 v[10:11], v[10:11], 1, s[16:17]
	;; [unrolled: 1-line block ×3, first 2 shown]
	flat_load_ushort v29, v[6:7]
	flat_load_ushort v30, v[8:9]
	;; [unrolled: 1-line block ×4, first 2 shown]
	s_and_saveexec_b64 s[24:25], s[0:1]
	s_cbranch_execz .LBB508_21
; %bb.25:                               ;   in Loop: Header=BB508_23 Depth=1
	flat_load_ushort v33, v[6:7] offset:128
	flat_load_ushort v34, v[8:9] offset:128
	flat_load_ushort v35, v[10:11] offset:128
	flat_load_ushort v36, v[12:13] offset:128
	s_waitcnt vmcnt(0) lgkmcnt(0)
	v_cvt_f32_f16_e32 v37, v25
	v_cvt_f32_f16_e32 v38, v26
	;; [unrolled: 1-line block ×4, first 2 shown]
	s_and_saveexec_b64 s[26:27], s[2:3]
	s_cbranch_execz .LBB508_20
; %bb.26:                               ;   in Loop: Header=BB508_23 Depth=1
	flat_load_ushort v41, v[6:7] offset:256
	flat_load_ushort v42, v[8:9] offset:256
	;; [unrolled: 1-line block ×4, first 2 shown]
	s_and_saveexec_b64 s[28:29], s[4:5]
	s_cbranch_execz .LBB508_19
; %bb.27:                               ;   in Loop: Header=BB508_23 Depth=1
	flat_load_ushort v45, v[6:7] offset:384
	flat_load_ushort v46, v[8:9] offset:384
	;; [unrolled: 1-line block ×4, first 2 shown]
	s_waitcnt vmcnt(0) lgkmcnt(0)
	v_fma_mix_f32 v6, v37, v45, v15 op_sel_hi:[0,1,0]
	v_fma_mix_f32 v6, v38, v46, v6 op_sel_hi:[0,1,0]
	;; [unrolled: 1-line block ×4, first 2 shown]
	s_branch .LBB508_19
.LBB508_28:
	s_or_b64 exec, exec, s[22:23]
.LBB508_29:
	s_or_b64 exec, exec, s[20:21]
	s_sub_i32 s0, s9, s35
	s_cmp_lt_i32 s0, 1
	s_cbranch_scc1 .LBB508_47
; %bb.30:
	v_cmp_gt_i32_e32 vcc, s9, v20
	v_mov_b32_e32 v10, 0
	v_or_b32_e32 v4, 1, v20
	v_mov_b32_e32 v11, 0
	v_mov_b32_e32 v12, 0
	;; [unrolled: 1-line block ×3, first 2 shown]
	s_and_saveexec_b64 s[2:3], vcc
	s_cbranch_execz .LBB508_38
; %bb.31:
	s_waitcnt lgkmcnt(0)
	v_mul_lo_u32 v0, v20, s34
	v_ashrrev_i32_e32 v1, 31, v0
	v_lshl_add_u64 v[0:1], v[0:1], 1, s[18:19]
	flat_load_ushort v0, v[0:1]
	v_cmp_gt_i32_e64 s[0:1], s9, v4
	v_mov_b32_e32 v12, 0
	v_mov_b32_e32 v11, 0
	;; [unrolled: 1-line block ×3, first 2 shown]
	s_and_saveexec_b64 s[4:5], s[0:1]
	s_cbranch_execz .LBB508_37
; %bb.32:
	v_mul_lo_u32 v6, v4, s34
	v_ashrrev_i32_e32 v7, 31, v6
	v_lshl_add_u64 v[6:7], v[6:7], 1, s[18:19]
	flat_load_ushort v1, v[6:7]
	v_or_b32_e32 v5, 2, v20
	v_cmp_gt_i32_e64 s[0:1], s9, v5
	v_mov_b32_e32 v11, 0
	v_mov_b32_e32 v10, 0
	s_and_saveexec_b64 s[6:7], s[0:1]
	s_cbranch_execz .LBB508_36
; %bb.33:
	v_mul_lo_u32 v6, v5, s34
	v_ashrrev_i32_e32 v7, 31, v6
	v_lshl_add_u64 v[6:7], v[6:7], 1, s[18:19]
	flat_load_ushort v5, v[6:7]
	v_or_b32_e32 v6, 3, v20
	v_cmp_gt_i32_e64 s[0:1], s9, v6
	v_mov_b32_e32 v10, 0
	s_and_saveexec_b64 s[20:21], s[0:1]
	s_cbranch_execz .LBB508_35
; %bb.34:
	v_mul_lo_u32 v6, v6, s34
	v_ashrrev_i32_e32 v7, 31, v6
	v_lshl_add_u64 v[6:7], v[6:7], 1, s[18:19]
	flat_load_ushort v6, v[6:7]
	s_waitcnt vmcnt(0) lgkmcnt(0)
	v_cvt_f32_f16_e32 v10, v6
.LBB508_35:
	s_or_b64 exec, exec, s[20:21]
	s_waitcnt vmcnt(0) lgkmcnt(0)
	v_cvt_f32_f16_e32 v11, v5
.LBB508_36:
	s_or_b64 exec, exec, s[6:7]
	s_waitcnt vmcnt(0) lgkmcnt(0)
	v_cvt_f32_f16_e32 v12, v1
.LBB508_37:
	s_or_b64 exec, exec, s[4:5]
	s_waitcnt vmcnt(0) lgkmcnt(0)
	v_cvt_f32_f16_e32 v13, v0
.LBB508_38:
	s_or_b64 exec, exec, s[2:3]
	v_cmp_gt_i32_e64 s[0:1], s8, v16
	s_and_saveexec_b64 s[2:3], s[0:1]
	s_cbranch_execz .LBB508_46
; %bb.39:
	s_waitcnt lgkmcnt(0)
	v_mul_lo_u32 v0, v20, s33
	v_cndmask_b32_e32 v0, 0, v0, vcc
	v_mul_lo_u32 v5, v4, s33
	v_cmp_gt_i32_e32 vcc, s9, v4
	v_or_b32_e32 v6, 2, v20
	v_mul_lo_u32 v7, v6, s33
	v_cndmask_b32_e32 v4, 0, v5, vcc
	v_cmp_gt_i32_e32 vcc, s9, v6
	v_or_b32_e32 v8, 3, v20
	v_mul_lo_u32 v9, v8, s33
	v_cndmask_b32_e32 v6, 0, v7, vcc
	v_cmp_gt_i32_e32 vcc, s9, v8
	v_add_u32_e32 v0, v0, v16
	v_ashrrev_i32_e32 v1, 31, v0
	v_cndmask_b32_e32 v8, 0, v9, vcc
	v_add_u32_e32 v4, v4, v16
	v_add_u32_e32 v6, v6, v16
	v_add_u32_e32 v8, v8, v16
	v_lshl_add_u64 v[0:1], v[0:1], 1, s[16:17]
	v_ashrrev_i32_e32 v5, 31, v4
	v_ashrrev_i32_e32 v7, 31, v6
	;; [unrolled: 1-line block ×3, first 2 shown]
	v_lshl_add_u64 v[4:5], v[4:5], 1, s[16:17]
	v_lshl_add_u64 v[6:7], v[6:7], 1, s[16:17]
	flat_load_ushort v21, v[0:1]
	flat_load_ushort v22, v[4:5]
	;; [unrolled: 1-line block ×3, first 2 shown]
	v_lshl_add_u64 v[8:9], v[8:9], 1, s[16:17]
	flat_load_ushort v20, v[8:9]
	v_add_u32_e32 v24, 64, v16
	v_cmp_gt_i32_e32 vcc, s8, v24
	s_waitcnt vmcnt(0) lgkmcnt(0)
	v_fma_mix_f32 v19, v13, v21, v19 op_sel_hi:[0,1,0]
	v_fma_mix_f32 v19, v12, v22, v19 op_sel_hi:[0,1,0]
	v_fma_mix_f32 v19, v11, v23, v19 op_sel_hi:[0,1,0]
	s_and_saveexec_b64 s[0:1], vcc
	s_cbranch_execz .LBB508_45
; %bb.40:
	flat_load_ushort v22, v[0:1] offset:128
	flat_load_ushort v23, v[4:5] offset:128
	flat_load_ushort v24, v[6:7] offset:128
	flat_load_ushort v21, v[8:9] offset:128
	v_add_u32_e32 v25, 0x80, v16
	v_cmp_gt_i32_e32 vcc, s8, v25
	s_waitcnt vmcnt(0) lgkmcnt(0)
	v_fma_mix_f32 v18, v13, v22, v18 op_sel_hi:[0,1,0]
	v_fma_mix_f32 v18, v12, v23, v18 op_sel_hi:[0,1,0]
	v_fma_mix_f32 v18, v11, v24, v18 op_sel_hi:[0,1,0]
	s_and_saveexec_b64 s[4:5], vcc
	s_cbranch_execz .LBB508_44
; %bb.41:
	flat_load_ushort v23, v[0:1] offset:256
	flat_load_ushort v24, v[4:5] offset:256
	flat_load_ushort v25, v[6:7] offset:256
	flat_load_ushort v22, v[8:9] offset:256
	;; [unrolled: 13-line block ×3, first 2 shown]
	s_waitcnt vmcnt(0) lgkmcnt(0)
	v_fma_mix_f32 v0, v13, v17, v15 op_sel_hi:[0,1,0]
	v_fma_mix_f32 v0, v12, v23, v0 op_sel_hi:[0,1,0]
	;; [unrolled: 1-line block ×4, first 2 shown]
.LBB508_43:
	s_or_b64 exec, exec, s[6:7]
	v_fma_mix_f32 v17, v10, v22, v16 op_sel_hi:[0,1,0]
.LBB508_44:
	s_or_b64 exec, exec, s[4:5]
	v_fma_mix_f32 v18, v10, v21, v18 op_sel_hi:[0,1,0]
.LBB508_45:
	s_or_b64 exec, exec, s[0:1]
	v_fma_mix_f32 v19, v10, v20, v19 op_sel_hi:[0,1,0]
.LBB508_46:
	s_or_b64 exec, exec, s[2:3]
.LBB508_47:
	v_lshlrev_b32_e32 v0, 8, v14
	s_movk_i32 s0, 0x100
	v_add_lshl_u32 v0, v0, v2, 2
	v_cmp_gt_u32_e32 vcc, s0, v3
	ds_write2st64_b32 v0, v19, v18 offset1:1
	ds_write2st64_b32 v0, v17, v15 offset0:2 offset1:3
	s_waitcnt lgkmcnt(0)
	s_barrier
	s_waitcnt lgkmcnt(0)
                                        ; implicit-def: $vgpr1
                                        ; implicit-def: $vgpr4_vgpr5
	s_and_saveexec_b64 s[0:1], vcc
	s_cbranch_execz .LBB508_53
; %bb.48:
	v_lshlrev_b32_e32 v1, 2, v3
	ds_read2st64_b32 v[4:5], v1 offset1:4
	ds_read2st64_b32 v[6:7], v1 offset0:8 offset1:12
	v_or_b32_e32 v0, s31, v3
	v_cmp_gt_i32_e32 vcc, s8, v0
	s_mov_b64 s[4:5], s[14:15]
	s_waitcnt lgkmcnt(1)
	v_add_f32_e32 v2, v4, v5
	s_waitcnt lgkmcnt(0)
	v_add_f32_e32 v2, v6, v2
	v_add_f32_e32 v2, v7, v2
	ds_write_b32 v1, v2
                                        ; implicit-def: $vgpr1
                                        ; implicit-def: $vgpr4_vgpr5
	s_and_saveexec_b64 s[2:3], vcc
	s_cbranch_execz .LBB508_52
; %bb.49:
	v_cmp_eq_f32_e64 s[4:5], s11, 0
	v_mul_lo_u32 v4, v0, s30
	v_mul_f32_e32 v1, s10, v2
	v_ashrrev_i32_e32 v5, 31, v4
	s_and_b64 vcc, exec, s[4:5]
	s_cbranch_vccnz .LBB508_51
; %bb.50:
	v_lshl_add_u64 v[2:3], v[4:5], 2, s[12:13]
	global_load_dword v0, v[2:3], off
	s_waitcnt vmcnt(0)
	v_fmac_f32_e32 v1, s11, v0
.LBB508_51:
	s_or_b64 s[4:5], s[14:15], exec
.LBB508_52:
	s_or_b64 exec, exec, s[2:3]
	s_andn2_b64 s[2:3], s[14:15], exec
	s_and_b64 s[4:5], s[4:5], exec
	s_or_b64 s[14:15], s[2:3], s[4:5]
.LBB508_53:
	s_or_b64 exec, exec, s[0:1]
.LBB508_54:
	s_and_saveexec_b64 s[0:1], s[14:15]
	s_cbranch_execz .LBB508_56
; %bb.55:
	v_lshl_add_u64 v[2:3], v[4:5], 2, s[12:13]
	global_store_dword v[2:3], v1, off
.LBB508_56:
	s_endpgm
	.section	.rodata,"a",@progbits
	.p2align	6, 0x0
	.amdhsa_kernel _ZL20rocblas_gemvn_kernelILi64ELi4EiPKDF16_fKPfEviiT3_lPKT2_lT1_lS7_lS8_lS4_lPT4_lS8_li
		.amdhsa_group_segment_fixed_size 4096
		.amdhsa_private_segment_fixed_size 0
		.amdhsa_kernarg_size 400
		.amdhsa_user_sgpr_count 2
		.amdhsa_user_sgpr_dispatch_ptr 0
		.amdhsa_user_sgpr_queue_ptr 0
		.amdhsa_user_sgpr_kernarg_segment_ptr 1
		.amdhsa_user_sgpr_dispatch_id 0
		.amdhsa_user_sgpr_kernarg_preload_length 0
		.amdhsa_user_sgpr_kernarg_preload_offset 0
		.amdhsa_user_sgpr_private_segment_size 0
		.amdhsa_uses_dynamic_stack 0
		.amdhsa_enable_private_segment 0
		.amdhsa_system_sgpr_workgroup_id_x 1
		.amdhsa_system_sgpr_workgroup_id_y 0
		.amdhsa_system_sgpr_workgroup_id_z 1
		.amdhsa_system_sgpr_workgroup_info 0
		.amdhsa_system_vgpr_workitem_id 1
		.amdhsa_next_free_vgpr 49
		.amdhsa_next_free_sgpr 39
		.amdhsa_accum_offset 52
		.amdhsa_reserve_vcc 1
		.amdhsa_float_round_mode_32 0
		.amdhsa_float_round_mode_16_64 0
		.amdhsa_float_denorm_mode_32 3
		.amdhsa_float_denorm_mode_16_64 3
		.amdhsa_dx10_clamp 1
		.amdhsa_ieee_mode 1
		.amdhsa_fp16_overflow 0
		.amdhsa_tg_split 0
		.amdhsa_exception_fp_ieee_invalid_op 0
		.amdhsa_exception_fp_denorm_src 0
		.amdhsa_exception_fp_ieee_div_zero 0
		.amdhsa_exception_fp_ieee_overflow 0
		.amdhsa_exception_fp_ieee_underflow 0
		.amdhsa_exception_fp_ieee_inexact 0
		.amdhsa_exception_int_div_zero 0
	.end_amdhsa_kernel
	.section	.text._ZL20rocblas_gemvn_kernelILi64ELi4EiPKDF16_fKPfEviiT3_lPKT2_lT1_lS7_lS8_lS4_lPT4_lS8_li,"axG",@progbits,_ZL20rocblas_gemvn_kernelILi64ELi4EiPKDF16_fKPfEviiT3_lPKT2_lT1_lS7_lS8_lS4_lPT4_lS8_li,comdat
.Lfunc_end508:
	.size	_ZL20rocblas_gemvn_kernelILi64ELi4EiPKDF16_fKPfEviiT3_lPKT2_lT1_lS7_lS8_lS4_lPT4_lS8_li, .Lfunc_end508-_ZL20rocblas_gemvn_kernelILi64ELi4EiPKDF16_fKPfEviiT3_lPKT2_lT1_lS7_lS8_lS4_lPT4_lS8_li
                                        ; -- End function
	.section	.AMDGPU.csdata,"",@progbits
; Kernel info:
; codeLenInByte = 2344
; NumSgprs: 45
; NumVgprs: 49
; NumAgprs: 0
; TotalNumVgprs: 49
; ScratchSize: 0
; MemoryBound: 0
; FloatMode: 240
; IeeeMode: 1
; LDSByteSize: 4096 bytes/workgroup (compile time only)
; SGPRBlocks: 5
; VGPRBlocks: 6
; NumSGPRsForWavesPerEU: 45
; NumVGPRsForWavesPerEU: 49
; AccumOffset: 52
; Occupancy: 8
; WaveLimiterHint : 1
; COMPUTE_PGM_RSRC2:SCRATCH_EN: 0
; COMPUTE_PGM_RSRC2:USER_SGPR: 2
; COMPUTE_PGM_RSRC2:TRAP_HANDLER: 0
; COMPUTE_PGM_RSRC2:TGID_X_EN: 1
; COMPUTE_PGM_RSRC2:TGID_Y_EN: 0
; COMPUTE_PGM_RSRC2:TGID_Z_EN: 1
; COMPUTE_PGM_RSRC2:TIDIG_COMP_CNT: 1
; COMPUTE_PGM_RSRC3_GFX90A:ACCUM_OFFSET: 12
; COMPUTE_PGM_RSRC3_GFX90A:TG_SPLIT: 0
	.section	.text._ZL20rocblas_gemvn_kernelILi64ELi4ElPKDF16_fKPfEviiT3_lPKT2_lT1_lS7_lS8_lS4_lPT4_lS8_li,"axG",@progbits,_ZL20rocblas_gemvn_kernelILi64ELi4ElPKDF16_fKPfEviiT3_lPKT2_lT1_lS7_lS8_lS4_lPT4_lS8_li,comdat
	.globl	_ZL20rocblas_gemvn_kernelILi64ELi4ElPKDF16_fKPfEviiT3_lPKT2_lT1_lS7_lS8_lS4_lPT4_lS8_li ; -- Begin function _ZL20rocblas_gemvn_kernelILi64ELi4ElPKDF16_fKPfEviiT3_lPKT2_lT1_lS7_lS8_lS4_lPT4_lS8_li
	.p2align	8
	.type	_ZL20rocblas_gemvn_kernelILi64ELi4ElPKDF16_fKPfEviiT3_lPKT2_lT1_lS7_lS8_lS4_lPT4_lS8_li,@function
_ZL20rocblas_gemvn_kernelILi64ELi4ElPKDF16_fKPfEviiT3_lPKT2_lT1_lS7_lS8_lS4_lPT4_lS8_li: ; @_ZL20rocblas_gemvn_kernelILi64ELi4ElPKDF16_fKPfEviiT3_lPKT2_lT1_lS7_lS8_lS4_lPT4_lS8_li
; %bb.0:
	s_load_dwordx2 s[4:5], s[0:1], 0x9c
	s_mov_b32 s12, s3
	s_waitcnt lgkmcnt(0)
	s_and_b32 s3, s5, 0xffff
	s_lshr_b32 s5, s4, 16
	s_and_b32 s4, s4, 0xffff
	s_mul_i32 s4, s5, s4
	s_mul_i32 s4, s4, s3
	s_cmpk_lg_i32 s4, 0x100
	s_cbranch_scc1 .LBB509_56
; %bb.1:
	s_load_dwordx4 s[8:11], s[0:1], 0x0
	s_waitcnt lgkmcnt(0)
	s_load_dword s11, s[0:1], 0x58
	v_cmp_eq_f32_e64 s[26:27], s10, 0
	s_waitcnt lgkmcnt(0)
	v_cmp_eq_f32_e64 s[4:5], s11, 1.0
	s_and_b64 s[4:5], s[26:27], s[4:5]
	s_and_b64 vcc, exec, s[4:5]
	s_cbranch_vccnz .LBB509_56
; %bb.2:
	s_load_dwordx4 s[4:7], s[0:1], 0x18
	s_load_dwordx2 s[18:19], s[0:1], 0x28
	v_cmp_neq_f32_e64 s[16:17], s10, 0
	s_mov_b32 s13, 0
	s_and_b64 vcc, exec, s[16:17]
	s_cbranch_vccnz .LBB509_4
; %bb.3:
	s_mov_b64 s[20:21], 0
	s_cbranch_execz .LBB509_5
	s_branch .LBB509_6
.LBB509_4:
                                        ; implicit-def: $sgpr20_sgpr21
.LBB509_5:
	s_lshl_b64 s[14:15], s[12:13], 3
	s_waitcnt lgkmcnt(0)
	s_add_u32 s4, s4, s14
	s_addc_u32 s5, s5, s15
	s_load_dwordx2 s[4:5], s[4:5], 0x0
	s_lshl_b64 s[6:7], s[6:7], 1
	s_waitcnt lgkmcnt(0)
	s_add_u32 s20, s4, s6
	s_addc_u32 s21, s5, s7
.LBB509_6:
	s_waitcnt lgkmcnt(0)
	s_load_dwordx4 s[4:7], s[0:1], 0x38
	s_load_dwordx2 s[22:23], s[0:1], 0x48
	s_mov_b64 s[14:15], 0
	s_andn2_b64 vcc, exec, s[16:17]
	s_mov_b64 s[24:25], 0
	s_cbranch_vccnz .LBB509_8
; %bb.7:
	s_lshl_b64 s[16:17], s[12:13], 3
	s_waitcnt lgkmcnt(0)
	s_add_u32 s4, s4, s16
	s_addc_u32 s5, s5, s17
	s_load_dwordx2 s[4:5], s[4:5], 0x0
	s_lshl_b64 s[6:7], s[6:7], 1
	s_waitcnt lgkmcnt(0)
	s_add_u32 s24, s4, s6
	s_addc_u32 s25, s5, s7
.LBB509_8:
	s_waitcnt lgkmcnt(0)
	s_load_dwordx4 s[4:7], s[0:1], 0x68
	s_load_dwordx2 s[16:17], s[0:1], 0x78
	s_lshl_b64 s[0:1], s[12:13], 3
	v_and_b32_e32 v29, 0x3ff, v0
	v_bfe_u32 v30, v0, 10, 10
	s_waitcnt lgkmcnt(0)
	s_add_u32 s0, s4, s0
	s_addc_u32 s1, s5, s1
	s_load_dwordx2 s[0:1], s[0:1], 0x0
	s_lshl_b64 s[4:5], s[6:7], 2
	v_lshl_add_u32 v28, v30, 6, v29
	s_waitcnt lgkmcnt(0)
	s_add_u32 s12, s0, s4
	s_addc_u32 s13, s1, s5
	s_andn2_b64 vcc, exec, s[26:27]
	s_cbranch_vccnz .LBB509_15
; %bb.9:
	s_movk_i32 s0, 0x100
	v_cmp_gt_u32_e32 vcc, s0, v28
	s_mov_b64 s[0:1], 0
                                        ; implicit-def: $vgpr1
                                        ; implicit-def: $vgpr2_vgpr3
	s_and_saveexec_b64 s[4:5], vcc
	s_cbranch_execz .LBB509_16
; %bb.10:
	v_lshl_or_b32 v0, s2, 8, v28
	v_mov_b32_e32 v1, 0
	s_ashr_i32 s7, s8, 31
	s_mov_b32 s6, s8
	v_cmp_gt_i64_e32 vcc, s[6:7], v[0:1]
                                        ; implicit-def: $vgpr2_vgpr3
	s_and_saveexec_b64 s[6:7], vcc
	s_cbranch_execz .LBB509_14
; %bb.11:
	v_mad_u64_u32 v[2:3], s[26:27], v0, s16, 0
	v_mov_b32_e32 v4, v3
	v_cmp_eq_f32_e64 s[14:15], s11, 0
	v_mad_u64_u32 v[4:5], s[26:27], v0, s17, v[4:5]
	v_mov_b32_e32 v3, v4
	s_and_b64 vcc, exec, s[14:15]
	s_cbranch_vccnz .LBB509_13
; %bb.12:
	v_lshl_add_u64 v[0:1], v[2:3], 2, s[12:13]
	global_load_dword v0, v[0:1], off
	s_waitcnt vmcnt(0)
	v_mul_f32_e32 v1, s11, v0
.LBB509_13:
	s_mov_b64 s[14:15], exec
.LBB509_14:
	s_or_b64 exec, exec, s[6:7]
	s_and_b64 s[14:15], s[14:15], exec
	s_or_b64 exec, exec, s[4:5]
	s_and_b64 vcc, exec, s[0:1]
	s_cbranch_vccnz .LBB509_17
	s_branch .LBB509_54
.LBB509_15:
                                        ; implicit-def: $vgpr1
                                        ; implicit-def: $vgpr2_vgpr3
	s_cbranch_execnz .LBB509_17
	s_branch .LBB509_54
.LBB509_16:
	s_or_b64 exec, exec, s[4:5]
	s_and_b64 vcc, exec, s[0:1]
	s_cbranch_vccz .LBB509_54
.LBB509_17:
	s_ashr_i32 s0, s9, 31
	s_lshr_b32 s0, s0, 28
	s_add_i32 s0, s9, s0
	s_lshl_b32 s33, s2, 8
	s_and_b32 s44, s0, -16
	v_lshlrev_b32_e32 v33, 2, v30
	v_add_u32_e32 v0, s33, v29
	v_cmp_gt_i32_e32 vcc, s44, v33
	v_mov_b32_e32 v35, 0
	v_mov_b32_e32 v34, 0
	v_mov_b32_e32 v32, 0
	v_mov_b32_e32 v31, 0
	s_and_saveexec_b64 s[26:27], vcc
	s_cbranch_execz .LBB509_29
; %bb.18:
	v_add_u32_e32 v2, 64, v0
	v_cmp_gt_i32_e64 s[0:1], s8, v2
	v_add_u32_e32 v2, 0x80, v0
	v_ashrrev_i32_e32 v1, 31, v0
	v_cmp_gt_i32_e64 s[2:3], s8, v2
	v_add_u32_e32 v2, 0xc0, v0
	v_cmp_gt_i32_e64 s[4:5], s8, v2
	v_lshlrev_b64 v[2:3], 1, v[0:1]
	v_lshlrev_b32_e32 v1, 2, v30
	v_or_b32_e32 v15, 3, v1
	v_mad_u64_u32 v[4:5], s[6:7], s18, v15, 0
	v_mov_b32_e32 v6, v5
	v_mad_u64_u32 v[6:7], s[6:7], s19, v15, v[6:7]
	v_mov_b32_e32 v5, v6
	;; [unrolled: 2-line block ×6, first 2 shown]
	v_mov_b64_e32 v[10:11], s[22:23]
	v_mad_u64_u32 v[10:11], s[6:7], s22, v1, v[10:11]
	v_mov_b32_e32 v12, v11
	v_mad_u64_u32 v[12:13], s[6:7], s23, v1, v[12:13]
	v_mov_b32_e32 v11, v12
	;; [unrolled: 2-line block ×3, first 2 shown]
	v_mad_u64_u32 v[14:15], s[6:7], s23, v15, v[14:15]
	v_or_b32_e32 v21, 2, v1
	v_mov_b32_e32 v13, v14
	v_mad_u64_u32 v[14:15], s[6:7], s18, v21, 0
	v_mov_b32_e32 v16, v15
	v_mad_u64_u32 v[16:17], s[6:7], s19, v21, v[16:17]
	v_mov_b32_e32 v15, v16
	v_mov_b64_e32 v[16:17], s[18:19]
	v_mad_u64_u32 v[16:17], s[6:7], s18, v1, v[16:17]
	v_mov_b32_e32 v18, v17
	v_mad_u64_u32 v[18:19], s[6:7], s19, v1, v[18:19]
	v_mov_b32_e32 v17, v18
	;; [unrolled: 2-line block ×4, first 2 shown]
	v_cmp_gt_i32_e32 vcc, s8, v0
	v_lshl_add_u64 v[4:5], v[4:5], 1, s[20:21]
	s_lshl_b64 s[28:29], s[18:19], 5
	v_lshlrev_b64 v[6:7], 3, v[6:7]
	s_lshl_b64 s[30:31], s[22:23], 5
	v_lshl_add_u64 v[8:9], v[8:9], 3, s[20:21]
	v_lshlrev_b64 v[10:11], 1, v[10:11]
	v_lshlrev_b64 v[12:13], 1, v[12:13]
	v_lshl_add_u64 v[14:15], v[14:15], 1, s[20:21]
	v_lshl_add_u64 v[16:17], v[16:17], 1, s[20:21]
	v_lshlrev_b64 v[18:19], 1, v[18:19]
	s_mov_b64 s[34:35], 0
	v_mov_b32_e32 v35, 0
	s_mov_b64 s[36:37], s[24:25]
	v_mov_b32_e32 v34, 0
	v_mov_b32_e32 v32, 0
	;; [unrolled: 1-line block ×3, first 2 shown]
	s_branch .LBB509_23
.LBB509_19:                             ;   in Loop: Header=BB509_23 Depth=1
	s_or_b64 exec, exec, s[42:43]
	s_waitcnt vmcnt(0) lgkmcnt(0)
	v_fma_mix_f32 v20, v47, v51, v32 op_sel_hi:[0,1,0]
	v_fma_mix_f32 v20, v48, v52, v20 op_sel_hi:[0,1,0]
	;; [unrolled: 1-line block ×4, first 2 shown]
.LBB509_20:                             ;   in Loop: Header=BB509_23 Depth=1
	s_or_b64 exec, exec, s[40:41]
	v_fma_mix_f32 v20, v47, v43, v34 op_sel_hi:[0,1,0]
	v_fma_mix_f32 v20, v48, v44, v20 op_sel_hi:[0,1,0]
	;; [unrolled: 1-line block ×4, first 2 shown]
.LBB509_21:                             ;   in Loop: Header=BB509_23 Depth=1
	s_or_b64 exec, exec, s[38:39]
	s_waitcnt vmcnt(0) lgkmcnt(0)
	v_fma_mix_f32 v1, v1, v39, v35 op_sel_hi:[1,1,0]
	s_nop 0
	v_fma_mix_f32 v1, v36, v40, v1 op_sel_hi:[1,1,0]
	s_nop 0
	;; [unrolled: 2-line block ×3, first 2 shown]
	v_fma_mix_f32 v35, v38, v42, v1 op_sel_hi:[1,1,0]
.LBB509_22:                             ;   in Loop: Header=BB509_23 Depth=1
	s_or_b64 exec, exec, s[6:7]
	v_add_u32_e32 v33, 16, v33
	s_add_u32 s36, s36, s30
	s_addc_u32 s37, s37, s31
	v_cmp_le_i32_e64 s[6:7], s44, v33
	v_lshl_add_u64 v[4:5], v[4:5], 0, s[28:29]
	v_lshl_add_u64 v[8:9], v[8:9], 0, s[28:29]
	;; [unrolled: 1-line block ×3, first 2 shown]
	s_or_b64 s[34:35], s[6:7], s[34:35]
	v_lshl_add_u64 v[16:17], v[16:17], 0, s[28:29]
	s_andn2_b64 exec, exec, s[34:35]
	s_cbranch_execz .LBB509_28
.LBB509_23:                             ; =>This Inner Loop Header: Depth=1
	s_and_saveexec_b64 s[6:7], vcc
	s_cbranch_execz .LBB509_22
; %bb.24:                               ;   in Loop: Header=BB509_23 Depth=1
	v_lshl_add_u64 v[20:21], s[36:37], 0, v[6:7]
	v_lshl_add_u64 v[22:23], s[36:37], 0, v[10:11]
	;; [unrolled: 1-line block ×4, first 2 shown]
	flat_load_ushort v1, v[20:21]
	flat_load_ushort v36, v[22:23]
	;; [unrolled: 1-line block ×4, first 2 shown]
	v_lshl_add_u64 v[20:21], v[8:9], 0, v[2:3]
	v_lshl_add_u64 v[22:23], v[16:17], 0, v[2:3]
	;; [unrolled: 1-line block ×4, first 2 shown]
	flat_load_ushort v39, v[20:21]
	flat_load_ushort v40, v[22:23]
	;; [unrolled: 1-line block ×4, first 2 shown]
	s_and_saveexec_b64 s[38:39], s[0:1]
	s_cbranch_execz .LBB509_21
; %bb.25:                               ;   in Loop: Header=BB509_23 Depth=1
	flat_load_ushort v43, v[20:21] offset:128
	flat_load_ushort v44, v[22:23] offset:128
	;; [unrolled: 1-line block ×4, first 2 shown]
	s_waitcnt vmcnt(0) lgkmcnt(0)
	v_cvt_f32_f16_e32 v47, v1
	v_cvt_f32_f16_e32 v48, v36
	;; [unrolled: 1-line block ×4, first 2 shown]
	s_and_saveexec_b64 s[40:41], s[2:3]
	s_cbranch_execz .LBB509_20
; %bb.26:                               ;   in Loop: Header=BB509_23 Depth=1
	flat_load_ushort v51, v[20:21] offset:256
	flat_load_ushort v52, v[22:23] offset:256
	flat_load_ushort v53, v[24:25] offset:256
	flat_load_ushort v54, v[26:27] offset:256
	s_and_saveexec_b64 s[42:43], s[4:5]
	s_cbranch_execz .LBB509_19
; %bb.27:                               ;   in Loop: Header=BB509_23 Depth=1
	flat_load_ushort v55, v[20:21] offset:384
	flat_load_ushort v56, v[22:23] offset:384
	flat_load_ushort v57, v[24:25] offset:384
	flat_load_ushort v58, v[26:27] offset:384
	s_waitcnt vmcnt(0) lgkmcnt(0)
	v_fma_mix_f32 v20, v47, v55, v31 op_sel_hi:[0,1,0]
	v_fma_mix_f32 v20, v48, v56, v20 op_sel_hi:[0,1,0]
	v_fma_mix_f32 v20, v49, v57, v20 op_sel_hi:[0,1,0]
	v_fma_mix_f32 v31, v50, v58, v20 op_sel_hi:[0,1,0]
	s_branch .LBB509_19
.LBB509_28:
	s_or_b64 exec, exec, s[34:35]
.LBB509_29:
	s_or_b64 exec, exec, s[26:27]
	s_sub_i32 s0, s9, s44
	s_cmp_lt_i32 s0, 1
	s_cbranch_scc1 .LBB509_47
; %bb.30:
	v_cmp_gt_i32_e32 vcc, s9, v33
	v_mov_b32_e32 v10, 0
	v_or_b32_e32 v4, 1, v33
	v_mov_b32_e32 v11, 0
	v_mov_b32_e32 v12, 0
	;; [unrolled: 1-line block ×3, first 2 shown]
	s_and_saveexec_b64 s[2:3], vcc
	s_cbranch_execz .LBB509_38
; %bb.31:
	v_mad_u64_u32 v[2:3], s[0:1], v33, s22, 0
	v_mov_b32_e32 v6, v3
	v_mad_u64_u32 v[6:7], s[0:1], v33, s23, v[6:7]
	v_mov_b32_e32 v3, v6
	v_lshl_add_u64 v[2:3], v[2:3], 1, s[24:25]
	flat_load_ushort v1, v[2:3]
	v_cmp_gt_i32_e64 s[0:1], s9, v4
	v_mov_b32_e32 v12, 0
	v_mov_b32_e32 v11, 0
	v_mov_b32_e32 v10, 0
	s_and_saveexec_b64 s[4:5], s[0:1]
	s_cbranch_execz .LBB509_37
; %bb.32:
	v_mad_u64_u32 v[2:3], s[0:1], v4, s22, 0
	v_mov_b32_e32 v6, v3
	v_mad_u64_u32 v[6:7], s[0:1], v4, s23, v[6:7]
	v_mov_b32_e32 v3, v6
	v_lshl_add_u64 v[2:3], v[2:3], 1, s[24:25]
	flat_load_ushort v2, v[2:3]
	v_or_b32_e32 v3, 2, v33
	v_cmp_gt_i32_e64 s[0:1], s9, v3
	v_mov_b32_e32 v11, 0
	v_mov_b32_e32 v10, 0
	s_and_saveexec_b64 s[6:7], s[0:1]
	s_cbranch_execz .LBB509_36
; %bb.33:
	v_mad_u64_u32 v[6:7], s[0:1], v3, s22, 0
	v_mov_b32_e32 v8, v7
	v_mad_u64_u32 v[8:9], s[0:1], v3, s23, v[8:9]
	v_mov_b32_e32 v7, v8
	v_lshl_add_u64 v[6:7], v[6:7], 1, s[24:25]
	flat_load_ushort v3, v[6:7]
	v_or_b32_e32 v5, 3, v33
	v_cmp_gt_i32_e64 s[0:1], s9, v5
	v_mov_b32_e32 v10, 0
	s_and_saveexec_b64 s[26:27], s[0:1]
	s_cbranch_execz .LBB509_35
; %bb.34:
	v_mad_u64_u32 v[6:7], s[0:1], v5, s22, 0
	v_mov_b32_e32 v8, v7
	v_mad_u64_u32 v[8:9], s[0:1], v5, s23, v[8:9]
	v_mov_b32_e32 v7, v8
	v_lshl_add_u64 v[6:7], v[6:7], 1, s[24:25]
	flat_load_ushort v5, v[6:7]
	s_waitcnt vmcnt(0) lgkmcnt(0)
	v_cvt_f32_f16_e32 v10, v5
.LBB509_35:
	s_or_b64 exec, exec, s[26:27]
	s_waitcnt vmcnt(0) lgkmcnt(0)
	v_cvt_f32_f16_e32 v11, v3
.LBB509_36:
	s_or_b64 exec, exec, s[6:7]
	s_waitcnt vmcnt(0) lgkmcnt(0)
	v_cvt_f32_f16_e32 v12, v2
.LBB509_37:
	s_or_b64 exec, exec, s[4:5]
	s_waitcnt vmcnt(0) lgkmcnt(0)
	v_cvt_f32_f16_e32 v13, v1
.LBB509_38:
	s_or_b64 exec, exec, s[2:3]
	v_cmp_gt_i32_e64 s[0:1], s8, v0
	s_and_saveexec_b64 s[2:3], s[0:1]
	s_cbranch_execz .LBB509_46
; %bb.39:
	v_mad_u64_u32 v[2:3], s[0:1], v33, s18, 0
	v_mov_b32_e32 v6, v3
	v_mad_u64_u32 v[6:7], s[0:1], v33, s19, v[6:7]
	v_ashrrev_i32_e32 v1, 31, v0
	v_cndmask_b32_e32 v3, 0, v6, vcc
	v_mad_u64_u32 v[6:7], s[0:1], v4, s18, 0
	v_cndmask_b32_e32 v2, 0, v2, vcc
	v_lshlrev_b64 v[8:9], 1, v[0:1]
	v_mov_b32_e32 v14, v7
	v_cmp_gt_i32_e32 vcc, s9, v4
	v_or_b32_e32 v1, 2, v33
	v_mad_u64_u32 v[14:15], s[0:1], v4, s19, v[14:15]
	v_cndmask_b32_e32 v4, 0, v6, vcc
	v_mad_u64_u32 v[6:7], s[0:1], v1, s18, 0
	v_cndmask_b32_e32 v5, 0, v14, vcc
	v_mov_b32_e32 v14, v7
	v_mad_u64_u32 v[14:15], s[0:1], v1, s19, v[14:15]
	v_cmp_gt_i32_e32 vcc, s9, v1
	v_or_b32_e32 v1, 3, v33
	v_lshl_add_u64 v[2:3], v[2:3], 1, s[20:21]
	v_cndmask_b32_e32 v7, 0, v14, vcc
	v_mad_u64_u32 v[14:15], s[0:1], v1, s18, 0
	v_mov_b32_e32 v16, v15
	v_cndmask_b32_e32 v6, 0, v6, vcc
	v_mad_u64_u32 v[16:17], s[0:1], v1, s19, v[16:17]
	v_cmp_gt_i32_e32 vcc, s9, v1
	v_lshl_add_u64 v[2:3], v[2:3], 0, v[8:9]
	v_lshl_add_u64 v[4:5], v[4:5], 1, s[20:21]
	v_cndmask_b32_e32 v14, 0, v14, vcc
	v_cndmask_b32_e32 v15, 0, v16, vcc
	v_lshl_add_u64 v[6:7], v[6:7], 1, s[20:21]
	v_lshl_add_u64 v[14:15], v[14:15], 1, s[20:21]
	;; [unrolled: 1-line block ×4, first 2 shown]
	flat_load_ushort v16, v[2:3]
	flat_load_ushort v17, v[4:5]
	;; [unrolled: 1-line block ×3, first 2 shown]
	v_lshl_add_u64 v[8:9], v[14:15], 0, v[8:9]
	flat_load_ushort v1, v[8:9]
	v_add_u32_e32 v15, 64, v0
	v_cmp_gt_i32_e32 vcc, s8, v15
	s_waitcnt vmcnt(0) lgkmcnt(0)
	v_fma_mix_f32 v14, v13, v16, v35 op_sel_hi:[0,1,0]
	v_fma_mix_f32 v14, v12, v17, v14 op_sel_hi:[0,1,0]
	v_fma_mix_f32 v14, v11, v18, v14 op_sel_hi:[0,1,0]
	s_and_saveexec_b64 s[0:1], vcc
	s_cbranch_execz .LBB509_45
; %bb.40:
	flat_load_ushort v16, v[2:3] offset:128
	flat_load_ushort v17, v[4:5] offset:128
	flat_load_ushort v18, v[6:7] offset:128
	flat_load_ushort v15, v[8:9] offset:128
	v_add_u32_e32 v19, 0x80, v0
	v_cmp_gt_i32_e32 vcc, s8, v19
	s_waitcnt vmcnt(0) lgkmcnt(0)
	v_fma_mix_f32 v16, v13, v16, v34 op_sel_hi:[0,1,0]
	v_fma_mix_f32 v16, v12, v17, v16 op_sel_hi:[0,1,0]
	v_fma_mix_f32 v16, v11, v18, v16 op_sel_hi:[0,1,0]
	s_and_saveexec_b64 s[4:5], vcc
	s_cbranch_execz .LBB509_44
; %bb.41:
	flat_load_ushort v18, v[2:3] offset:256
	flat_load_ushort v19, v[4:5] offset:256
	flat_load_ushort v20, v[6:7] offset:256
	flat_load_ushort v17, v[8:9] offset:256
	;; [unrolled: 13-line block ×3, first 2 shown]
	s_waitcnt vmcnt(0) lgkmcnt(0)
	v_fma_mix_f32 v2, v13, v18, v31 op_sel_hi:[0,1,0]
	v_fma_mix_f32 v2, v12, v19, v2 op_sel_hi:[0,1,0]
	;; [unrolled: 1-line block ×4, first 2 shown]
.LBB509_43:
	s_or_b64 exec, exec, s[6:7]
	v_fma_mix_f32 v32, v10, v17, v0 op_sel_hi:[0,1,0]
.LBB509_44:
	s_or_b64 exec, exec, s[4:5]
	v_fma_mix_f32 v34, v10, v15, v16 op_sel_hi:[0,1,0]
.LBB509_45:
	s_or_b64 exec, exec, s[0:1]
	v_fma_mix_f32 v35, v10, v1, v14 op_sel_hi:[0,1,0]
.LBB509_46:
	s_or_b64 exec, exec, s[2:3]
.LBB509_47:
	v_lshlrev_b32_e32 v0, 8, v30
	s_movk_i32 s0, 0x100
	v_add_lshl_u32 v0, v0, v29, 2
	v_cmp_gt_u32_e32 vcc, s0, v28
	ds_write2st64_b32 v0, v35, v34 offset1:1
	ds_write2st64_b32 v0, v32, v31 offset0:2 offset1:3
	s_waitcnt lgkmcnt(0)
	s_barrier
	s_waitcnt lgkmcnt(0)
                                        ; implicit-def: $vgpr1
                                        ; implicit-def: $vgpr2_vgpr3
	s_and_saveexec_b64 s[0:1], vcc
	s_cbranch_execz .LBB509_53
; %bb.48:
	v_lshlrev_b32_e32 v1, 2, v28
	ds_read2st64_b32 v[2:3], v1 offset1:4
	ds_read2st64_b32 v[4:5], v1 offset0:8 offset1:12
	v_or_b32_e32 v0, s33, v28
	v_cmp_gt_i32_e32 vcc, s8, v0
	s_mov_b64 s[4:5], s[14:15]
	s_waitcnt lgkmcnt(1)
	v_add_f32_e32 v2, v2, v3
	s_waitcnt lgkmcnt(0)
	v_add_f32_e32 v2, v4, v2
	v_add_f32_e32 v4, v5, v2
	ds_write_b32 v1, v4
                                        ; implicit-def: $vgpr1
                                        ; implicit-def: $vgpr2_vgpr3
	s_and_saveexec_b64 s[2:3], vcc
	s_cbranch_execz .LBB509_52
; %bb.49:
	v_ashrrev_i32_e32 v2, 31, v0
	v_cmp_eq_f32_e64 s[4:5], s11, 0
	v_mul_f32_e32 v1, s10, v4
	v_mul_lo_u32 v4, v0, s17
	v_mul_lo_u32 v5, v2, s16
	v_mad_u64_u32 v[2:3], s[6:7], v0, s16, 0
	v_add3_u32 v3, v3, v4, v5
	s_and_b64 vcc, exec, s[4:5]
	s_cbranch_vccnz .LBB509_51
; %bb.50:
	v_lshl_add_u64 v[4:5], v[2:3], 2, s[12:13]
	global_load_dword v0, v[4:5], off
	s_waitcnt vmcnt(0)
	v_fmac_f32_e32 v1, s11, v0
.LBB509_51:
	s_or_b64 s[4:5], s[14:15], exec
.LBB509_52:
	s_or_b64 exec, exec, s[2:3]
	s_andn2_b64 s[2:3], s[14:15], exec
	s_and_b64 s[4:5], s[4:5], exec
	s_or_b64 s[14:15], s[2:3], s[4:5]
.LBB509_53:
	s_or_b64 exec, exec, s[0:1]
.LBB509_54:
	s_and_saveexec_b64 s[0:1], s[14:15]
	s_cbranch_execz .LBB509_56
; %bb.55:
	v_lshl_add_u64 v[2:3], v[2:3], 2, s[12:13]
	global_store_dword v[2:3], v1, off
.LBB509_56:
	s_endpgm
	.section	.rodata,"a",@progbits
	.p2align	6, 0x0
	.amdhsa_kernel _ZL20rocblas_gemvn_kernelILi64ELi4ElPKDF16_fKPfEviiT3_lPKT2_lT1_lS7_lS8_lS4_lPT4_lS8_li
		.amdhsa_group_segment_fixed_size 4096
		.amdhsa_private_segment_fixed_size 0
		.amdhsa_kernarg_size 400
		.amdhsa_user_sgpr_count 2
		.amdhsa_user_sgpr_dispatch_ptr 0
		.amdhsa_user_sgpr_queue_ptr 0
		.amdhsa_user_sgpr_kernarg_segment_ptr 1
		.amdhsa_user_sgpr_dispatch_id 0
		.amdhsa_user_sgpr_kernarg_preload_length 0
		.amdhsa_user_sgpr_kernarg_preload_offset 0
		.amdhsa_user_sgpr_private_segment_size 0
		.amdhsa_uses_dynamic_stack 0
		.amdhsa_enable_private_segment 0
		.amdhsa_system_sgpr_workgroup_id_x 1
		.amdhsa_system_sgpr_workgroup_id_y 0
		.amdhsa_system_sgpr_workgroup_id_z 1
		.amdhsa_system_sgpr_workgroup_info 0
		.amdhsa_system_vgpr_workitem_id 1
		.amdhsa_next_free_vgpr 59
		.amdhsa_next_free_sgpr 45
		.amdhsa_accum_offset 60
		.amdhsa_reserve_vcc 1
		.amdhsa_float_round_mode_32 0
		.amdhsa_float_round_mode_16_64 0
		.amdhsa_float_denorm_mode_32 3
		.amdhsa_float_denorm_mode_16_64 3
		.amdhsa_dx10_clamp 1
		.amdhsa_ieee_mode 1
		.amdhsa_fp16_overflow 0
		.amdhsa_tg_split 0
		.amdhsa_exception_fp_ieee_invalid_op 0
		.amdhsa_exception_fp_denorm_src 0
		.amdhsa_exception_fp_ieee_div_zero 0
		.amdhsa_exception_fp_ieee_overflow 0
		.amdhsa_exception_fp_ieee_underflow 0
		.amdhsa_exception_fp_ieee_inexact 0
		.amdhsa_exception_int_div_zero 0
	.end_amdhsa_kernel
	.section	.text._ZL20rocblas_gemvn_kernelILi64ELi4ElPKDF16_fKPfEviiT3_lPKT2_lT1_lS7_lS8_lS4_lPT4_lS8_li,"axG",@progbits,_ZL20rocblas_gemvn_kernelILi64ELi4ElPKDF16_fKPfEviiT3_lPKT2_lT1_lS7_lS8_lS4_lPT4_lS8_li,comdat
.Lfunc_end509:
	.size	_ZL20rocblas_gemvn_kernelILi64ELi4ElPKDF16_fKPfEviiT3_lPKT2_lT1_lS7_lS8_lS4_lPT4_lS8_li, .Lfunc_end509-_ZL20rocblas_gemvn_kernelILi64ELi4ElPKDF16_fKPfEviiT3_lPKT2_lT1_lS7_lS8_lS4_lPT4_lS8_li
                                        ; -- End function
	.section	.AMDGPU.csdata,"",@progbits
; Kernel info:
; codeLenInByte = 2628
; NumSgprs: 51
; NumVgprs: 59
; NumAgprs: 0
; TotalNumVgprs: 59
; ScratchSize: 0
; MemoryBound: 0
; FloatMode: 240
; IeeeMode: 1
; LDSByteSize: 4096 bytes/workgroup (compile time only)
; SGPRBlocks: 6
; VGPRBlocks: 7
; NumSGPRsForWavesPerEU: 51
; NumVGPRsForWavesPerEU: 59
; AccumOffset: 60
; Occupancy: 8
; WaveLimiterHint : 1
; COMPUTE_PGM_RSRC2:SCRATCH_EN: 0
; COMPUTE_PGM_RSRC2:USER_SGPR: 2
; COMPUTE_PGM_RSRC2:TRAP_HANDLER: 0
; COMPUTE_PGM_RSRC2:TGID_X_EN: 1
; COMPUTE_PGM_RSRC2:TGID_Y_EN: 0
; COMPUTE_PGM_RSRC2:TGID_Z_EN: 1
; COMPUTE_PGM_RSRC2:TIDIG_COMP_CNT: 1
; COMPUTE_PGM_RSRC3_GFX90A:ACCUM_OFFSET: 14
; COMPUTE_PGM_RSRC3_GFX90A:TG_SPLIT: 0
	.section	.text._ZL20rocblas_gemvn_kernelILi32ELi16EiPKDF16_PKfKPfEviiT3_lPKT2_lT1_lS9_lSA_lS6_lPT4_lSA_li,"axG",@progbits,_ZL20rocblas_gemvn_kernelILi32ELi16EiPKDF16_PKfKPfEviiT3_lPKT2_lT1_lS9_lSA_lS6_lPT4_lSA_li,comdat
	.globl	_ZL20rocblas_gemvn_kernelILi32ELi16EiPKDF16_PKfKPfEviiT3_lPKT2_lT1_lS9_lSA_lS6_lPT4_lSA_li ; -- Begin function _ZL20rocblas_gemvn_kernelILi32ELi16EiPKDF16_PKfKPfEviiT3_lPKT2_lT1_lS9_lSA_lS6_lPT4_lSA_li
	.p2align	8
	.type	_ZL20rocblas_gemvn_kernelILi32ELi16EiPKDF16_PKfKPfEviiT3_lPKT2_lT1_lS9_lSA_lS6_lPT4_lSA_li,@function
_ZL20rocblas_gemvn_kernelILi32ELi16EiPKDF16_PKfKPfEviiT3_lPKT2_lT1_lS9_lSA_lS6_lPT4_lSA_li: ; @_ZL20rocblas_gemvn_kernelILi32ELi16EiPKDF16_PKfKPfEviiT3_lPKT2_lT1_lS9_lSA_lS6_lPT4_lSA_li
; %bb.0:
	s_load_dwordx2 s[4:5], s[0:1], 0x9c
	s_mov_b32 s22, s3
	s_waitcnt lgkmcnt(0)
	s_and_b32 s3, s5, 0xffff
	s_lshr_b32 s5, s4, 16
	s_and_b32 s4, s4, 0xffff
	s_mul_i32 s4, s5, s4
	s_mul_i32 s4, s4, s3
	s_cmpk_lg_i32 s4, 0x200
	s_cbranch_scc1 .LBB510_54
; %bb.1:
	s_load_dwordx8 s[12:19], s[0:1], 0x8
	s_load_dwordx8 s[4:11], s[0:1], 0x58
	s_waitcnt lgkmcnt(0)
	s_mul_i32 s3, s22, s15
	s_mul_hi_u32 s15, s22, s14
	s_mul_i32 s14, s22, s14
	s_add_i32 s15, s15, s3
	s_lshl_b64 s[14:15], s[14:15], 2
	s_mul_i32 s7, s22, s7
	s_add_u32 s12, s12, s14
	s_mul_hi_u32 s3, s22, s6
	s_addc_u32 s13, s13, s15
	s_add_i32 s7, s3, s7
	s_mul_i32 s6, s22, s6
	s_lshl_b64 s[6:7], s[6:7], 2
	s_add_u32 s4, s4, s6
	s_addc_u32 s5, s5, s7
	s_load_dword s29, s[12:13], 0x0
	s_load_dword s28, s[4:5], 0x0
	s_waitcnt lgkmcnt(0)
	v_cmp_eq_f32_e64 s[4:5], s29, 0
	v_cmp_eq_f32_e64 s[6:7], s28, 1.0
	s_and_b64 s[6:7], s[4:5], s[6:7]
	s_and_b64 vcc, exec, s[6:7]
	s_cbranch_vccnz .LBB510_54
; %bb.2:
	s_mov_b32 s23, 0
	v_cmp_neq_f32_e64 s[6:7], s29, 0
	s_mov_b64 s[20:21], 0
	s_and_b64 vcc, exec, s[4:5]
	s_mov_b64 s[14:15], 0
	s_cbranch_vccnz .LBB510_4
; %bb.3:
	s_lshl_b64 s[12:13], s[22:23], 3
	s_add_u32 s12, s16, s12
	s_addc_u32 s13, s17, s13
	s_load_dwordx2 s[12:13], s[12:13], 0x0
	s_lshl_b64 s[14:15], s[18:19], 1
	s_waitcnt lgkmcnt(0)
	s_add_u32 s14, s12, s14
	s_addc_u32 s15, s13, s15
.LBB510_4:
	s_andn2_b64 vcc, exec, s[6:7]
	s_cbranch_vccnz .LBB510_6
; %bb.5:
	s_load_dwordx4 s[16:19], s[0:1], 0x38
	s_lshl_b64 s[6:7], s[22:23], 3
	s_waitcnt lgkmcnt(0)
	s_add_u32 s6, s16, s6
	s_addc_u32 s7, s17, s7
	s_load_dwordx2 s[6:7], s[6:7], 0x0
	s_lshl_b64 s[12:13], s[18:19], 1
	s_waitcnt lgkmcnt(0)
	s_add_u32 s20, s6, s12
	s_addc_u32 s21, s7, s13
.LBB510_6:
	s_lshl_b64 s[6:7], s[22:23], 3
	s_add_u32 s6, s8, s6
	s_addc_u32 s7, s9, s7
	s_load_dwordx2 s[8:9], s[6:7], 0x0
	s_load_dwordx2 s[12:13], s[0:1], 0x0
	s_load_dword s30, s[0:1], 0x78
	s_lshl_b64 s[6:7], s[10:11], 2
	v_and_b32_e32 v2, 0x3ff, v0
	s_waitcnt lgkmcnt(0)
	s_add_u32 s8, s8, s6
	v_bfe_u32 v14, v0, 10, 10
	s_addc_u32 s9, s9, s7
	s_andn2_b64 vcc, exec, s[4:5]
	v_lshl_add_u32 v3, v14, 5, v2
	s_cbranch_vccnz .LBB510_13
; %bb.7:
	s_movk_i32 s3, 0x80
	v_cmp_gt_u32_e32 vcc, s3, v3
	s_mov_b64 s[4:5], 0
	s_mov_b64 s[10:11], 0
                                        ; implicit-def: $vgpr1
                                        ; implicit-def: $vgpr4_vgpr5
	s_and_saveexec_b64 s[6:7], vcc
	s_cbranch_execz .LBB510_14
; %bb.8:
	v_lshl_or_b32 v0, s2, 7, v3
	v_mov_b32_e32 v1, 0
	s_ashr_i32 s11, s12, 31
	s_mov_b32 s10, s12
	v_cmp_gt_i64_e32 vcc, s[10:11], v[0:1]
	s_mov_b64 s[16:17], 0
                                        ; implicit-def: $vgpr4_vgpr5
	s_and_saveexec_b64 s[10:11], vcc
	s_cbranch_execz .LBB510_12
; %bb.9:
	v_mad_u64_u32 v[4:5], s[18:19], s30, v0, 0
	s_ashr_i32 s3, s30, 31
	v_mov_b32_e32 v6, v5
	v_cmp_eq_f32_e64 s[16:17], s28, 0
	v_mad_u64_u32 v[6:7], s[18:19], s3, v0, v[6:7]
	v_mov_b32_e32 v5, v6
	s_and_b64 vcc, exec, s[16:17]
	s_cbranch_vccnz .LBB510_11
; %bb.10:
	v_lshl_add_u64 v[0:1], v[4:5], 2, s[8:9]
	global_load_dword v0, v[0:1], off
	s_waitcnt vmcnt(0)
	v_mul_f32_e32 v1, s28, v0
.LBB510_11:
	s_mov_b64 s[16:17], exec
.LBB510_12:
	s_or_b64 exec, exec, s[10:11]
	s_and_b64 s[10:11], s[16:17], exec
	s_or_b64 exec, exec, s[6:7]
	s_and_b64 vcc, exec, s[4:5]
	s_cbranch_vccnz .LBB510_15
	s_branch .LBB510_52
.LBB510_13:
	s_mov_b64 s[10:11], 0
                                        ; implicit-def: $vgpr1
                                        ; implicit-def: $vgpr4_vgpr5
	s_cbranch_execnz .LBB510_15
	s_branch .LBB510_52
.LBB510_14:
	s_or_b64 exec, exec, s[6:7]
	s_and_b64 vcc, exec, s[4:5]
	s_cbranch_vccz .LBB510_52
.LBB510_15:
	s_load_dword s33, s[0:1], 0x28
	s_load_dword s34, s[0:1], 0x48
	s_ashr_i32 s0, s13, 31
	s_lshr_b32 s0, s0, 26
	s_add_i32 s35, s13, s0
	s_lshl_b32 s31, s2, 7
	s_andn2_b32 s35, s35, 63
	v_lshlrev_b32_e32 v20, 2, v14
	v_add_u32_e32 v16, s31, v2
	v_cmp_gt_i32_e32 vcc, s35, v20
	v_mov_b32_e32 v19, 0
	v_mov_b32_e32 v18, 0
	;; [unrolled: 1-line block ×4, first 2 shown]
	s_and_saveexec_b64 s[16:17], vcc
	s_cbranch_execz .LBB510_27
; %bb.16:
	v_add_u32_e32 v0, 32, v16
	v_cmp_gt_i32_e64 s[0:1], s12, v0
	v_add_u32_e32 v0, 64, v16
	v_cmp_gt_i32_e64 s[2:3], s12, v0
	;; [unrolled: 2-line block ×3, first 2 shown]
	s_waitcnt lgkmcnt(0)
	v_mul_lo_u32 v0, s33, v20
	v_add_u32_e32 v6, 2, v20
	v_add_u32_e32 v7, 3, v20
	v_add3_u32 v21, v0, s33, v2
	v_mad_u64_u32 v[0:1], s[6:7], s33, v6, v[2:3]
	v_mad_u64_u32 v[4:5], s[6:7], s33, v7, v[2:3]
	v_mul_lo_u32 v1, v14, s33
	v_mul_lo_u32 v5, s34, v20
	;; [unrolled: 1-line block ×4, first 2 shown]
	v_cmp_gt_i32_e32 vcc, s12, v16
	s_lshl_b32 s36, s33, 6
	v_lshl_add_u32 v1, v1, 2, v2
	v_add_u32_e32 v5, s34, v5
	s_lshl_b32 s37, s34, 6
	v_mul_lo_u32 v23, s34, v7
	v_lshlrev_b32_e32 v24, 2, v6
	s_mov_b32 s38, 0
	s_mov_b64 s[18:19], 0
	v_mov_b32_e32 v19, 0
	v_mov_b32_e32 v18, 0
	;; [unrolled: 1-line block ×4, first 2 shown]
	s_branch .LBB510_21
.LBB510_17:                             ;   in Loop: Header=BB510_21 Depth=1
	s_or_b64 exec, exec, s[26:27]
	s_waitcnt vmcnt(0) lgkmcnt(0)
	v_fma_mix_f32 v6, v37, v41, v17 op_sel_hi:[0,1,0]
	v_fma_mix_f32 v6, v38, v42, v6 op_sel_hi:[0,1,0]
	;; [unrolled: 1-line block ×4, first 2 shown]
.LBB510_18:                             ;   in Loop: Header=BB510_21 Depth=1
	s_or_b64 exec, exec, s[24:25]
	v_fma_mix_f32 v6, v37, v33, v18 op_sel_hi:[0,1,0]
	v_fma_mix_f32 v6, v38, v34, v6 op_sel_hi:[0,1,0]
	;; [unrolled: 1-line block ×4, first 2 shown]
.LBB510_19:                             ;   in Loop: Header=BB510_21 Depth=1
	s_or_b64 exec, exec, s[22:23]
	s_waitcnt vmcnt(0) lgkmcnt(0)
	v_fma_mix_f32 v6, v25, v29, v19 op_sel_hi:[1,1,0]
	s_nop 0
	v_fma_mix_f32 v6, v26, v30, v6 op_sel_hi:[1,1,0]
	s_nop 0
	;; [unrolled: 2-line block ×3, first 2 shown]
	v_fma_mix_f32 v19, v28, v32, v6 op_sel_hi:[1,1,0]
.LBB510_20:                             ;   in Loop: Header=BB510_21 Depth=1
	s_or_b64 exec, exec, s[6:7]
	v_add_u32_e32 v20, 64, v20
	s_add_i32 s38, s38, s37
	v_cmp_le_i32_e64 s[6:7], s35, v20
	v_add_u32_e32 v21, s36, v21
	v_add_u32_e32 v0, s36, v0
	v_add_u32_e32 v4, s36, v4
	s_or_b64 s[18:19], s[6:7], s[18:19]
	v_add_u32_e32 v1, s36, v1
	s_andn2_b64 exec, exec, s[18:19]
	s_cbranch_execz .LBB510_26
.LBB510_21:                             ; =>This Inner Loop Header: Depth=1
	s_and_saveexec_b64 s[6:7], vcc
	s_cbranch_execz .LBB510_20
; %bb.22:                               ;   in Loop: Header=BB510_21 Depth=1
	v_add_u32_e32 v6, s38, v24
	v_ashrrev_i32_e32 v7, 31, v6
	v_add_u32_e32 v8, s38, v5
	v_add_u32_e32 v10, s38, v22
	;; [unrolled: 1-line block ×3, first 2 shown]
	v_lshl_add_u64 v[6:7], v[6:7], 1, s[20:21]
	v_ashrrev_i32_e32 v9, 31, v8
	v_ashrrev_i32_e32 v11, 31, v10
	;; [unrolled: 1-line block ×3, first 2 shown]
	v_lshl_add_u64 v[8:9], v[8:9], 1, s[20:21]
	v_lshl_add_u64 v[10:11], v[10:11], 1, s[20:21]
	;; [unrolled: 1-line block ×3, first 2 shown]
	flat_load_ushort v25, v[6:7]
	flat_load_ushort v26, v[8:9]
	;; [unrolled: 1-line block ×4, first 2 shown]
	v_add_u32_e32 v6, s31, v1
	v_ashrrev_i32_e32 v7, 31, v6
	v_add_u32_e32 v8, s31, v21
	v_add_u32_e32 v10, s31, v0
	;; [unrolled: 1-line block ×3, first 2 shown]
	v_lshl_add_u64 v[6:7], v[6:7], 1, s[14:15]
	v_ashrrev_i32_e32 v9, 31, v8
	v_ashrrev_i32_e32 v11, 31, v10
	;; [unrolled: 1-line block ×3, first 2 shown]
	v_lshl_add_u64 v[8:9], v[8:9], 1, s[14:15]
	v_lshl_add_u64 v[10:11], v[10:11], 1, s[14:15]
	;; [unrolled: 1-line block ×3, first 2 shown]
	flat_load_ushort v29, v[6:7]
	flat_load_ushort v30, v[8:9]
	;; [unrolled: 1-line block ×4, first 2 shown]
	s_and_saveexec_b64 s[22:23], s[0:1]
	s_cbranch_execz .LBB510_19
; %bb.23:                               ;   in Loop: Header=BB510_21 Depth=1
	flat_load_ushort v33, v[6:7] offset:64
	flat_load_ushort v34, v[8:9] offset:64
	;; [unrolled: 1-line block ×4, first 2 shown]
	s_waitcnt vmcnt(0) lgkmcnt(0)
	v_cvt_f32_f16_e32 v37, v25
	v_cvt_f32_f16_e32 v38, v26
	v_cvt_f32_f16_e32 v39, v27
	v_cvt_f32_f16_e32 v40, v28
	s_and_saveexec_b64 s[24:25], s[2:3]
	s_cbranch_execz .LBB510_18
; %bb.24:                               ;   in Loop: Header=BB510_21 Depth=1
	flat_load_ushort v41, v[6:7] offset:128
	flat_load_ushort v42, v[8:9] offset:128
	;; [unrolled: 1-line block ×4, first 2 shown]
	s_and_saveexec_b64 s[26:27], s[4:5]
	s_cbranch_execz .LBB510_17
; %bb.25:                               ;   in Loop: Header=BB510_21 Depth=1
	flat_load_ushort v45, v[6:7] offset:192
	flat_load_ushort v46, v[8:9] offset:192
	;; [unrolled: 1-line block ×4, first 2 shown]
	s_waitcnt vmcnt(0) lgkmcnt(0)
	v_fma_mix_f32 v6, v37, v45, v15 op_sel_hi:[0,1,0]
	v_fma_mix_f32 v6, v38, v46, v6 op_sel_hi:[0,1,0]
	v_fma_mix_f32 v6, v39, v47, v6 op_sel_hi:[0,1,0]
	v_fma_mix_f32 v15, v40, v48, v6 op_sel_hi:[0,1,0]
	s_branch .LBB510_17
.LBB510_26:
	s_or_b64 exec, exec, s[18:19]
.LBB510_27:
	s_or_b64 exec, exec, s[16:17]
	s_sub_i32 s0, s13, s35
	s_cmp_lt_i32 s0, 1
	s_cbranch_scc1 .LBB510_45
; %bb.28:
	v_cmp_gt_i32_e32 vcc, s13, v20
	v_mov_b32_e32 v10, 0
	v_or_b32_e32 v4, 1, v20
	v_mov_b32_e32 v11, 0
	v_mov_b32_e32 v12, 0
	;; [unrolled: 1-line block ×3, first 2 shown]
	s_and_saveexec_b64 s[2:3], vcc
	s_cbranch_execz .LBB510_36
; %bb.29:
	s_waitcnt lgkmcnt(0)
	v_mul_lo_u32 v0, v20, s34
	v_ashrrev_i32_e32 v1, 31, v0
	v_lshl_add_u64 v[0:1], v[0:1], 1, s[20:21]
	flat_load_ushort v0, v[0:1]
	v_cmp_gt_i32_e64 s[0:1], s13, v4
	v_mov_b32_e32 v12, 0
	v_mov_b32_e32 v11, 0
	;; [unrolled: 1-line block ×3, first 2 shown]
	s_and_saveexec_b64 s[4:5], s[0:1]
	s_cbranch_execz .LBB510_35
; %bb.30:
	v_mul_lo_u32 v6, v4, s34
	v_ashrrev_i32_e32 v7, 31, v6
	v_lshl_add_u64 v[6:7], v[6:7], 1, s[20:21]
	flat_load_ushort v1, v[6:7]
	v_or_b32_e32 v5, 2, v20
	v_cmp_gt_i32_e64 s[0:1], s13, v5
	v_mov_b32_e32 v11, 0
	v_mov_b32_e32 v10, 0
	s_and_saveexec_b64 s[6:7], s[0:1]
	s_cbranch_execz .LBB510_34
; %bb.31:
	v_mul_lo_u32 v6, v5, s34
	v_ashrrev_i32_e32 v7, 31, v6
	v_lshl_add_u64 v[6:7], v[6:7], 1, s[20:21]
	flat_load_ushort v5, v[6:7]
	v_or_b32_e32 v6, 3, v20
	v_cmp_gt_i32_e64 s[0:1], s13, v6
	v_mov_b32_e32 v10, 0
	s_and_saveexec_b64 s[16:17], s[0:1]
	s_cbranch_execz .LBB510_33
; %bb.32:
	v_mul_lo_u32 v6, v6, s34
	v_ashrrev_i32_e32 v7, 31, v6
	v_lshl_add_u64 v[6:7], v[6:7], 1, s[20:21]
	flat_load_ushort v6, v[6:7]
	s_waitcnt vmcnt(0) lgkmcnt(0)
	v_cvt_f32_f16_e32 v10, v6
.LBB510_33:
	s_or_b64 exec, exec, s[16:17]
	s_waitcnt vmcnt(0) lgkmcnt(0)
	v_cvt_f32_f16_e32 v11, v5
.LBB510_34:
	s_or_b64 exec, exec, s[6:7]
	s_waitcnt vmcnt(0) lgkmcnt(0)
	v_cvt_f32_f16_e32 v12, v1
.LBB510_35:
	s_or_b64 exec, exec, s[4:5]
	s_waitcnt vmcnt(0) lgkmcnt(0)
	v_cvt_f32_f16_e32 v13, v0
.LBB510_36:
	s_or_b64 exec, exec, s[2:3]
	v_cmp_gt_i32_e64 s[0:1], s12, v16
	s_and_saveexec_b64 s[2:3], s[0:1]
	s_cbranch_execz .LBB510_44
; %bb.37:
	s_waitcnt lgkmcnt(0)
	v_mul_lo_u32 v0, v20, s33
	v_cndmask_b32_e32 v0, 0, v0, vcc
	v_mul_lo_u32 v5, v4, s33
	v_cmp_gt_i32_e32 vcc, s13, v4
	v_or_b32_e32 v6, 2, v20
	v_mul_lo_u32 v7, v6, s33
	v_cndmask_b32_e32 v4, 0, v5, vcc
	v_cmp_gt_i32_e32 vcc, s13, v6
	v_or_b32_e32 v8, 3, v20
	v_mul_lo_u32 v9, v8, s33
	v_cndmask_b32_e32 v6, 0, v7, vcc
	v_cmp_gt_i32_e32 vcc, s13, v8
	v_add_u32_e32 v0, v0, v16
	v_ashrrev_i32_e32 v1, 31, v0
	v_cndmask_b32_e32 v8, 0, v9, vcc
	v_add_u32_e32 v4, v4, v16
	v_add_u32_e32 v6, v6, v16
	;; [unrolled: 1-line block ×3, first 2 shown]
	v_lshl_add_u64 v[0:1], v[0:1], 1, s[14:15]
	v_ashrrev_i32_e32 v5, 31, v4
	v_ashrrev_i32_e32 v7, 31, v6
	;; [unrolled: 1-line block ×3, first 2 shown]
	v_lshl_add_u64 v[4:5], v[4:5], 1, s[14:15]
	v_lshl_add_u64 v[6:7], v[6:7], 1, s[14:15]
	flat_load_ushort v21, v[0:1]
	flat_load_ushort v22, v[4:5]
	;; [unrolled: 1-line block ×3, first 2 shown]
	v_lshl_add_u64 v[8:9], v[8:9], 1, s[14:15]
	flat_load_ushort v20, v[8:9]
	v_add_u32_e32 v24, 32, v16
	v_cmp_gt_i32_e32 vcc, s12, v24
	s_waitcnt vmcnt(0) lgkmcnt(0)
	v_fma_mix_f32 v19, v13, v21, v19 op_sel_hi:[0,1,0]
	v_fma_mix_f32 v19, v12, v22, v19 op_sel_hi:[0,1,0]
	v_fma_mix_f32 v19, v11, v23, v19 op_sel_hi:[0,1,0]
	s_and_saveexec_b64 s[0:1], vcc
	s_cbranch_execz .LBB510_43
; %bb.38:
	flat_load_ushort v22, v[0:1] offset:64
	flat_load_ushort v23, v[4:5] offset:64
	flat_load_ushort v24, v[6:7] offset:64
	flat_load_ushort v21, v[8:9] offset:64
	v_add_u32_e32 v25, 64, v16
	v_cmp_gt_i32_e32 vcc, s12, v25
	s_waitcnt vmcnt(0) lgkmcnt(0)
	v_fma_mix_f32 v18, v13, v22, v18 op_sel_hi:[0,1,0]
	v_fma_mix_f32 v18, v12, v23, v18 op_sel_hi:[0,1,0]
	v_fma_mix_f32 v18, v11, v24, v18 op_sel_hi:[0,1,0]
	s_and_saveexec_b64 s[4:5], vcc
	s_cbranch_execz .LBB510_42
; %bb.39:
	flat_load_ushort v23, v[0:1] offset:128
	flat_load_ushort v24, v[4:5] offset:128
	flat_load_ushort v25, v[6:7] offset:128
	flat_load_ushort v22, v[8:9] offset:128
	;; [unrolled: 13-line block ×3, first 2 shown]
	s_waitcnt vmcnt(0) lgkmcnt(0)
	v_fma_mix_f32 v0, v13, v17, v15 op_sel_hi:[0,1,0]
	v_fma_mix_f32 v0, v12, v23, v0 op_sel_hi:[0,1,0]
	;; [unrolled: 1-line block ×4, first 2 shown]
.LBB510_41:
	s_or_b64 exec, exec, s[6:7]
	v_fma_mix_f32 v17, v10, v22, v16 op_sel_hi:[0,1,0]
.LBB510_42:
	s_or_b64 exec, exec, s[4:5]
	v_fma_mix_f32 v18, v10, v21, v18 op_sel_hi:[0,1,0]
.LBB510_43:
	s_or_b64 exec, exec, s[0:1]
	v_fma_mix_f32 v19, v10, v20, v19 op_sel_hi:[0,1,0]
.LBB510_44:
	s_or_b64 exec, exec, s[2:3]
.LBB510_45:
	v_lshlrev_b32_e32 v0, 7, v14
	s_movk_i32 s0, 0x80
	v_add_lshl_u32 v0, v0, v2, 2
	v_cmp_gt_u32_e32 vcc, s0, v3
	ds_write2_b32 v0, v19, v18 offset1:32
	ds_write2_b32 v0, v17, v15 offset0:64 offset1:96
	s_waitcnt lgkmcnt(0)
	s_barrier
	s_waitcnt lgkmcnt(0)
                                        ; implicit-def: $vgpr1
                                        ; implicit-def: $vgpr4_vgpr5
	s_and_saveexec_b64 s[0:1], vcc
	s_cbranch_execz .LBB510_51
; %bb.46:
	v_lshlrev_b32_e32 v2, 2, v3
	ds_read2st64_b32 v[0:1], v2 offset1:2
	ds_read2st64_b32 v[4:5], v2 offset0:4 offset1:6
	ds_read2st64_b32 v[6:7], v2 offset0:8 offset1:10
	;; [unrolled: 1-line block ×4, first 2 shown]
	s_waitcnt lgkmcnt(4)
	v_add_f32_e32 v0, v0, v1
	s_waitcnt lgkmcnt(3)
	v_add_f32_e32 v0, v4, v0
	v_add_f32_e32 v0, v5, v0
	s_waitcnt lgkmcnt(2)
	v_add_f32_e32 v0, v6, v0
	;; [unrolled: 3-line block ×3, first 2 shown]
	v_add_f32_e32 v4, v9, v0
	ds_read2st64_b32 v[0:1], v2 offset0:20 offset1:22
	s_waitcnt lgkmcnt(1)
	v_add_f32_e32 v6, v10, v4
	ds_read2st64_b32 v[4:5], v2 offset0:24 offset1:26
	v_add_f32_e32 v8, v11, v6
	ds_read2st64_b32 v[6:7], v2 offset0:28 offset1:30
	s_waitcnt lgkmcnt(2)
	v_add_f32_e32 v0, v0, v8
	v_add_f32_e32 v0, v1, v0
	s_waitcnt lgkmcnt(1)
	v_add_f32_e32 v0, v4, v0
	v_add_f32_e32 v0, v5, v0
	s_waitcnt lgkmcnt(0)
	v_add_f32_e32 v0, v6, v0
	v_add_f32_e32 v0, v7, v0
	ds_write_b32 v2, v0
	v_or_b32_e32 v2, s31, v3
	v_cmp_gt_i32_e32 vcc, s12, v2
	s_mov_b64 s[4:5], s[10:11]
                                        ; implicit-def: $vgpr1
                                        ; implicit-def: $vgpr4_vgpr5
	s_and_saveexec_b64 s[2:3], vcc
	s_cbranch_execz .LBB510_50
; %bb.47:
	v_cmp_eq_f32_e64 s[4:5], s28, 0
	v_mul_lo_u32 v4, v2, s30
	v_mul_f32_e32 v1, s29, v0
	v_ashrrev_i32_e32 v5, 31, v4
	s_and_b64 vcc, exec, s[4:5]
	s_cbranch_vccnz .LBB510_49
; %bb.48:
	v_lshl_add_u64 v[2:3], v[4:5], 2, s[8:9]
	global_load_dword v0, v[2:3], off
	s_waitcnt vmcnt(0)
	v_fmac_f32_e32 v1, s28, v0
.LBB510_49:
	s_or_b64 s[4:5], s[10:11], exec
.LBB510_50:
	s_or_b64 exec, exec, s[2:3]
	s_andn2_b64 s[2:3], s[10:11], exec
	s_and_b64 s[4:5], s[4:5], exec
	s_or_b64 s[10:11], s[2:3], s[4:5]
.LBB510_51:
	s_or_b64 exec, exec, s[0:1]
.LBB510_52:
	s_and_saveexec_b64 s[0:1], s[10:11]
	s_cbranch_execz .LBB510_54
; %bb.53:
	v_lshl_add_u64 v[2:3], v[4:5], 2, s[8:9]
	global_store_dword v[2:3], v1, off
.LBB510_54:
	s_endpgm
	.section	.rodata,"a",@progbits
	.p2align	6, 0x0
	.amdhsa_kernel _ZL20rocblas_gemvn_kernelILi32ELi16EiPKDF16_PKfKPfEviiT3_lPKT2_lT1_lS9_lSA_lS6_lPT4_lSA_li
		.amdhsa_group_segment_fixed_size 8192
		.amdhsa_private_segment_fixed_size 0
		.amdhsa_kernarg_size 400
		.amdhsa_user_sgpr_count 2
		.amdhsa_user_sgpr_dispatch_ptr 0
		.amdhsa_user_sgpr_queue_ptr 0
		.amdhsa_user_sgpr_kernarg_segment_ptr 1
		.amdhsa_user_sgpr_dispatch_id 0
		.amdhsa_user_sgpr_kernarg_preload_length 0
		.amdhsa_user_sgpr_kernarg_preload_offset 0
		.amdhsa_user_sgpr_private_segment_size 0
		.amdhsa_uses_dynamic_stack 0
		.amdhsa_enable_private_segment 0
		.amdhsa_system_sgpr_workgroup_id_x 1
		.amdhsa_system_sgpr_workgroup_id_y 0
		.amdhsa_system_sgpr_workgroup_id_z 1
		.amdhsa_system_sgpr_workgroup_info 0
		.amdhsa_system_vgpr_workitem_id 1
		.amdhsa_next_free_vgpr 49
		.amdhsa_next_free_sgpr 39
		.amdhsa_accum_offset 52
		.amdhsa_reserve_vcc 1
		.amdhsa_float_round_mode_32 0
		.amdhsa_float_round_mode_16_64 0
		.amdhsa_float_denorm_mode_32 3
		.amdhsa_float_denorm_mode_16_64 3
		.amdhsa_dx10_clamp 1
		.amdhsa_ieee_mode 1
		.amdhsa_fp16_overflow 0
		.amdhsa_tg_split 0
		.amdhsa_exception_fp_ieee_invalid_op 0
		.amdhsa_exception_fp_denorm_src 0
		.amdhsa_exception_fp_ieee_div_zero 0
		.amdhsa_exception_fp_ieee_overflow 0
		.amdhsa_exception_fp_ieee_underflow 0
		.amdhsa_exception_fp_ieee_inexact 0
		.amdhsa_exception_int_div_zero 0
	.end_amdhsa_kernel
	.section	.text._ZL20rocblas_gemvn_kernelILi32ELi16EiPKDF16_PKfKPfEviiT3_lPKT2_lT1_lS9_lSA_lS6_lPT4_lSA_li,"axG",@progbits,_ZL20rocblas_gemvn_kernelILi32ELi16EiPKDF16_PKfKPfEviiT3_lPKT2_lT1_lS9_lSA_lS6_lPT4_lSA_li,comdat
.Lfunc_end510:
	.size	_ZL20rocblas_gemvn_kernelILi32ELi16EiPKDF16_PKfKPfEviiT3_lPKT2_lT1_lS9_lSA_lS6_lPT4_lSA_li, .Lfunc_end510-_ZL20rocblas_gemvn_kernelILi32ELi16EiPKDF16_PKfKPfEviiT3_lPKT2_lT1_lS9_lSA_lS6_lPT4_lSA_li
                                        ; -- End function
	.section	.AMDGPU.csdata,"",@progbits
; Kernel info:
; codeLenInByte = 2508
; NumSgprs: 45
; NumVgprs: 49
; NumAgprs: 0
; TotalNumVgprs: 49
; ScratchSize: 0
; MemoryBound: 0
; FloatMode: 240
; IeeeMode: 1
; LDSByteSize: 8192 bytes/workgroup (compile time only)
; SGPRBlocks: 5
; VGPRBlocks: 6
; NumSGPRsForWavesPerEU: 45
; NumVGPRsForWavesPerEU: 49
; AccumOffset: 52
; Occupancy: 8
; WaveLimiterHint : 1
; COMPUTE_PGM_RSRC2:SCRATCH_EN: 0
; COMPUTE_PGM_RSRC2:USER_SGPR: 2
; COMPUTE_PGM_RSRC2:TRAP_HANDLER: 0
; COMPUTE_PGM_RSRC2:TGID_X_EN: 1
; COMPUTE_PGM_RSRC2:TGID_Y_EN: 0
; COMPUTE_PGM_RSRC2:TGID_Z_EN: 1
; COMPUTE_PGM_RSRC2:TIDIG_COMP_CNT: 1
; COMPUTE_PGM_RSRC3_GFX90A:ACCUM_OFFSET: 12
; COMPUTE_PGM_RSRC3_GFX90A:TG_SPLIT: 0
	.section	.text._ZL20rocblas_gemvn_kernelILi32ELi16ElPKDF16_PKfKPfEviiT3_lPKT2_lT1_lS9_lSA_lS6_lPT4_lSA_li,"axG",@progbits,_ZL20rocblas_gemvn_kernelILi32ELi16ElPKDF16_PKfKPfEviiT3_lPKT2_lT1_lS9_lSA_lS6_lPT4_lSA_li,comdat
	.globl	_ZL20rocblas_gemvn_kernelILi32ELi16ElPKDF16_PKfKPfEviiT3_lPKT2_lT1_lS9_lSA_lS6_lPT4_lSA_li ; -- Begin function _ZL20rocblas_gemvn_kernelILi32ELi16ElPKDF16_PKfKPfEviiT3_lPKT2_lT1_lS9_lSA_lS6_lPT4_lSA_li
	.p2align	8
	.type	_ZL20rocblas_gemvn_kernelILi32ELi16ElPKDF16_PKfKPfEviiT3_lPKT2_lT1_lS9_lSA_lS6_lPT4_lSA_li,@function
_ZL20rocblas_gemvn_kernelILi32ELi16ElPKDF16_PKfKPfEviiT3_lPKT2_lT1_lS9_lSA_lS6_lPT4_lSA_li: ; @_ZL20rocblas_gemvn_kernelILi32ELi16ElPKDF16_PKfKPfEviiT3_lPKT2_lT1_lS9_lSA_lS6_lPT4_lSA_li
; %bb.0:
	s_load_dwordx2 s[4:5], s[0:1], 0x9c
	s_mov_b32 s26, s3
	s_waitcnt lgkmcnt(0)
	s_and_b32 s3, s5, 0xffff
	s_lshr_b32 s5, s4, 16
	s_and_b32 s4, s4, 0xffff
	s_mul_i32 s4, s5, s4
	s_mul_i32 s4, s4, s3
	s_cmpk_lg_i32 s4, 0x200
	s_cbranch_scc1 .LBB511_54
; %bb.1:
	s_load_dwordx8 s[12:19], s[0:1], 0x8
	s_load_dwordx8 s[4:11], s[0:1], 0x58
	s_waitcnt lgkmcnt(0)
	s_mul_i32 s3, s26, s15
	s_mul_hi_u32 s15, s26, s14
	s_mul_i32 s14, s26, s14
	s_add_i32 s15, s15, s3
	s_lshl_b64 s[14:15], s[14:15], 2
	s_mul_i32 s7, s26, s7
	s_add_u32 s12, s12, s14
	s_mul_hi_u32 s3, s26, s6
	s_addc_u32 s13, s13, s15
	s_add_i32 s7, s3, s7
	s_mul_i32 s6, s26, s6
	s_lshl_b64 s[6:7], s[6:7], 2
	s_add_u32 s4, s4, s6
	s_addc_u32 s5, s5, s7
	s_load_dword s42, s[12:13], 0x0
	s_load_dword s33, s[4:5], 0x0
	s_waitcnt lgkmcnt(0)
	v_cmp_eq_f32_e64 s[28:29], s42, 0
	v_cmp_eq_f32_e64 s[4:5], s33, 1.0
	s_and_b64 s[4:5], s[28:29], s[4:5]
	s_and_b64 vcc, exec, s[4:5]
	s_cbranch_vccnz .LBB511_54
; %bb.2:
	s_load_dwordx2 s[20:21], s[0:1], 0x28
	s_load_dwordx2 s[12:13], s[0:1], 0x78
	s_mov_b32 s27, 0
	v_cmp_neq_f32_e64 s[14:15], s42, 0
	s_mov_b64 s[24:25], 0
	s_and_b64 vcc, exec, s[28:29]
	s_mov_b64 s[22:23], 0
	s_cbranch_vccnz .LBB511_4
; %bb.3:
	s_lshl_b64 s[4:5], s[26:27], 3
	s_add_u32 s4, s16, s4
	s_addc_u32 s5, s17, s5
	s_load_dwordx2 s[4:5], s[4:5], 0x0
	s_lshl_b64 s[6:7], s[18:19], 1
	s_waitcnt lgkmcnt(0)
	s_add_u32 s22, s4, s6
	s_addc_u32 s23, s5, s7
.LBB511_4:
	s_load_dwordx4 s[4:7], s[0:1], 0x38
	s_load_dwordx2 s[16:17], s[0:1], 0x48
	s_andn2_b64 vcc, exec, s[14:15]
	s_cbranch_vccnz .LBB511_6
; %bb.5:
	s_lshl_b64 s[14:15], s[26:27], 3
	s_waitcnt lgkmcnt(0)
	s_add_u32 s4, s4, s14
	s_addc_u32 s5, s5, s15
	s_load_dwordx2 s[4:5], s[4:5], 0x0
	s_lshl_b64 s[6:7], s[6:7], 1
	s_waitcnt lgkmcnt(0)
	s_add_u32 s24, s4, s6
	s_addc_u32 s25, s5, s7
.LBB511_6:
	s_waitcnt lgkmcnt(0)
	s_lshl_b64 s[4:5], s[26:27], 3
	s_add_u32 s4, s8, s4
	s_addc_u32 s5, s9, s5
	s_load_dwordx2 s[6:7], s[4:5], 0x0
	s_load_dwordx2 s[14:15], s[0:1], 0x0
	s_lshl_b64 s[0:1], s[10:11], 2
	v_and_b32_e32 v29, 0x3ff, v0
	v_bfe_u32 v30, v0, 10, 10
	s_waitcnt lgkmcnt(0)
	s_add_u32 s8, s6, s0
	s_addc_u32 s9, s7, s1
	s_andn2_b64 vcc, exec, s[28:29]
	v_lshl_add_u32 v28, v30, 5, v29
	s_cbranch_vccnz .LBB511_13
; %bb.7:
	s_movk_i32 s0, 0x80
	v_cmp_gt_u32_e32 vcc, s0, v28
	s_mov_b64 s[0:1], 0
	s_mov_b64 s[10:11], 0
                                        ; implicit-def: $vgpr1
                                        ; implicit-def: $vgpr2_vgpr3
	s_and_saveexec_b64 s[4:5], vcc
	s_cbranch_execz .LBB511_14
; %bb.8:
	v_lshl_or_b32 v0, s2, 7, v28
	v_mov_b32_e32 v1, 0
	s_ashr_i32 s7, s14, 31
	s_mov_b32 s6, s14
	v_cmp_gt_i64_e32 vcc, s[6:7], v[0:1]
                                        ; implicit-def: $vgpr2_vgpr3
	s_and_saveexec_b64 s[6:7], vcc
	s_cbranch_execz .LBB511_12
; %bb.9:
	v_mad_u64_u32 v[2:3], s[18:19], v0, s12, 0
	v_mov_b32_e32 v4, v3
	v_cmp_eq_f32_e64 s[10:11], s33, 0
	v_mad_u64_u32 v[4:5], s[18:19], v0, s13, v[4:5]
	v_mov_b32_e32 v3, v4
	s_and_b64 vcc, exec, s[10:11]
	s_cbranch_vccnz .LBB511_11
; %bb.10:
	v_lshl_add_u64 v[0:1], v[2:3], 2, s[8:9]
	global_load_dword v0, v[0:1], off
	s_waitcnt vmcnt(0)
	v_mul_f32_e32 v1, s33, v0
.LBB511_11:
	s_mov_b64 s[10:11], exec
.LBB511_12:
	s_or_b64 exec, exec, s[6:7]
	s_and_b64 s[10:11], s[10:11], exec
	s_or_b64 exec, exec, s[4:5]
	s_and_b64 vcc, exec, s[0:1]
	s_cbranch_vccnz .LBB511_15
	s_branch .LBB511_52
.LBB511_13:
	s_mov_b64 s[10:11], 0
                                        ; implicit-def: $vgpr1
                                        ; implicit-def: $vgpr2_vgpr3
	s_cbranch_execnz .LBB511_15
	s_branch .LBB511_52
.LBB511_14:
	s_or_b64 exec, exec, s[4:5]
	s_and_b64 vcc, exec, s[0:1]
	s_cbranch_vccz .LBB511_52
.LBB511_15:
	s_ashr_i32 s0, s15, 31
	s_lshr_b32 s0, s0, 26
	s_add_i32 s44, s15, s0
	s_lshl_b32 s43, s2, 7
	s_andn2_b32 s44, s44, 63
	v_lshlrev_b32_e32 v33, 2, v30
	v_add_u32_e32 v0, s43, v29
	v_cmp_gt_i32_e32 vcc, s44, v33
	v_mov_b32_e32 v35, 0
	v_mov_b32_e32 v34, 0
	;; [unrolled: 1-line block ×4, first 2 shown]
	s_and_saveexec_b64 s[18:19], vcc
	s_cbranch_execz .LBB511_27
; %bb.16:
	v_add_u32_e32 v2, 32, v0
	v_cmp_gt_i32_e64 s[0:1], s14, v2
	v_add_u32_e32 v2, 64, v0
	v_ashrrev_i32_e32 v1, 31, v0
	v_cmp_gt_i32_e64 s[2:3], s14, v2
	v_add_u32_e32 v2, 0x60, v0
	v_cmp_gt_i32_e64 s[4:5], s14, v2
	v_lshlrev_b64 v[2:3], 1, v[0:1]
	v_lshlrev_b32_e32 v1, 2, v30
	v_or_b32_e32 v15, 3, v1
	v_mad_u64_u32 v[4:5], s[6:7], s20, v15, 0
	v_mov_b32_e32 v6, v5
	v_mad_u64_u32 v[6:7], s[6:7], s21, v15, v[6:7]
	v_mov_b32_e32 v5, v6
	v_mad_u64_u32 v[6:7], s[6:7], s16, v30, 0
	v_mov_b32_e32 v8, v7
	v_mad_u64_u32 v[8:9], s[6:7], s17, v30, v[8:9]
	v_mov_b32_e32 v7, v8
	v_mad_u64_u32 v[8:9], s[6:7], s20, v30, 0
	v_mov_b32_e32 v10, v9
	v_mad_u64_u32 v[10:11], s[6:7], s21, v30, v[10:11]
	v_mov_b32_e32 v9, v10
	v_mov_b64_e32 v[10:11], s[16:17]
	v_mad_u64_u32 v[10:11], s[6:7], s16, v1, v[10:11]
	v_mov_b32_e32 v12, v11
	v_mad_u64_u32 v[12:13], s[6:7], s17, v1, v[12:13]
	v_mov_b32_e32 v11, v12
	;; [unrolled: 2-line block ×3, first 2 shown]
	v_mad_u64_u32 v[14:15], s[6:7], s17, v15, v[14:15]
	v_or_b32_e32 v21, 2, v1
	v_mov_b32_e32 v13, v14
	v_mad_u64_u32 v[14:15], s[6:7], s20, v21, 0
	v_mov_b32_e32 v16, v15
	v_mad_u64_u32 v[16:17], s[6:7], s21, v21, v[16:17]
	v_mov_b32_e32 v15, v16
	v_mov_b64_e32 v[16:17], s[20:21]
	v_mad_u64_u32 v[16:17], s[6:7], s20, v1, v[16:17]
	v_mov_b32_e32 v18, v17
	v_mad_u64_u32 v[18:19], s[6:7], s21, v1, v[18:19]
	v_mov_b32_e32 v17, v18
	v_mad_u64_u32 v[18:19], s[6:7], s16, v21, 0
	v_mov_b32_e32 v20, v19
	v_mad_u64_u32 v[20:21], s[6:7], s17, v21, v[20:21]
	v_mov_b32_e32 v19, v20
	v_cmp_gt_i32_e32 vcc, s14, v0
	v_lshl_add_u64 v[4:5], v[4:5], 1, s[22:23]
	s_lshl_b64 s[26:27], s[20:21], 7
	v_lshlrev_b64 v[6:7], 3, v[6:7]
	s_lshl_b64 s[28:29], s[16:17], 7
	v_lshl_add_u64 v[8:9], v[8:9], 3, s[22:23]
	v_lshlrev_b64 v[10:11], 1, v[10:11]
	v_lshlrev_b64 v[12:13], 1, v[12:13]
	v_lshl_add_u64 v[14:15], v[14:15], 1, s[22:23]
	v_lshl_add_u64 v[16:17], v[16:17], 1, s[22:23]
	v_lshlrev_b64 v[18:19], 1, v[18:19]
	s_mov_b64 s[30:31], 0
	v_mov_b32_e32 v35, 0
	s_mov_b64 s[34:35], s[24:25]
	v_mov_b32_e32 v34, 0
	v_mov_b32_e32 v32, 0
	;; [unrolled: 1-line block ×3, first 2 shown]
	s_branch .LBB511_21
.LBB511_17:                             ;   in Loop: Header=BB511_21 Depth=1
	s_or_b64 exec, exec, s[40:41]
	s_waitcnt vmcnt(0) lgkmcnt(0)
	v_fma_mix_f32 v20, v47, v51, v32 op_sel_hi:[0,1,0]
	v_fma_mix_f32 v20, v48, v52, v20 op_sel_hi:[0,1,0]
	;; [unrolled: 1-line block ×4, first 2 shown]
.LBB511_18:                             ;   in Loop: Header=BB511_21 Depth=1
	s_or_b64 exec, exec, s[38:39]
	v_fma_mix_f32 v20, v47, v43, v34 op_sel_hi:[0,1,0]
	v_fma_mix_f32 v20, v48, v44, v20 op_sel_hi:[0,1,0]
	;; [unrolled: 1-line block ×4, first 2 shown]
.LBB511_19:                             ;   in Loop: Header=BB511_21 Depth=1
	s_or_b64 exec, exec, s[36:37]
	s_waitcnt vmcnt(0) lgkmcnt(0)
	v_fma_mix_f32 v1, v1, v39, v35 op_sel_hi:[1,1,0]
	s_nop 0
	v_fma_mix_f32 v1, v36, v40, v1 op_sel_hi:[1,1,0]
	s_nop 0
	v_fma_mix_f32 v1, v37, v41, v1 op_sel_hi:[1,1,0]
	s_nop 0
	v_fma_mix_f32 v35, v38, v42, v1 op_sel_hi:[1,1,0]
.LBB511_20:                             ;   in Loop: Header=BB511_21 Depth=1
	s_or_b64 exec, exec, s[6:7]
	v_add_u32_e32 v33, 64, v33
	s_add_u32 s34, s34, s28
	s_addc_u32 s35, s35, s29
	v_cmp_le_i32_e64 s[6:7], s44, v33
	v_lshl_add_u64 v[4:5], v[4:5], 0, s[26:27]
	v_lshl_add_u64 v[8:9], v[8:9], 0, s[26:27]
	;; [unrolled: 1-line block ×3, first 2 shown]
	s_or_b64 s[30:31], s[6:7], s[30:31]
	v_lshl_add_u64 v[16:17], v[16:17], 0, s[26:27]
	s_andn2_b64 exec, exec, s[30:31]
	s_cbranch_execz .LBB511_26
.LBB511_21:                             ; =>This Inner Loop Header: Depth=1
	s_and_saveexec_b64 s[6:7], vcc
	s_cbranch_execz .LBB511_20
; %bb.22:                               ;   in Loop: Header=BB511_21 Depth=1
	v_lshl_add_u64 v[20:21], s[34:35], 0, v[6:7]
	v_lshl_add_u64 v[22:23], s[34:35], 0, v[10:11]
	v_lshl_add_u64 v[24:25], s[34:35], 0, v[18:19]
	v_lshl_add_u64 v[26:27], s[34:35], 0, v[12:13]
	flat_load_ushort v1, v[20:21]
	flat_load_ushort v36, v[22:23]
	;; [unrolled: 1-line block ×4, first 2 shown]
	v_lshl_add_u64 v[20:21], v[8:9], 0, v[2:3]
	v_lshl_add_u64 v[22:23], v[16:17], 0, v[2:3]
	;; [unrolled: 1-line block ×4, first 2 shown]
	flat_load_ushort v39, v[20:21]
	flat_load_ushort v40, v[22:23]
	flat_load_ushort v41, v[24:25]
	flat_load_ushort v42, v[26:27]
	s_and_saveexec_b64 s[36:37], s[0:1]
	s_cbranch_execz .LBB511_19
; %bb.23:                               ;   in Loop: Header=BB511_21 Depth=1
	flat_load_ushort v43, v[20:21] offset:64
	flat_load_ushort v44, v[22:23] offset:64
	;; [unrolled: 1-line block ×4, first 2 shown]
	s_waitcnt vmcnt(0) lgkmcnt(0)
	v_cvt_f32_f16_e32 v47, v1
	v_cvt_f32_f16_e32 v48, v36
	v_cvt_f32_f16_e32 v49, v37
	v_cvt_f32_f16_e32 v50, v38
	s_and_saveexec_b64 s[38:39], s[2:3]
	s_cbranch_execz .LBB511_18
; %bb.24:                               ;   in Loop: Header=BB511_21 Depth=1
	flat_load_ushort v51, v[20:21] offset:128
	flat_load_ushort v52, v[22:23] offset:128
	;; [unrolled: 1-line block ×4, first 2 shown]
	s_and_saveexec_b64 s[40:41], s[4:5]
	s_cbranch_execz .LBB511_17
; %bb.25:                               ;   in Loop: Header=BB511_21 Depth=1
	flat_load_ushort v55, v[20:21] offset:192
	flat_load_ushort v56, v[22:23] offset:192
	;; [unrolled: 1-line block ×4, first 2 shown]
	s_waitcnt vmcnt(0) lgkmcnt(0)
	v_fma_mix_f32 v20, v47, v55, v31 op_sel_hi:[0,1,0]
	v_fma_mix_f32 v20, v48, v56, v20 op_sel_hi:[0,1,0]
	;; [unrolled: 1-line block ×4, first 2 shown]
	s_branch .LBB511_17
.LBB511_26:
	s_or_b64 exec, exec, s[30:31]
.LBB511_27:
	s_or_b64 exec, exec, s[18:19]
	s_sub_i32 s0, s15, s44
	s_cmp_lt_i32 s0, 1
	s_cbranch_scc1 .LBB511_45
; %bb.28:
	v_cmp_gt_i32_e32 vcc, s15, v33
	v_mov_b32_e32 v10, 0
	v_or_b32_e32 v4, 1, v33
	v_mov_b32_e32 v11, 0
	v_mov_b32_e32 v12, 0
	;; [unrolled: 1-line block ×3, first 2 shown]
	s_and_saveexec_b64 s[2:3], vcc
	s_cbranch_execz .LBB511_36
; %bb.29:
	v_mad_u64_u32 v[2:3], s[0:1], v33, s16, 0
	v_mov_b32_e32 v6, v3
	v_mad_u64_u32 v[6:7], s[0:1], v33, s17, v[6:7]
	v_mov_b32_e32 v3, v6
	v_lshl_add_u64 v[2:3], v[2:3], 1, s[24:25]
	flat_load_ushort v1, v[2:3]
	v_cmp_gt_i32_e64 s[0:1], s15, v4
	v_mov_b32_e32 v12, 0
	v_mov_b32_e32 v11, 0
	;; [unrolled: 1-line block ×3, first 2 shown]
	s_and_saveexec_b64 s[4:5], s[0:1]
	s_cbranch_execz .LBB511_35
; %bb.30:
	v_mad_u64_u32 v[2:3], s[0:1], v4, s16, 0
	v_mov_b32_e32 v6, v3
	v_mad_u64_u32 v[6:7], s[0:1], v4, s17, v[6:7]
	v_mov_b32_e32 v3, v6
	v_lshl_add_u64 v[2:3], v[2:3], 1, s[24:25]
	flat_load_ushort v2, v[2:3]
	v_or_b32_e32 v3, 2, v33
	v_cmp_gt_i32_e64 s[0:1], s15, v3
	v_mov_b32_e32 v11, 0
	v_mov_b32_e32 v10, 0
	s_and_saveexec_b64 s[6:7], s[0:1]
	s_cbranch_execz .LBB511_34
; %bb.31:
	v_mad_u64_u32 v[6:7], s[0:1], v3, s16, 0
	v_mov_b32_e32 v8, v7
	v_mad_u64_u32 v[8:9], s[0:1], v3, s17, v[8:9]
	v_mov_b32_e32 v7, v8
	v_lshl_add_u64 v[6:7], v[6:7], 1, s[24:25]
	flat_load_ushort v3, v[6:7]
	v_or_b32_e32 v5, 3, v33
	v_cmp_gt_i32_e64 s[0:1], s15, v5
	v_mov_b32_e32 v10, 0
	s_and_saveexec_b64 s[18:19], s[0:1]
	s_cbranch_execz .LBB511_33
; %bb.32:
	v_mad_u64_u32 v[6:7], s[0:1], v5, s16, 0
	v_mov_b32_e32 v8, v7
	v_mad_u64_u32 v[8:9], s[0:1], v5, s17, v[8:9]
	v_mov_b32_e32 v7, v8
	v_lshl_add_u64 v[6:7], v[6:7], 1, s[24:25]
	flat_load_ushort v5, v[6:7]
	s_waitcnt vmcnt(0) lgkmcnt(0)
	v_cvt_f32_f16_e32 v10, v5
.LBB511_33:
	s_or_b64 exec, exec, s[18:19]
	s_waitcnt vmcnt(0) lgkmcnt(0)
	v_cvt_f32_f16_e32 v11, v3
.LBB511_34:
	s_or_b64 exec, exec, s[6:7]
	s_waitcnt vmcnt(0) lgkmcnt(0)
	v_cvt_f32_f16_e32 v12, v2
.LBB511_35:
	s_or_b64 exec, exec, s[4:5]
	s_waitcnt vmcnt(0) lgkmcnt(0)
	v_cvt_f32_f16_e32 v13, v1
.LBB511_36:
	s_or_b64 exec, exec, s[2:3]
	v_cmp_gt_i32_e64 s[0:1], s14, v0
	s_and_saveexec_b64 s[2:3], s[0:1]
	s_cbranch_execz .LBB511_44
; %bb.37:
	v_mad_u64_u32 v[2:3], s[0:1], v33, s20, 0
	v_mov_b32_e32 v6, v3
	v_mad_u64_u32 v[6:7], s[0:1], v33, s21, v[6:7]
	v_ashrrev_i32_e32 v1, 31, v0
	v_cndmask_b32_e32 v3, 0, v6, vcc
	v_mad_u64_u32 v[6:7], s[0:1], v4, s20, 0
	v_cndmask_b32_e32 v2, 0, v2, vcc
	v_lshlrev_b64 v[8:9], 1, v[0:1]
	v_mov_b32_e32 v14, v7
	v_cmp_gt_i32_e32 vcc, s15, v4
	v_or_b32_e32 v1, 2, v33
	v_mad_u64_u32 v[14:15], s[0:1], v4, s21, v[14:15]
	v_cndmask_b32_e32 v4, 0, v6, vcc
	v_mad_u64_u32 v[6:7], s[0:1], v1, s20, 0
	v_cndmask_b32_e32 v5, 0, v14, vcc
	v_mov_b32_e32 v14, v7
	v_mad_u64_u32 v[14:15], s[0:1], v1, s21, v[14:15]
	v_cmp_gt_i32_e32 vcc, s15, v1
	v_or_b32_e32 v1, 3, v33
	v_lshl_add_u64 v[2:3], v[2:3], 1, s[22:23]
	v_cndmask_b32_e32 v7, 0, v14, vcc
	v_mad_u64_u32 v[14:15], s[0:1], v1, s20, 0
	v_mov_b32_e32 v16, v15
	v_cndmask_b32_e32 v6, 0, v6, vcc
	v_mad_u64_u32 v[16:17], s[0:1], v1, s21, v[16:17]
	v_cmp_gt_i32_e32 vcc, s15, v1
	v_lshl_add_u64 v[2:3], v[2:3], 0, v[8:9]
	v_lshl_add_u64 v[4:5], v[4:5], 1, s[22:23]
	v_cndmask_b32_e32 v14, 0, v14, vcc
	v_cndmask_b32_e32 v15, 0, v16, vcc
	v_lshl_add_u64 v[6:7], v[6:7], 1, s[22:23]
	v_lshl_add_u64 v[14:15], v[14:15], 1, s[22:23]
	;; [unrolled: 1-line block ×4, first 2 shown]
	flat_load_ushort v16, v[2:3]
	flat_load_ushort v17, v[4:5]
	;; [unrolled: 1-line block ×3, first 2 shown]
	v_lshl_add_u64 v[8:9], v[14:15], 0, v[8:9]
	flat_load_ushort v1, v[8:9]
	v_add_u32_e32 v15, 32, v0
	v_cmp_gt_i32_e32 vcc, s14, v15
	s_waitcnt vmcnt(0) lgkmcnt(0)
	v_fma_mix_f32 v14, v13, v16, v35 op_sel_hi:[0,1,0]
	v_fma_mix_f32 v14, v12, v17, v14 op_sel_hi:[0,1,0]
	v_fma_mix_f32 v14, v11, v18, v14 op_sel_hi:[0,1,0]
	s_and_saveexec_b64 s[0:1], vcc
	s_cbranch_execz .LBB511_43
; %bb.38:
	flat_load_ushort v16, v[2:3] offset:64
	flat_load_ushort v17, v[4:5] offset:64
	flat_load_ushort v18, v[6:7] offset:64
	flat_load_ushort v15, v[8:9] offset:64
	v_add_u32_e32 v19, 64, v0
	v_cmp_gt_i32_e32 vcc, s14, v19
	s_waitcnt vmcnt(0) lgkmcnt(0)
	v_fma_mix_f32 v16, v13, v16, v34 op_sel_hi:[0,1,0]
	v_fma_mix_f32 v16, v12, v17, v16 op_sel_hi:[0,1,0]
	v_fma_mix_f32 v16, v11, v18, v16 op_sel_hi:[0,1,0]
	s_and_saveexec_b64 s[4:5], vcc
	s_cbranch_execz .LBB511_42
; %bb.39:
	flat_load_ushort v18, v[2:3] offset:128
	flat_load_ushort v19, v[4:5] offset:128
	flat_load_ushort v20, v[6:7] offset:128
	flat_load_ushort v17, v[8:9] offset:128
	;; [unrolled: 13-line block ×3, first 2 shown]
	s_waitcnt vmcnt(0) lgkmcnt(0)
	v_fma_mix_f32 v2, v13, v18, v31 op_sel_hi:[0,1,0]
	v_fma_mix_f32 v2, v12, v19, v2 op_sel_hi:[0,1,0]
	;; [unrolled: 1-line block ×4, first 2 shown]
.LBB511_41:
	s_or_b64 exec, exec, s[6:7]
	v_fma_mix_f32 v32, v10, v17, v0 op_sel_hi:[0,1,0]
.LBB511_42:
	s_or_b64 exec, exec, s[4:5]
	v_fma_mix_f32 v34, v10, v15, v16 op_sel_hi:[0,1,0]
.LBB511_43:
	s_or_b64 exec, exec, s[0:1]
	v_fma_mix_f32 v35, v10, v1, v14 op_sel_hi:[0,1,0]
.LBB511_44:
	s_or_b64 exec, exec, s[2:3]
.LBB511_45:
	v_lshlrev_b32_e32 v0, 7, v30
	s_movk_i32 s0, 0x80
	v_add_lshl_u32 v0, v0, v29, 2
	v_cmp_gt_u32_e32 vcc, s0, v28
	ds_write2_b32 v0, v35, v34 offset1:32
	ds_write2_b32 v0, v32, v31 offset0:64 offset1:96
	s_waitcnt lgkmcnt(0)
	s_barrier
	s_waitcnt lgkmcnt(0)
                                        ; implicit-def: $vgpr1
                                        ; implicit-def: $vgpr2_vgpr3
	s_and_saveexec_b64 s[0:1], vcc
	s_cbranch_execz .LBB511_51
; %bb.46:
	v_lshlrev_b32_e32 v10, 2, v28
	ds_read2st64_b32 v[0:1], v10 offset1:2
	ds_read2st64_b32 v[2:3], v10 offset0:4 offset1:6
	ds_read2st64_b32 v[4:5], v10 offset0:8 offset1:10
	;; [unrolled: 1-line block ×4, first 2 shown]
	s_waitcnt lgkmcnt(4)
	v_add_f32_e32 v0, v0, v1
	s_waitcnt lgkmcnt(3)
	v_add_f32_e32 v0, v2, v0
	v_add_f32_e32 v0, v3, v0
	s_waitcnt lgkmcnt(2)
	v_add_f32_e32 v0, v4, v0
	v_add_f32_e32 v0, v5, v0
	s_waitcnt lgkmcnt(1)
	v_add_f32_e32 v0, v6, v0
	v_add_f32_e32 v2, v7, v0
	ds_read2st64_b32 v[0:1], v10 offset0:20 offset1:22
	s_waitcnt lgkmcnt(1)
	v_add_f32_e32 v4, v8, v2
	ds_read2st64_b32 v[2:3], v10 offset0:24 offset1:26
	v_add_f32_e32 v6, v9, v4
	ds_read2st64_b32 v[4:5], v10 offset0:28 offset1:30
	s_waitcnt lgkmcnt(2)
	v_add_f32_e32 v0, v0, v6
	v_add_f32_e32 v0, v1, v0
	s_waitcnt lgkmcnt(1)
	v_add_f32_e32 v0, v2, v0
	v_add_f32_e32 v0, v3, v0
	s_waitcnt lgkmcnt(0)
	v_add_f32_e32 v0, v4, v0
	v_add_f32_e32 v4, v5, v0
	v_or_b32_e32 v0, s43, v28
	v_cmp_gt_i32_e32 vcc, s14, v0
	s_mov_b64 s[4:5], s[10:11]
	ds_write_b32 v10, v4
                                        ; implicit-def: $vgpr1
                                        ; implicit-def: $vgpr2_vgpr3
	s_and_saveexec_b64 s[2:3], vcc
	s_cbranch_execz .LBB511_50
; %bb.47:
	v_ashrrev_i32_e32 v2, 31, v0
	v_cmp_eq_f32_e64 s[4:5], s33, 0
	v_mul_f32_e32 v1, s42, v4
	v_mul_lo_u32 v4, v0, s13
	v_mul_lo_u32 v5, v2, s12
	v_mad_u64_u32 v[2:3], s[6:7], v0, s12, 0
	v_add3_u32 v3, v3, v4, v5
	s_and_b64 vcc, exec, s[4:5]
	s_cbranch_vccnz .LBB511_49
; %bb.48:
	v_lshl_add_u64 v[4:5], v[2:3], 2, s[8:9]
	global_load_dword v0, v[4:5], off
	s_waitcnt vmcnt(0)
	v_fmac_f32_e32 v1, s33, v0
.LBB511_49:
	s_or_b64 s[4:5], s[10:11], exec
.LBB511_50:
	s_or_b64 exec, exec, s[2:3]
	s_andn2_b64 s[2:3], s[10:11], exec
	s_and_b64 s[4:5], s[4:5], exec
	s_or_b64 s[10:11], s[2:3], s[4:5]
.LBB511_51:
	s_or_b64 exec, exec, s[0:1]
.LBB511_52:
	s_and_saveexec_b64 s[0:1], s[10:11]
	s_cbranch_execz .LBB511_54
; %bb.53:
	v_lshl_add_u64 v[2:3], v[2:3], 2, s[8:9]
	global_store_dword v[2:3], v1, off
.LBB511_54:
	s_endpgm
	.section	.rodata,"a",@progbits
	.p2align	6, 0x0
	.amdhsa_kernel _ZL20rocblas_gemvn_kernelILi32ELi16ElPKDF16_PKfKPfEviiT3_lPKT2_lT1_lS9_lSA_lS6_lPT4_lSA_li
		.amdhsa_group_segment_fixed_size 8192
		.amdhsa_private_segment_fixed_size 0
		.amdhsa_kernarg_size 400
		.amdhsa_user_sgpr_count 2
		.amdhsa_user_sgpr_dispatch_ptr 0
		.amdhsa_user_sgpr_queue_ptr 0
		.amdhsa_user_sgpr_kernarg_segment_ptr 1
		.amdhsa_user_sgpr_dispatch_id 0
		.amdhsa_user_sgpr_kernarg_preload_length 0
		.amdhsa_user_sgpr_kernarg_preload_offset 0
		.amdhsa_user_sgpr_private_segment_size 0
		.amdhsa_uses_dynamic_stack 0
		.amdhsa_enable_private_segment 0
		.amdhsa_system_sgpr_workgroup_id_x 1
		.amdhsa_system_sgpr_workgroup_id_y 0
		.amdhsa_system_sgpr_workgroup_id_z 1
		.amdhsa_system_sgpr_workgroup_info 0
		.amdhsa_system_vgpr_workitem_id 1
		.amdhsa_next_free_vgpr 59
		.amdhsa_next_free_sgpr 45
		.amdhsa_accum_offset 60
		.amdhsa_reserve_vcc 1
		.amdhsa_float_round_mode_32 0
		.amdhsa_float_round_mode_16_64 0
		.amdhsa_float_denorm_mode_32 3
		.amdhsa_float_denorm_mode_16_64 3
		.amdhsa_dx10_clamp 1
		.amdhsa_ieee_mode 1
		.amdhsa_fp16_overflow 0
		.amdhsa_tg_split 0
		.amdhsa_exception_fp_ieee_invalid_op 0
		.amdhsa_exception_fp_denorm_src 0
		.amdhsa_exception_fp_ieee_div_zero 0
		.amdhsa_exception_fp_ieee_overflow 0
		.amdhsa_exception_fp_ieee_underflow 0
		.amdhsa_exception_fp_ieee_inexact 0
		.amdhsa_exception_int_div_zero 0
	.end_amdhsa_kernel
	.section	.text._ZL20rocblas_gemvn_kernelILi32ELi16ElPKDF16_PKfKPfEviiT3_lPKT2_lT1_lS9_lSA_lS6_lPT4_lSA_li,"axG",@progbits,_ZL20rocblas_gemvn_kernelILi32ELi16ElPKDF16_PKfKPfEviiT3_lPKT2_lT1_lS9_lSA_lS6_lPT4_lSA_li,comdat
.Lfunc_end511:
	.size	_ZL20rocblas_gemvn_kernelILi32ELi16ElPKDF16_PKfKPfEviiT3_lPKT2_lT1_lS9_lSA_lS6_lPT4_lSA_li, .Lfunc_end511-_ZL20rocblas_gemvn_kernelILi32ELi16ElPKDF16_PKfKPfEviiT3_lPKT2_lT1_lS9_lSA_lS6_lPT4_lSA_li
                                        ; -- End function
	.section	.AMDGPU.csdata,"",@progbits
; Kernel info:
; codeLenInByte = 2788
; NumSgprs: 51
; NumVgprs: 59
; NumAgprs: 0
; TotalNumVgprs: 59
; ScratchSize: 0
; MemoryBound: 0
; FloatMode: 240
; IeeeMode: 1
; LDSByteSize: 8192 bytes/workgroup (compile time only)
; SGPRBlocks: 6
; VGPRBlocks: 7
; NumSGPRsForWavesPerEU: 51
; NumVGPRsForWavesPerEU: 59
; AccumOffset: 60
; Occupancy: 8
; WaveLimiterHint : 1
; COMPUTE_PGM_RSRC2:SCRATCH_EN: 0
; COMPUTE_PGM_RSRC2:USER_SGPR: 2
; COMPUTE_PGM_RSRC2:TRAP_HANDLER: 0
; COMPUTE_PGM_RSRC2:TGID_X_EN: 1
; COMPUTE_PGM_RSRC2:TGID_Y_EN: 0
; COMPUTE_PGM_RSRC2:TGID_Z_EN: 1
; COMPUTE_PGM_RSRC2:TIDIG_COMP_CNT: 1
; COMPUTE_PGM_RSRC3_GFX90A:ACCUM_OFFSET: 14
; COMPUTE_PGM_RSRC3_GFX90A:TG_SPLIT: 0
	.section	.text._ZL20rocblas_gemvn_kernelILi32ELi16EiPKDF16_fKPfEviiT3_lPKT2_lT1_lS7_lS8_lS4_lPT4_lS8_li,"axG",@progbits,_ZL20rocblas_gemvn_kernelILi32ELi16EiPKDF16_fKPfEviiT3_lPKT2_lT1_lS7_lS8_lS4_lPT4_lS8_li,comdat
	.globl	_ZL20rocblas_gemvn_kernelILi32ELi16EiPKDF16_fKPfEviiT3_lPKT2_lT1_lS7_lS8_lS4_lPT4_lS8_li ; -- Begin function _ZL20rocblas_gemvn_kernelILi32ELi16EiPKDF16_fKPfEviiT3_lPKT2_lT1_lS7_lS8_lS4_lPT4_lS8_li
	.p2align	8
	.type	_ZL20rocblas_gemvn_kernelILi32ELi16EiPKDF16_fKPfEviiT3_lPKT2_lT1_lS7_lS8_lS4_lPT4_lS8_li,@function
_ZL20rocblas_gemvn_kernelILi32ELi16EiPKDF16_fKPfEviiT3_lPKT2_lT1_lS7_lS8_lS4_lPT4_lS8_li: ; @_ZL20rocblas_gemvn_kernelILi32ELi16EiPKDF16_fKPfEviiT3_lPKT2_lT1_lS7_lS8_lS4_lPT4_lS8_li
; %bb.0:
	s_load_dwordx2 s[4:5], s[0:1], 0x9c
	s_mov_b32 s6, s3
	s_waitcnt lgkmcnt(0)
	s_and_b32 s3, s5, 0xffff
	s_lshr_b32 s5, s4, 16
	s_and_b32 s4, s4, 0xffff
	s_mul_i32 s4, s5, s4
	s_mul_i32 s4, s4, s3
	s_cmpk_lg_i32 s4, 0x200
	s_cbranch_scc1 .LBB512_56
; %bb.1:
	s_load_dwordx4 s[8:11], s[0:1], 0x0
	s_waitcnt lgkmcnt(0)
	s_load_dword s11, s[0:1], 0x58
	v_cmp_eq_f32_e64 s[4:5], s10, 0
	s_waitcnt lgkmcnt(0)
	v_cmp_eq_f32_e64 s[12:13], s11, 1.0
	s_and_b64 s[12:13], s[4:5], s[12:13]
	s_and_b64 vcc, exec, s[12:13]
	s_cbranch_vccnz .LBB512_56
; %bb.2:
	v_cmp_neq_f32_e64 s[12:13], s10, 0
	s_mov_b32 s7, 0
	s_and_b64 vcc, exec, s[12:13]
	s_cbranch_vccnz .LBB512_4
; %bb.3:
	s_mov_b64 s[16:17], 0
	s_cbranch_execz .LBB512_5
	s_branch .LBB512_6
.LBB512_4:
                                        ; implicit-def: $sgpr16_sgpr17
.LBB512_5:
	s_load_dwordx4 s[16:19], s[0:1], 0x18
	s_lshl_b64 s[14:15], s[6:7], 3
	s_waitcnt lgkmcnt(0)
	s_add_u32 s14, s16, s14
	s_addc_u32 s15, s17, s15
	s_load_dwordx2 s[14:15], s[14:15], 0x0
	s_lshl_b64 s[16:17], s[18:19], 1
	s_waitcnt lgkmcnt(0)
	s_add_u32 s16, s14, s16
	s_addc_u32 s17, s15, s17
.LBB512_6:
	s_mov_b64 s[14:15], 0
	s_andn2_b64 vcc, exec, s[12:13]
	s_mov_b64 s[18:19], 0
	s_cbranch_vccnz .LBB512_8
; %bb.7:
	s_load_dwordx4 s[20:23], s[0:1], 0x38
	s_lshl_b64 s[12:13], s[6:7], 3
	s_waitcnt lgkmcnt(0)
	s_add_u32 s12, s20, s12
	s_addc_u32 s13, s21, s13
	s_load_dwordx2 s[12:13], s[12:13], 0x0
	s_lshl_b64 s[18:19], s[22:23], 1
	s_waitcnt lgkmcnt(0)
	s_add_u32 s18, s12, s18
	s_addc_u32 s19, s13, s19
.LBB512_8:
	s_load_dwordx4 s[20:23], s[0:1], 0x68
	s_load_dword s30, s[0:1], 0x78
	s_lshl_b64 s[6:7], s[6:7], 3
	v_and_b32_e32 v2, 0x3ff, v0
	v_bfe_u32 v14, v0, 10, 10
	s_waitcnt lgkmcnt(0)
	s_add_u32 s6, s20, s6
	s_addc_u32 s7, s21, s7
	s_load_dwordx2 s[6:7], s[6:7], 0x0
	s_lshl_b64 s[12:13], s[22:23], 2
	v_lshl_add_u32 v3, v14, 5, v2
	s_waitcnt lgkmcnt(0)
	s_add_u32 s12, s6, s12
	s_addc_u32 s13, s7, s13
	s_andn2_b64 vcc, exec, s[4:5]
	s_cbranch_vccnz .LBB512_15
; %bb.9:
	s_movk_i32 s3, 0x80
	v_cmp_gt_u32_e32 vcc, s3, v3
	s_mov_b64 s[4:5], 0
                                        ; implicit-def: $vgpr1
                                        ; implicit-def: $vgpr4_vgpr5
	s_and_saveexec_b64 s[6:7], vcc
	s_cbranch_execz .LBB512_16
; %bb.10:
	v_lshl_or_b32 v0, s2, 7, v3
	v_mov_b32_e32 v1, 0
	s_ashr_i32 s15, s8, 31
	s_mov_b32 s14, s8
	v_cmp_gt_i64_e32 vcc, s[14:15], v[0:1]
	s_mov_b64 s[20:21], 0
                                        ; implicit-def: $vgpr4_vgpr5
	s_and_saveexec_b64 s[14:15], vcc
	s_cbranch_execz .LBB512_14
; %bb.11:
	v_mad_u64_u32 v[4:5], s[22:23], s30, v0, 0
	s_ashr_i32 s3, s30, 31
	v_mov_b32_e32 v6, v5
	v_cmp_eq_f32_e64 s[20:21], s11, 0
	v_mad_u64_u32 v[6:7], s[22:23], s3, v0, v[6:7]
	v_mov_b32_e32 v5, v6
	s_and_b64 vcc, exec, s[20:21]
	s_cbranch_vccnz .LBB512_13
; %bb.12:
	v_lshl_add_u64 v[0:1], v[4:5], 2, s[12:13]
	global_load_dword v0, v[0:1], off
	s_waitcnt vmcnt(0)
	v_mul_f32_e32 v1, s11, v0
.LBB512_13:
	s_mov_b64 s[20:21], exec
.LBB512_14:
	s_or_b64 exec, exec, s[14:15]
	s_and_b64 s[14:15], s[20:21], exec
	s_or_b64 exec, exec, s[6:7]
	s_and_b64 vcc, exec, s[4:5]
	s_cbranch_vccnz .LBB512_17
	s_branch .LBB512_54
.LBB512_15:
                                        ; implicit-def: $vgpr1
                                        ; implicit-def: $vgpr4_vgpr5
	s_cbranch_execnz .LBB512_17
	s_branch .LBB512_54
.LBB512_16:
	s_or_b64 exec, exec, s[6:7]
	s_and_b64 vcc, exec, s[4:5]
	s_cbranch_vccz .LBB512_54
.LBB512_17:
	s_load_dword s33, s[0:1], 0x28
	s_load_dword s34, s[0:1], 0x48
	s_ashr_i32 s0, s9, 31
	s_lshr_b32 s0, s0, 26
	s_add_i32 s35, s9, s0
	s_lshl_b32 s31, s2, 7
	s_andn2_b32 s35, s35, 63
	v_lshlrev_b32_e32 v20, 2, v14
	v_add_u32_e32 v16, s31, v2
	v_cmp_gt_i32_e32 vcc, s35, v20
	v_mov_b32_e32 v19, 0
	v_mov_b32_e32 v18, 0
	;; [unrolled: 1-line block ×4, first 2 shown]
	s_and_saveexec_b64 s[20:21], vcc
	s_cbranch_execz .LBB512_29
; %bb.18:
	v_add_u32_e32 v0, 32, v16
	v_cmp_gt_i32_e64 s[0:1], s8, v0
	v_add_u32_e32 v0, 64, v16
	v_cmp_gt_i32_e64 s[2:3], s8, v0
	;; [unrolled: 2-line block ×3, first 2 shown]
	s_waitcnt lgkmcnt(0)
	v_mul_lo_u32 v0, s33, v20
	v_add_u32_e32 v6, 2, v20
	v_add_u32_e32 v7, 3, v20
	v_add3_u32 v21, v0, s33, v2
	v_mad_u64_u32 v[0:1], s[6:7], s33, v6, v[2:3]
	v_mad_u64_u32 v[4:5], s[6:7], s33, v7, v[2:3]
	v_mul_lo_u32 v1, v14, s33
	v_mul_lo_u32 v5, s34, v20
	;; [unrolled: 1-line block ×4, first 2 shown]
	v_cmp_gt_i32_e32 vcc, s8, v16
	s_lshl_b32 s36, s33, 6
	v_lshl_add_u32 v1, v1, 2, v2
	v_add_u32_e32 v5, s34, v5
	s_lshl_b32 s37, s34, 6
	v_mul_lo_u32 v23, s34, v7
	v_lshlrev_b32_e32 v24, 2, v6
	s_mov_b32 s38, 0
	s_mov_b64 s[22:23], 0
	v_mov_b32_e32 v19, 0
	v_mov_b32_e32 v18, 0
	;; [unrolled: 1-line block ×4, first 2 shown]
	s_branch .LBB512_23
.LBB512_19:                             ;   in Loop: Header=BB512_23 Depth=1
	s_or_b64 exec, exec, s[28:29]
	s_waitcnt vmcnt(0) lgkmcnt(0)
	v_fma_mix_f32 v6, v37, v41, v17 op_sel_hi:[0,1,0]
	v_fma_mix_f32 v6, v38, v42, v6 op_sel_hi:[0,1,0]
	;; [unrolled: 1-line block ×4, first 2 shown]
.LBB512_20:                             ;   in Loop: Header=BB512_23 Depth=1
	s_or_b64 exec, exec, s[26:27]
	v_fma_mix_f32 v6, v37, v33, v18 op_sel_hi:[0,1,0]
	v_fma_mix_f32 v6, v38, v34, v6 op_sel_hi:[0,1,0]
	v_fma_mix_f32 v6, v39, v35, v6 op_sel_hi:[0,1,0]
	v_fma_mix_f32 v18, v40, v36, v6 op_sel_hi:[0,1,0]
.LBB512_21:                             ;   in Loop: Header=BB512_23 Depth=1
	s_or_b64 exec, exec, s[24:25]
	s_waitcnt vmcnt(0) lgkmcnt(0)
	v_fma_mix_f32 v6, v25, v29, v19 op_sel_hi:[1,1,0]
	s_nop 0
	v_fma_mix_f32 v6, v26, v30, v6 op_sel_hi:[1,1,0]
	s_nop 0
	;; [unrolled: 2-line block ×3, first 2 shown]
	v_fma_mix_f32 v19, v28, v32, v6 op_sel_hi:[1,1,0]
.LBB512_22:                             ;   in Loop: Header=BB512_23 Depth=1
	s_or_b64 exec, exec, s[6:7]
	v_add_u32_e32 v20, 64, v20
	s_add_i32 s38, s38, s37
	v_cmp_le_i32_e64 s[6:7], s35, v20
	v_add_u32_e32 v21, s36, v21
	v_add_u32_e32 v0, s36, v0
	;; [unrolled: 1-line block ×3, first 2 shown]
	s_or_b64 s[22:23], s[6:7], s[22:23]
	v_add_u32_e32 v1, s36, v1
	s_andn2_b64 exec, exec, s[22:23]
	s_cbranch_execz .LBB512_28
.LBB512_23:                             ; =>This Inner Loop Header: Depth=1
	s_and_saveexec_b64 s[6:7], vcc
	s_cbranch_execz .LBB512_22
; %bb.24:                               ;   in Loop: Header=BB512_23 Depth=1
	v_add_u32_e32 v6, s38, v24
	v_ashrrev_i32_e32 v7, 31, v6
	v_add_u32_e32 v8, s38, v5
	v_add_u32_e32 v10, s38, v22
	;; [unrolled: 1-line block ×3, first 2 shown]
	v_lshl_add_u64 v[6:7], v[6:7], 1, s[18:19]
	v_ashrrev_i32_e32 v9, 31, v8
	v_ashrrev_i32_e32 v11, 31, v10
	;; [unrolled: 1-line block ×3, first 2 shown]
	v_lshl_add_u64 v[8:9], v[8:9], 1, s[18:19]
	v_lshl_add_u64 v[10:11], v[10:11], 1, s[18:19]
	;; [unrolled: 1-line block ×3, first 2 shown]
	flat_load_ushort v25, v[6:7]
	flat_load_ushort v26, v[8:9]
	;; [unrolled: 1-line block ×4, first 2 shown]
	v_add_u32_e32 v6, s31, v1
	v_ashrrev_i32_e32 v7, 31, v6
	v_add_u32_e32 v8, s31, v21
	v_add_u32_e32 v10, s31, v0
	;; [unrolled: 1-line block ×3, first 2 shown]
	v_lshl_add_u64 v[6:7], v[6:7], 1, s[16:17]
	v_ashrrev_i32_e32 v9, 31, v8
	v_ashrrev_i32_e32 v11, 31, v10
	;; [unrolled: 1-line block ×3, first 2 shown]
	v_lshl_add_u64 v[8:9], v[8:9], 1, s[16:17]
	v_lshl_add_u64 v[10:11], v[10:11], 1, s[16:17]
	;; [unrolled: 1-line block ×3, first 2 shown]
	flat_load_ushort v29, v[6:7]
	flat_load_ushort v30, v[8:9]
	flat_load_ushort v31, v[10:11]
	flat_load_ushort v32, v[12:13]
	s_and_saveexec_b64 s[24:25], s[0:1]
	s_cbranch_execz .LBB512_21
; %bb.25:                               ;   in Loop: Header=BB512_23 Depth=1
	flat_load_ushort v33, v[6:7] offset:64
	flat_load_ushort v34, v[8:9] offset:64
	;; [unrolled: 1-line block ×4, first 2 shown]
	s_waitcnt vmcnt(0) lgkmcnt(0)
	v_cvt_f32_f16_e32 v37, v25
	v_cvt_f32_f16_e32 v38, v26
	;; [unrolled: 1-line block ×4, first 2 shown]
	s_and_saveexec_b64 s[26:27], s[2:3]
	s_cbranch_execz .LBB512_20
; %bb.26:                               ;   in Loop: Header=BB512_23 Depth=1
	flat_load_ushort v41, v[6:7] offset:128
	flat_load_ushort v42, v[8:9] offset:128
	;; [unrolled: 1-line block ×4, first 2 shown]
	s_and_saveexec_b64 s[28:29], s[4:5]
	s_cbranch_execz .LBB512_19
; %bb.27:                               ;   in Loop: Header=BB512_23 Depth=1
	flat_load_ushort v45, v[6:7] offset:192
	flat_load_ushort v46, v[8:9] offset:192
	;; [unrolled: 1-line block ×4, first 2 shown]
	s_waitcnt vmcnt(0) lgkmcnt(0)
	v_fma_mix_f32 v6, v37, v45, v15 op_sel_hi:[0,1,0]
	v_fma_mix_f32 v6, v38, v46, v6 op_sel_hi:[0,1,0]
	;; [unrolled: 1-line block ×4, first 2 shown]
	s_branch .LBB512_19
.LBB512_28:
	s_or_b64 exec, exec, s[22:23]
.LBB512_29:
	s_or_b64 exec, exec, s[20:21]
	s_sub_i32 s0, s9, s35
	s_cmp_lt_i32 s0, 1
	s_cbranch_scc1 .LBB512_47
; %bb.30:
	v_cmp_gt_i32_e32 vcc, s9, v20
	v_mov_b32_e32 v10, 0
	v_or_b32_e32 v4, 1, v20
	v_mov_b32_e32 v11, 0
	v_mov_b32_e32 v12, 0
	;; [unrolled: 1-line block ×3, first 2 shown]
	s_and_saveexec_b64 s[2:3], vcc
	s_cbranch_execz .LBB512_38
; %bb.31:
	s_waitcnt lgkmcnt(0)
	v_mul_lo_u32 v0, v20, s34
	v_ashrrev_i32_e32 v1, 31, v0
	v_lshl_add_u64 v[0:1], v[0:1], 1, s[18:19]
	flat_load_ushort v0, v[0:1]
	v_cmp_gt_i32_e64 s[0:1], s9, v4
	v_mov_b32_e32 v12, 0
	v_mov_b32_e32 v11, 0
	;; [unrolled: 1-line block ×3, first 2 shown]
	s_and_saveexec_b64 s[4:5], s[0:1]
	s_cbranch_execz .LBB512_37
; %bb.32:
	v_mul_lo_u32 v6, v4, s34
	v_ashrrev_i32_e32 v7, 31, v6
	v_lshl_add_u64 v[6:7], v[6:7], 1, s[18:19]
	flat_load_ushort v1, v[6:7]
	v_or_b32_e32 v5, 2, v20
	v_cmp_gt_i32_e64 s[0:1], s9, v5
	v_mov_b32_e32 v11, 0
	v_mov_b32_e32 v10, 0
	s_and_saveexec_b64 s[6:7], s[0:1]
	s_cbranch_execz .LBB512_36
; %bb.33:
	v_mul_lo_u32 v6, v5, s34
	v_ashrrev_i32_e32 v7, 31, v6
	v_lshl_add_u64 v[6:7], v[6:7], 1, s[18:19]
	flat_load_ushort v5, v[6:7]
	v_or_b32_e32 v6, 3, v20
	v_cmp_gt_i32_e64 s[0:1], s9, v6
	v_mov_b32_e32 v10, 0
	s_and_saveexec_b64 s[20:21], s[0:1]
	s_cbranch_execz .LBB512_35
; %bb.34:
	v_mul_lo_u32 v6, v6, s34
	v_ashrrev_i32_e32 v7, 31, v6
	v_lshl_add_u64 v[6:7], v[6:7], 1, s[18:19]
	flat_load_ushort v6, v[6:7]
	s_waitcnt vmcnt(0) lgkmcnt(0)
	v_cvt_f32_f16_e32 v10, v6
.LBB512_35:
	s_or_b64 exec, exec, s[20:21]
	s_waitcnt vmcnt(0) lgkmcnt(0)
	v_cvt_f32_f16_e32 v11, v5
.LBB512_36:
	s_or_b64 exec, exec, s[6:7]
	s_waitcnt vmcnt(0) lgkmcnt(0)
	v_cvt_f32_f16_e32 v12, v1
.LBB512_37:
	s_or_b64 exec, exec, s[4:5]
	s_waitcnt vmcnt(0) lgkmcnt(0)
	v_cvt_f32_f16_e32 v13, v0
.LBB512_38:
	s_or_b64 exec, exec, s[2:3]
	v_cmp_gt_i32_e64 s[0:1], s8, v16
	s_and_saveexec_b64 s[2:3], s[0:1]
	s_cbranch_execz .LBB512_46
; %bb.39:
	s_waitcnt lgkmcnt(0)
	v_mul_lo_u32 v0, v20, s33
	v_cndmask_b32_e32 v0, 0, v0, vcc
	v_mul_lo_u32 v5, v4, s33
	v_cmp_gt_i32_e32 vcc, s9, v4
	v_or_b32_e32 v6, 2, v20
	v_mul_lo_u32 v7, v6, s33
	v_cndmask_b32_e32 v4, 0, v5, vcc
	v_cmp_gt_i32_e32 vcc, s9, v6
	v_or_b32_e32 v8, 3, v20
	v_mul_lo_u32 v9, v8, s33
	v_cndmask_b32_e32 v6, 0, v7, vcc
	v_cmp_gt_i32_e32 vcc, s9, v8
	v_add_u32_e32 v0, v0, v16
	v_ashrrev_i32_e32 v1, 31, v0
	v_cndmask_b32_e32 v8, 0, v9, vcc
	v_add_u32_e32 v4, v4, v16
	v_add_u32_e32 v6, v6, v16
	v_add_u32_e32 v8, v8, v16
	v_lshl_add_u64 v[0:1], v[0:1], 1, s[16:17]
	v_ashrrev_i32_e32 v5, 31, v4
	v_ashrrev_i32_e32 v7, 31, v6
	;; [unrolled: 1-line block ×3, first 2 shown]
	v_lshl_add_u64 v[4:5], v[4:5], 1, s[16:17]
	v_lshl_add_u64 v[6:7], v[6:7], 1, s[16:17]
	flat_load_ushort v21, v[0:1]
	flat_load_ushort v22, v[4:5]
	;; [unrolled: 1-line block ×3, first 2 shown]
	v_lshl_add_u64 v[8:9], v[8:9], 1, s[16:17]
	flat_load_ushort v20, v[8:9]
	v_add_u32_e32 v24, 32, v16
	v_cmp_gt_i32_e32 vcc, s8, v24
	s_waitcnt vmcnt(0) lgkmcnt(0)
	v_fma_mix_f32 v19, v13, v21, v19 op_sel_hi:[0,1,0]
	v_fma_mix_f32 v19, v12, v22, v19 op_sel_hi:[0,1,0]
	v_fma_mix_f32 v19, v11, v23, v19 op_sel_hi:[0,1,0]
	s_and_saveexec_b64 s[0:1], vcc
	s_cbranch_execz .LBB512_45
; %bb.40:
	flat_load_ushort v22, v[0:1] offset:64
	flat_load_ushort v23, v[4:5] offset:64
	flat_load_ushort v24, v[6:7] offset:64
	flat_load_ushort v21, v[8:9] offset:64
	v_add_u32_e32 v25, 64, v16
	v_cmp_gt_i32_e32 vcc, s8, v25
	s_waitcnt vmcnt(0) lgkmcnt(0)
	v_fma_mix_f32 v18, v13, v22, v18 op_sel_hi:[0,1,0]
	v_fma_mix_f32 v18, v12, v23, v18 op_sel_hi:[0,1,0]
	v_fma_mix_f32 v18, v11, v24, v18 op_sel_hi:[0,1,0]
	s_and_saveexec_b64 s[4:5], vcc
	s_cbranch_execz .LBB512_44
; %bb.41:
	flat_load_ushort v23, v[0:1] offset:128
	flat_load_ushort v24, v[4:5] offset:128
	flat_load_ushort v25, v[6:7] offset:128
	flat_load_ushort v22, v[8:9] offset:128
	;; [unrolled: 13-line block ×3, first 2 shown]
	s_waitcnt vmcnt(0) lgkmcnt(0)
	v_fma_mix_f32 v0, v13, v17, v15 op_sel_hi:[0,1,0]
	v_fma_mix_f32 v0, v12, v23, v0 op_sel_hi:[0,1,0]
	;; [unrolled: 1-line block ×4, first 2 shown]
.LBB512_43:
	s_or_b64 exec, exec, s[6:7]
	v_fma_mix_f32 v17, v10, v22, v16 op_sel_hi:[0,1,0]
.LBB512_44:
	s_or_b64 exec, exec, s[4:5]
	v_fma_mix_f32 v18, v10, v21, v18 op_sel_hi:[0,1,0]
.LBB512_45:
	s_or_b64 exec, exec, s[0:1]
	v_fma_mix_f32 v19, v10, v20, v19 op_sel_hi:[0,1,0]
.LBB512_46:
	s_or_b64 exec, exec, s[2:3]
.LBB512_47:
	v_lshlrev_b32_e32 v0, 7, v14
	s_movk_i32 s0, 0x80
	v_add_lshl_u32 v0, v0, v2, 2
	v_cmp_gt_u32_e32 vcc, s0, v3
	ds_write2_b32 v0, v19, v18 offset1:32
	ds_write2_b32 v0, v17, v15 offset0:64 offset1:96
	s_waitcnt lgkmcnt(0)
	s_barrier
	s_waitcnt lgkmcnt(0)
                                        ; implicit-def: $vgpr1
                                        ; implicit-def: $vgpr4_vgpr5
	s_and_saveexec_b64 s[0:1], vcc
	s_cbranch_execz .LBB512_53
; %bb.48:
	v_lshlrev_b32_e32 v2, 2, v3
	ds_read2st64_b32 v[0:1], v2 offset1:2
	ds_read2st64_b32 v[4:5], v2 offset0:4 offset1:6
	ds_read2st64_b32 v[6:7], v2 offset0:8 offset1:10
	;; [unrolled: 1-line block ×4, first 2 shown]
	s_waitcnt lgkmcnt(4)
	v_add_f32_e32 v0, v0, v1
	s_waitcnt lgkmcnt(3)
	v_add_f32_e32 v0, v4, v0
	v_add_f32_e32 v0, v5, v0
	s_waitcnt lgkmcnt(2)
	v_add_f32_e32 v0, v6, v0
	;; [unrolled: 3-line block ×3, first 2 shown]
	v_add_f32_e32 v4, v9, v0
	ds_read2st64_b32 v[0:1], v2 offset0:20 offset1:22
	s_waitcnt lgkmcnt(1)
	v_add_f32_e32 v6, v10, v4
	ds_read2st64_b32 v[4:5], v2 offset0:24 offset1:26
	v_add_f32_e32 v8, v11, v6
	ds_read2st64_b32 v[6:7], v2 offset0:28 offset1:30
	s_waitcnt lgkmcnt(2)
	v_add_f32_e32 v0, v0, v8
	v_add_f32_e32 v0, v1, v0
	s_waitcnt lgkmcnt(1)
	v_add_f32_e32 v0, v4, v0
	v_add_f32_e32 v0, v5, v0
	;; [unrolled: 3-line block ×3, first 2 shown]
	ds_write_b32 v2, v0
	v_or_b32_e32 v2, s31, v3
	v_cmp_gt_i32_e32 vcc, s8, v2
	s_mov_b64 s[4:5], s[14:15]
                                        ; implicit-def: $vgpr1
                                        ; implicit-def: $vgpr4_vgpr5
	s_and_saveexec_b64 s[2:3], vcc
	s_cbranch_execz .LBB512_52
; %bb.49:
	v_cmp_eq_f32_e64 s[4:5], s11, 0
	v_mul_lo_u32 v4, v2, s30
	v_mul_f32_e32 v1, s10, v0
	v_ashrrev_i32_e32 v5, 31, v4
	s_and_b64 vcc, exec, s[4:5]
	s_cbranch_vccnz .LBB512_51
; %bb.50:
	v_lshl_add_u64 v[2:3], v[4:5], 2, s[12:13]
	global_load_dword v0, v[2:3], off
	s_waitcnt vmcnt(0)
	v_fmac_f32_e32 v1, s11, v0
.LBB512_51:
	s_or_b64 s[4:5], s[14:15], exec
.LBB512_52:
	s_or_b64 exec, exec, s[2:3]
	s_andn2_b64 s[2:3], s[14:15], exec
	s_and_b64 s[4:5], s[4:5], exec
	s_or_b64 s[14:15], s[2:3], s[4:5]
.LBB512_53:
	s_or_b64 exec, exec, s[0:1]
.LBB512_54:
	s_and_saveexec_b64 s[0:1], s[14:15]
	s_cbranch_execz .LBB512_56
; %bb.55:
	v_lshl_add_u64 v[2:3], v[4:5], 2, s[12:13]
	global_store_dword v[2:3], v1, off
.LBB512_56:
	s_endpgm
	.section	.rodata,"a",@progbits
	.p2align	6, 0x0
	.amdhsa_kernel _ZL20rocblas_gemvn_kernelILi32ELi16EiPKDF16_fKPfEviiT3_lPKT2_lT1_lS7_lS8_lS4_lPT4_lS8_li
		.amdhsa_group_segment_fixed_size 8192
		.amdhsa_private_segment_fixed_size 0
		.amdhsa_kernarg_size 400
		.amdhsa_user_sgpr_count 2
		.amdhsa_user_sgpr_dispatch_ptr 0
		.amdhsa_user_sgpr_queue_ptr 0
		.amdhsa_user_sgpr_kernarg_segment_ptr 1
		.amdhsa_user_sgpr_dispatch_id 0
		.amdhsa_user_sgpr_kernarg_preload_length 0
		.amdhsa_user_sgpr_kernarg_preload_offset 0
		.amdhsa_user_sgpr_private_segment_size 0
		.amdhsa_uses_dynamic_stack 0
		.amdhsa_enable_private_segment 0
		.amdhsa_system_sgpr_workgroup_id_x 1
		.amdhsa_system_sgpr_workgroup_id_y 0
		.amdhsa_system_sgpr_workgroup_id_z 1
		.amdhsa_system_sgpr_workgroup_info 0
		.amdhsa_system_vgpr_workitem_id 1
		.amdhsa_next_free_vgpr 49
		.amdhsa_next_free_sgpr 39
		.amdhsa_accum_offset 52
		.amdhsa_reserve_vcc 1
		.amdhsa_float_round_mode_32 0
		.amdhsa_float_round_mode_16_64 0
		.amdhsa_float_denorm_mode_32 3
		.amdhsa_float_denorm_mode_16_64 3
		.amdhsa_dx10_clamp 1
		.amdhsa_ieee_mode 1
		.amdhsa_fp16_overflow 0
		.amdhsa_tg_split 0
		.amdhsa_exception_fp_ieee_invalid_op 0
		.amdhsa_exception_fp_denorm_src 0
		.amdhsa_exception_fp_ieee_div_zero 0
		.amdhsa_exception_fp_ieee_overflow 0
		.amdhsa_exception_fp_ieee_underflow 0
		.amdhsa_exception_fp_ieee_inexact 0
		.amdhsa_exception_int_div_zero 0
	.end_amdhsa_kernel
	.section	.text._ZL20rocblas_gemvn_kernelILi32ELi16EiPKDF16_fKPfEviiT3_lPKT2_lT1_lS7_lS8_lS4_lPT4_lS8_li,"axG",@progbits,_ZL20rocblas_gemvn_kernelILi32ELi16EiPKDF16_fKPfEviiT3_lPKT2_lT1_lS7_lS8_lS4_lPT4_lS8_li,comdat
.Lfunc_end512:
	.size	_ZL20rocblas_gemvn_kernelILi32ELi16EiPKDF16_fKPfEviiT3_lPKT2_lT1_lS7_lS8_lS4_lPT4_lS8_li, .Lfunc_end512-_ZL20rocblas_gemvn_kernelILi32ELi16EiPKDF16_fKPfEviiT3_lPKT2_lT1_lS7_lS8_lS4_lPT4_lS8_li
                                        ; -- End function
	.section	.AMDGPU.csdata,"",@progbits
; Kernel info:
; codeLenInByte = 2456
; NumSgprs: 45
; NumVgprs: 49
; NumAgprs: 0
; TotalNumVgprs: 49
; ScratchSize: 0
; MemoryBound: 0
; FloatMode: 240
; IeeeMode: 1
; LDSByteSize: 8192 bytes/workgroup (compile time only)
; SGPRBlocks: 5
; VGPRBlocks: 6
; NumSGPRsForWavesPerEU: 45
; NumVGPRsForWavesPerEU: 49
; AccumOffset: 52
; Occupancy: 8
; WaveLimiterHint : 1
; COMPUTE_PGM_RSRC2:SCRATCH_EN: 0
; COMPUTE_PGM_RSRC2:USER_SGPR: 2
; COMPUTE_PGM_RSRC2:TRAP_HANDLER: 0
; COMPUTE_PGM_RSRC2:TGID_X_EN: 1
; COMPUTE_PGM_RSRC2:TGID_Y_EN: 0
; COMPUTE_PGM_RSRC2:TGID_Z_EN: 1
; COMPUTE_PGM_RSRC2:TIDIG_COMP_CNT: 1
; COMPUTE_PGM_RSRC3_GFX90A:ACCUM_OFFSET: 12
; COMPUTE_PGM_RSRC3_GFX90A:TG_SPLIT: 0
	.section	.text._ZL20rocblas_gemvn_kernelILi32ELi16ElPKDF16_fKPfEviiT3_lPKT2_lT1_lS7_lS8_lS4_lPT4_lS8_li,"axG",@progbits,_ZL20rocblas_gemvn_kernelILi32ELi16ElPKDF16_fKPfEviiT3_lPKT2_lT1_lS7_lS8_lS4_lPT4_lS8_li,comdat
	.globl	_ZL20rocblas_gemvn_kernelILi32ELi16ElPKDF16_fKPfEviiT3_lPKT2_lT1_lS7_lS8_lS4_lPT4_lS8_li ; -- Begin function _ZL20rocblas_gemvn_kernelILi32ELi16ElPKDF16_fKPfEviiT3_lPKT2_lT1_lS7_lS8_lS4_lPT4_lS8_li
	.p2align	8
	.type	_ZL20rocblas_gemvn_kernelILi32ELi16ElPKDF16_fKPfEviiT3_lPKT2_lT1_lS7_lS8_lS4_lPT4_lS8_li,@function
_ZL20rocblas_gemvn_kernelILi32ELi16ElPKDF16_fKPfEviiT3_lPKT2_lT1_lS7_lS8_lS4_lPT4_lS8_li: ; @_ZL20rocblas_gemvn_kernelILi32ELi16ElPKDF16_fKPfEviiT3_lPKT2_lT1_lS7_lS8_lS4_lPT4_lS8_li
; %bb.0:
	s_load_dwordx2 s[4:5], s[0:1], 0x9c
	s_mov_b32 s12, s3
	s_waitcnt lgkmcnt(0)
	s_and_b32 s3, s5, 0xffff
	s_lshr_b32 s5, s4, 16
	s_and_b32 s4, s4, 0xffff
	s_mul_i32 s4, s5, s4
	s_mul_i32 s4, s4, s3
	s_cmpk_lg_i32 s4, 0x200
	s_cbranch_scc1 .LBB513_56
; %bb.1:
	s_load_dwordx4 s[8:11], s[0:1], 0x0
	s_waitcnt lgkmcnt(0)
	s_load_dword s11, s[0:1], 0x58
	v_cmp_eq_f32_e64 s[26:27], s10, 0
	s_waitcnt lgkmcnt(0)
	v_cmp_eq_f32_e64 s[4:5], s11, 1.0
	s_and_b64 s[4:5], s[26:27], s[4:5]
	s_and_b64 vcc, exec, s[4:5]
	s_cbranch_vccnz .LBB513_56
; %bb.2:
	s_load_dwordx4 s[4:7], s[0:1], 0x18
	s_load_dwordx2 s[18:19], s[0:1], 0x28
	v_cmp_neq_f32_e64 s[16:17], s10, 0
	s_mov_b32 s13, 0
	s_and_b64 vcc, exec, s[16:17]
	s_cbranch_vccnz .LBB513_4
; %bb.3:
	s_mov_b64 s[20:21], 0
	s_cbranch_execz .LBB513_5
	s_branch .LBB513_6
.LBB513_4:
                                        ; implicit-def: $sgpr20_sgpr21
.LBB513_5:
	s_lshl_b64 s[14:15], s[12:13], 3
	s_waitcnt lgkmcnt(0)
	s_add_u32 s4, s4, s14
	s_addc_u32 s5, s5, s15
	s_load_dwordx2 s[4:5], s[4:5], 0x0
	s_lshl_b64 s[6:7], s[6:7], 1
	s_waitcnt lgkmcnt(0)
	s_add_u32 s20, s4, s6
	s_addc_u32 s21, s5, s7
.LBB513_6:
	s_waitcnt lgkmcnt(0)
	s_load_dwordx4 s[4:7], s[0:1], 0x38
	s_load_dwordx2 s[22:23], s[0:1], 0x48
	s_mov_b64 s[14:15], 0
	s_andn2_b64 vcc, exec, s[16:17]
	s_mov_b64 s[24:25], 0
	s_cbranch_vccnz .LBB513_8
; %bb.7:
	s_lshl_b64 s[16:17], s[12:13], 3
	s_waitcnt lgkmcnt(0)
	s_add_u32 s4, s4, s16
	s_addc_u32 s5, s5, s17
	s_load_dwordx2 s[4:5], s[4:5], 0x0
	s_lshl_b64 s[6:7], s[6:7], 1
	s_waitcnt lgkmcnt(0)
	s_add_u32 s24, s4, s6
	s_addc_u32 s25, s5, s7
.LBB513_8:
	s_waitcnt lgkmcnt(0)
	s_load_dwordx4 s[4:7], s[0:1], 0x68
	s_load_dwordx2 s[16:17], s[0:1], 0x78
	s_lshl_b64 s[0:1], s[12:13], 3
	v_and_b32_e32 v29, 0x3ff, v0
	v_bfe_u32 v30, v0, 10, 10
	s_waitcnt lgkmcnt(0)
	s_add_u32 s0, s4, s0
	s_addc_u32 s1, s5, s1
	s_load_dwordx2 s[0:1], s[0:1], 0x0
	s_lshl_b64 s[4:5], s[6:7], 2
	v_lshl_add_u32 v28, v30, 5, v29
	s_waitcnt lgkmcnt(0)
	s_add_u32 s12, s0, s4
	s_addc_u32 s13, s1, s5
	s_andn2_b64 vcc, exec, s[26:27]
	s_cbranch_vccnz .LBB513_15
; %bb.9:
	s_movk_i32 s0, 0x80
	v_cmp_gt_u32_e32 vcc, s0, v28
	s_mov_b64 s[0:1], 0
                                        ; implicit-def: $vgpr1
                                        ; implicit-def: $vgpr2_vgpr3
	s_and_saveexec_b64 s[4:5], vcc
	s_cbranch_execz .LBB513_16
; %bb.10:
	v_lshl_or_b32 v0, s2, 7, v28
	v_mov_b32_e32 v1, 0
	s_ashr_i32 s7, s8, 31
	s_mov_b32 s6, s8
	v_cmp_gt_i64_e32 vcc, s[6:7], v[0:1]
                                        ; implicit-def: $vgpr2_vgpr3
	s_and_saveexec_b64 s[6:7], vcc
	s_cbranch_execz .LBB513_14
; %bb.11:
	v_mad_u64_u32 v[2:3], s[26:27], v0, s16, 0
	v_mov_b32_e32 v4, v3
	v_cmp_eq_f32_e64 s[14:15], s11, 0
	v_mad_u64_u32 v[4:5], s[26:27], v0, s17, v[4:5]
	v_mov_b32_e32 v3, v4
	s_and_b64 vcc, exec, s[14:15]
	s_cbranch_vccnz .LBB513_13
; %bb.12:
	v_lshl_add_u64 v[0:1], v[2:3], 2, s[12:13]
	global_load_dword v0, v[0:1], off
	s_waitcnt vmcnt(0)
	v_mul_f32_e32 v1, s11, v0
.LBB513_13:
	s_mov_b64 s[14:15], exec
.LBB513_14:
	s_or_b64 exec, exec, s[6:7]
	s_and_b64 s[14:15], s[14:15], exec
	s_or_b64 exec, exec, s[4:5]
	s_and_b64 vcc, exec, s[0:1]
	s_cbranch_vccnz .LBB513_17
	s_branch .LBB513_54
.LBB513_15:
                                        ; implicit-def: $vgpr1
                                        ; implicit-def: $vgpr2_vgpr3
	s_cbranch_execnz .LBB513_17
	s_branch .LBB513_54
.LBB513_16:
	s_or_b64 exec, exec, s[4:5]
	s_and_b64 vcc, exec, s[0:1]
	s_cbranch_vccz .LBB513_54
.LBB513_17:
	s_ashr_i32 s0, s9, 31
	s_lshr_b32 s0, s0, 26
	s_add_i32 s44, s9, s0
	s_lshl_b32 s33, s2, 7
	s_andn2_b32 s44, s44, 63
	v_lshlrev_b32_e32 v33, 2, v30
	v_add_u32_e32 v0, s33, v29
	v_cmp_gt_i32_e32 vcc, s44, v33
	v_mov_b32_e32 v35, 0
	v_mov_b32_e32 v34, 0
	;; [unrolled: 1-line block ×4, first 2 shown]
	s_and_saveexec_b64 s[26:27], vcc
	s_cbranch_execz .LBB513_29
; %bb.18:
	v_add_u32_e32 v2, 32, v0
	v_cmp_gt_i32_e64 s[0:1], s8, v2
	v_add_u32_e32 v2, 64, v0
	v_ashrrev_i32_e32 v1, 31, v0
	v_cmp_gt_i32_e64 s[2:3], s8, v2
	v_add_u32_e32 v2, 0x60, v0
	v_cmp_gt_i32_e64 s[4:5], s8, v2
	v_lshlrev_b64 v[2:3], 1, v[0:1]
	v_lshlrev_b32_e32 v1, 2, v30
	v_or_b32_e32 v15, 3, v1
	v_mad_u64_u32 v[4:5], s[6:7], s18, v15, 0
	v_mov_b32_e32 v6, v5
	v_mad_u64_u32 v[6:7], s[6:7], s19, v15, v[6:7]
	v_mov_b32_e32 v5, v6
	;; [unrolled: 2-line block ×6, first 2 shown]
	v_mov_b64_e32 v[10:11], s[22:23]
	v_mad_u64_u32 v[10:11], s[6:7], s22, v1, v[10:11]
	v_mov_b32_e32 v12, v11
	v_mad_u64_u32 v[12:13], s[6:7], s23, v1, v[12:13]
	v_mov_b32_e32 v11, v12
	;; [unrolled: 2-line block ×3, first 2 shown]
	v_mad_u64_u32 v[14:15], s[6:7], s23, v15, v[14:15]
	v_or_b32_e32 v21, 2, v1
	v_mov_b32_e32 v13, v14
	v_mad_u64_u32 v[14:15], s[6:7], s18, v21, 0
	v_mov_b32_e32 v16, v15
	v_mad_u64_u32 v[16:17], s[6:7], s19, v21, v[16:17]
	v_mov_b32_e32 v15, v16
	v_mov_b64_e32 v[16:17], s[18:19]
	v_mad_u64_u32 v[16:17], s[6:7], s18, v1, v[16:17]
	v_mov_b32_e32 v18, v17
	v_mad_u64_u32 v[18:19], s[6:7], s19, v1, v[18:19]
	v_mov_b32_e32 v17, v18
	v_mad_u64_u32 v[18:19], s[6:7], s22, v21, 0
	v_mov_b32_e32 v20, v19
	v_mad_u64_u32 v[20:21], s[6:7], s23, v21, v[20:21]
	v_mov_b32_e32 v19, v20
	v_cmp_gt_i32_e32 vcc, s8, v0
	v_lshl_add_u64 v[4:5], v[4:5], 1, s[20:21]
	s_lshl_b64 s[28:29], s[18:19], 7
	v_lshlrev_b64 v[6:7], 3, v[6:7]
	s_lshl_b64 s[30:31], s[22:23], 7
	v_lshl_add_u64 v[8:9], v[8:9], 3, s[20:21]
	v_lshlrev_b64 v[10:11], 1, v[10:11]
	v_lshlrev_b64 v[12:13], 1, v[12:13]
	v_lshl_add_u64 v[14:15], v[14:15], 1, s[20:21]
	v_lshl_add_u64 v[16:17], v[16:17], 1, s[20:21]
	v_lshlrev_b64 v[18:19], 1, v[18:19]
	s_mov_b64 s[34:35], 0
	v_mov_b32_e32 v35, 0
	s_mov_b64 s[36:37], s[24:25]
	v_mov_b32_e32 v34, 0
	v_mov_b32_e32 v32, 0
	;; [unrolled: 1-line block ×3, first 2 shown]
	s_branch .LBB513_23
.LBB513_19:                             ;   in Loop: Header=BB513_23 Depth=1
	s_or_b64 exec, exec, s[42:43]
	s_waitcnt vmcnt(0) lgkmcnt(0)
	v_fma_mix_f32 v20, v47, v51, v32 op_sel_hi:[0,1,0]
	v_fma_mix_f32 v20, v48, v52, v20 op_sel_hi:[0,1,0]
	;; [unrolled: 1-line block ×4, first 2 shown]
.LBB513_20:                             ;   in Loop: Header=BB513_23 Depth=1
	s_or_b64 exec, exec, s[40:41]
	v_fma_mix_f32 v20, v47, v43, v34 op_sel_hi:[0,1,0]
	v_fma_mix_f32 v20, v48, v44, v20 op_sel_hi:[0,1,0]
	;; [unrolled: 1-line block ×4, first 2 shown]
.LBB513_21:                             ;   in Loop: Header=BB513_23 Depth=1
	s_or_b64 exec, exec, s[38:39]
	s_waitcnt vmcnt(0) lgkmcnt(0)
	v_fma_mix_f32 v1, v1, v39, v35 op_sel_hi:[1,1,0]
	s_nop 0
	v_fma_mix_f32 v1, v36, v40, v1 op_sel_hi:[1,1,0]
	s_nop 0
	;; [unrolled: 2-line block ×3, first 2 shown]
	v_fma_mix_f32 v35, v38, v42, v1 op_sel_hi:[1,1,0]
.LBB513_22:                             ;   in Loop: Header=BB513_23 Depth=1
	s_or_b64 exec, exec, s[6:7]
	v_add_u32_e32 v33, 64, v33
	s_add_u32 s36, s36, s30
	s_addc_u32 s37, s37, s31
	v_cmp_le_i32_e64 s[6:7], s44, v33
	v_lshl_add_u64 v[4:5], v[4:5], 0, s[28:29]
	v_lshl_add_u64 v[8:9], v[8:9], 0, s[28:29]
	;; [unrolled: 1-line block ×3, first 2 shown]
	s_or_b64 s[34:35], s[6:7], s[34:35]
	v_lshl_add_u64 v[16:17], v[16:17], 0, s[28:29]
	s_andn2_b64 exec, exec, s[34:35]
	s_cbranch_execz .LBB513_28
.LBB513_23:                             ; =>This Inner Loop Header: Depth=1
	s_and_saveexec_b64 s[6:7], vcc
	s_cbranch_execz .LBB513_22
; %bb.24:                               ;   in Loop: Header=BB513_23 Depth=1
	v_lshl_add_u64 v[20:21], s[36:37], 0, v[6:7]
	v_lshl_add_u64 v[22:23], s[36:37], 0, v[10:11]
	;; [unrolled: 1-line block ×4, first 2 shown]
	flat_load_ushort v1, v[20:21]
	flat_load_ushort v36, v[22:23]
	;; [unrolled: 1-line block ×4, first 2 shown]
	v_lshl_add_u64 v[20:21], v[8:9], 0, v[2:3]
	v_lshl_add_u64 v[22:23], v[16:17], 0, v[2:3]
	;; [unrolled: 1-line block ×4, first 2 shown]
	flat_load_ushort v39, v[20:21]
	flat_load_ushort v40, v[22:23]
	;; [unrolled: 1-line block ×4, first 2 shown]
	s_and_saveexec_b64 s[38:39], s[0:1]
	s_cbranch_execz .LBB513_21
; %bb.25:                               ;   in Loop: Header=BB513_23 Depth=1
	flat_load_ushort v43, v[20:21] offset:64
	flat_load_ushort v44, v[22:23] offset:64
	;; [unrolled: 1-line block ×4, first 2 shown]
	s_waitcnt vmcnt(0) lgkmcnt(0)
	v_cvt_f32_f16_e32 v47, v1
	v_cvt_f32_f16_e32 v48, v36
	;; [unrolled: 1-line block ×4, first 2 shown]
	s_and_saveexec_b64 s[40:41], s[2:3]
	s_cbranch_execz .LBB513_20
; %bb.26:                               ;   in Loop: Header=BB513_23 Depth=1
	flat_load_ushort v51, v[20:21] offset:128
	flat_load_ushort v52, v[22:23] offset:128
	;; [unrolled: 1-line block ×4, first 2 shown]
	s_and_saveexec_b64 s[42:43], s[4:5]
	s_cbranch_execz .LBB513_19
; %bb.27:                               ;   in Loop: Header=BB513_23 Depth=1
	flat_load_ushort v55, v[20:21] offset:192
	flat_load_ushort v56, v[22:23] offset:192
	;; [unrolled: 1-line block ×4, first 2 shown]
	s_waitcnt vmcnt(0) lgkmcnt(0)
	v_fma_mix_f32 v20, v47, v55, v31 op_sel_hi:[0,1,0]
	v_fma_mix_f32 v20, v48, v56, v20 op_sel_hi:[0,1,0]
	;; [unrolled: 1-line block ×4, first 2 shown]
	s_branch .LBB513_19
.LBB513_28:
	s_or_b64 exec, exec, s[34:35]
.LBB513_29:
	s_or_b64 exec, exec, s[26:27]
	s_sub_i32 s0, s9, s44
	s_cmp_lt_i32 s0, 1
	s_cbranch_scc1 .LBB513_47
; %bb.30:
	v_cmp_gt_i32_e32 vcc, s9, v33
	v_mov_b32_e32 v10, 0
	v_or_b32_e32 v4, 1, v33
	v_mov_b32_e32 v11, 0
	v_mov_b32_e32 v12, 0
	;; [unrolled: 1-line block ×3, first 2 shown]
	s_and_saveexec_b64 s[2:3], vcc
	s_cbranch_execz .LBB513_38
; %bb.31:
	v_mad_u64_u32 v[2:3], s[0:1], v33, s22, 0
	v_mov_b32_e32 v6, v3
	v_mad_u64_u32 v[6:7], s[0:1], v33, s23, v[6:7]
	v_mov_b32_e32 v3, v6
	v_lshl_add_u64 v[2:3], v[2:3], 1, s[24:25]
	flat_load_ushort v1, v[2:3]
	v_cmp_gt_i32_e64 s[0:1], s9, v4
	v_mov_b32_e32 v12, 0
	v_mov_b32_e32 v11, 0
	;; [unrolled: 1-line block ×3, first 2 shown]
	s_and_saveexec_b64 s[4:5], s[0:1]
	s_cbranch_execz .LBB513_37
; %bb.32:
	v_mad_u64_u32 v[2:3], s[0:1], v4, s22, 0
	v_mov_b32_e32 v6, v3
	v_mad_u64_u32 v[6:7], s[0:1], v4, s23, v[6:7]
	v_mov_b32_e32 v3, v6
	v_lshl_add_u64 v[2:3], v[2:3], 1, s[24:25]
	flat_load_ushort v2, v[2:3]
	v_or_b32_e32 v3, 2, v33
	v_cmp_gt_i32_e64 s[0:1], s9, v3
	v_mov_b32_e32 v11, 0
	v_mov_b32_e32 v10, 0
	s_and_saveexec_b64 s[6:7], s[0:1]
	s_cbranch_execz .LBB513_36
; %bb.33:
	v_mad_u64_u32 v[6:7], s[0:1], v3, s22, 0
	v_mov_b32_e32 v8, v7
	v_mad_u64_u32 v[8:9], s[0:1], v3, s23, v[8:9]
	v_mov_b32_e32 v7, v8
	v_lshl_add_u64 v[6:7], v[6:7], 1, s[24:25]
	flat_load_ushort v3, v[6:7]
	v_or_b32_e32 v5, 3, v33
	v_cmp_gt_i32_e64 s[0:1], s9, v5
	v_mov_b32_e32 v10, 0
	s_and_saveexec_b64 s[26:27], s[0:1]
	s_cbranch_execz .LBB513_35
; %bb.34:
	v_mad_u64_u32 v[6:7], s[0:1], v5, s22, 0
	v_mov_b32_e32 v8, v7
	v_mad_u64_u32 v[8:9], s[0:1], v5, s23, v[8:9]
	v_mov_b32_e32 v7, v8
	v_lshl_add_u64 v[6:7], v[6:7], 1, s[24:25]
	flat_load_ushort v5, v[6:7]
	s_waitcnt vmcnt(0) lgkmcnt(0)
	v_cvt_f32_f16_e32 v10, v5
.LBB513_35:
	s_or_b64 exec, exec, s[26:27]
	s_waitcnt vmcnt(0) lgkmcnt(0)
	v_cvt_f32_f16_e32 v11, v3
.LBB513_36:
	s_or_b64 exec, exec, s[6:7]
	s_waitcnt vmcnt(0) lgkmcnt(0)
	v_cvt_f32_f16_e32 v12, v2
.LBB513_37:
	s_or_b64 exec, exec, s[4:5]
	s_waitcnt vmcnt(0) lgkmcnt(0)
	v_cvt_f32_f16_e32 v13, v1
.LBB513_38:
	s_or_b64 exec, exec, s[2:3]
	v_cmp_gt_i32_e64 s[0:1], s8, v0
	s_and_saveexec_b64 s[2:3], s[0:1]
	s_cbranch_execz .LBB513_46
; %bb.39:
	v_mad_u64_u32 v[2:3], s[0:1], v33, s18, 0
	v_mov_b32_e32 v6, v3
	v_mad_u64_u32 v[6:7], s[0:1], v33, s19, v[6:7]
	v_ashrrev_i32_e32 v1, 31, v0
	v_cndmask_b32_e32 v3, 0, v6, vcc
	v_mad_u64_u32 v[6:7], s[0:1], v4, s18, 0
	v_cndmask_b32_e32 v2, 0, v2, vcc
	v_lshlrev_b64 v[8:9], 1, v[0:1]
	v_mov_b32_e32 v14, v7
	v_cmp_gt_i32_e32 vcc, s9, v4
	v_or_b32_e32 v1, 2, v33
	v_mad_u64_u32 v[14:15], s[0:1], v4, s19, v[14:15]
	v_cndmask_b32_e32 v4, 0, v6, vcc
	v_mad_u64_u32 v[6:7], s[0:1], v1, s18, 0
	v_cndmask_b32_e32 v5, 0, v14, vcc
	v_mov_b32_e32 v14, v7
	v_mad_u64_u32 v[14:15], s[0:1], v1, s19, v[14:15]
	v_cmp_gt_i32_e32 vcc, s9, v1
	v_or_b32_e32 v1, 3, v33
	v_lshl_add_u64 v[2:3], v[2:3], 1, s[20:21]
	v_cndmask_b32_e32 v7, 0, v14, vcc
	v_mad_u64_u32 v[14:15], s[0:1], v1, s18, 0
	v_mov_b32_e32 v16, v15
	v_cndmask_b32_e32 v6, 0, v6, vcc
	v_mad_u64_u32 v[16:17], s[0:1], v1, s19, v[16:17]
	v_cmp_gt_i32_e32 vcc, s9, v1
	v_lshl_add_u64 v[2:3], v[2:3], 0, v[8:9]
	v_lshl_add_u64 v[4:5], v[4:5], 1, s[20:21]
	v_cndmask_b32_e32 v14, 0, v14, vcc
	v_cndmask_b32_e32 v15, 0, v16, vcc
	v_lshl_add_u64 v[6:7], v[6:7], 1, s[20:21]
	v_lshl_add_u64 v[14:15], v[14:15], 1, s[20:21]
	;; [unrolled: 1-line block ×4, first 2 shown]
	flat_load_ushort v16, v[2:3]
	flat_load_ushort v17, v[4:5]
	;; [unrolled: 1-line block ×3, first 2 shown]
	v_lshl_add_u64 v[8:9], v[14:15], 0, v[8:9]
	flat_load_ushort v1, v[8:9]
	v_add_u32_e32 v15, 32, v0
	v_cmp_gt_i32_e32 vcc, s8, v15
	s_waitcnt vmcnt(0) lgkmcnt(0)
	v_fma_mix_f32 v14, v13, v16, v35 op_sel_hi:[0,1,0]
	v_fma_mix_f32 v14, v12, v17, v14 op_sel_hi:[0,1,0]
	v_fma_mix_f32 v14, v11, v18, v14 op_sel_hi:[0,1,0]
	s_and_saveexec_b64 s[0:1], vcc
	s_cbranch_execz .LBB513_45
; %bb.40:
	flat_load_ushort v16, v[2:3] offset:64
	flat_load_ushort v17, v[4:5] offset:64
	flat_load_ushort v18, v[6:7] offset:64
	flat_load_ushort v15, v[8:9] offset:64
	v_add_u32_e32 v19, 64, v0
	v_cmp_gt_i32_e32 vcc, s8, v19
	s_waitcnt vmcnt(0) lgkmcnt(0)
	v_fma_mix_f32 v16, v13, v16, v34 op_sel_hi:[0,1,0]
	v_fma_mix_f32 v16, v12, v17, v16 op_sel_hi:[0,1,0]
	v_fma_mix_f32 v16, v11, v18, v16 op_sel_hi:[0,1,0]
	s_and_saveexec_b64 s[4:5], vcc
	s_cbranch_execz .LBB513_44
; %bb.41:
	flat_load_ushort v18, v[2:3] offset:128
	flat_load_ushort v19, v[4:5] offset:128
	flat_load_ushort v20, v[6:7] offset:128
	flat_load_ushort v17, v[8:9] offset:128
	;; [unrolled: 13-line block ×3, first 2 shown]
	s_waitcnt vmcnt(0) lgkmcnt(0)
	v_fma_mix_f32 v2, v13, v18, v31 op_sel_hi:[0,1,0]
	v_fma_mix_f32 v2, v12, v19, v2 op_sel_hi:[0,1,0]
	;; [unrolled: 1-line block ×4, first 2 shown]
.LBB513_43:
	s_or_b64 exec, exec, s[6:7]
	v_fma_mix_f32 v32, v10, v17, v0 op_sel_hi:[0,1,0]
.LBB513_44:
	s_or_b64 exec, exec, s[4:5]
	v_fma_mix_f32 v34, v10, v15, v16 op_sel_hi:[0,1,0]
.LBB513_45:
	s_or_b64 exec, exec, s[0:1]
	v_fma_mix_f32 v35, v10, v1, v14 op_sel_hi:[0,1,0]
.LBB513_46:
	s_or_b64 exec, exec, s[2:3]
.LBB513_47:
	v_lshlrev_b32_e32 v0, 7, v30
	s_movk_i32 s0, 0x80
	v_add_lshl_u32 v0, v0, v29, 2
	v_cmp_gt_u32_e32 vcc, s0, v28
	ds_write2_b32 v0, v35, v34 offset1:32
	ds_write2_b32 v0, v32, v31 offset0:64 offset1:96
	s_waitcnt lgkmcnt(0)
	s_barrier
	s_waitcnt lgkmcnt(0)
                                        ; implicit-def: $vgpr1
                                        ; implicit-def: $vgpr2_vgpr3
	s_and_saveexec_b64 s[0:1], vcc
	s_cbranch_execz .LBB513_53
; %bb.48:
	v_lshlrev_b32_e32 v10, 2, v28
	ds_read2st64_b32 v[0:1], v10 offset1:2
	ds_read2st64_b32 v[2:3], v10 offset0:4 offset1:6
	ds_read2st64_b32 v[4:5], v10 offset0:8 offset1:10
	;; [unrolled: 1-line block ×4, first 2 shown]
	s_waitcnt lgkmcnt(4)
	v_add_f32_e32 v0, v0, v1
	s_waitcnt lgkmcnt(3)
	v_add_f32_e32 v0, v2, v0
	v_add_f32_e32 v0, v3, v0
	s_waitcnt lgkmcnt(2)
	v_add_f32_e32 v0, v4, v0
	v_add_f32_e32 v0, v5, v0
	s_waitcnt lgkmcnt(1)
	v_add_f32_e32 v0, v6, v0
	v_add_f32_e32 v2, v7, v0
	ds_read2st64_b32 v[0:1], v10 offset0:20 offset1:22
	s_waitcnt lgkmcnt(1)
	v_add_f32_e32 v4, v8, v2
	ds_read2st64_b32 v[2:3], v10 offset0:24 offset1:26
	v_add_f32_e32 v6, v9, v4
	ds_read2st64_b32 v[4:5], v10 offset0:28 offset1:30
	s_waitcnt lgkmcnt(2)
	v_add_f32_e32 v0, v0, v6
	v_add_f32_e32 v0, v1, v0
	s_waitcnt lgkmcnt(1)
	v_add_f32_e32 v0, v2, v0
	v_add_f32_e32 v0, v3, v0
	;; [unrolled: 3-line block ×3, first 2 shown]
	v_or_b32_e32 v0, s33, v28
	v_cmp_gt_i32_e32 vcc, s8, v0
	s_mov_b64 s[4:5], s[14:15]
	ds_write_b32 v10, v4
                                        ; implicit-def: $vgpr1
                                        ; implicit-def: $vgpr2_vgpr3
	s_and_saveexec_b64 s[2:3], vcc
	s_cbranch_execz .LBB513_52
; %bb.49:
	v_ashrrev_i32_e32 v2, 31, v0
	v_cmp_eq_f32_e64 s[4:5], s11, 0
	v_mul_f32_e32 v1, s10, v4
	v_mul_lo_u32 v4, v0, s17
	v_mul_lo_u32 v5, v2, s16
	v_mad_u64_u32 v[2:3], s[6:7], v0, s16, 0
	v_add3_u32 v3, v3, v4, v5
	s_and_b64 vcc, exec, s[4:5]
	s_cbranch_vccnz .LBB513_51
; %bb.50:
	v_lshl_add_u64 v[4:5], v[2:3], 2, s[12:13]
	global_load_dword v0, v[4:5], off
	s_waitcnt vmcnt(0)
	v_fmac_f32_e32 v1, s11, v0
.LBB513_51:
	s_or_b64 s[4:5], s[14:15], exec
.LBB513_52:
	s_or_b64 exec, exec, s[2:3]
	s_andn2_b64 s[2:3], s[14:15], exec
	s_and_b64 s[4:5], s[4:5], exec
	s_or_b64 s[14:15], s[2:3], s[4:5]
.LBB513_53:
	s_or_b64 exec, exec, s[0:1]
.LBB513_54:
	s_and_saveexec_b64 s[0:1], s[14:15]
	s_cbranch_execz .LBB513_56
; %bb.55:
	v_lshl_add_u64 v[2:3], v[2:3], 2, s[12:13]
	global_store_dword v[2:3], v1, off
.LBB513_56:
	s_endpgm
	.section	.rodata,"a",@progbits
	.p2align	6, 0x0
	.amdhsa_kernel _ZL20rocblas_gemvn_kernelILi32ELi16ElPKDF16_fKPfEviiT3_lPKT2_lT1_lS7_lS8_lS4_lPT4_lS8_li
		.amdhsa_group_segment_fixed_size 8192
		.amdhsa_private_segment_fixed_size 0
		.amdhsa_kernarg_size 400
		.amdhsa_user_sgpr_count 2
		.amdhsa_user_sgpr_dispatch_ptr 0
		.amdhsa_user_sgpr_queue_ptr 0
		.amdhsa_user_sgpr_kernarg_segment_ptr 1
		.amdhsa_user_sgpr_dispatch_id 0
		.amdhsa_user_sgpr_kernarg_preload_length 0
		.amdhsa_user_sgpr_kernarg_preload_offset 0
		.amdhsa_user_sgpr_private_segment_size 0
		.amdhsa_uses_dynamic_stack 0
		.amdhsa_enable_private_segment 0
		.amdhsa_system_sgpr_workgroup_id_x 1
		.amdhsa_system_sgpr_workgroup_id_y 0
		.amdhsa_system_sgpr_workgroup_id_z 1
		.amdhsa_system_sgpr_workgroup_info 0
		.amdhsa_system_vgpr_workitem_id 1
		.amdhsa_next_free_vgpr 59
		.amdhsa_next_free_sgpr 45
		.amdhsa_accum_offset 60
		.amdhsa_reserve_vcc 1
		.amdhsa_float_round_mode_32 0
		.amdhsa_float_round_mode_16_64 0
		.amdhsa_float_denorm_mode_32 3
		.amdhsa_float_denorm_mode_16_64 3
		.amdhsa_dx10_clamp 1
		.amdhsa_ieee_mode 1
		.amdhsa_fp16_overflow 0
		.amdhsa_tg_split 0
		.amdhsa_exception_fp_ieee_invalid_op 0
		.amdhsa_exception_fp_denorm_src 0
		.amdhsa_exception_fp_ieee_div_zero 0
		.amdhsa_exception_fp_ieee_overflow 0
		.amdhsa_exception_fp_ieee_underflow 0
		.amdhsa_exception_fp_ieee_inexact 0
		.amdhsa_exception_int_div_zero 0
	.end_amdhsa_kernel
	.section	.text._ZL20rocblas_gemvn_kernelILi32ELi16ElPKDF16_fKPfEviiT3_lPKT2_lT1_lS7_lS8_lS4_lPT4_lS8_li,"axG",@progbits,_ZL20rocblas_gemvn_kernelILi32ELi16ElPKDF16_fKPfEviiT3_lPKT2_lT1_lS7_lS8_lS4_lPT4_lS8_li,comdat
.Lfunc_end513:
	.size	_ZL20rocblas_gemvn_kernelILi32ELi16ElPKDF16_fKPfEviiT3_lPKT2_lT1_lS7_lS8_lS4_lPT4_lS8_li, .Lfunc_end513-_ZL20rocblas_gemvn_kernelILi32ELi16ElPKDF16_fKPfEviiT3_lPKT2_lT1_lS7_lS8_lS4_lPT4_lS8_li
                                        ; -- End function
	.section	.AMDGPU.csdata,"",@progbits
; Kernel info:
; codeLenInByte = 2740
; NumSgprs: 51
; NumVgprs: 59
; NumAgprs: 0
; TotalNumVgprs: 59
; ScratchSize: 0
; MemoryBound: 0
; FloatMode: 240
; IeeeMode: 1
; LDSByteSize: 8192 bytes/workgroup (compile time only)
; SGPRBlocks: 6
; VGPRBlocks: 7
; NumSGPRsForWavesPerEU: 51
; NumVGPRsForWavesPerEU: 59
; AccumOffset: 60
; Occupancy: 8
; WaveLimiterHint : 1
; COMPUTE_PGM_RSRC2:SCRATCH_EN: 0
; COMPUTE_PGM_RSRC2:USER_SGPR: 2
; COMPUTE_PGM_RSRC2:TRAP_HANDLER: 0
; COMPUTE_PGM_RSRC2:TGID_X_EN: 1
; COMPUTE_PGM_RSRC2:TGID_Y_EN: 0
; COMPUTE_PGM_RSRC2:TGID_Z_EN: 1
; COMPUTE_PGM_RSRC2:TIDIG_COMP_CNT: 1
; COMPUTE_PGM_RSRC3_GFX90A:ACCUM_OFFSET: 14
; COMPUTE_PGM_RSRC3_GFX90A:TG_SPLIT: 0
	.section	.text._ZL20rocblas_gemvn_kernelILi64ELi16EiPKDF16_PKfKPfEviiT3_lPKT2_lT1_lS9_lSA_lS6_lPT4_lSA_li,"axG",@progbits,_ZL20rocblas_gemvn_kernelILi64ELi16EiPKDF16_PKfKPfEviiT3_lPKT2_lT1_lS9_lSA_lS6_lPT4_lSA_li,comdat
	.globl	_ZL20rocblas_gemvn_kernelILi64ELi16EiPKDF16_PKfKPfEviiT3_lPKT2_lT1_lS9_lSA_lS6_lPT4_lSA_li ; -- Begin function _ZL20rocblas_gemvn_kernelILi64ELi16EiPKDF16_PKfKPfEviiT3_lPKT2_lT1_lS9_lSA_lS6_lPT4_lSA_li
	.p2align	8
	.type	_ZL20rocblas_gemvn_kernelILi64ELi16EiPKDF16_PKfKPfEviiT3_lPKT2_lT1_lS9_lSA_lS6_lPT4_lSA_li,@function
_ZL20rocblas_gemvn_kernelILi64ELi16EiPKDF16_PKfKPfEviiT3_lPKT2_lT1_lS9_lSA_lS6_lPT4_lSA_li: ; @_ZL20rocblas_gemvn_kernelILi64ELi16EiPKDF16_PKfKPfEviiT3_lPKT2_lT1_lS9_lSA_lS6_lPT4_lSA_li
; %bb.0:
	s_load_dwordx2 s[4:5], s[0:1], 0x9c
	s_mov_b32 s22, s3
	s_waitcnt lgkmcnt(0)
	s_and_b32 s3, s5, 0xffff
	s_lshr_b32 s5, s4, 16
	s_and_b32 s4, s4, 0xffff
	s_mul_i32 s4, s5, s4
	s_mul_i32 s4, s4, s3
	s_cmpk_lg_i32 s4, 0x400
	s_cbranch_scc1 .LBB514_54
; %bb.1:
	s_load_dwordx8 s[12:19], s[0:1], 0x8
	s_load_dwordx8 s[4:11], s[0:1], 0x58
	s_waitcnt lgkmcnt(0)
	s_mul_i32 s3, s22, s15
	s_mul_hi_u32 s15, s22, s14
	s_mul_i32 s14, s22, s14
	s_add_i32 s15, s15, s3
	s_lshl_b64 s[14:15], s[14:15], 2
	s_mul_i32 s7, s22, s7
	s_add_u32 s12, s12, s14
	s_mul_hi_u32 s3, s22, s6
	s_addc_u32 s13, s13, s15
	s_add_i32 s7, s3, s7
	s_mul_i32 s6, s22, s6
	s_lshl_b64 s[6:7], s[6:7], 2
	s_add_u32 s4, s4, s6
	s_addc_u32 s5, s5, s7
	s_load_dword s29, s[12:13], 0x0
	s_load_dword s28, s[4:5], 0x0
	s_waitcnt lgkmcnt(0)
	v_cmp_eq_f32_e64 s[4:5], s29, 0
	v_cmp_eq_f32_e64 s[6:7], s28, 1.0
	s_and_b64 s[6:7], s[4:5], s[6:7]
	s_and_b64 vcc, exec, s[6:7]
	s_cbranch_vccnz .LBB514_54
; %bb.2:
	s_mov_b32 s23, 0
	v_cmp_neq_f32_e64 s[6:7], s29, 0
	s_mov_b64 s[20:21], 0
	s_and_b64 vcc, exec, s[4:5]
	s_mov_b64 s[14:15], 0
	s_cbranch_vccnz .LBB514_4
; %bb.3:
	s_lshl_b64 s[12:13], s[22:23], 3
	s_add_u32 s12, s16, s12
	s_addc_u32 s13, s17, s13
	s_load_dwordx2 s[12:13], s[12:13], 0x0
	s_lshl_b64 s[14:15], s[18:19], 1
	s_waitcnt lgkmcnt(0)
	s_add_u32 s14, s12, s14
	s_addc_u32 s15, s13, s15
.LBB514_4:
	s_andn2_b64 vcc, exec, s[6:7]
	s_cbranch_vccnz .LBB514_6
; %bb.5:
	s_load_dwordx4 s[16:19], s[0:1], 0x38
	s_lshl_b64 s[6:7], s[22:23], 3
	s_waitcnt lgkmcnt(0)
	s_add_u32 s6, s16, s6
	s_addc_u32 s7, s17, s7
	s_load_dwordx2 s[6:7], s[6:7], 0x0
	s_lshl_b64 s[12:13], s[18:19], 1
	s_waitcnt lgkmcnt(0)
	s_add_u32 s20, s6, s12
	s_addc_u32 s21, s7, s13
.LBB514_6:
	s_lshl_b64 s[6:7], s[22:23], 3
	s_add_u32 s6, s8, s6
	s_addc_u32 s7, s9, s7
	s_load_dwordx2 s[8:9], s[6:7], 0x0
	s_load_dwordx2 s[12:13], s[0:1], 0x0
	s_load_dword s30, s[0:1], 0x78
	s_lshl_b64 s[6:7], s[10:11], 2
	v_and_b32_e32 v2, 0x3ff, v0
	s_waitcnt lgkmcnt(0)
	s_add_u32 s8, s8, s6
	v_bfe_u32 v14, v0, 10, 10
	s_addc_u32 s9, s9, s7
	s_andn2_b64 vcc, exec, s[4:5]
	v_lshl_add_u32 v3, v14, 6, v2
	s_cbranch_vccnz .LBB514_13
; %bb.7:
	s_movk_i32 s3, 0x100
	v_cmp_gt_u32_e32 vcc, s3, v3
	s_mov_b64 s[4:5], 0
	s_mov_b64 s[10:11], 0
                                        ; implicit-def: $vgpr1
                                        ; implicit-def: $vgpr4_vgpr5
	s_and_saveexec_b64 s[6:7], vcc
	s_cbranch_execz .LBB514_14
; %bb.8:
	v_lshl_or_b32 v0, s2, 8, v3
	v_mov_b32_e32 v1, 0
	s_ashr_i32 s11, s12, 31
	s_mov_b32 s10, s12
	v_cmp_gt_i64_e32 vcc, s[10:11], v[0:1]
	s_mov_b64 s[16:17], 0
                                        ; implicit-def: $vgpr4_vgpr5
	s_and_saveexec_b64 s[10:11], vcc
	s_cbranch_execz .LBB514_12
; %bb.9:
	v_mad_u64_u32 v[4:5], s[18:19], s30, v0, 0
	s_ashr_i32 s3, s30, 31
	v_mov_b32_e32 v6, v5
	v_cmp_eq_f32_e64 s[16:17], s28, 0
	v_mad_u64_u32 v[6:7], s[18:19], s3, v0, v[6:7]
	v_mov_b32_e32 v5, v6
	s_and_b64 vcc, exec, s[16:17]
	s_cbranch_vccnz .LBB514_11
; %bb.10:
	v_lshl_add_u64 v[0:1], v[4:5], 2, s[8:9]
	global_load_dword v0, v[0:1], off
	s_waitcnt vmcnt(0)
	v_mul_f32_e32 v1, s28, v0
.LBB514_11:
	s_mov_b64 s[16:17], exec
.LBB514_12:
	s_or_b64 exec, exec, s[10:11]
	s_and_b64 s[10:11], s[16:17], exec
	s_or_b64 exec, exec, s[6:7]
	s_and_b64 vcc, exec, s[4:5]
	s_cbranch_vccnz .LBB514_15
	s_branch .LBB514_52
.LBB514_13:
	s_mov_b64 s[10:11], 0
                                        ; implicit-def: $vgpr1
                                        ; implicit-def: $vgpr4_vgpr5
	s_cbranch_execnz .LBB514_15
	s_branch .LBB514_52
.LBB514_14:
	s_or_b64 exec, exec, s[6:7]
	s_and_b64 vcc, exec, s[4:5]
	s_cbranch_vccz .LBB514_52
.LBB514_15:
	s_load_dword s33, s[0:1], 0x28
	s_load_dword s34, s[0:1], 0x48
	s_ashr_i32 s0, s13, 31
	s_lshr_b32 s0, s0, 26
	s_add_i32 s35, s13, s0
	s_lshl_b32 s31, s2, 8
	s_andn2_b32 s35, s35, 63
	v_lshlrev_b32_e32 v20, 2, v14
	v_add_u32_e32 v16, s31, v2
	v_cmp_gt_i32_e32 vcc, s35, v20
	v_mov_b32_e32 v19, 0
	v_mov_b32_e32 v18, 0
	;; [unrolled: 1-line block ×4, first 2 shown]
	s_and_saveexec_b64 s[16:17], vcc
	s_cbranch_execz .LBB514_27
; %bb.16:
	v_add_u32_e32 v0, 64, v16
	v_cmp_gt_i32_e64 s[0:1], s12, v0
	v_add_u32_e32 v0, 0x80, v16
	v_cmp_gt_i32_e64 s[2:3], s12, v0
	;; [unrolled: 2-line block ×3, first 2 shown]
	s_waitcnt lgkmcnt(0)
	v_mul_lo_u32 v0, s33, v20
	v_add_u32_e32 v6, 2, v20
	v_add_u32_e32 v7, 3, v20
	v_add3_u32 v21, v0, s33, v2
	v_mad_u64_u32 v[0:1], s[6:7], s33, v6, v[2:3]
	v_mad_u64_u32 v[4:5], s[6:7], s33, v7, v[2:3]
	v_mul_lo_u32 v1, v14, s33
	v_mul_lo_u32 v5, s34, v20
	;; [unrolled: 1-line block ×4, first 2 shown]
	v_cmp_gt_i32_e32 vcc, s12, v16
	s_lshl_b32 s36, s33, 6
	v_lshl_add_u32 v1, v1, 2, v2
	v_add_u32_e32 v5, s34, v5
	s_lshl_b32 s37, s34, 6
	v_mul_lo_u32 v23, s34, v7
	v_lshlrev_b32_e32 v24, 2, v6
	s_mov_b32 s38, 0
	s_mov_b64 s[18:19], 0
	v_mov_b32_e32 v19, 0
	v_mov_b32_e32 v18, 0
	;; [unrolled: 1-line block ×4, first 2 shown]
	s_branch .LBB514_21
.LBB514_17:                             ;   in Loop: Header=BB514_21 Depth=1
	s_or_b64 exec, exec, s[26:27]
	s_waitcnt vmcnt(0) lgkmcnt(0)
	v_fma_mix_f32 v6, v37, v41, v17 op_sel_hi:[0,1,0]
	v_fma_mix_f32 v6, v38, v42, v6 op_sel_hi:[0,1,0]
	;; [unrolled: 1-line block ×4, first 2 shown]
.LBB514_18:                             ;   in Loop: Header=BB514_21 Depth=1
	s_or_b64 exec, exec, s[24:25]
	v_fma_mix_f32 v6, v37, v33, v18 op_sel_hi:[0,1,0]
	v_fma_mix_f32 v6, v38, v34, v6 op_sel_hi:[0,1,0]
	v_fma_mix_f32 v6, v39, v35, v6 op_sel_hi:[0,1,0]
	v_fma_mix_f32 v18, v40, v36, v6 op_sel_hi:[0,1,0]
.LBB514_19:                             ;   in Loop: Header=BB514_21 Depth=1
	s_or_b64 exec, exec, s[22:23]
	s_waitcnt vmcnt(0) lgkmcnt(0)
	v_fma_mix_f32 v6, v25, v29, v19 op_sel_hi:[1,1,0]
	s_nop 0
	v_fma_mix_f32 v6, v26, v30, v6 op_sel_hi:[1,1,0]
	s_nop 0
	;; [unrolled: 2-line block ×3, first 2 shown]
	v_fma_mix_f32 v19, v28, v32, v6 op_sel_hi:[1,1,0]
.LBB514_20:                             ;   in Loop: Header=BB514_21 Depth=1
	s_or_b64 exec, exec, s[6:7]
	v_add_u32_e32 v20, 64, v20
	s_add_i32 s38, s38, s37
	v_cmp_le_i32_e64 s[6:7], s35, v20
	v_add_u32_e32 v21, s36, v21
	v_add_u32_e32 v0, s36, v0
	;; [unrolled: 1-line block ×3, first 2 shown]
	s_or_b64 s[18:19], s[6:7], s[18:19]
	v_add_u32_e32 v1, s36, v1
	s_andn2_b64 exec, exec, s[18:19]
	s_cbranch_execz .LBB514_26
.LBB514_21:                             ; =>This Inner Loop Header: Depth=1
	s_and_saveexec_b64 s[6:7], vcc
	s_cbranch_execz .LBB514_20
; %bb.22:                               ;   in Loop: Header=BB514_21 Depth=1
	v_add_u32_e32 v6, s38, v24
	v_ashrrev_i32_e32 v7, 31, v6
	v_add_u32_e32 v8, s38, v5
	v_add_u32_e32 v10, s38, v22
	;; [unrolled: 1-line block ×3, first 2 shown]
	v_lshl_add_u64 v[6:7], v[6:7], 1, s[20:21]
	v_ashrrev_i32_e32 v9, 31, v8
	v_ashrrev_i32_e32 v11, 31, v10
	;; [unrolled: 1-line block ×3, first 2 shown]
	v_lshl_add_u64 v[8:9], v[8:9], 1, s[20:21]
	v_lshl_add_u64 v[10:11], v[10:11], 1, s[20:21]
	;; [unrolled: 1-line block ×3, first 2 shown]
	flat_load_ushort v25, v[6:7]
	flat_load_ushort v26, v[8:9]
	;; [unrolled: 1-line block ×4, first 2 shown]
	v_add_u32_e32 v6, s31, v1
	v_ashrrev_i32_e32 v7, 31, v6
	v_add_u32_e32 v8, s31, v21
	v_add_u32_e32 v10, s31, v0
	;; [unrolled: 1-line block ×3, first 2 shown]
	v_lshl_add_u64 v[6:7], v[6:7], 1, s[14:15]
	v_ashrrev_i32_e32 v9, 31, v8
	v_ashrrev_i32_e32 v11, 31, v10
	;; [unrolled: 1-line block ×3, first 2 shown]
	v_lshl_add_u64 v[8:9], v[8:9], 1, s[14:15]
	v_lshl_add_u64 v[10:11], v[10:11], 1, s[14:15]
	;; [unrolled: 1-line block ×3, first 2 shown]
	flat_load_ushort v29, v[6:7]
	flat_load_ushort v30, v[8:9]
	;; [unrolled: 1-line block ×4, first 2 shown]
	s_and_saveexec_b64 s[22:23], s[0:1]
	s_cbranch_execz .LBB514_19
; %bb.23:                               ;   in Loop: Header=BB514_21 Depth=1
	flat_load_ushort v33, v[6:7] offset:128
	flat_load_ushort v34, v[8:9] offset:128
	flat_load_ushort v35, v[10:11] offset:128
	flat_load_ushort v36, v[12:13] offset:128
	s_waitcnt vmcnt(0) lgkmcnt(0)
	v_cvt_f32_f16_e32 v37, v25
	v_cvt_f32_f16_e32 v38, v26
	;; [unrolled: 1-line block ×4, first 2 shown]
	s_and_saveexec_b64 s[24:25], s[2:3]
	s_cbranch_execz .LBB514_18
; %bb.24:                               ;   in Loop: Header=BB514_21 Depth=1
	flat_load_ushort v41, v[6:7] offset:256
	flat_load_ushort v42, v[8:9] offset:256
	;; [unrolled: 1-line block ×4, first 2 shown]
	s_and_saveexec_b64 s[26:27], s[4:5]
	s_cbranch_execz .LBB514_17
; %bb.25:                               ;   in Loop: Header=BB514_21 Depth=1
	flat_load_ushort v45, v[6:7] offset:384
	flat_load_ushort v46, v[8:9] offset:384
	;; [unrolled: 1-line block ×4, first 2 shown]
	s_waitcnt vmcnt(0) lgkmcnt(0)
	v_fma_mix_f32 v6, v37, v45, v15 op_sel_hi:[0,1,0]
	v_fma_mix_f32 v6, v38, v46, v6 op_sel_hi:[0,1,0]
	;; [unrolled: 1-line block ×4, first 2 shown]
	s_branch .LBB514_17
.LBB514_26:
	s_or_b64 exec, exec, s[18:19]
.LBB514_27:
	s_or_b64 exec, exec, s[16:17]
	s_sub_i32 s0, s13, s35
	s_cmp_lt_i32 s0, 1
	s_cbranch_scc1 .LBB514_45
; %bb.28:
	v_cmp_gt_i32_e32 vcc, s13, v20
	v_mov_b32_e32 v10, 0
	v_or_b32_e32 v4, 1, v20
	v_mov_b32_e32 v11, 0
	v_mov_b32_e32 v12, 0
	;; [unrolled: 1-line block ×3, first 2 shown]
	s_and_saveexec_b64 s[2:3], vcc
	s_cbranch_execz .LBB514_36
; %bb.29:
	s_waitcnt lgkmcnt(0)
	v_mul_lo_u32 v0, v20, s34
	v_ashrrev_i32_e32 v1, 31, v0
	v_lshl_add_u64 v[0:1], v[0:1], 1, s[20:21]
	flat_load_ushort v0, v[0:1]
	v_cmp_gt_i32_e64 s[0:1], s13, v4
	v_mov_b32_e32 v12, 0
	v_mov_b32_e32 v11, 0
	;; [unrolled: 1-line block ×3, first 2 shown]
	s_and_saveexec_b64 s[4:5], s[0:1]
	s_cbranch_execz .LBB514_35
; %bb.30:
	v_mul_lo_u32 v6, v4, s34
	v_ashrrev_i32_e32 v7, 31, v6
	v_lshl_add_u64 v[6:7], v[6:7], 1, s[20:21]
	flat_load_ushort v1, v[6:7]
	v_or_b32_e32 v5, 2, v20
	v_cmp_gt_i32_e64 s[0:1], s13, v5
	v_mov_b32_e32 v11, 0
	v_mov_b32_e32 v10, 0
	s_and_saveexec_b64 s[6:7], s[0:1]
	s_cbranch_execz .LBB514_34
; %bb.31:
	v_mul_lo_u32 v6, v5, s34
	v_ashrrev_i32_e32 v7, 31, v6
	v_lshl_add_u64 v[6:7], v[6:7], 1, s[20:21]
	flat_load_ushort v5, v[6:7]
	v_or_b32_e32 v6, 3, v20
	v_cmp_gt_i32_e64 s[0:1], s13, v6
	v_mov_b32_e32 v10, 0
	s_and_saveexec_b64 s[16:17], s[0:1]
	s_cbranch_execz .LBB514_33
; %bb.32:
	v_mul_lo_u32 v6, v6, s34
	v_ashrrev_i32_e32 v7, 31, v6
	v_lshl_add_u64 v[6:7], v[6:7], 1, s[20:21]
	flat_load_ushort v6, v[6:7]
	s_waitcnt vmcnt(0) lgkmcnt(0)
	v_cvt_f32_f16_e32 v10, v6
.LBB514_33:
	s_or_b64 exec, exec, s[16:17]
	s_waitcnt vmcnt(0) lgkmcnt(0)
	v_cvt_f32_f16_e32 v11, v5
.LBB514_34:
	s_or_b64 exec, exec, s[6:7]
	s_waitcnt vmcnt(0) lgkmcnt(0)
	v_cvt_f32_f16_e32 v12, v1
.LBB514_35:
	s_or_b64 exec, exec, s[4:5]
	s_waitcnt vmcnt(0) lgkmcnt(0)
	v_cvt_f32_f16_e32 v13, v0
.LBB514_36:
	s_or_b64 exec, exec, s[2:3]
	v_cmp_gt_i32_e64 s[0:1], s12, v16
	s_and_saveexec_b64 s[2:3], s[0:1]
	s_cbranch_execz .LBB514_44
; %bb.37:
	s_waitcnt lgkmcnt(0)
	v_mul_lo_u32 v0, v20, s33
	v_cndmask_b32_e32 v0, 0, v0, vcc
	v_mul_lo_u32 v5, v4, s33
	v_cmp_gt_i32_e32 vcc, s13, v4
	v_or_b32_e32 v6, 2, v20
	v_mul_lo_u32 v7, v6, s33
	v_cndmask_b32_e32 v4, 0, v5, vcc
	v_cmp_gt_i32_e32 vcc, s13, v6
	v_or_b32_e32 v8, 3, v20
	v_mul_lo_u32 v9, v8, s33
	v_cndmask_b32_e32 v6, 0, v7, vcc
	v_cmp_gt_i32_e32 vcc, s13, v8
	v_add_u32_e32 v0, v0, v16
	v_ashrrev_i32_e32 v1, 31, v0
	v_cndmask_b32_e32 v8, 0, v9, vcc
	v_add_u32_e32 v4, v4, v16
	v_add_u32_e32 v6, v6, v16
	;; [unrolled: 1-line block ×3, first 2 shown]
	v_lshl_add_u64 v[0:1], v[0:1], 1, s[14:15]
	v_ashrrev_i32_e32 v5, 31, v4
	v_ashrrev_i32_e32 v7, 31, v6
	v_ashrrev_i32_e32 v9, 31, v8
	v_lshl_add_u64 v[4:5], v[4:5], 1, s[14:15]
	v_lshl_add_u64 v[6:7], v[6:7], 1, s[14:15]
	flat_load_ushort v21, v[0:1]
	flat_load_ushort v22, v[4:5]
	;; [unrolled: 1-line block ×3, first 2 shown]
	v_lshl_add_u64 v[8:9], v[8:9], 1, s[14:15]
	flat_load_ushort v20, v[8:9]
	v_add_u32_e32 v24, 64, v16
	v_cmp_gt_i32_e32 vcc, s12, v24
	s_waitcnt vmcnt(0) lgkmcnt(0)
	v_fma_mix_f32 v19, v13, v21, v19 op_sel_hi:[0,1,0]
	v_fma_mix_f32 v19, v12, v22, v19 op_sel_hi:[0,1,0]
	v_fma_mix_f32 v19, v11, v23, v19 op_sel_hi:[0,1,0]
	s_and_saveexec_b64 s[0:1], vcc
	s_cbranch_execz .LBB514_43
; %bb.38:
	flat_load_ushort v22, v[0:1] offset:128
	flat_load_ushort v23, v[4:5] offset:128
	flat_load_ushort v24, v[6:7] offset:128
	flat_load_ushort v21, v[8:9] offset:128
	v_add_u32_e32 v25, 0x80, v16
	v_cmp_gt_i32_e32 vcc, s12, v25
	s_waitcnt vmcnt(0) lgkmcnt(0)
	v_fma_mix_f32 v18, v13, v22, v18 op_sel_hi:[0,1,0]
	v_fma_mix_f32 v18, v12, v23, v18 op_sel_hi:[0,1,0]
	v_fma_mix_f32 v18, v11, v24, v18 op_sel_hi:[0,1,0]
	s_and_saveexec_b64 s[4:5], vcc
	s_cbranch_execz .LBB514_42
; %bb.39:
	flat_load_ushort v23, v[0:1] offset:256
	flat_load_ushort v24, v[4:5] offset:256
	flat_load_ushort v25, v[6:7] offset:256
	flat_load_ushort v22, v[8:9] offset:256
	;; [unrolled: 13-line block ×3, first 2 shown]
	s_waitcnt vmcnt(0) lgkmcnt(0)
	v_fma_mix_f32 v0, v13, v17, v15 op_sel_hi:[0,1,0]
	v_fma_mix_f32 v0, v12, v23, v0 op_sel_hi:[0,1,0]
	;; [unrolled: 1-line block ×4, first 2 shown]
.LBB514_41:
	s_or_b64 exec, exec, s[6:7]
	v_fma_mix_f32 v17, v10, v22, v16 op_sel_hi:[0,1,0]
.LBB514_42:
	s_or_b64 exec, exec, s[4:5]
	v_fma_mix_f32 v18, v10, v21, v18 op_sel_hi:[0,1,0]
.LBB514_43:
	s_or_b64 exec, exec, s[0:1]
	v_fma_mix_f32 v19, v10, v20, v19 op_sel_hi:[0,1,0]
.LBB514_44:
	s_or_b64 exec, exec, s[2:3]
.LBB514_45:
	v_lshlrev_b32_e32 v0, 8, v14
	s_movk_i32 s0, 0x100
	v_add_lshl_u32 v0, v0, v2, 2
	v_cmp_gt_u32_e32 vcc, s0, v3
	ds_write2st64_b32 v0, v19, v18 offset1:1
	ds_write2st64_b32 v0, v17, v15 offset0:2 offset1:3
	s_waitcnt lgkmcnt(0)
	s_barrier
	s_waitcnt lgkmcnt(0)
                                        ; implicit-def: $vgpr1
                                        ; implicit-def: $vgpr4_vgpr5
	s_and_saveexec_b64 s[0:1], vcc
	s_cbranch_execz .LBB514_51
; %bb.46:
	v_lshlrev_b32_e32 v2, 2, v3
	ds_read2st64_b32 v[0:1], v2 offset1:4
	ds_read2st64_b32 v[4:5], v2 offset0:8 offset1:12
	ds_read2st64_b32 v[6:7], v2 offset0:16 offset1:20
	;; [unrolled: 1-line block ×4, first 2 shown]
	s_waitcnt lgkmcnt(4)
	v_add_f32_e32 v0, v0, v1
	s_waitcnt lgkmcnt(3)
	v_add_f32_e32 v0, v4, v0
	v_add_f32_e32 v0, v5, v0
	s_waitcnt lgkmcnt(2)
	v_add_f32_e32 v0, v6, v0
	;; [unrolled: 3-line block ×3, first 2 shown]
	v_add_f32_e32 v4, v9, v0
	ds_read2st64_b32 v[0:1], v2 offset0:40 offset1:44
	s_waitcnt lgkmcnt(1)
	v_add_f32_e32 v6, v10, v4
	ds_read2st64_b32 v[4:5], v2 offset0:48 offset1:52
	v_add_f32_e32 v8, v11, v6
	ds_read2st64_b32 v[6:7], v2 offset0:56 offset1:60
	s_waitcnt lgkmcnt(2)
	v_add_f32_e32 v0, v0, v8
	v_add_f32_e32 v0, v1, v0
	s_waitcnt lgkmcnt(1)
	v_add_f32_e32 v0, v4, v0
	v_add_f32_e32 v0, v5, v0
	;; [unrolled: 3-line block ×3, first 2 shown]
	ds_write_b32 v2, v0
	v_or_b32_e32 v2, s31, v3
	v_cmp_gt_i32_e32 vcc, s12, v2
	s_mov_b64 s[4:5], s[10:11]
                                        ; implicit-def: $vgpr1
                                        ; implicit-def: $vgpr4_vgpr5
	s_and_saveexec_b64 s[2:3], vcc
	s_cbranch_execz .LBB514_50
; %bb.47:
	v_cmp_eq_f32_e64 s[4:5], s28, 0
	v_mul_lo_u32 v4, v2, s30
	v_mul_f32_e32 v1, s29, v0
	v_ashrrev_i32_e32 v5, 31, v4
	s_and_b64 vcc, exec, s[4:5]
	s_cbranch_vccnz .LBB514_49
; %bb.48:
	v_lshl_add_u64 v[2:3], v[4:5], 2, s[8:9]
	global_load_dword v0, v[2:3], off
	s_waitcnt vmcnt(0)
	v_fmac_f32_e32 v1, s28, v0
.LBB514_49:
	s_or_b64 s[4:5], s[10:11], exec
.LBB514_50:
	s_or_b64 exec, exec, s[2:3]
	s_andn2_b64 s[2:3], s[10:11], exec
	s_and_b64 s[4:5], s[4:5], exec
	s_or_b64 s[10:11], s[2:3], s[4:5]
.LBB514_51:
	s_or_b64 exec, exec, s[0:1]
.LBB514_52:
	s_and_saveexec_b64 s[0:1], s[10:11]
	s_cbranch_execz .LBB514_54
; %bb.53:
	v_lshl_add_u64 v[2:3], v[4:5], 2, s[8:9]
	global_store_dword v[2:3], v1, off
.LBB514_54:
	s_endpgm
	.section	.rodata,"a",@progbits
	.p2align	6, 0x0
	.amdhsa_kernel _ZL20rocblas_gemvn_kernelILi64ELi16EiPKDF16_PKfKPfEviiT3_lPKT2_lT1_lS9_lSA_lS6_lPT4_lSA_li
		.amdhsa_group_segment_fixed_size 16384
		.amdhsa_private_segment_fixed_size 0
		.amdhsa_kernarg_size 400
		.amdhsa_user_sgpr_count 2
		.amdhsa_user_sgpr_dispatch_ptr 0
		.amdhsa_user_sgpr_queue_ptr 0
		.amdhsa_user_sgpr_kernarg_segment_ptr 1
		.amdhsa_user_sgpr_dispatch_id 0
		.amdhsa_user_sgpr_kernarg_preload_length 0
		.amdhsa_user_sgpr_kernarg_preload_offset 0
		.amdhsa_user_sgpr_private_segment_size 0
		.amdhsa_uses_dynamic_stack 0
		.amdhsa_enable_private_segment 0
		.amdhsa_system_sgpr_workgroup_id_x 1
		.amdhsa_system_sgpr_workgroup_id_y 0
		.amdhsa_system_sgpr_workgroup_id_z 1
		.amdhsa_system_sgpr_workgroup_info 0
		.amdhsa_system_vgpr_workitem_id 1
		.amdhsa_next_free_vgpr 49
		.amdhsa_next_free_sgpr 39
		.amdhsa_accum_offset 52
		.amdhsa_reserve_vcc 1
		.amdhsa_float_round_mode_32 0
		.amdhsa_float_round_mode_16_64 0
		.amdhsa_float_denorm_mode_32 3
		.amdhsa_float_denorm_mode_16_64 3
		.amdhsa_dx10_clamp 1
		.amdhsa_ieee_mode 1
		.amdhsa_fp16_overflow 0
		.amdhsa_tg_split 0
		.amdhsa_exception_fp_ieee_invalid_op 0
		.amdhsa_exception_fp_denorm_src 0
		.amdhsa_exception_fp_ieee_div_zero 0
		.amdhsa_exception_fp_ieee_overflow 0
		.amdhsa_exception_fp_ieee_underflow 0
		.amdhsa_exception_fp_ieee_inexact 0
		.amdhsa_exception_int_div_zero 0
	.end_amdhsa_kernel
	.section	.text._ZL20rocblas_gemvn_kernelILi64ELi16EiPKDF16_PKfKPfEviiT3_lPKT2_lT1_lS9_lSA_lS6_lPT4_lSA_li,"axG",@progbits,_ZL20rocblas_gemvn_kernelILi64ELi16EiPKDF16_PKfKPfEviiT3_lPKT2_lT1_lS9_lSA_lS6_lPT4_lSA_li,comdat
.Lfunc_end514:
	.size	_ZL20rocblas_gemvn_kernelILi64ELi16EiPKDF16_PKfKPfEviiT3_lPKT2_lT1_lS9_lSA_lS6_lPT4_lSA_li, .Lfunc_end514-_ZL20rocblas_gemvn_kernelILi64ELi16EiPKDF16_PKfKPfEviiT3_lPKT2_lT1_lS9_lSA_lS6_lPT4_lSA_li
                                        ; -- End function
	.section	.AMDGPU.csdata,"",@progbits
; Kernel info:
; codeLenInByte = 2516
; NumSgprs: 45
; NumVgprs: 49
; NumAgprs: 0
; TotalNumVgprs: 49
; ScratchSize: 0
; MemoryBound: 0
; FloatMode: 240
; IeeeMode: 1
; LDSByteSize: 16384 bytes/workgroup (compile time only)
; SGPRBlocks: 5
; VGPRBlocks: 6
; NumSGPRsForWavesPerEU: 45
; NumVGPRsForWavesPerEU: 49
; AccumOffset: 52
; Occupancy: 8
; WaveLimiterHint : 1
; COMPUTE_PGM_RSRC2:SCRATCH_EN: 0
; COMPUTE_PGM_RSRC2:USER_SGPR: 2
; COMPUTE_PGM_RSRC2:TRAP_HANDLER: 0
; COMPUTE_PGM_RSRC2:TGID_X_EN: 1
; COMPUTE_PGM_RSRC2:TGID_Y_EN: 0
; COMPUTE_PGM_RSRC2:TGID_Z_EN: 1
; COMPUTE_PGM_RSRC2:TIDIG_COMP_CNT: 1
; COMPUTE_PGM_RSRC3_GFX90A:ACCUM_OFFSET: 12
; COMPUTE_PGM_RSRC3_GFX90A:TG_SPLIT: 0
	.section	.text._ZL20rocblas_gemvn_kernelILi64ELi16ElPKDF16_PKfKPfEviiT3_lPKT2_lT1_lS9_lSA_lS6_lPT4_lSA_li,"axG",@progbits,_ZL20rocblas_gemvn_kernelILi64ELi16ElPKDF16_PKfKPfEviiT3_lPKT2_lT1_lS9_lSA_lS6_lPT4_lSA_li,comdat
	.globl	_ZL20rocblas_gemvn_kernelILi64ELi16ElPKDF16_PKfKPfEviiT3_lPKT2_lT1_lS9_lSA_lS6_lPT4_lSA_li ; -- Begin function _ZL20rocblas_gemvn_kernelILi64ELi16ElPKDF16_PKfKPfEviiT3_lPKT2_lT1_lS9_lSA_lS6_lPT4_lSA_li
	.p2align	8
	.type	_ZL20rocblas_gemvn_kernelILi64ELi16ElPKDF16_PKfKPfEviiT3_lPKT2_lT1_lS9_lSA_lS6_lPT4_lSA_li,@function
_ZL20rocblas_gemvn_kernelILi64ELi16ElPKDF16_PKfKPfEviiT3_lPKT2_lT1_lS9_lSA_lS6_lPT4_lSA_li: ; @_ZL20rocblas_gemvn_kernelILi64ELi16ElPKDF16_PKfKPfEviiT3_lPKT2_lT1_lS9_lSA_lS6_lPT4_lSA_li
; %bb.0:
	s_load_dwordx2 s[4:5], s[0:1], 0x9c
	s_mov_b32 s26, s3
	s_waitcnt lgkmcnt(0)
	s_and_b32 s3, s5, 0xffff
	s_lshr_b32 s5, s4, 16
	s_and_b32 s4, s4, 0xffff
	s_mul_i32 s4, s5, s4
	s_mul_i32 s4, s4, s3
	s_cmpk_lg_i32 s4, 0x400
	s_cbranch_scc1 .LBB515_54
; %bb.1:
	s_load_dwordx8 s[12:19], s[0:1], 0x8
	s_load_dwordx8 s[4:11], s[0:1], 0x58
	s_waitcnt lgkmcnt(0)
	s_mul_i32 s3, s26, s15
	s_mul_hi_u32 s15, s26, s14
	s_mul_i32 s14, s26, s14
	s_add_i32 s15, s15, s3
	s_lshl_b64 s[14:15], s[14:15], 2
	s_mul_i32 s7, s26, s7
	s_add_u32 s12, s12, s14
	s_mul_hi_u32 s3, s26, s6
	s_addc_u32 s13, s13, s15
	s_add_i32 s7, s3, s7
	s_mul_i32 s6, s26, s6
	s_lshl_b64 s[6:7], s[6:7], 2
	s_add_u32 s4, s4, s6
	s_addc_u32 s5, s5, s7
	s_load_dword s42, s[12:13], 0x0
	s_load_dword s33, s[4:5], 0x0
	s_waitcnt lgkmcnt(0)
	v_cmp_eq_f32_e64 s[28:29], s42, 0
	v_cmp_eq_f32_e64 s[4:5], s33, 1.0
	s_and_b64 s[4:5], s[28:29], s[4:5]
	s_and_b64 vcc, exec, s[4:5]
	s_cbranch_vccnz .LBB515_54
; %bb.2:
	s_load_dwordx2 s[20:21], s[0:1], 0x28
	s_load_dwordx2 s[12:13], s[0:1], 0x78
	s_mov_b32 s27, 0
	v_cmp_neq_f32_e64 s[14:15], s42, 0
	s_mov_b64 s[24:25], 0
	s_and_b64 vcc, exec, s[28:29]
	s_mov_b64 s[22:23], 0
	s_cbranch_vccnz .LBB515_4
; %bb.3:
	s_lshl_b64 s[4:5], s[26:27], 3
	s_add_u32 s4, s16, s4
	s_addc_u32 s5, s17, s5
	s_load_dwordx2 s[4:5], s[4:5], 0x0
	s_lshl_b64 s[6:7], s[18:19], 1
	s_waitcnt lgkmcnt(0)
	s_add_u32 s22, s4, s6
	s_addc_u32 s23, s5, s7
.LBB515_4:
	s_load_dwordx4 s[4:7], s[0:1], 0x38
	s_load_dwordx2 s[16:17], s[0:1], 0x48
	s_andn2_b64 vcc, exec, s[14:15]
	s_cbranch_vccnz .LBB515_6
; %bb.5:
	s_lshl_b64 s[14:15], s[26:27], 3
	s_waitcnt lgkmcnt(0)
	s_add_u32 s4, s4, s14
	s_addc_u32 s5, s5, s15
	s_load_dwordx2 s[4:5], s[4:5], 0x0
	s_lshl_b64 s[6:7], s[6:7], 1
	s_waitcnt lgkmcnt(0)
	s_add_u32 s24, s4, s6
	s_addc_u32 s25, s5, s7
.LBB515_6:
	s_waitcnt lgkmcnt(0)
	s_lshl_b64 s[4:5], s[26:27], 3
	s_add_u32 s4, s8, s4
	s_addc_u32 s5, s9, s5
	s_load_dwordx2 s[6:7], s[4:5], 0x0
	s_load_dwordx2 s[14:15], s[0:1], 0x0
	s_lshl_b64 s[0:1], s[10:11], 2
	v_and_b32_e32 v29, 0x3ff, v0
	v_bfe_u32 v30, v0, 10, 10
	s_waitcnt lgkmcnt(0)
	s_add_u32 s8, s6, s0
	s_addc_u32 s9, s7, s1
	s_andn2_b64 vcc, exec, s[28:29]
	v_lshl_add_u32 v28, v30, 6, v29
	s_cbranch_vccnz .LBB515_13
; %bb.7:
	s_movk_i32 s0, 0x100
	v_cmp_gt_u32_e32 vcc, s0, v28
	s_mov_b64 s[0:1], 0
	s_mov_b64 s[10:11], 0
                                        ; implicit-def: $vgpr1
                                        ; implicit-def: $vgpr2_vgpr3
	s_and_saveexec_b64 s[4:5], vcc
	s_cbranch_execz .LBB515_14
; %bb.8:
	v_lshl_or_b32 v0, s2, 8, v28
	v_mov_b32_e32 v1, 0
	s_ashr_i32 s7, s14, 31
	s_mov_b32 s6, s14
	v_cmp_gt_i64_e32 vcc, s[6:7], v[0:1]
                                        ; implicit-def: $vgpr2_vgpr3
	s_and_saveexec_b64 s[6:7], vcc
	s_cbranch_execz .LBB515_12
; %bb.9:
	v_mad_u64_u32 v[2:3], s[18:19], v0, s12, 0
	v_mov_b32_e32 v4, v3
	v_cmp_eq_f32_e64 s[10:11], s33, 0
	v_mad_u64_u32 v[4:5], s[18:19], v0, s13, v[4:5]
	v_mov_b32_e32 v3, v4
	s_and_b64 vcc, exec, s[10:11]
	s_cbranch_vccnz .LBB515_11
; %bb.10:
	v_lshl_add_u64 v[0:1], v[2:3], 2, s[8:9]
	global_load_dword v0, v[0:1], off
	s_waitcnt vmcnt(0)
	v_mul_f32_e32 v1, s33, v0
.LBB515_11:
	s_mov_b64 s[10:11], exec
.LBB515_12:
	s_or_b64 exec, exec, s[6:7]
	s_and_b64 s[10:11], s[10:11], exec
	s_or_b64 exec, exec, s[4:5]
	s_and_b64 vcc, exec, s[0:1]
	s_cbranch_vccnz .LBB515_15
	s_branch .LBB515_52
.LBB515_13:
	s_mov_b64 s[10:11], 0
                                        ; implicit-def: $vgpr1
                                        ; implicit-def: $vgpr2_vgpr3
	s_cbranch_execnz .LBB515_15
	s_branch .LBB515_52
.LBB515_14:
	s_or_b64 exec, exec, s[4:5]
	s_and_b64 vcc, exec, s[0:1]
	s_cbranch_vccz .LBB515_52
.LBB515_15:
	s_ashr_i32 s0, s15, 31
	s_lshr_b32 s0, s0, 26
	s_add_i32 s44, s15, s0
	s_lshl_b32 s43, s2, 8
	s_andn2_b32 s44, s44, 63
	v_lshlrev_b32_e32 v33, 2, v30
	v_add_u32_e32 v0, s43, v29
	v_cmp_gt_i32_e32 vcc, s44, v33
	v_mov_b32_e32 v35, 0
	v_mov_b32_e32 v34, 0
	v_mov_b32_e32 v32, 0
	v_mov_b32_e32 v31, 0
	s_and_saveexec_b64 s[18:19], vcc
	s_cbranch_execz .LBB515_27
; %bb.16:
	v_add_u32_e32 v2, 64, v0
	v_cmp_gt_i32_e64 s[0:1], s14, v2
	v_add_u32_e32 v2, 0x80, v0
	v_ashrrev_i32_e32 v1, 31, v0
	v_cmp_gt_i32_e64 s[2:3], s14, v2
	v_add_u32_e32 v2, 0xc0, v0
	v_cmp_gt_i32_e64 s[4:5], s14, v2
	v_lshlrev_b64 v[2:3], 1, v[0:1]
	v_lshlrev_b32_e32 v1, 2, v30
	v_or_b32_e32 v15, 3, v1
	v_mad_u64_u32 v[4:5], s[6:7], s20, v15, 0
	v_mov_b32_e32 v6, v5
	v_mad_u64_u32 v[6:7], s[6:7], s21, v15, v[6:7]
	v_mov_b32_e32 v5, v6
	;; [unrolled: 2-line block ×6, first 2 shown]
	v_mov_b64_e32 v[10:11], s[16:17]
	v_mad_u64_u32 v[10:11], s[6:7], s16, v1, v[10:11]
	v_mov_b32_e32 v12, v11
	v_mad_u64_u32 v[12:13], s[6:7], s17, v1, v[12:13]
	v_mov_b32_e32 v11, v12
	;; [unrolled: 2-line block ×3, first 2 shown]
	v_mad_u64_u32 v[14:15], s[6:7], s17, v15, v[14:15]
	v_or_b32_e32 v21, 2, v1
	v_mov_b32_e32 v13, v14
	v_mad_u64_u32 v[14:15], s[6:7], s20, v21, 0
	v_mov_b32_e32 v16, v15
	v_mad_u64_u32 v[16:17], s[6:7], s21, v21, v[16:17]
	v_mov_b32_e32 v15, v16
	v_mov_b64_e32 v[16:17], s[20:21]
	v_mad_u64_u32 v[16:17], s[6:7], s20, v1, v[16:17]
	v_mov_b32_e32 v18, v17
	v_mad_u64_u32 v[18:19], s[6:7], s21, v1, v[18:19]
	v_mov_b32_e32 v17, v18
	;; [unrolled: 2-line block ×4, first 2 shown]
	v_cmp_gt_i32_e32 vcc, s14, v0
	v_lshl_add_u64 v[4:5], v[4:5], 1, s[22:23]
	s_lshl_b64 s[26:27], s[20:21], 7
	v_lshlrev_b64 v[6:7], 3, v[6:7]
	s_lshl_b64 s[28:29], s[16:17], 7
	v_lshl_add_u64 v[8:9], v[8:9], 3, s[22:23]
	v_lshlrev_b64 v[10:11], 1, v[10:11]
	v_lshlrev_b64 v[12:13], 1, v[12:13]
	v_lshl_add_u64 v[14:15], v[14:15], 1, s[22:23]
	v_lshl_add_u64 v[16:17], v[16:17], 1, s[22:23]
	v_lshlrev_b64 v[18:19], 1, v[18:19]
	s_mov_b64 s[30:31], 0
	v_mov_b32_e32 v35, 0
	s_mov_b64 s[34:35], s[24:25]
	v_mov_b32_e32 v34, 0
	v_mov_b32_e32 v32, 0
	;; [unrolled: 1-line block ×3, first 2 shown]
	s_branch .LBB515_21
.LBB515_17:                             ;   in Loop: Header=BB515_21 Depth=1
	s_or_b64 exec, exec, s[40:41]
	s_waitcnt vmcnt(0) lgkmcnt(0)
	v_fma_mix_f32 v20, v47, v51, v32 op_sel_hi:[0,1,0]
	v_fma_mix_f32 v20, v48, v52, v20 op_sel_hi:[0,1,0]
	v_fma_mix_f32 v20, v49, v53, v20 op_sel_hi:[0,1,0]
	v_fma_mix_f32 v32, v50, v54, v20 op_sel_hi:[0,1,0]
.LBB515_18:                             ;   in Loop: Header=BB515_21 Depth=1
	s_or_b64 exec, exec, s[38:39]
	v_fma_mix_f32 v20, v47, v43, v34 op_sel_hi:[0,1,0]
	v_fma_mix_f32 v20, v48, v44, v20 op_sel_hi:[0,1,0]
	;; [unrolled: 1-line block ×4, first 2 shown]
.LBB515_19:                             ;   in Loop: Header=BB515_21 Depth=1
	s_or_b64 exec, exec, s[36:37]
	s_waitcnt vmcnt(0) lgkmcnt(0)
	v_fma_mix_f32 v1, v1, v39, v35 op_sel_hi:[1,1,0]
	s_nop 0
	v_fma_mix_f32 v1, v36, v40, v1 op_sel_hi:[1,1,0]
	s_nop 0
	;; [unrolled: 2-line block ×3, first 2 shown]
	v_fma_mix_f32 v35, v38, v42, v1 op_sel_hi:[1,1,0]
.LBB515_20:                             ;   in Loop: Header=BB515_21 Depth=1
	s_or_b64 exec, exec, s[6:7]
	v_add_u32_e32 v33, 64, v33
	s_add_u32 s34, s34, s28
	s_addc_u32 s35, s35, s29
	v_cmp_le_i32_e64 s[6:7], s44, v33
	v_lshl_add_u64 v[4:5], v[4:5], 0, s[26:27]
	v_lshl_add_u64 v[8:9], v[8:9], 0, s[26:27]
	;; [unrolled: 1-line block ×3, first 2 shown]
	s_or_b64 s[30:31], s[6:7], s[30:31]
	v_lshl_add_u64 v[16:17], v[16:17], 0, s[26:27]
	s_andn2_b64 exec, exec, s[30:31]
	s_cbranch_execz .LBB515_26
.LBB515_21:                             ; =>This Inner Loop Header: Depth=1
	s_and_saveexec_b64 s[6:7], vcc
	s_cbranch_execz .LBB515_20
; %bb.22:                               ;   in Loop: Header=BB515_21 Depth=1
	v_lshl_add_u64 v[20:21], s[34:35], 0, v[6:7]
	v_lshl_add_u64 v[22:23], s[34:35], 0, v[10:11]
	;; [unrolled: 1-line block ×4, first 2 shown]
	flat_load_ushort v1, v[20:21]
	flat_load_ushort v36, v[22:23]
	flat_load_ushort v37, v[24:25]
	flat_load_ushort v38, v[26:27]
	v_lshl_add_u64 v[20:21], v[8:9], 0, v[2:3]
	v_lshl_add_u64 v[22:23], v[16:17], 0, v[2:3]
	v_lshl_add_u64 v[24:25], v[14:15], 0, v[2:3]
	v_lshl_add_u64 v[26:27], v[4:5], 0, v[2:3]
	flat_load_ushort v39, v[20:21]
	flat_load_ushort v40, v[22:23]
	;; [unrolled: 1-line block ×4, first 2 shown]
	s_and_saveexec_b64 s[36:37], s[0:1]
	s_cbranch_execz .LBB515_19
; %bb.23:                               ;   in Loop: Header=BB515_21 Depth=1
	flat_load_ushort v43, v[20:21] offset:128
	flat_load_ushort v44, v[22:23] offset:128
	flat_load_ushort v45, v[24:25] offset:128
	flat_load_ushort v46, v[26:27] offset:128
	s_waitcnt vmcnt(0) lgkmcnt(0)
	v_cvt_f32_f16_e32 v47, v1
	v_cvt_f32_f16_e32 v48, v36
	;; [unrolled: 1-line block ×4, first 2 shown]
	s_and_saveexec_b64 s[38:39], s[2:3]
	s_cbranch_execz .LBB515_18
; %bb.24:                               ;   in Loop: Header=BB515_21 Depth=1
	flat_load_ushort v51, v[20:21] offset:256
	flat_load_ushort v52, v[22:23] offset:256
	;; [unrolled: 1-line block ×4, first 2 shown]
	s_and_saveexec_b64 s[40:41], s[4:5]
	s_cbranch_execz .LBB515_17
; %bb.25:                               ;   in Loop: Header=BB515_21 Depth=1
	flat_load_ushort v55, v[20:21] offset:384
	flat_load_ushort v56, v[22:23] offset:384
	;; [unrolled: 1-line block ×4, first 2 shown]
	s_waitcnt vmcnt(0) lgkmcnt(0)
	v_fma_mix_f32 v20, v47, v55, v31 op_sel_hi:[0,1,0]
	v_fma_mix_f32 v20, v48, v56, v20 op_sel_hi:[0,1,0]
	;; [unrolled: 1-line block ×4, first 2 shown]
	s_branch .LBB515_17
.LBB515_26:
	s_or_b64 exec, exec, s[30:31]
.LBB515_27:
	s_or_b64 exec, exec, s[18:19]
	s_sub_i32 s0, s15, s44
	s_cmp_lt_i32 s0, 1
	s_cbranch_scc1 .LBB515_45
; %bb.28:
	v_cmp_gt_i32_e32 vcc, s15, v33
	v_mov_b32_e32 v10, 0
	v_or_b32_e32 v4, 1, v33
	v_mov_b32_e32 v11, 0
	v_mov_b32_e32 v12, 0
	;; [unrolled: 1-line block ×3, first 2 shown]
	s_and_saveexec_b64 s[2:3], vcc
	s_cbranch_execz .LBB515_36
; %bb.29:
	v_mad_u64_u32 v[2:3], s[0:1], v33, s16, 0
	v_mov_b32_e32 v6, v3
	v_mad_u64_u32 v[6:7], s[0:1], v33, s17, v[6:7]
	v_mov_b32_e32 v3, v6
	v_lshl_add_u64 v[2:3], v[2:3], 1, s[24:25]
	flat_load_ushort v1, v[2:3]
	v_cmp_gt_i32_e64 s[0:1], s15, v4
	v_mov_b32_e32 v12, 0
	v_mov_b32_e32 v11, 0
	;; [unrolled: 1-line block ×3, first 2 shown]
	s_and_saveexec_b64 s[4:5], s[0:1]
	s_cbranch_execz .LBB515_35
; %bb.30:
	v_mad_u64_u32 v[2:3], s[0:1], v4, s16, 0
	v_mov_b32_e32 v6, v3
	v_mad_u64_u32 v[6:7], s[0:1], v4, s17, v[6:7]
	v_mov_b32_e32 v3, v6
	v_lshl_add_u64 v[2:3], v[2:3], 1, s[24:25]
	flat_load_ushort v2, v[2:3]
	v_or_b32_e32 v3, 2, v33
	v_cmp_gt_i32_e64 s[0:1], s15, v3
	v_mov_b32_e32 v11, 0
	v_mov_b32_e32 v10, 0
	s_and_saveexec_b64 s[6:7], s[0:1]
	s_cbranch_execz .LBB515_34
; %bb.31:
	v_mad_u64_u32 v[6:7], s[0:1], v3, s16, 0
	v_mov_b32_e32 v8, v7
	v_mad_u64_u32 v[8:9], s[0:1], v3, s17, v[8:9]
	v_mov_b32_e32 v7, v8
	v_lshl_add_u64 v[6:7], v[6:7], 1, s[24:25]
	flat_load_ushort v3, v[6:7]
	v_or_b32_e32 v5, 3, v33
	v_cmp_gt_i32_e64 s[0:1], s15, v5
	v_mov_b32_e32 v10, 0
	s_and_saveexec_b64 s[18:19], s[0:1]
	s_cbranch_execz .LBB515_33
; %bb.32:
	v_mad_u64_u32 v[6:7], s[0:1], v5, s16, 0
	v_mov_b32_e32 v8, v7
	v_mad_u64_u32 v[8:9], s[0:1], v5, s17, v[8:9]
	v_mov_b32_e32 v7, v8
	v_lshl_add_u64 v[6:7], v[6:7], 1, s[24:25]
	flat_load_ushort v5, v[6:7]
	s_waitcnt vmcnt(0) lgkmcnt(0)
	v_cvt_f32_f16_e32 v10, v5
.LBB515_33:
	s_or_b64 exec, exec, s[18:19]
	s_waitcnt vmcnt(0) lgkmcnt(0)
	v_cvt_f32_f16_e32 v11, v3
.LBB515_34:
	s_or_b64 exec, exec, s[6:7]
	s_waitcnt vmcnt(0) lgkmcnt(0)
	v_cvt_f32_f16_e32 v12, v2
.LBB515_35:
	s_or_b64 exec, exec, s[4:5]
	s_waitcnt vmcnt(0) lgkmcnt(0)
	v_cvt_f32_f16_e32 v13, v1
.LBB515_36:
	s_or_b64 exec, exec, s[2:3]
	v_cmp_gt_i32_e64 s[0:1], s14, v0
	s_and_saveexec_b64 s[2:3], s[0:1]
	s_cbranch_execz .LBB515_44
; %bb.37:
	v_mad_u64_u32 v[2:3], s[0:1], v33, s20, 0
	v_mov_b32_e32 v6, v3
	v_mad_u64_u32 v[6:7], s[0:1], v33, s21, v[6:7]
	v_ashrrev_i32_e32 v1, 31, v0
	v_cndmask_b32_e32 v3, 0, v6, vcc
	v_mad_u64_u32 v[6:7], s[0:1], v4, s20, 0
	v_cndmask_b32_e32 v2, 0, v2, vcc
	v_lshlrev_b64 v[8:9], 1, v[0:1]
	v_mov_b32_e32 v14, v7
	v_cmp_gt_i32_e32 vcc, s15, v4
	v_or_b32_e32 v1, 2, v33
	v_mad_u64_u32 v[14:15], s[0:1], v4, s21, v[14:15]
	v_cndmask_b32_e32 v4, 0, v6, vcc
	v_mad_u64_u32 v[6:7], s[0:1], v1, s20, 0
	v_cndmask_b32_e32 v5, 0, v14, vcc
	v_mov_b32_e32 v14, v7
	v_mad_u64_u32 v[14:15], s[0:1], v1, s21, v[14:15]
	v_cmp_gt_i32_e32 vcc, s15, v1
	v_or_b32_e32 v1, 3, v33
	v_lshl_add_u64 v[2:3], v[2:3], 1, s[22:23]
	v_cndmask_b32_e32 v7, 0, v14, vcc
	v_mad_u64_u32 v[14:15], s[0:1], v1, s20, 0
	v_mov_b32_e32 v16, v15
	v_cndmask_b32_e32 v6, 0, v6, vcc
	v_mad_u64_u32 v[16:17], s[0:1], v1, s21, v[16:17]
	v_cmp_gt_i32_e32 vcc, s15, v1
	v_lshl_add_u64 v[2:3], v[2:3], 0, v[8:9]
	v_lshl_add_u64 v[4:5], v[4:5], 1, s[22:23]
	v_cndmask_b32_e32 v14, 0, v14, vcc
	v_cndmask_b32_e32 v15, 0, v16, vcc
	v_lshl_add_u64 v[6:7], v[6:7], 1, s[22:23]
	v_lshl_add_u64 v[14:15], v[14:15], 1, s[22:23]
	;; [unrolled: 1-line block ×4, first 2 shown]
	flat_load_ushort v16, v[2:3]
	flat_load_ushort v17, v[4:5]
	;; [unrolled: 1-line block ×3, first 2 shown]
	v_lshl_add_u64 v[8:9], v[14:15], 0, v[8:9]
	flat_load_ushort v1, v[8:9]
	v_add_u32_e32 v15, 64, v0
	v_cmp_gt_i32_e32 vcc, s14, v15
	s_waitcnt vmcnt(0) lgkmcnt(0)
	v_fma_mix_f32 v14, v13, v16, v35 op_sel_hi:[0,1,0]
	v_fma_mix_f32 v14, v12, v17, v14 op_sel_hi:[0,1,0]
	v_fma_mix_f32 v14, v11, v18, v14 op_sel_hi:[0,1,0]
	s_and_saveexec_b64 s[0:1], vcc
	s_cbranch_execz .LBB515_43
; %bb.38:
	flat_load_ushort v16, v[2:3] offset:128
	flat_load_ushort v17, v[4:5] offset:128
	flat_load_ushort v18, v[6:7] offset:128
	flat_load_ushort v15, v[8:9] offset:128
	v_add_u32_e32 v19, 0x80, v0
	v_cmp_gt_i32_e32 vcc, s14, v19
	s_waitcnt vmcnt(0) lgkmcnt(0)
	v_fma_mix_f32 v16, v13, v16, v34 op_sel_hi:[0,1,0]
	v_fma_mix_f32 v16, v12, v17, v16 op_sel_hi:[0,1,0]
	v_fma_mix_f32 v16, v11, v18, v16 op_sel_hi:[0,1,0]
	s_and_saveexec_b64 s[4:5], vcc
	s_cbranch_execz .LBB515_42
; %bb.39:
	flat_load_ushort v18, v[2:3] offset:256
	flat_load_ushort v19, v[4:5] offset:256
	flat_load_ushort v20, v[6:7] offset:256
	flat_load_ushort v17, v[8:9] offset:256
	;; [unrolled: 13-line block ×3, first 2 shown]
	s_waitcnt vmcnt(0) lgkmcnt(0)
	v_fma_mix_f32 v2, v13, v18, v31 op_sel_hi:[0,1,0]
	v_fma_mix_f32 v2, v12, v19, v2 op_sel_hi:[0,1,0]
	;; [unrolled: 1-line block ×4, first 2 shown]
.LBB515_41:
	s_or_b64 exec, exec, s[6:7]
	v_fma_mix_f32 v32, v10, v17, v0 op_sel_hi:[0,1,0]
.LBB515_42:
	s_or_b64 exec, exec, s[4:5]
	v_fma_mix_f32 v34, v10, v15, v16 op_sel_hi:[0,1,0]
.LBB515_43:
	s_or_b64 exec, exec, s[0:1]
	v_fma_mix_f32 v35, v10, v1, v14 op_sel_hi:[0,1,0]
.LBB515_44:
	s_or_b64 exec, exec, s[2:3]
.LBB515_45:
	v_lshlrev_b32_e32 v0, 8, v30
	s_movk_i32 s0, 0x100
	v_add_lshl_u32 v0, v0, v29, 2
	v_cmp_gt_u32_e32 vcc, s0, v28
	ds_write2st64_b32 v0, v35, v34 offset1:1
	ds_write2st64_b32 v0, v32, v31 offset0:2 offset1:3
	s_waitcnt lgkmcnt(0)
	s_barrier
	s_waitcnt lgkmcnt(0)
                                        ; implicit-def: $vgpr1
                                        ; implicit-def: $vgpr2_vgpr3
	s_and_saveexec_b64 s[0:1], vcc
	s_cbranch_execz .LBB515_51
; %bb.46:
	v_lshlrev_b32_e32 v10, 2, v28
	ds_read2st64_b32 v[0:1], v10 offset1:4
	ds_read2st64_b32 v[2:3], v10 offset0:8 offset1:12
	ds_read2st64_b32 v[4:5], v10 offset0:16 offset1:20
	;; [unrolled: 1-line block ×4, first 2 shown]
	s_waitcnt lgkmcnt(4)
	v_add_f32_e32 v0, v0, v1
	s_waitcnt lgkmcnt(3)
	v_add_f32_e32 v0, v2, v0
	v_add_f32_e32 v0, v3, v0
	s_waitcnt lgkmcnt(2)
	v_add_f32_e32 v0, v4, v0
	;; [unrolled: 3-line block ×3, first 2 shown]
	v_add_f32_e32 v2, v7, v0
	ds_read2st64_b32 v[0:1], v10 offset0:40 offset1:44
	s_waitcnt lgkmcnt(1)
	v_add_f32_e32 v4, v8, v2
	ds_read2st64_b32 v[2:3], v10 offset0:48 offset1:52
	v_add_f32_e32 v6, v9, v4
	ds_read2st64_b32 v[4:5], v10 offset0:56 offset1:60
	s_waitcnt lgkmcnt(2)
	v_add_f32_e32 v0, v0, v6
	v_add_f32_e32 v0, v1, v0
	s_waitcnt lgkmcnt(1)
	v_add_f32_e32 v0, v2, v0
	v_add_f32_e32 v0, v3, v0
	;; [unrolled: 3-line block ×3, first 2 shown]
	v_or_b32_e32 v0, s43, v28
	v_cmp_gt_i32_e32 vcc, s14, v0
	s_mov_b64 s[4:5], s[10:11]
	ds_write_b32 v10, v4
                                        ; implicit-def: $vgpr1
                                        ; implicit-def: $vgpr2_vgpr3
	s_and_saveexec_b64 s[2:3], vcc
	s_cbranch_execz .LBB515_50
; %bb.47:
	v_ashrrev_i32_e32 v2, 31, v0
	v_cmp_eq_f32_e64 s[4:5], s33, 0
	v_mul_f32_e32 v1, s42, v4
	v_mul_lo_u32 v4, v0, s13
	v_mul_lo_u32 v5, v2, s12
	v_mad_u64_u32 v[2:3], s[6:7], v0, s12, 0
	v_add3_u32 v3, v3, v4, v5
	s_and_b64 vcc, exec, s[4:5]
	s_cbranch_vccnz .LBB515_49
; %bb.48:
	v_lshl_add_u64 v[4:5], v[2:3], 2, s[8:9]
	global_load_dword v0, v[4:5], off
	s_waitcnt vmcnt(0)
	v_fmac_f32_e32 v1, s33, v0
.LBB515_49:
	s_or_b64 s[4:5], s[10:11], exec
.LBB515_50:
	s_or_b64 exec, exec, s[2:3]
	s_andn2_b64 s[2:3], s[10:11], exec
	s_and_b64 s[4:5], s[4:5], exec
	s_or_b64 s[10:11], s[2:3], s[4:5]
.LBB515_51:
	s_or_b64 exec, exec, s[0:1]
.LBB515_52:
	s_and_saveexec_b64 s[0:1], s[10:11]
	s_cbranch_execz .LBB515_54
; %bb.53:
	v_lshl_add_u64 v[2:3], v[2:3], 2, s[8:9]
	global_store_dword v[2:3], v1, off
.LBB515_54:
	s_endpgm
	.section	.rodata,"a",@progbits
	.p2align	6, 0x0
	.amdhsa_kernel _ZL20rocblas_gemvn_kernelILi64ELi16ElPKDF16_PKfKPfEviiT3_lPKT2_lT1_lS9_lSA_lS6_lPT4_lSA_li
		.amdhsa_group_segment_fixed_size 16384
		.amdhsa_private_segment_fixed_size 0
		.amdhsa_kernarg_size 400
		.amdhsa_user_sgpr_count 2
		.amdhsa_user_sgpr_dispatch_ptr 0
		.amdhsa_user_sgpr_queue_ptr 0
		.amdhsa_user_sgpr_kernarg_segment_ptr 1
		.amdhsa_user_sgpr_dispatch_id 0
		.amdhsa_user_sgpr_kernarg_preload_length 0
		.amdhsa_user_sgpr_kernarg_preload_offset 0
		.amdhsa_user_sgpr_private_segment_size 0
		.amdhsa_uses_dynamic_stack 0
		.amdhsa_enable_private_segment 0
		.amdhsa_system_sgpr_workgroup_id_x 1
		.amdhsa_system_sgpr_workgroup_id_y 0
		.amdhsa_system_sgpr_workgroup_id_z 1
		.amdhsa_system_sgpr_workgroup_info 0
		.amdhsa_system_vgpr_workitem_id 1
		.amdhsa_next_free_vgpr 59
		.amdhsa_next_free_sgpr 45
		.amdhsa_accum_offset 60
		.amdhsa_reserve_vcc 1
		.amdhsa_float_round_mode_32 0
		.amdhsa_float_round_mode_16_64 0
		.amdhsa_float_denorm_mode_32 3
		.amdhsa_float_denorm_mode_16_64 3
		.amdhsa_dx10_clamp 1
		.amdhsa_ieee_mode 1
		.amdhsa_fp16_overflow 0
		.amdhsa_tg_split 0
		.amdhsa_exception_fp_ieee_invalid_op 0
		.amdhsa_exception_fp_denorm_src 0
		.amdhsa_exception_fp_ieee_div_zero 0
		.amdhsa_exception_fp_ieee_overflow 0
		.amdhsa_exception_fp_ieee_underflow 0
		.amdhsa_exception_fp_ieee_inexact 0
		.amdhsa_exception_int_div_zero 0
	.end_amdhsa_kernel
	.section	.text._ZL20rocblas_gemvn_kernelILi64ELi16ElPKDF16_PKfKPfEviiT3_lPKT2_lT1_lS9_lSA_lS6_lPT4_lSA_li,"axG",@progbits,_ZL20rocblas_gemvn_kernelILi64ELi16ElPKDF16_PKfKPfEviiT3_lPKT2_lT1_lS9_lSA_lS6_lPT4_lSA_li,comdat
.Lfunc_end515:
	.size	_ZL20rocblas_gemvn_kernelILi64ELi16ElPKDF16_PKfKPfEviiT3_lPKT2_lT1_lS9_lSA_lS6_lPT4_lSA_li, .Lfunc_end515-_ZL20rocblas_gemvn_kernelILi64ELi16ElPKDF16_PKfKPfEviiT3_lPKT2_lT1_lS9_lSA_lS6_lPT4_lSA_li
                                        ; -- End function
	.section	.AMDGPU.csdata,"",@progbits
; Kernel info:
; codeLenInByte = 2796
; NumSgprs: 51
; NumVgprs: 59
; NumAgprs: 0
; TotalNumVgprs: 59
; ScratchSize: 0
; MemoryBound: 0
; FloatMode: 240
; IeeeMode: 1
; LDSByteSize: 16384 bytes/workgroup (compile time only)
; SGPRBlocks: 6
; VGPRBlocks: 7
; NumSGPRsForWavesPerEU: 51
; NumVGPRsForWavesPerEU: 59
; AccumOffset: 60
; Occupancy: 8
; WaveLimiterHint : 1
; COMPUTE_PGM_RSRC2:SCRATCH_EN: 0
; COMPUTE_PGM_RSRC2:USER_SGPR: 2
; COMPUTE_PGM_RSRC2:TRAP_HANDLER: 0
; COMPUTE_PGM_RSRC2:TGID_X_EN: 1
; COMPUTE_PGM_RSRC2:TGID_Y_EN: 0
; COMPUTE_PGM_RSRC2:TGID_Z_EN: 1
; COMPUTE_PGM_RSRC2:TIDIG_COMP_CNT: 1
; COMPUTE_PGM_RSRC3_GFX90A:ACCUM_OFFSET: 14
; COMPUTE_PGM_RSRC3_GFX90A:TG_SPLIT: 0
	.section	.text._ZL20rocblas_gemvn_kernelILi64ELi16EiPKDF16_fKPfEviiT3_lPKT2_lT1_lS7_lS8_lS4_lPT4_lS8_li,"axG",@progbits,_ZL20rocblas_gemvn_kernelILi64ELi16EiPKDF16_fKPfEviiT3_lPKT2_lT1_lS7_lS8_lS4_lPT4_lS8_li,comdat
	.globl	_ZL20rocblas_gemvn_kernelILi64ELi16EiPKDF16_fKPfEviiT3_lPKT2_lT1_lS7_lS8_lS4_lPT4_lS8_li ; -- Begin function _ZL20rocblas_gemvn_kernelILi64ELi16EiPKDF16_fKPfEviiT3_lPKT2_lT1_lS7_lS8_lS4_lPT4_lS8_li
	.p2align	8
	.type	_ZL20rocblas_gemvn_kernelILi64ELi16EiPKDF16_fKPfEviiT3_lPKT2_lT1_lS7_lS8_lS4_lPT4_lS8_li,@function
_ZL20rocblas_gemvn_kernelILi64ELi16EiPKDF16_fKPfEviiT3_lPKT2_lT1_lS7_lS8_lS4_lPT4_lS8_li: ; @_ZL20rocblas_gemvn_kernelILi64ELi16EiPKDF16_fKPfEviiT3_lPKT2_lT1_lS7_lS8_lS4_lPT4_lS8_li
; %bb.0:
	s_load_dwordx2 s[4:5], s[0:1], 0x9c
	s_mov_b32 s6, s3
	s_waitcnt lgkmcnt(0)
	s_and_b32 s3, s5, 0xffff
	s_lshr_b32 s5, s4, 16
	s_and_b32 s4, s4, 0xffff
	s_mul_i32 s4, s5, s4
	s_mul_i32 s4, s4, s3
	s_cmpk_lg_i32 s4, 0x400
	s_cbranch_scc1 .LBB516_56
; %bb.1:
	s_load_dwordx4 s[8:11], s[0:1], 0x0
	s_waitcnt lgkmcnt(0)
	s_load_dword s11, s[0:1], 0x58
	v_cmp_eq_f32_e64 s[4:5], s10, 0
	s_waitcnt lgkmcnt(0)
	v_cmp_eq_f32_e64 s[12:13], s11, 1.0
	s_and_b64 s[12:13], s[4:5], s[12:13]
	s_and_b64 vcc, exec, s[12:13]
	s_cbranch_vccnz .LBB516_56
; %bb.2:
	v_cmp_neq_f32_e64 s[12:13], s10, 0
	s_mov_b32 s7, 0
	s_and_b64 vcc, exec, s[12:13]
	s_cbranch_vccnz .LBB516_4
; %bb.3:
	s_mov_b64 s[16:17], 0
	s_cbranch_execz .LBB516_5
	s_branch .LBB516_6
.LBB516_4:
                                        ; implicit-def: $sgpr16_sgpr17
.LBB516_5:
	s_load_dwordx4 s[16:19], s[0:1], 0x18
	s_lshl_b64 s[14:15], s[6:7], 3
	s_waitcnt lgkmcnt(0)
	s_add_u32 s14, s16, s14
	s_addc_u32 s15, s17, s15
	s_load_dwordx2 s[14:15], s[14:15], 0x0
	s_lshl_b64 s[16:17], s[18:19], 1
	s_waitcnt lgkmcnt(0)
	s_add_u32 s16, s14, s16
	s_addc_u32 s17, s15, s17
.LBB516_6:
	s_mov_b64 s[14:15], 0
	s_andn2_b64 vcc, exec, s[12:13]
	s_mov_b64 s[18:19], 0
	s_cbranch_vccnz .LBB516_8
; %bb.7:
	s_load_dwordx4 s[20:23], s[0:1], 0x38
	s_lshl_b64 s[12:13], s[6:7], 3
	s_waitcnt lgkmcnt(0)
	s_add_u32 s12, s20, s12
	s_addc_u32 s13, s21, s13
	s_load_dwordx2 s[12:13], s[12:13], 0x0
	s_lshl_b64 s[18:19], s[22:23], 1
	s_waitcnt lgkmcnt(0)
	s_add_u32 s18, s12, s18
	s_addc_u32 s19, s13, s19
.LBB516_8:
	s_load_dwordx4 s[20:23], s[0:1], 0x68
	s_load_dword s30, s[0:1], 0x78
	s_lshl_b64 s[6:7], s[6:7], 3
	v_and_b32_e32 v2, 0x3ff, v0
	v_bfe_u32 v14, v0, 10, 10
	s_waitcnt lgkmcnt(0)
	s_add_u32 s6, s20, s6
	s_addc_u32 s7, s21, s7
	s_load_dwordx2 s[6:7], s[6:7], 0x0
	s_lshl_b64 s[12:13], s[22:23], 2
	v_lshl_add_u32 v3, v14, 6, v2
	s_waitcnt lgkmcnt(0)
	s_add_u32 s12, s6, s12
	s_addc_u32 s13, s7, s13
	s_andn2_b64 vcc, exec, s[4:5]
	s_cbranch_vccnz .LBB516_15
; %bb.9:
	s_movk_i32 s3, 0x100
	v_cmp_gt_u32_e32 vcc, s3, v3
	s_mov_b64 s[4:5], 0
                                        ; implicit-def: $vgpr1
                                        ; implicit-def: $vgpr4_vgpr5
	s_and_saveexec_b64 s[6:7], vcc
	s_cbranch_execz .LBB516_16
; %bb.10:
	v_lshl_or_b32 v0, s2, 8, v3
	v_mov_b32_e32 v1, 0
	s_ashr_i32 s15, s8, 31
	s_mov_b32 s14, s8
	v_cmp_gt_i64_e32 vcc, s[14:15], v[0:1]
	s_mov_b64 s[20:21], 0
                                        ; implicit-def: $vgpr4_vgpr5
	s_and_saveexec_b64 s[14:15], vcc
	s_cbranch_execz .LBB516_14
; %bb.11:
	v_mad_u64_u32 v[4:5], s[22:23], s30, v0, 0
	s_ashr_i32 s3, s30, 31
	v_mov_b32_e32 v6, v5
	v_cmp_eq_f32_e64 s[20:21], s11, 0
	v_mad_u64_u32 v[6:7], s[22:23], s3, v0, v[6:7]
	v_mov_b32_e32 v5, v6
	s_and_b64 vcc, exec, s[20:21]
	s_cbranch_vccnz .LBB516_13
; %bb.12:
	v_lshl_add_u64 v[0:1], v[4:5], 2, s[12:13]
	global_load_dword v0, v[0:1], off
	s_waitcnt vmcnt(0)
	v_mul_f32_e32 v1, s11, v0
.LBB516_13:
	s_mov_b64 s[20:21], exec
.LBB516_14:
	s_or_b64 exec, exec, s[14:15]
	s_and_b64 s[14:15], s[20:21], exec
	s_or_b64 exec, exec, s[6:7]
	s_and_b64 vcc, exec, s[4:5]
	s_cbranch_vccnz .LBB516_17
	s_branch .LBB516_54
.LBB516_15:
                                        ; implicit-def: $vgpr1
                                        ; implicit-def: $vgpr4_vgpr5
	s_cbranch_execnz .LBB516_17
	s_branch .LBB516_54
.LBB516_16:
	s_or_b64 exec, exec, s[6:7]
	s_and_b64 vcc, exec, s[4:5]
	s_cbranch_vccz .LBB516_54
.LBB516_17:
	s_load_dword s33, s[0:1], 0x28
	s_load_dword s34, s[0:1], 0x48
	s_ashr_i32 s0, s9, 31
	s_lshr_b32 s0, s0, 26
	s_add_i32 s35, s9, s0
	s_lshl_b32 s31, s2, 8
	s_andn2_b32 s35, s35, 63
	v_lshlrev_b32_e32 v20, 2, v14
	v_add_u32_e32 v16, s31, v2
	v_cmp_gt_i32_e32 vcc, s35, v20
	v_mov_b32_e32 v19, 0
	v_mov_b32_e32 v18, 0
	;; [unrolled: 1-line block ×4, first 2 shown]
	s_and_saveexec_b64 s[20:21], vcc
	s_cbranch_execz .LBB516_29
; %bb.18:
	v_add_u32_e32 v0, 64, v16
	v_cmp_gt_i32_e64 s[0:1], s8, v0
	v_add_u32_e32 v0, 0x80, v16
	v_cmp_gt_i32_e64 s[2:3], s8, v0
	;; [unrolled: 2-line block ×3, first 2 shown]
	s_waitcnt lgkmcnt(0)
	v_mul_lo_u32 v0, s33, v20
	v_add_u32_e32 v6, 2, v20
	v_add_u32_e32 v7, 3, v20
	v_add3_u32 v21, v0, s33, v2
	v_mad_u64_u32 v[0:1], s[6:7], s33, v6, v[2:3]
	v_mad_u64_u32 v[4:5], s[6:7], s33, v7, v[2:3]
	v_mul_lo_u32 v1, v14, s33
	v_mul_lo_u32 v5, s34, v20
	;; [unrolled: 1-line block ×4, first 2 shown]
	v_cmp_gt_i32_e32 vcc, s8, v16
	s_lshl_b32 s36, s33, 6
	v_lshl_add_u32 v1, v1, 2, v2
	v_add_u32_e32 v5, s34, v5
	s_lshl_b32 s37, s34, 6
	v_mul_lo_u32 v23, s34, v7
	v_lshlrev_b32_e32 v24, 2, v6
	s_mov_b32 s38, 0
	s_mov_b64 s[22:23], 0
	v_mov_b32_e32 v19, 0
	v_mov_b32_e32 v18, 0
	;; [unrolled: 1-line block ×4, first 2 shown]
	s_branch .LBB516_23
.LBB516_19:                             ;   in Loop: Header=BB516_23 Depth=1
	s_or_b64 exec, exec, s[28:29]
	s_waitcnt vmcnt(0) lgkmcnt(0)
	v_fma_mix_f32 v6, v37, v41, v17 op_sel_hi:[0,1,0]
	v_fma_mix_f32 v6, v38, v42, v6 op_sel_hi:[0,1,0]
	;; [unrolled: 1-line block ×4, first 2 shown]
.LBB516_20:                             ;   in Loop: Header=BB516_23 Depth=1
	s_or_b64 exec, exec, s[26:27]
	v_fma_mix_f32 v6, v37, v33, v18 op_sel_hi:[0,1,0]
	v_fma_mix_f32 v6, v38, v34, v6 op_sel_hi:[0,1,0]
	v_fma_mix_f32 v6, v39, v35, v6 op_sel_hi:[0,1,0]
	v_fma_mix_f32 v18, v40, v36, v6 op_sel_hi:[0,1,0]
.LBB516_21:                             ;   in Loop: Header=BB516_23 Depth=1
	s_or_b64 exec, exec, s[24:25]
	s_waitcnt vmcnt(0) lgkmcnt(0)
	v_fma_mix_f32 v6, v25, v29, v19 op_sel_hi:[1,1,0]
	s_nop 0
	v_fma_mix_f32 v6, v26, v30, v6 op_sel_hi:[1,1,0]
	s_nop 0
	;; [unrolled: 2-line block ×3, first 2 shown]
	v_fma_mix_f32 v19, v28, v32, v6 op_sel_hi:[1,1,0]
.LBB516_22:                             ;   in Loop: Header=BB516_23 Depth=1
	s_or_b64 exec, exec, s[6:7]
	v_add_u32_e32 v20, 64, v20
	s_add_i32 s38, s38, s37
	v_cmp_le_i32_e64 s[6:7], s35, v20
	v_add_u32_e32 v21, s36, v21
	v_add_u32_e32 v0, s36, v0
	;; [unrolled: 1-line block ×3, first 2 shown]
	s_or_b64 s[22:23], s[6:7], s[22:23]
	v_add_u32_e32 v1, s36, v1
	s_andn2_b64 exec, exec, s[22:23]
	s_cbranch_execz .LBB516_28
.LBB516_23:                             ; =>This Inner Loop Header: Depth=1
	s_and_saveexec_b64 s[6:7], vcc
	s_cbranch_execz .LBB516_22
; %bb.24:                               ;   in Loop: Header=BB516_23 Depth=1
	v_add_u32_e32 v6, s38, v24
	v_ashrrev_i32_e32 v7, 31, v6
	v_add_u32_e32 v8, s38, v5
	v_add_u32_e32 v10, s38, v22
	;; [unrolled: 1-line block ×3, first 2 shown]
	v_lshl_add_u64 v[6:7], v[6:7], 1, s[18:19]
	v_ashrrev_i32_e32 v9, 31, v8
	v_ashrrev_i32_e32 v11, 31, v10
	;; [unrolled: 1-line block ×3, first 2 shown]
	v_lshl_add_u64 v[8:9], v[8:9], 1, s[18:19]
	v_lshl_add_u64 v[10:11], v[10:11], 1, s[18:19]
	;; [unrolled: 1-line block ×3, first 2 shown]
	flat_load_ushort v25, v[6:7]
	flat_load_ushort v26, v[8:9]
	;; [unrolled: 1-line block ×4, first 2 shown]
	v_add_u32_e32 v6, s31, v1
	v_ashrrev_i32_e32 v7, 31, v6
	v_add_u32_e32 v8, s31, v21
	v_add_u32_e32 v10, s31, v0
	;; [unrolled: 1-line block ×3, first 2 shown]
	v_lshl_add_u64 v[6:7], v[6:7], 1, s[16:17]
	v_ashrrev_i32_e32 v9, 31, v8
	v_ashrrev_i32_e32 v11, 31, v10
	;; [unrolled: 1-line block ×3, first 2 shown]
	v_lshl_add_u64 v[8:9], v[8:9], 1, s[16:17]
	v_lshl_add_u64 v[10:11], v[10:11], 1, s[16:17]
	;; [unrolled: 1-line block ×3, first 2 shown]
	flat_load_ushort v29, v[6:7]
	flat_load_ushort v30, v[8:9]
	;; [unrolled: 1-line block ×4, first 2 shown]
	s_and_saveexec_b64 s[24:25], s[0:1]
	s_cbranch_execz .LBB516_21
; %bb.25:                               ;   in Loop: Header=BB516_23 Depth=1
	flat_load_ushort v33, v[6:7] offset:128
	flat_load_ushort v34, v[8:9] offset:128
	;; [unrolled: 1-line block ×4, first 2 shown]
	s_waitcnt vmcnt(0) lgkmcnt(0)
	v_cvt_f32_f16_e32 v37, v25
	v_cvt_f32_f16_e32 v38, v26
	;; [unrolled: 1-line block ×4, first 2 shown]
	s_and_saveexec_b64 s[26:27], s[2:3]
	s_cbranch_execz .LBB516_20
; %bb.26:                               ;   in Loop: Header=BB516_23 Depth=1
	flat_load_ushort v41, v[6:7] offset:256
	flat_load_ushort v42, v[8:9] offset:256
	;; [unrolled: 1-line block ×4, first 2 shown]
	s_and_saveexec_b64 s[28:29], s[4:5]
	s_cbranch_execz .LBB516_19
; %bb.27:                               ;   in Loop: Header=BB516_23 Depth=1
	flat_load_ushort v45, v[6:7] offset:384
	flat_load_ushort v46, v[8:9] offset:384
	;; [unrolled: 1-line block ×4, first 2 shown]
	s_waitcnt vmcnt(0) lgkmcnt(0)
	v_fma_mix_f32 v6, v37, v45, v15 op_sel_hi:[0,1,0]
	v_fma_mix_f32 v6, v38, v46, v6 op_sel_hi:[0,1,0]
	;; [unrolled: 1-line block ×4, first 2 shown]
	s_branch .LBB516_19
.LBB516_28:
	s_or_b64 exec, exec, s[22:23]
.LBB516_29:
	s_or_b64 exec, exec, s[20:21]
	s_sub_i32 s0, s9, s35
	s_cmp_lt_i32 s0, 1
	s_cbranch_scc1 .LBB516_47
; %bb.30:
	v_cmp_gt_i32_e32 vcc, s9, v20
	v_mov_b32_e32 v10, 0
	v_or_b32_e32 v4, 1, v20
	v_mov_b32_e32 v11, 0
	v_mov_b32_e32 v12, 0
	;; [unrolled: 1-line block ×3, first 2 shown]
	s_and_saveexec_b64 s[2:3], vcc
	s_cbranch_execz .LBB516_38
; %bb.31:
	s_waitcnt lgkmcnt(0)
	v_mul_lo_u32 v0, v20, s34
	v_ashrrev_i32_e32 v1, 31, v0
	v_lshl_add_u64 v[0:1], v[0:1], 1, s[18:19]
	flat_load_ushort v0, v[0:1]
	v_cmp_gt_i32_e64 s[0:1], s9, v4
	v_mov_b32_e32 v12, 0
	v_mov_b32_e32 v11, 0
	;; [unrolled: 1-line block ×3, first 2 shown]
	s_and_saveexec_b64 s[4:5], s[0:1]
	s_cbranch_execz .LBB516_37
; %bb.32:
	v_mul_lo_u32 v6, v4, s34
	v_ashrrev_i32_e32 v7, 31, v6
	v_lshl_add_u64 v[6:7], v[6:7], 1, s[18:19]
	flat_load_ushort v1, v[6:7]
	v_or_b32_e32 v5, 2, v20
	v_cmp_gt_i32_e64 s[0:1], s9, v5
	v_mov_b32_e32 v11, 0
	v_mov_b32_e32 v10, 0
	s_and_saveexec_b64 s[6:7], s[0:1]
	s_cbranch_execz .LBB516_36
; %bb.33:
	v_mul_lo_u32 v6, v5, s34
	v_ashrrev_i32_e32 v7, 31, v6
	v_lshl_add_u64 v[6:7], v[6:7], 1, s[18:19]
	flat_load_ushort v5, v[6:7]
	v_or_b32_e32 v6, 3, v20
	v_cmp_gt_i32_e64 s[0:1], s9, v6
	v_mov_b32_e32 v10, 0
	s_and_saveexec_b64 s[20:21], s[0:1]
	s_cbranch_execz .LBB516_35
; %bb.34:
	v_mul_lo_u32 v6, v6, s34
	v_ashrrev_i32_e32 v7, 31, v6
	v_lshl_add_u64 v[6:7], v[6:7], 1, s[18:19]
	flat_load_ushort v6, v[6:7]
	s_waitcnt vmcnt(0) lgkmcnt(0)
	v_cvt_f32_f16_e32 v10, v6
.LBB516_35:
	s_or_b64 exec, exec, s[20:21]
	s_waitcnt vmcnt(0) lgkmcnt(0)
	v_cvt_f32_f16_e32 v11, v5
.LBB516_36:
	s_or_b64 exec, exec, s[6:7]
	s_waitcnt vmcnt(0) lgkmcnt(0)
	v_cvt_f32_f16_e32 v12, v1
.LBB516_37:
	s_or_b64 exec, exec, s[4:5]
	s_waitcnt vmcnt(0) lgkmcnt(0)
	v_cvt_f32_f16_e32 v13, v0
.LBB516_38:
	s_or_b64 exec, exec, s[2:3]
	v_cmp_gt_i32_e64 s[0:1], s8, v16
	s_and_saveexec_b64 s[2:3], s[0:1]
	s_cbranch_execz .LBB516_46
; %bb.39:
	s_waitcnt lgkmcnt(0)
	v_mul_lo_u32 v0, v20, s33
	v_cndmask_b32_e32 v0, 0, v0, vcc
	v_mul_lo_u32 v5, v4, s33
	v_cmp_gt_i32_e32 vcc, s9, v4
	v_or_b32_e32 v6, 2, v20
	v_mul_lo_u32 v7, v6, s33
	v_cndmask_b32_e32 v4, 0, v5, vcc
	v_cmp_gt_i32_e32 vcc, s9, v6
	v_or_b32_e32 v8, 3, v20
	v_mul_lo_u32 v9, v8, s33
	v_cndmask_b32_e32 v6, 0, v7, vcc
	v_cmp_gt_i32_e32 vcc, s9, v8
	v_add_u32_e32 v0, v0, v16
	v_ashrrev_i32_e32 v1, 31, v0
	v_cndmask_b32_e32 v8, 0, v9, vcc
	v_add_u32_e32 v4, v4, v16
	v_add_u32_e32 v6, v6, v16
	;; [unrolled: 1-line block ×3, first 2 shown]
	v_lshl_add_u64 v[0:1], v[0:1], 1, s[16:17]
	v_ashrrev_i32_e32 v5, 31, v4
	v_ashrrev_i32_e32 v7, 31, v6
	v_ashrrev_i32_e32 v9, 31, v8
	v_lshl_add_u64 v[4:5], v[4:5], 1, s[16:17]
	v_lshl_add_u64 v[6:7], v[6:7], 1, s[16:17]
	flat_load_ushort v21, v[0:1]
	flat_load_ushort v22, v[4:5]
	;; [unrolled: 1-line block ×3, first 2 shown]
	v_lshl_add_u64 v[8:9], v[8:9], 1, s[16:17]
	flat_load_ushort v20, v[8:9]
	v_add_u32_e32 v24, 64, v16
	v_cmp_gt_i32_e32 vcc, s8, v24
	s_waitcnt vmcnt(0) lgkmcnt(0)
	v_fma_mix_f32 v19, v13, v21, v19 op_sel_hi:[0,1,0]
	v_fma_mix_f32 v19, v12, v22, v19 op_sel_hi:[0,1,0]
	v_fma_mix_f32 v19, v11, v23, v19 op_sel_hi:[0,1,0]
	s_and_saveexec_b64 s[0:1], vcc
	s_cbranch_execz .LBB516_45
; %bb.40:
	flat_load_ushort v22, v[0:1] offset:128
	flat_load_ushort v23, v[4:5] offset:128
	flat_load_ushort v24, v[6:7] offset:128
	flat_load_ushort v21, v[8:9] offset:128
	v_add_u32_e32 v25, 0x80, v16
	v_cmp_gt_i32_e32 vcc, s8, v25
	s_waitcnt vmcnt(0) lgkmcnt(0)
	v_fma_mix_f32 v18, v13, v22, v18 op_sel_hi:[0,1,0]
	v_fma_mix_f32 v18, v12, v23, v18 op_sel_hi:[0,1,0]
	v_fma_mix_f32 v18, v11, v24, v18 op_sel_hi:[0,1,0]
	s_and_saveexec_b64 s[4:5], vcc
	s_cbranch_execz .LBB516_44
; %bb.41:
	flat_load_ushort v23, v[0:1] offset:256
	flat_load_ushort v24, v[4:5] offset:256
	flat_load_ushort v25, v[6:7] offset:256
	flat_load_ushort v22, v[8:9] offset:256
	;; [unrolled: 13-line block ×3, first 2 shown]
	s_waitcnt vmcnt(0) lgkmcnt(0)
	v_fma_mix_f32 v0, v13, v17, v15 op_sel_hi:[0,1,0]
	v_fma_mix_f32 v0, v12, v23, v0 op_sel_hi:[0,1,0]
	;; [unrolled: 1-line block ×4, first 2 shown]
.LBB516_43:
	s_or_b64 exec, exec, s[6:7]
	v_fma_mix_f32 v17, v10, v22, v16 op_sel_hi:[0,1,0]
.LBB516_44:
	s_or_b64 exec, exec, s[4:5]
	v_fma_mix_f32 v18, v10, v21, v18 op_sel_hi:[0,1,0]
.LBB516_45:
	s_or_b64 exec, exec, s[0:1]
	v_fma_mix_f32 v19, v10, v20, v19 op_sel_hi:[0,1,0]
.LBB516_46:
	s_or_b64 exec, exec, s[2:3]
.LBB516_47:
	v_lshlrev_b32_e32 v0, 8, v14
	s_movk_i32 s0, 0x100
	v_add_lshl_u32 v0, v0, v2, 2
	v_cmp_gt_u32_e32 vcc, s0, v3
	ds_write2st64_b32 v0, v19, v18 offset1:1
	ds_write2st64_b32 v0, v17, v15 offset0:2 offset1:3
	s_waitcnt lgkmcnt(0)
	s_barrier
	s_waitcnt lgkmcnt(0)
                                        ; implicit-def: $vgpr1
                                        ; implicit-def: $vgpr4_vgpr5
	s_and_saveexec_b64 s[0:1], vcc
	s_cbranch_execz .LBB516_53
; %bb.48:
	v_lshlrev_b32_e32 v2, 2, v3
	ds_read2st64_b32 v[0:1], v2 offset1:4
	ds_read2st64_b32 v[4:5], v2 offset0:8 offset1:12
	ds_read2st64_b32 v[6:7], v2 offset0:16 offset1:20
	;; [unrolled: 1-line block ×4, first 2 shown]
	s_waitcnt lgkmcnt(4)
	v_add_f32_e32 v0, v0, v1
	s_waitcnt lgkmcnt(3)
	v_add_f32_e32 v0, v4, v0
	v_add_f32_e32 v0, v5, v0
	s_waitcnt lgkmcnt(2)
	v_add_f32_e32 v0, v6, v0
	;; [unrolled: 3-line block ×3, first 2 shown]
	v_add_f32_e32 v4, v9, v0
	ds_read2st64_b32 v[0:1], v2 offset0:40 offset1:44
	s_waitcnt lgkmcnt(1)
	v_add_f32_e32 v6, v10, v4
	ds_read2st64_b32 v[4:5], v2 offset0:48 offset1:52
	v_add_f32_e32 v8, v11, v6
	ds_read2st64_b32 v[6:7], v2 offset0:56 offset1:60
	s_waitcnt lgkmcnt(2)
	v_add_f32_e32 v0, v0, v8
	v_add_f32_e32 v0, v1, v0
	s_waitcnt lgkmcnt(1)
	v_add_f32_e32 v0, v4, v0
	v_add_f32_e32 v0, v5, v0
	;; [unrolled: 3-line block ×3, first 2 shown]
	ds_write_b32 v2, v0
	v_or_b32_e32 v2, s31, v3
	v_cmp_gt_i32_e32 vcc, s8, v2
	s_mov_b64 s[4:5], s[14:15]
                                        ; implicit-def: $vgpr1
                                        ; implicit-def: $vgpr4_vgpr5
	s_and_saveexec_b64 s[2:3], vcc
	s_cbranch_execz .LBB516_52
; %bb.49:
	v_cmp_eq_f32_e64 s[4:5], s11, 0
	v_mul_lo_u32 v4, v2, s30
	v_mul_f32_e32 v1, s10, v0
	v_ashrrev_i32_e32 v5, 31, v4
	s_and_b64 vcc, exec, s[4:5]
	s_cbranch_vccnz .LBB516_51
; %bb.50:
	v_lshl_add_u64 v[2:3], v[4:5], 2, s[12:13]
	global_load_dword v0, v[2:3], off
	s_waitcnt vmcnt(0)
	v_fmac_f32_e32 v1, s11, v0
.LBB516_51:
	s_or_b64 s[4:5], s[14:15], exec
.LBB516_52:
	s_or_b64 exec, exec, s[2:3]
	s_andn2_b64 s[2:3], s[14:15], exec
	s_and_b64 s[4:5], s[4:5], exec
	s_or_b64 s[14:15], s[2:3], s[4:5]
.LBB516_53:
	s_or_b64 exec, exec, s[0:1]
.LBB516_54:
	s_and_saveexec_b64 s[0:1], s[14:15]
	s_cbranch_execz .LBB516_56
; %bb.55:
	v_lshl_add_u64 v[2:3], v[4:5], 2, s[12:13]
	global_store_dword v[2:3], v1, off
.LBB516_56:
	s_endpgm
	.section	.rodata,"a",@progbits
	.p2align	6, 0x0
	.amdhsa_kernel _ZL20rocblas_gemvn_kernelILi64ELi16EiPKDF16_fKPfEviiT3_lPKT2_lT1_lS7_lS8_lS4_lPT4_lS8_li
		.amdhsa_group_segment_fixed_size 16384
		.amdhsa_private_segment_fixed_size 0
		.amdhsa_kernarg_size 400
		.amdhsa_user_sgpr_count 2
		.amdhsa_user_sgpr_dispatch_ptr 0
		.amdhsa_user_sgpr_queue_ptr 0
		.amdhsa_user_sgpr_kernarg_segment_ptr 1
		.amdhsa_user_sgpr_dispatch_id 0
		.amdhsa_user_sgpr_kernarg_preload_length 0
		.amdhsa_user_sgpr_kernarg_preload_offset 0
		.amdhsa_user_sgpr_private_segment_size 0
		.amdhsa_uses_dynamic_stack 0
		.amdhsa_enable_private_segment 0
		.amdhsa_system_sgpr_workgroup_id_x 1
		.amdhsa_system_sgpr_workgroup_id_y 0
		.amdhsa_system_sgpr_workgroup_id_z 1
		.amdhsa_system_sgpr_workgroup_info 0
		.amdhsa_system_vgpr_workitem_id 1
		.amdhsa_next_free_vgpr 49
		.amdhsa_next_free_sgpr 39
		.amdhsa_accum_offset 52
		.amdhsa_reserve_vcc 1
		.amdhsa_float_round_mode_32 0
		.amdhsa_float_round_mode_16_64 0
		.amdhsa_float_denorm_mode_32 3
		.amdhsa_float_denorm_mode_16_64 3
		.amdhsa_dx10_clamp 1
		.amdhsa_ieee_mode 1
		.amdhsa_fp16_overflow 0
		.amdhsa_tg_split 0
		.amdhsa_exception_fp_ieee_invalid_op 0
		.amdhsa_exception_fp_denorm_src 0
		.amdhsa_exception_fp_ieee_div_zero 0
		.amdhsa_exception_fp_ieee_overflow 0
		.amdhsa_exception_fp_ieee_underflow 0
		.amdhsa_exception_fp_ieee_inexact 0
		.amdhsa_exception_int_div_zero 0
	.end_amdhsa_kernel
	.section	.text._ZL20rocblas_gemvn_kernelILi64ELi16EiPKDF16_fKPfEviiT3_lPKT2_lT1_lS7_lS8_lS4_lPT4_lS8_li,"axG",@progbits,_ZL20rocblas_gemvn_kernelILi64ELi16EiPKDF16_fKPfEviiT3_lPKT2_lT1_lS7_lS8_lS4_lPT4_lS8_li,comdat
.Lfunc_end516:
	.size	_ZL20rocblas_gemvn_kernelILi64ELi16EiPKDF16_fKPfEviiT3_lPKT2_lT1_lS7_lS8_lS4_lPT4_lS8_li, .Lfunc_end516-_ZL20rocblas_gemvn_kernelILi64ELi16EiPKDF16_fKPfEviiT3_lPKT2_lT1_lS7_lS8_lS4_lPT4_lS8_li
                                        ; -- End function
	.section	.AMDGPU.csdata,"",@progbits
; Kernel info:
; codeLenInByte = 2464
; NumSgprs: 45
; NumVgprs: 49
; NumAgprs: 0
; TotalNumVgprs: 49
; ScratchSize: 0
; MemoryBound: 0
; FloatMode: 240
; IeeeMode: 1
; LDSByteSize: 16384 bytes/workgroup (compile time only)
; SGPRBlocks: 5
; VGPRBlocks: 6
; NumSGPRsForWavesPerEU: 45
; NumVGPRsForWavesPerEU: 49
; AccumOffset: 52
; Occupancy: 8
; WaveLimiterHint : 1
; COMPUTE_PGM_RSRC2:SCRATCH_EN: 0
; COMPUTE_PGM_RSRC2:USER_SGPR: 2
; COMPUTE_PGM_RSRC2:TRAP_HANDLER: 0
; COMPUTE_PGM_RSRC2:TGID_X_EN: 1
; COMPUTE_PGM_RSRC2:TGID_Y_EN: 0
; COMPUTE_PGM_RSRC2:TGID_Z_EN: 1
; COMPUTE_PGM_RSRC2:TIDIG_COMP_CNT: 1
; COMPUTE_PGM_RSRC3_GFX90A:ACCUM_OFFSET: 12
; COMPUTE_PGM_RSRC3_GFX90A:TG_SPLIT: 0
	.section	.text._ZL20rocblas_gemvn_kernelILi64ELi16ElPKDF16_fKPfEviiT3_lPKT2_lT1_lS7_lS8_lS4_lPT4_lS8_li,"axG",@progbits,_ZL20rocblas_gemvn_kernelILi64ELi16ElPKDF16_fKPfEviiT3_lPKT2_lT1_lS7_lS8_lS4_lPT4_lS8_li,comdat
	.globl	_ZL20rocblas_gemvn_kernelILi64ELi16ElPKDF16_fKPfEviiT3_lPKT2_lT1_lS7_lS8_lS4_lPT4_lS8_li ; -- Begin function _ZL20rocblas_gemvn_kernelILi64ELi16ElPKDF16_fKPfEviiT3_lPKT2_lT1_lS7_lS8_lS4_lPT4_lS8_li
	.p2align	8
	.type	_ZL20rocblas_gemvn_kernelILi64ELi16ElPKDF16_fKPfEviiT3_lPKT2_lT1_lS7_lS8_lS4_lPT4_lS8_li,@function
_ZL20rocblas_gemvn_kernelILi64ELi16ElPKDF16_fKPfEviiT3_lPKT2_lT1_lS7_lS8_lS4_lPT4_lS8_li: ; @_ZL20rocblas_gemvn_kernelILi64ELi16ElPKDF16_fKPfEviiT3_lPKT2_lT1_lS7_lS8_lS4_lPT4_lS8_li
; %bb.0:
	s_load_dwordx2 s[4:5], s[0:1], 0x9c
	s_mov_b32 s12, s3
	s_waitcnt lgkmcnt(0)
	s_and_b32 s3, s5, 0xffff
	s_lshr_b32 s5, s4, 16
	s_and_b32 s4, s4, 0xffff
	s_mul_i32 s4, s5, s4
	s_mul_i32 s4, s4, s3
	s_cmpk_lg_i32 s4, 0x400
	s_cbranch_scc1 .LBB517_56
; %bb.1:
	s_load_dwordx4 s[8:11], s[0:1], 0x0
	s_waitcnt lgkmcnt(0)
	s_load_dword s11, s[0:1], 0x58
	v_cmp_eq_f32_e64 s[26:27], s10, 0
	s_waitcnt lgkmcnt(0)
	v_cmp_eq_f32_e64 s[4:5], s11, 1.0
	s_and_b64 s[4:5], s[26:27], s[4:5]
	s_and_b64 vcc, exec, s[4:5]
	s_cbranch_vccnz .LBB517_56
; %bb.2:
	s_load_dwordx4 s[4:7], s[0:1], 0x18
	s_load_dwordx2 s[18:19], s[0:1], 0x28
	v_cmp_neq_f32_e64 s[16:17], s10, 0
	s_mov_b32 s13, 0
	s_and_b64 vcc, exec, s[16:17]
	s_cbranch_vccnz .LBB517_4
; %bb.3:
	s_mov_b64 s[20:21], 0
	s_cbranch_execz .LBB517_5
	s_branch .LBB517_6
.LBB517_4:
                                        ; implicit-def: $sgpr20_sgpr21
.LBB517_5:
	s_lshl_b64 s[14:15], s[12:13], 3
	s_waitcnt lgkmcnt(0)
	s_add_u32 s4, s4, s14
	s_addc_u32 s5, s5, s15
	s_load_dwordx2 s[4:5], s[4:5], 0x0
	s_lshl_b64 s[6:7], s[6:7], 1
	s_waitcnt lgkmcnt(0)
	s_add_u32 s20, s4, s6
	s_addc_u32 s21, s5, s7
.LBB517_6:
	s_waitcnt lgkmcnt(0)
	s_load_dwordx4 s[4:7], s[0:1], 0x38
	s_load_dwordx2 s[22:23], s[0:1], 0x48
	s_mov_b64 s[14:15], 0
	s_andn2_b64 vcc, exec, s[16:17]
	s_mov_b64 s[24:25], 0
	s_cbranch_vccnz .LBB517_8
; %bb.7:
	s_lshl_b64 s[16:17], s[12:13], 3
	s_waitcnt lgkmcnt(0)
	s_add_u32 s4, s4, s16
	s_addc_u32 s5, s5, s17
	s_load_dwordx2 s[4:5], s[4:5], 0x0
	s_lshl_b64 s[6:7], s[6:7], 1
	s_waitcnt lgkmcnt(0)
	s_add_u32 s24, s4, s6
	s_addc_u32 s25, s5, s7
.LBB517_8:
	s_waitcnt lgkmcnt(0)
	s_load_dwordx4 s[4:7], s[0:1], 0x68
	s_load_dwordx2 s[16:17], s[0:1], 0x78
	s_lshl_b64 s[0:1], s[12:13], 3
	v_and_b32_e32 v29, 0x3ff, v0
	v_bfe_u32 v30, v0, 10, 10
	s_waitcnt lgkmcnt(0)
	s_add_u32 s0, s4, s0
	s_addc_u32 s1, s5, s1
	s_load_dwordx2 s[0:1], s[0:1], 0x0
	s_lshl_b64 s[4:5], s[6:7], 2
	v_lshl_add_u32 v28, v30, 6, v29
	s_waitcnt lgkmcnt(0)
	s_add_u32 s12, s0, s4
	s_addc_u32 s13, s1, s5
	s_andn2_b64 vcc, exec, s[26:27]
	s_cbranch_vccnz .LBB517_15
; %bb.9:
	s_movk_i32 s0, 0x100
	v_cmp_gt_u32_e32 vcc, s0, v28
	s_mov_b64 s[0:1], 0
                                        ; implicit-def: $vgpr1
                                        ; implicit-def: $vgpr2_vgpr3
	s_and_saveexec_b64 s[4:5], vcc
	s_cbranch_execz .LBB517_16
; %bb.10:
	v_lshl_or_b32 v0, s2, 8, v28
	v_mov_b32_e32 v1, 0
	s_ashr_i32 s7, s8, 31
	s_mov_b32 s6, s8
	v_cmp_gt_i64_e32 vcc, s[6:7], v[0:1]
                                        ; implicit-def: $vgpr2_vgpr3
	s_and_saveexec_b64 s[6:7], vcc
	s_cbranch_execz .LBB517_14
; %bb.11:
	v_mad_u64_u32 v[2:3], s[26:27], v0, s16, 0
	v_mov_b32_e32 v4, v3
	v_cmp_eq_f32_e64 s[14:15], s11, 0
	v_mad_u64_u32 v[4:5], s[26:27], v0, s17, v[4:5]
	v_mov_b32_e32 v3, v4
	s_and_b64 vcc, exec, s[14:15]
	s_cbranch_vccnz .LBB517_13
; %bb.12:
	v_lshl_add_u64 v[0:1], v[2:3], 2, s[12:13]
	global_load_dword v0, v[0:1], off
	s_waitcnt vmcnt(0)
	v_mul_f32_e32 v1, s11, v0
.LBB517_13:
	s_mov_b64 s[14:15], exec
.LBB517_14:
	s_or_b64 exec, exec, s[6:7]
	s_and_b64 s[14:15], s[14:15], exec
	s_or_b64 exec, exec, s[4:5]
	s_and_b64 vcc, exec, s[0:1]
	s_cbranch_vccnz .LBB517_17
	s_branch .LBB517_54
.LBB517_15:
                                        ; implicit-def: $vgpr1
                                        ; implicit-def: $vgpr2_vgpr3
	s_cbranch_execnz .LBB517_17
	s_branch .LBB517_54
.LBB517_16:
	s_or_b64 exec, exec, s[4:5]
	s_and_b64 vcc, exec, s[0:1]
	s_cbranch_vccz .LBB517_54
.LBB517_17:
	s_ashr_i32 s0, s9, 31
	s_lshr_b32 s0, s0, 26
	s_add_i32 s44, s9, s0
	s_lshl_b32 s33, s2, 8
	s_andn2_b32 s44, s44, 63
	v_lshlrev_b32_e32 v33, 2, v30
	v_add_u32_e32 v0, s33, v29
	v_cmp_gt_i32_e32 vcc, s44, v33
	v_mov_b32_e32 v35, 0
	v_mov_b32_e32 v34, 0
	;; [unrolled: 1-line block ×4, first 2 shown]
	s_and_saveexec_b64 s[26:27], vcc
	s_cbranch_execz .LBB517_29
; %bb.18:
	v_add_u32_e32 v2, 64, v0
	v_cmp_gt_i32_e64 s[0:1], s8, v2
	v_add_u32_e32 v2, 0x80, v0
	v_ashrrev_i32_e32 v1, 31, v0
	v_cmp_gt_i32_e64 s[2:3], s8, v2
	v_add_u32_e32 v2, 0xc0, v0
	v_cmp_gt_i32_e64 s[4:5], s8, v2
	v_lshlrev_b64 v[2:3], 1, v[0:1]
	v_lshlrev_b32_e32 v1, 2, v30
	v_or_b32_e32 v15, 3, v1
	v_mad_u64_u32 v[4:5], s[6:7], s18, v15, 0
	v_mov_b32_e32 v6, v5
	v_mad_u64_u32 v[6:7], s[6:7], s19, v15, v[6:7]
	v_mov_b32_e32 v5, v6
	;; [unrolled: 2-line block ×6, first 2 shown]
	v_mov_b64_e32 v[10:11], s[22:23]
	v_mad_u64_u32 v[10:11], s[6:7], s22, v1, v[10:11]
	v_mov_b32_e32 v12, v11
	v_mad_u64_u32 v[12:13], s[6:7], s23, v1, v[12:13]
	v_mov_b32_e32 v11, v12
	;; [unrolled: 2-line block ×3, first 2 shown]
	v_mad_u64_u32 v[14:15], s[6:7], s23, v15, v[14:15]
	v_or_b32_e32 v21, 2, v1
	v_mov_b32_e32 v13, v14
	v_mad_u64_u32 v[14:15], s[6:7], s18, v21, 0
	v_mov_b32_e32 v16, v15
	v_mad_u64_u32 v[16:17], s[6:7], s19, v21, v[16:17]
	v_mov_b32_e32 v15, v16
	v_mov_b64_e32 v[16:17], s[18:19]
	v_mad_u64_u32 v[16:17], s[6:7], s18, v1, v[16:17]
	v_mov_b32_e32 v18, v17
	v_mad_u64_u32 v[18:19], s[6:7], s19, v1, v[18:19]
	v_mov_b32_e32 v17, v18
	;; [unrolled: 2-line block ×4, first 2 shown]
	v_cmp_gt_i32_e32 vcc, s8, v0
	v_lshl_add_u64 v[4:5], v[4:5], 1, s[20:21]
	s_lshl_b64 s[28:29], s[18:19], 7
	v_lshlrev_b64 v[6:7], 3, v[6:7]
	s_lshl_b64 s[30:31], s[22:23], 7
	v_lshl_add_u64 v[8:9], v[8:9], 3, s[20:21]
	v_lshlrev_b64 v[10:11], 1, v[10:11]
	v_lshlrev_b64 v[12:13], 1, v[12:13]
	v_lshl_add_u64 v[14:15], v[14:15], 1, s[20:21]
	v_lshl_add_u64 v[16:17], v[16:17], 1, s[20:21]
	v_lshlrev_b64 v[18:19], 1, v[18:19]
	s_mov_b64 s[34:35], 0
	v_mov_b32_e32 v35, 0
	s_mov_b64 s[36:37], s[24:25]
	v_mov_b32_e32 v34, 0
	v_mov_b32_e32 v32, 0
	v_mov_b32_e32 v31, 0
	s_branch .LBB517_23
.LBB517_19:                             ;   in Loop: Header=BB517_23 Depth=1
	s_or_b64 exec, exec, s[42:43]
	s_waitcnt vmcnt(0) lgkmcnt(0)
	v_fma_mix_f32 v20, v47, v51, v32 op_sel_hi:[0,1,0]
	v_fma_mix_f32 v20, v48, v52, v20 op_sel_hi:[0,1,0]
	;; [unrolled: 1-line block ×4, first 2 shown]
.LBB517_20:                             ;   in Loop: Header=BB517_23 Depth=1
	s_or_b64 exec, exec, s[40:41]
	v_fma_mix_f32 v20, v47, v43, v34 op_sel_hi:[0,1,0]
	v_fma_mix_f32 v20, v48, v44, v20 op_sel_hi:[0,1,0]
	;; [unrolled: 1-line block ×4, first 2 shown]
.LBB517_21:                             ;   in Loop: Header=BB517_23 Depth=1
	s_or_b64 exec, exec, s[38:39]
	s_waitcnt vmcnt(0) lgkmcnt(0)
	v_fma_mix_f32 v1, v1, v39, v35 op_sel_hi:[1,1,0]
	s_nop 0
	v_fma_mix_f32 v1, v36, v40, v1 op_sel_hi:[1,1,0]
	s_nop 0
	;; [unrolled: 2-line block ×3, first 2 shown]
	v_fma_mix_f32 v35, v38, v42, v1 op_sel_hi:[1,1,0]
.LBB517_22:                             ;   in Loop: Header=BB517_23 Depth=1
	s_or_b64 exec, exec, s[6:7]
	v_add_u32_e32 v33, 64, v33
	s_add_u32 s36, s36, s30
	s_addc_u32 s37, s37, s31
	v_cmp_le_i32_e64 s[6:7], s44, v33
	v_lshl_add_u64 v[4:5], v[4:5], 0, s[28:29]
	v_lshl_add_u64 v[8:9], v[8:9], 0, s[28:29]
	;; [unrolled: 1-line block ×3, first 2 shown]
	s_or_b64 s[34:35], s[6:7], s[34:35]
	v_lshl_add_u64 v[16:17], v[16:17], 0, s[28:29]
	s_andn2_b64 exec, exec, s[34:35]
	s_cbranch_execz .LBB517_28
.LBB517_23:                             ; =>This Inner Loop Header: Depth=1
	s_and_saveexec_b64 s[6:7], vcc
	s_cbranch_execz .LBB517_22
; %bb.24:                               ;   in Loop: Header=BB517_23 Depth=1
	v_lshl_add_u64 v[20:21], s[36:37], 0, v[6:7]
	v_lshl_add_u64 v[22:23], s[36:37], 0, v[10:11]
	;; [unrolled: 1-line block ×4, first 2 shown]
	flat_load_ushort v1, v[20:21]
	flat_load_ushort v36, v[22:23]
	;; [unrolled: 1-line block ×4, first 2 shown]
	v_lshl_add_u64 v[20:21], v[8:9], 0, v[2:3]
	v_lshl_add_u64 v[22:23], v[16:17], 0, v[2:3]
	v_lshl_add_u64 v[24:25], v[14:15], 0, v[2:3]
	v_lshl_add_u64 v[26:27], v[4:5], 0, v[2:3]
	flat_load_ushort v39, v[20:21]
	flat_load_ushort v40, v[22:23]
	;; [unrolled: 1-line block ×4, first 2 shown]
	s_and_saveexec_b64 s[38:39], s[0:1]
	s_cbranch_execz .LBB517_21
; %bb.25:                               ;   in Loop: Header=BB517_23 Depth=1
	flat_load_ushort v43, v[20:21] offset:128
	flat_load_ushort v44, v[22:23] offset:128
	;; [unrolled: 1-line block ×4, first 2 shown]
	s_waitcnt vmcnt(0) lgkmcnt(0)
	v_cvt_f32_f16_e32 v47, v1
	v_cvt_f32_f16_e32 v48, v36
	;; [unrolled: 1-line block ×4, first 2 shown]
	s_and_saveexec_b64 s[40:41], s[2:3]
	s_cbranch_execz .LBB517_20
; %bb.26:                               ;   in Loop: Header=BB517_23 Depth=1
	flat_load_ushort v51, v[20:21] offset:256
	flat_load_ushort v52, v[22:23] offset:256
	;; [unrolled: 1-line block ×4, first 2 shown]
	s_and_saveexec_b64 s[42:43], s[4:5]
	s_cbranch_execz .LBB517_19
; %bb.27:                               ;   in Loop: Header=BB517_23 Depth=1
	flat_load_ushort v55, v[20:21] offset:384
	flat_load_ushort v56, v[22:23] offset:384
	;; [unrolled: 1-line block ×4, first 2 shown]
	s_waitcnt vmcnt(0) lgkmcnt(0)
	v_fma_mix_f32 v20, v47, v55, v31 op_sel_hi:[0,1,0]
	v_fma_mix_f32 v20, v48, v56, v20 op_sel_hi:[0,1,0]
	;; [unrolled: 1-line block ×4, first 2 shown]
	s_branch .LBB517_19
.LBB517_28:
	s_or_b64 exec, exec, s[34:35]
.LBB517_29:
	s_or_b64 exec, exec, s[26:27]
	s_sub_i32 s0, s9, s44
	s_cmp_lt_i32 s0, 1
	s_cbranch_scc1 .LBB517_47
; %bb.30:
	v_cmp_gt_i32_e32 vcc, s9, v33
	v_mov_b32_e32 v10, 0
	v_or_b32_e32 v4, 1, v33
	v_mov_b32_e32 v11, 0
	v_mov_b32_e32 v12, 0
	;; [unrolled: 1-line block ×3, first 2 shown]
	s_and_saveexec_b64 s[2:3], vcc
	s_cbranch_execz .LBB517_38
; %bb.31:
	v_mad_u64_u32 v[2:3], s[0:1], v33, s22, 0
	v_mov_b32_e32 v6, v3
	v_mad_u64_u32 v[6:7], s[0:1], v33, s23, v[6:7]
	v_mov_b32_e32 v3, v6
	v_lshl_add_u64 v[2:3], v[2:3], 1, s[24:25]
	flat_load_ushort v1, v[2:3]
	v_cmp_gt_i32_e64 s[0:1], s9, v4
	v_mov_b32_e32 v12, 0
	v_mov_b32_e32 v11, 0
	;; [unrolled: 1-line block ×3, first 2 shown]
	s_and_saveexec_b64 s[4:5], s[0:1]
	s_cbranch_execz .LBB517_37
; %bb.32:
	v_mad_u64_u32 v[2:3], s[0:1], v4, s22, 0
	v_mov_b32_e32 v6, v3
	v_mad_u64_u32 v[6:7], s[0:1], v4, s23, v[6:7]
	v_mov_b32_e32 v3, v6
	v_lshl_add_u64 v[2:3], v[2:3], 1, s[24:25]
	flat_load_ushort v2, v[2:3]
	v_or_b32_e32 v3, 2, v33
	v_cmp_gt_i32_e64 s[0:1], s9, v3
	v_mov_b32_e32 v11, 0
	v_mov_b32_e32 v10, 0
	s_and_saveexec_b64 s[6:7], s[0:1]
	s_cbranch_execz .LBB517_36
; %bb.33:
	v_mad_u64_u32 v[6:7], s[0:1], v3, s22, 0
	v_mov_b32_e32 v8, v7
	v_mad_u64_u32 v[8:9], s[0:1], v3, s23, v[8:9]
	v_mov_b32_e32 v7, v8
	v_lshl_add_u64 v[6:7], v[6:7], 1, s[24:25]
	flat_load_ushort v3, v[6:7]
	v_or_b32_e32 v5, 3, v33
	v_cmp_gt_i32_e64 s[0:1], s9, v5
	v_mov_b32_e32 v10, 0
	s_and_saveexec_b64 s[26:27], s[0:1]
	s_cbranch_execz .LBB517_35
; %bb.34:
	v_mad_u64_u32 v[6:7], s[0:1], v5, s22, 0
	v_mov_b32_e32 v8, v7
	v_mad_u64_u32 v[8:9], s[0:1], v5, s23, v[8:9]
	v_mov_b32_e32 v7, v8
	v_lshl_add_u64 v[6:7], v[6:7], 1, s[24:25]
	flat_load_ushort v5, v[6:7]
	s_waitcnt vmcnt(0) lgkmcnt(0)
	v_cvt_f32_f16_e32 v10, v5
.LBB517_35:
	s_or_b64 exec, exec, s[26:27]
	s_waitcnt vmcnt(0) lgkmcnt(0)
	v_cvt_f32_f16_e32 v11, v3
.LBB517_36:
	s_or_b64 exec, exec, s[6:7]
	s_waitcnt vmcnt(0) lgkmcnt(0)
	v_cvt_f32_f16_e32 v12, v2
.LBB517_37:
	s_or_b64 exec, exec, s[4:5]
	s_waitcnt vmcnt(0) lgkmcnt(0)
	v_cvt_f32_f16_e32 v13, v1
.LBB517_38:
	s_or_b64 exec, exec, s[2:3]
	v_cmp_gt_i32_e64 s[0:1], s8, v0
	s_and_saveexec_b64 s[2:3], s[0:1]
	s_cbranch_execz .LBB517_46
; %bb.39:
	v_mad_u64_u32 v[2:3], s[0:1], v33, s18, 0
	v_mov_b32_e32 v6, v3
	v_mad_u64_u32 v[6:7], s[0:1], v33, s19, v[6:7]
	v_ashrrev_i32_e32 v1, 31, v0
	v_cndmask_b32_e32 v3, 0, v6, vcc
	v_mad_u64_u32 v[6:7], s[0:1], v4, s18, 0
	v_cndmask_b32_e32 v2, 0, v2, vcc
	v_lshlrev_b64 v[8:9], 1, v[0:1]
	v_mov_b32_e32 v14, v7
	v_cmp_gt_i32_e32 vcc, s9, v4
	v_or_b32_e32 v1, 2, v33
	v_mad_u64_u32 v[14:15], s[0:1], v4, s19, v[14:15]
	v_cndmask_b32_e32 v4, 0, v6, vcc
	v_mad_u64_u32 v[6:7], s[0:1], v1, s18, 0
	v_cndmask_b32_e32 v5, 0, v14, vcc
	v_mov_b32_e32 v14, v7
	v_mad_u64_u32 v[14:15], s[0:1], v1, s19, v[14:15]
	v_cmp_gt_i32_e32 vcc, s9, v1
	v_or_b32_e32 v1, 3, v33
	v_lshl_add_u64 v[2:3], v[2:3], 1, s[20:21]
	v_cndmask_b32_e32 v7, 0, v14, vcc
	v_mad_u64_u32 v[14:15], s[0:1], v1, s18, 0
	v_mov_b32_e32 v16, v15
	v_cndmask_b32_e32 v6, 0, v6, vcc
	v_mad_u64_u32 v[16:17], s[0:1], v1, s19, v[16:17]
	v_cmp_gt_i32_e32 vcc, s9, v1
	v_lshl_add_u64 v[2:3], v[2:3], 0, v[8:9]
	v_lshl_add_u64 v[4:5], v[4:5], 1, s[20:21]
	v_cndmask_b32_e32 v14, 0, v14, vcc
	v_cndmask_b32_e32 v15, 0, v16, vcc
	v_lshl_add_u64 v[6:7], v[6:7], 1, s[20:21]
	v_lshl_add_u64 v[14:15], v[14:15], 1, s[20:21]
	v_lshl_add_u64 v[4:5], v[4:5], 0, v[8:9]
	v_lshl_add_u64 v[6:7], v[6:7], 0, v[8:9]
	flat_load_ushort v16, v[2:3]
	flat_load_ushort v17, v[4:5]
	flat_load_ushort v18, v[6:7]
	v_lshl_add_u64 v[8:9], v[14:15], 0, v[8:9]
	flat_load_ushort v1, v[8:9]
	v_add_u32_e32 v15, 64, v0
	v_cmp_gt_i32_e32 vcc, s8, v15
	s_waitcnt vmcnt(0) lgkmcnt(0)
	v_fma_mix_f32 v14, v13, v16, v35 op_sel_hi:[0,1,0]
	v_fma_mix_f32 v14, v12, v17, v14 op_sel_hi:[0,1,0]
	v_fma_mix_f32 v14, v11, v18, v14 op_sel_hi:[0,1,0]
	s_and_saveexec_b64 s[0:1], vcc
	s_cbranch_execz .LBB517_45
; %bb.40:
	flat_load_ushort v16, v[2:3] offset:128
	flat_load_ushort v17, v[4:5] offset:128
	flat_load_ushort v18, v[6:7] offset:128
	flat_load_ushort v15, v[8:9] offset:128
	v_add_u32_e32 v19, 0x80, v0
	v_cmp_gt_i32_e32 vcc, s8, v19
	s_waitcnt vmcnt(0) lgkmcnt(0)
	v_fma_mix_f32 v16, v13, v16, v34 op_sel_hi:[0,1,0]
	v_fma_mix_f32 v16, v12, v17, v16 op_sel_hi:[0,1,0]
	v_fma_mix_f32 v16, v11, v18, v16 op_sel_hi:[0,1,0]
	s_and_saveexec_b64 s[4:5], vcc
	s_cbranch_execz .LBB517_44
; %bb.41:
	flat_load_ushort v18, v[2:3] offset:256
	flat_load_ushort v19, v[4:5] offset:256
	flat_load_ushort v20, v[6:7] offset:256
	flat_load_ushort v17, v[8:9] offset:256
	;; [unrolled: 13-line block ×3, first 2 shown]
	s_waitcnt vmcnt(0) lgkmcnt(0)
	v_fma_mix_f32 v2, v13, v18, v31 op_sel_hi:[0,1,0]
	v_fma_mix_f32 v2, v12, v19, v2 op_sel_hi:[0,1,0]
	;; [unrolled: 1-line block ×4, first 2 shown]
.LBB517_43:
	s_or_b64 exec, exec, s[6:7]
	v_fma_mix_f32 v32, v10, v17, v0 op_sel_hi:[0,1,0]
.LBB517_44:
	s_or_b64 exec, exec, s[4:5]
	v_fma_mix_f32 v34, v10, v15, v16 op_sel_hi:[0,1,0]
.LBB517_45:
	s_or_b64 exec, exec, s[0:1]
	v_fma_mix_f32 v35, v10, v1, v14 op_sel_hi:[0,1,0]
.LBB517_46:
	s_or_b64 exec, exec, s[2:3]
.LBB517_47:
	v_lshlrev_b32_e32 v0, 8, v30
	s_movk_i32 s0, 0x100
	v_add_lshl_u32 v0, v0, v29, 2
	v_cmp_gt_u32_e32 vcc, s0, v28
	ds_write2st64_b32 v0, v35, v34 offset1:1
	ds_write2st64_b32 v0, v32, v31 offset0:2 offset1:3
	s_waitcnt lgkmcnt(0)
	s_barrier
	s_waitcnt lgkmcnt(0)
                                        ; implicit-def: $vgpr1
                                        ; implicit-def: $vgpr2_vgpr3
	s_and_saveexec_b64 s[0:1], vcc
	s_cbranch_execz .LBB517_53
; %bb.48:
	v_lshlrev_b32_e32 v10, 2, v28
	ds_read2st64_b32 v[0:1], v10 offset1:4
	ds_read2st64_b32 v[2:3], v10 offset0:8 offset1:12
	ds_read2st64_b32 v[4:5], v10 offset0:16 offset1:20
	;; [unrolled: 1-line block ×4, first 2 shown]
	s_waitcnt lgkmcnt(4)
	v_add_f32_e32 v0, v0, v1
	s_waitcnt lgkmcnt(3)
	v_add_f32_e32 v0, v2, v0
	v_add_f32_e32 v0, v3, v0
	s_waitcnt lgkmcnt(2)
	v_add_f32_e32 v0, v4, v0
	;; [unrolled: 3-line block ×3, first 2 shown]
	v_add_f32_e32 v2, v7, v0
	ds_read2st64_b32 v[0:1], v10 offset0:40 offset1:44
	s_waitcnt lgkmcnt(1)
	v_add_f32_e32 v4, v8, v2
	ds_read2st64_b32 v[2:3], v10 offset0:48 offset1:52
	v_add_f32_e32 v6, v9, v4
	ds_read2st64_b32 v[4:5], v10 offset0:56 offset1:60
	s_waitcnt lgkmcnt(2)
	v_add_f32_e32 v0, v0, v6
	v_add_f32_e32 v0, v1, v0
	s_waitcnt lgkmcnt(1)
	v_add_f32_e32 v0, v2, v0
	v_add_f32_e32 v0, v3, v0
	;; [unrolled: 3-line block ×3, first 2 shown]
	v_or_b32_e32 v0, s33, v28
	v_cmp_gt_i32_e32 vcc, s8, v0
	s_mov_b64 s[4:5], s[14:15]
	ds_write_b32 v10, v4
                                        ; implicit-def: $vgpr1
                                        ; implicit-def: $vgpr2_vgpr3
	s_and_saveexec_b64 s[2:3], vcc
	s_cbranch_execz .LBB517_52
; %bb.49:
	v_ashrrev_i32_e32 v2, 31, v0
	v_cmp_eq_f32_e64 s[4:5], s11, 0
	v_mul_f32_e32 v1, s10, v4
	v_mul_lo_u32 v4, v0, s17
	v_mul_lo_u32 v5, v2, s16
	v_mad_u64_u32 v[2:3], s[6:7], v0, s16, 0
	v_add3_u32 v3, v3, v4, v5
	s_and_b64 vcc, exec, s[4:5]
	s_cbranch_vccnz .LBB517_51
; %bb.50:
	v_lshl_add_u64 v[4:5], v[2:3], 2, s[12:13]
	global_load_dword v0, v[4:5], off
	s_waitcnt vmcnt(0)
	v_fmac_f32_e32 v1, s11, v0
.LBB517_51:
	s_or_b64 s[4:5], s[14:15], exec
.LBB517_52:
	s_or_b64 exec, exec, s[2:3]
	s_andn2_b64 s[2:3], s[14:15], exec
	s_and_b64 s[4:5], s[4:5], exec
	s_or_b64 s[14:15], s[2:3], s[4:5]
.LBB517_53:
	s_or_b64 exec, exec, s[0:1]
.LBB517_54:
	s_and_saveexec_b64 s[0:1], s[14:15]
	s_cbranch_execz .LBB517_56
; %bb.55:
	v_lshl_add_u64 v[2:3], v[2:3], 2, s[12:13]
	global_store_dword v[2:3], v1, off
.LBB517_56:
	s_endpgm
	.section	.rodata,"a",@progbits
	.p2align	6, 0x0
	.amdhsa_kernel _ZL20rocblas_gemvn_kernelILi64ELi16ElPKDF16_fKPfEviiT3_lPKT2_lT1_lS7_lS8_lS4_lPT4_lS8_li
		.amdhsa_group_segment_fixed_size 16384
		.amdhsa_private_segment_fixed_size 0
		.amdhsa_kernarg_size 400
		.amdhsa_user_sgpr_count 2
		.amdhsa_user_sgpr_dispatch_ptr 0
		.amdhsa_user_sgpr_queue_ptr 0
		.amdhsa_user_sgpr_kernarg_segment_ptr 1
		.amdhsa_user_sgpr_dispatch_id 0
		.amdhsa_user_sgpr_kernarg_preload_length 0
		.amdhsa_user_sgpr_kernarg_preload_offset 0
		.amdhsa_user_sgpr_private_segment_size 0
		.amdhsa_uses_dynamic_stack 0
		.amdhsa_enable_private_segment 0
		.amdhsa_system_sgpr_workgroup_id_x 1
		.amdhsa_system_sgpr_workgroup_id_y 0
		.amdhsa_system_sgpr_workgroup_id_z 1
		.amdhsa_system_sgpr_workgroup_info 0
		.amdhsa_system_vgpr_workitem_id 1
		.amdhsa_next_free_vgpr 59
		.amdhsa_next_free_sgpr 45
		.amdhsa_accum_offset 60
		.amdhsa_reserve_vcc 1
		.amdhsa_float_round_mode_32 0
		.amdhsa_float_round_mode_16_64 0
		.amdhsa_float_denorm_mode_32 3
		.amdhsa_float_denorm_mode_16_64 3
		.amdhsa_dx10_clamp 1
		.amdhsa_ieee_mode 1
		.amdhsa_fp16_overflow 0
		.amdhsa_tg_split 0
		.amdhsa_exception_fp_ieee_invalid_op 0
		.amdhsa_exception_fp_denorm_src 0
		.amdhsa_exception_fp_ieee_div_zero 0
		.amdhsa_exception_fp_ieee_overflow 0
		.amdhsa_exception_fp_ieee_underflow 0
		.amdhsa_exception_fp_ieee_inexact 0
		.amdhsa_exception_int_div_zero 0
	.end_amdhsa_kernel
	.section	.text._ZL20rocblas_gemvn_kernelILi64ELi16ElPKDF16_fKPfEviiT3_lPKT2_lT1_lS7_lS8_lS4_lPT4_lS8_li,"axG",@progbits,_ZL20rocblas_gemvn_kernelILi64ELi16ElPKDF16_fKPfEviiT3_lPKT2_lT1_lS7_lS8_lS4_lPT4_lS8_li,comdat
.Lfunc_end517:
	.size	_ZL20rocblas_gemvn_kernelILi64ELi16ElPKDF16_fKPfEviiT3_lPKT2_lT1_lS7_lS8_lS4_lPT4_lS8_li, .Lfunc_end517-_ZL20rocblas_gemvn_kernelILi64ELi16ElPKDF16_fKPfEviiT3_lPKT2_lT1_lS7_lS8_lS4_lPT4_lS8_li
                                        ; -- End function
	.section	.AMDGPU.csdata,"",@progbits
; Kernel info:
; codeLenInByte = 2748
; NumSgprs: 51
; NumVgprs: 59
; NumAgprs: 0
; TotalNumVgprs: 59
; ScratchSize: 0
; MemoryBound: 0
; FloatMode: 240
; IeeeMode: 1
; LDSByteSize: 16384 bytes/workgroup (compile time only)
; SGPRBlocks: 6
; VGPRBlocks: 7
; NumSGPRsForWavesPerEU: 51
; NumVGPRsForWavesPerEU: 59
; AccumOffset: 60
; Occupancy: 8
; WaveLimiterHint : 1
; COMPUTE_PGM_RSRC2:SCRATCH_EN: 0
; COMPUTE_PGM_RSRC2:USER_SGPR: 2
; COMPUTE_PGM_RSRC2:TRAP_HANDLER: 0
; COMPUTE_PGM_RSRC2:TGID_X_EN: 1
; COMPUTE_PGM_RSRC2:TGID_Y_EN: 0
; COMPUTE_PGM_RSRC2:TGID_Z_EN: 1
; COMPUTE_PGM_RSRC2:TIDIG_COMP_CNT: 1
; COMPUTE_PGM_RSRC3_GFX90A:ACCUM_OFFSET: 14
; COMPUTE_PGM_RSRC3_GFX90A:TG_SPLIT: 0
	.section	.text._ZL22rocblas_gemvtsm_kernelILb0ELi256EPKDF16_PKfKPfEviiT2_lPKT1_lilS9_lilS6_lPT3_lil,"axG",@progbits,_ZL22rocblas_gemvtsm_kernelILb0ELi256EPKDF16_PKfKPfEviiT2_lPKT1_lilS9_lilS6_lPT3_lil,comdat
	.globl	_ZL22rocblas_gemvtsm_kernelILb0ELi256EPKDF16_PKfKPfEviiT2_lPKT1_lilS9_lilS6_lPT3_lil ; -- Begin function _ZL22rocblas_gemvtsm_kernelILb0ELi256EPKDF16_PKfKPfEviiT2_lPKT1_lilS9_lilS6_lPT3_lil
	.p2align	8
	.type	_ZL22rocblas_gemvtsm_kernelILb0ELi256EPKDF16_PKfKPfEviiT2_lPKT1_lilS9_lilS6_lPT3_lil,@function
_ZL22rocblas_gemvtsm_kernelILb0ELi256EPKDF16_PKfKPfEviiT2_lPKT1_lilS9_lilS6_lPT3_lil: ; @_ZL22rocblas_gemvtsm_kernelILb0ELi256EPKDF16_PKfKPfEviiT2_lPKT1_lilS9_lilS6_lPT3_lil
; %bb.0:
	s_load_dwordx8 s[12:19], s[0:1], 0x8
	s_load_dwordx8 s[4:11], s[0:1], 0x58
	s_waitcnt lgkmcnt(0)
	s_mul_i32 s3, s2, s15
	s_mul_hi_u32 s15, s2, s14
	s_add_i32 s15, s15, s3
	s_mul_i32 s14, s2, s14
	s_lshl_b64 s[14:15], s[14:15], 2
	s_add_u32 s12, s12, s14
	s_mul_i32 s3, s2, s7
	s_mul_hi_u32 s7, s2, s6
	s_addc_u32 s13, s13, s15
	s_add_i32 s7, s7, s3
	s_mul_i32 s6, s2, s6
	s_lshl_b64 s[6:7], s[6:7], 2
	s_add_u32 s4, s4, s6
	s_addc_u32 s5, s5, s7
	s_load_dword s23, s[12:13], 0x0
	s_load_dword s22, s[4:5], 0x0
	s_waitcnt lgkmcnt(0)
	v_cmp_eq_f32_e64 s[20:21], s23, 0
	v_cmp_eq_f32_e64 s[4:5], s22, 1.0
	s_and_b64 s[4:5], s[20:21], s[4:5]
	s_and_b64 vcc, exec, s[4:5]
	s_cbranch_vccnz .LBB518_38
; %bb.1:
	s_mov_b32 s3, 0
	v_cmp_neq_f32_e64 s[12:13], s23, 0
	s_mov_b64 s[6:7], 0
	s_and_b64 vcc, exec, s[20:21]
	s_mov_b64 s[4:5], 0
	s_cbranch_vccnz .LBB518_3
; %bb.2:
	s_lshl_b64 s[4:5], s[2:3], 3
	s_add_u32 s4, s16, s4
	s_addc_u32 s5, s17, s5
	s_load_dwordx2 s[4:5], s[4:5], 0x0
	s_lshl_b64 s[14:15], s[18:19], 1
	s_waitcnt lgkmcnt(0)
	s_add_u32 s4, s4, s14
	s_addc_u32 s5, s5, s15
.LBB518_3:
	s_andn2_b64 vcc, exec, s[12:13]
	s_cbranch_vccnz .LBB518_5
; %bb.4:
	s_load_dwordx4 s[12:15], s[0:1], 0x38
	s_lshl_b64 s[6:7], s[2:3], 3
	s_waitcnt lgkmcnt(0)
	s_add_u32 s6, s12, s6
	s_addc_u32 s7, s13, s7
	s_load_dwordx2 s[6:7], s[6:7], 0x0
	s_lshl_b64 s[12:13], s[14:15], 1
	s_waitcnt lgkmcnt(0)
	s_add_u32 s6, s6, s12
	s_addc_u32 s7, s7, s13
.LBB518_5:
	s_lshl_b64 s[2:3], s[2:3], 3
	s_add_u32 s2, s8, s2
	s_addc_u32 s3, s9, s3
	s_load_dwordx2 s[12:13], s[0:1], 0x0
	s_load_dword s14, s[0:1], 0x78
	s_load_dwordx2 s[8:9], s[2:3], 0x0
	s_andn2_b64 vcc, exec, s[20:21]
	s_mov_b64 s[2:3], -1
	s_cbranch_vccnz .LBB518_20
; %bb.6:
	s_waitcnt lgkmcnt(0)
	s_cmp_gt_i32 s13, 0
	s_cselect_b64 s[16:17], -1, 0
	v_cmp_neq_f32_e64 s[2:3], s22, 0
	v_cndmask_b32_e64 v1, 0, 1, s[16:17]
	s_and_b64 vcc, exec, s[2:3]
	v_cmp_ne_u32_e64 s[2:3], 1, v1
	s_cbranch_vccnz .LBB518_13
; %bb.7:
	s_and_b64 vcc, exec, s[2:3]
	s_cbranch_vccnz .LBB518_12
; %bb.8:
	v_mad_i64_i32 v[2:3], s[16:17], s14, v0, 0
	s_ashr_i32 s15, s14, 31
	s_lshl_b64 s[16:17], s[10:11], 2
	s_add_u32 s16, s8, s16
	s_addc_u32 s17, s9, s17
	v_lshl_add_u64 v[2:3], v[2:3], 2, s[16:17]
	s_lshl_b64 s[16:17], s[14:15], 10
	s_mov_b32 s15, 0
	v_mov_b32_e32 v1, 0
	s_branch .LBB518_10
.LBB518_9:                              ;   in Loop: Header=BB518_10 Depth=1
	s_or_b64 exec, exec, s[18:19]
	s_addk_i32 s15, 0x100
	s_cmp_ge_i32 s15, s13
	v_lshl_add_u64 v[2:3], v[2:3], 0, s[16:17]
	s_cbranch_scc1 .LBB518_12
.LBB518_10:                             ; =>This Inner Loop Header: Depth=1
	v_add_u32_e32 v4, s15, v0
	v_cmp_gt_i32_e32 vcc, s13, v4
	s_and_saveexec_b64 s[18:19], vcc
	s_cbranch_execz .LBB518_9
; %bb.11:                               ;   in Loop: Header=BB518_10 Depth=1
	global_store_dword v[2:3], v1, off
	s_branch .LBB518_9
.LBB518_12:
	s_cbranch_execz .LBB518_14
	s_branch .LBB518_19
.LBB518_13:
.LBB518_14:
	s_and_b64 vcc, exec, s[2:3]
	s_cbranch_vccnz .LBB518_19
; %bb.15:
	v_mad_i64_i32 v[2:3], s[2:3], s14, v0, 0
	s_ashr_i32 s15, s14, 31
	s_lshl_b64 s[2:3], s[10:11], 2
	s_add_u32 s2, s8, s2
	s_addc_u32 s3, s9, s3
	v_lshl_add_u64 v[2:3], v[2:3], 2, s[2:3]
	s_lshl_b64 s[2:3], s[14:15], 10
	s_mov_b32 s15, 0
	s_branch .LBB518_17
.LBB518_16:                             ;   in Loop: Header=BB518_17 Depth=1
	s_or_b64 exec, exec, s[16:17]
	s_addk_i32 s15, 0x100
	s_cmp_ge_i32 s15, s13
	v_lshl_add_u64 v[2:3], v[2:3], 0, s[2:3]
	s_cbranch_scc1 .LBB518_19
.LBB518_17:                             ; =>This Inner Loop Header: Depth=1
	v_add_u32_e32 v1, s15, v0
	v_cmp_gt_i32_e32 vcc, s13, v1
	s_and_saveexec_b64 s[16:17], vcc
	s_cbranch_execz .LBB518_16
; %bb.18:                               ;   in Loop: Header=BB518_17 Depth=1
	global_load_dword v1, v[2:3], off
	s_waitcnt vmcnt(0)
	v_mul_f32_e32 v1, s22, v1
	global_store_dword v[2:3], v1, off
	s_branch .LBB518_16
.LBB518_19:
	s_mov_b64 s[2:3], 0
.LBB518_20:
	s_andn2_b64 vcc, exec, s[2:3]
	s_cbranch_vccnz .LBB518_38
; %bb.21:
	s_waitcnt lgkmcnt(0)
	v_cmp_gt_i32_e32 vcc, s12, v0
	s_and_saveexec_b64 s[2:3], vcc
	s_cbranch_execz .LBB518_23
; %bb.22:
	s_load_dword s15, s[0:1], 0x48
	s_waitcnt lgkmcnt(0)
	v_mad_i64_i32 v[2:3], s[16:17], s15, v0, 0
	v_lshl_add_u64 v[2:3], v[2:3], 1, s[6:7]
	flat_load_ushort v1, v[2:3]
	v_lshlrev_b32_e32 v2, 2, v0
	s_waitcnt vmcnt(0) lgkmcnt(0)
	v_cvt_f32_f16_e32 v1, v1
	v_mul_f32_e32 v1, s23, v1
	ds_write_b32 v2, v1
.LBB518_23:
	s_or_b64 exec, exec, s[2:3]
	s_cmp_lt_i32 s13, 1
	s_waitcnt lgkmcnt(0)
	s_barrier
	s_cbranch_scc1 .LBB518_38
; %bb.24:
	s_load_dword s0, s[0:1], 0x28
	s_lshl_b64 s[2:3], s[10:11], 2
	s_add_u32 s8, s8, s2
	s_addc_u32 s9, s9, s3
	s_ashr_i32 s15, s14, 31
	s_waitcnt lgkmcnt(0)
	s_ashr_i32 s1, s0, 31
	s_cmp_gt_i32 s12, 0
	s_cselect_b64 s[2:3], -1, 0
	s_and_b32 s20, s12, 7
	s_cmp_gt_u32 s12, 7
	s_cselect_b64 s[6:7], -1, 0
	s_and_b32 s12, s12, 0x7ffffff8
	s_cmp_lg_u32 s20, 0
	v_mad_i64_i32 v[2:3], s[16:17], s0, v0, 0
	s_cselect_b64 s[18:19], -1, 0
	s_lshl_b64 s[16:17], s[0:1], 9
	v_cmp_neq_f32_e64 s[0:1], s22, 0
	v_lshl_add_u64 v[2:3], v[2:3], 1, s[4:5]
	s_mov_b32 s11, 0
	v_cndmask_b32_e64 v1, 0, 1, s[0:1]
	v_cmp_ne_u32_e64 s[0:1], 1, v1
	v_cndmask_b32_e64 v1, 0, 1, s[2:3]
	v_cmp_ne_u32_e64 s[2:3], 1, v1
	;; [unrolled: 2-line block ×4, first 2 shown]
	s_mov_b32 s21, 0
	s_branch .LBB518_27
.LBB518_25:                             ;   in Loop: Header=BB518_27 Depth=1
	global_store_dword v[4:5], v1, off
.LBB518_26:                             ;   in Loop: Header=BB518_27 Depth=1
	s_or_b64 exec, exec, s[18:19]
	s_addk_i32 s21, 0x100
	s_cmp_ge_i32 s21, s13
	v_lshl_add_u64 v[2:3], v[2:3], 0, s[16:17]
	s_cbranch_scc1 .LBB518_38
.LBB518_27:                             ; =>This Loop Header: Depth=1
                                        ;     Child Loop BB518_33 Depth 2
                                        ;     Child Loop BB518_37 Depth 2
	v_add_u32_e32 v1, s21, v0
	v_cmp_gt_i32_e32 vcc, s13, v1
	s_and_saveexec_b64 s[18:19], vcc
	s_cbranch_execz .LBB518_26
; %bb.28:                               ;   in Loop: Header=BB518_27 Depth=1
	v_mad_u64_u32 v[4:5], s[24:25], v1, s14, 0
	v_mov_b32_e32 v6, v5
	v_mad_u64_u32 v[6:7], s[24:25], v1, s15, v[6:7]
	v_mov_b32_e32 v5, v6
	s_and_b64 vcc, exec, s[0:1]
	v_lshl_add_u64 v[4:5], v[4:5], 2, s[8:9]
	s_cbranch_vccnz .LBB518_30
; %bb.29:                               ;   in Loop: Header=BB518_27 Depth=1
	global_load_dword v1, v[4:5], off
	s_waitcnt vmcnt(0)
	v_mul_f32_e32 v1, s22, v1
	s_and_b64 vcc, exec, s[2:3]
	s_cbranch_vccz .LBB518_31
	s_branch .LBB518_25
.LBB518_30:                             ;   in Loop: Header=BB518_27 Depth=1
	v_mov_b32_e32 v1, 0
	s_and_b64 vcc, exec, s[2:3]
	s_cbranch_vccnz .LBB518_25
.LBB518_31:                             ;   in Loop: Header=BB518_27 Depth=1
	s_mov_b32 s10, 0
	s_and_b64 vcc, exec, s[4:5]
	s_cbranch_vccnz .LBB518_35
; %bb.32:                               ;   in Loop: Header=BB518_27 Depth=1
	s_mov_b32 s23, 0
	v_mov_b64_e32 v[6:7], v[2:3]
.LBB518_33:                             ;   Parent Loop BB518_27 Depth=1
                                        ; =>  This Inner Loop Header: Depth=2
	flat_load_dwordx4 v[8:11], v[6:7]
	v_mov_b32_e32 v16, s10
	ds_read_b128 v[12:15], v16
	ds_read_b128 v[16:19], v16 offset:16
	s_add_i32 s23, s23, 8
	s_add_i32 s10, s10, 32
	v_lshl_add_u64 v[6:7], v[6:7], 0, 16
	s_cmp_eq_u32 s12, s23
	s_waitcnt vmcnt(0) lgkmcnt(0)
	v_fma_mix_f32 v1, v12, v8, v1 op_sel_hi:[0,1,0]
	v_fma_mix_f32 v1, v13, v8, v1 op_sel:[0,1,0] op_sel_hi:[0,1,0]
	v_fma_mix_f32 v1, v14, v9, v1 op_sel_hi:[0,1,0]
	v_fma_mix_f32 v1, v15, v9, v1 op_sel:[0,1,0] op_sel_hi:[0,1,0]
	v_fma_mix_f32 v1, v16, v10, v1 op_sel_hi:[0,1,0]
	v_fma_mix_f32 v1, v17, v10, v1 op_sel:[0,1,0] op_sel_hi:[0,1,0]
	v_fma_mix_f32 v1, v18, v11, v1 op_sel_hi:[0,1,0]
	v_fma_mix_f32 v1, v19, v11, v1 op_sel:[0,1,0] op_sel_hi:[0,1,0]
	s_cbranch_scc0 .LBB518_33
; %bb.34:                               ;   in Loop: Header=BB518_27 Depth=1
	s_mov_b32 s10, s12
.LBB518_35:                             ;   in Loop: Header=BB518_27 Depth=1
	s_and_b64 vcc, exec, s[6:7]
	s_cbranch_vccnz .LBB518_25
; %bb.36:                               ;   in Loop: Header=BB518_27 Depth=1
	s_lshl_b32 s23, s10, 2
	s_lshl_b32 s10, s10, 1
	v_lshl_add_u64 v[6:7], v[2:3], 0, s[10:11]
	s_mov_b32 s10, s20
.LBB518_37:                             ;   Parent Loop BB518_27 Depth=1
                                        ; =>  This Inner Loop Header: Depth=2
	flat_load_ushort v8, v[6:7]
	v_mov_b32_e32 v9, s23
	ds_read_b32 v9, v9
	s_add_i32 s23, s23, 4
	s_add_i32 s10, s10, -1
	v_lshl_add_u64 v[6:7], v[6:7], 0, 2
	s_cmp_lg_u32 s10, 0
	s_waitcnt vmcnt(0) lgkmcnt(0)
	v_fma_mix_f32 v1, v9, v8, v1 op_sel_hi:[0,1,0]
	s_cbranch_scc1 .LBB518_37
	s_branch .LBB518_25
.LBB518_38:
	s_endpgm
	.section	.rodata,"a",@progbits
	.p2align	6, 0x0
	.amdhsa_kernel _ZL22rocblas_gemvtsm_kernelILb0ELi256EPKDF16_PKfKPfEviiT2_lPKT1_lilS9_lilS6_lPT3_lil
		.amdhsa_group_segment_fixed_size 256
		.amdhsa_private_segment_fixed_size 0
		.amdhsa_kernarg_size 136
		.amdhsa_user_sgpr_count 2
		.amdhsa_user_sgpr_dispatch_ptr 0
		.amdhsa_user_sgpr_queue_ptr 0
		.amdhsa_user_sgpr_kernarg_segment_ptr 1
		.amdhsa_user_sgpr_dispatch_id 0
		.amdhsa_user_sgpr_kernarg_preload_length 0
		.amdhsa_user_sgpr_kernarg_preload_offset 0
		.amdhsa_user_sgpr_private_segment_size 0
		.amdhsa_uses_dynamic_stack 0
		.amdhsa_enable_private_segment 0
		.amdhsa_system_sgpr_workgroup_id_x 1
		.amdhsa_system_sgpr_workgroup_id_y 0
		.amdhsa_system_sgpr_workgroup_id_z 0
		.amdhsa_system_sgpr_workgroup_info 0
		.amdhsa_system_vgpr_workitem_id 0
		.amdhsa_next_free_vgpr 20
		.amdhsa_next_free_sgpr 26
		.amdhsa_accum_offset 20
		.amdhsa_reserve_vcc 1
		.amdhsa_float_round_mode_32 0
		.amdhsa_float_round_mode_16_64 0
		.amdhsa_float_denorm_mode_32 3
		.amdhsa_float_denorm_mode_16_64 3
		.amdhsa_dx10_clamp 1
		.amdhsa_ieee_mode 1
		.amdhsa_fp16_overflow 0
		.amdhsa_tg_split 0
		.amdhsa_exception_fp_ieee_invalid_op 0
		.amdhsa_exception_fp_denorm_src 0
		.amdhsa_exception_fp_ieee_div_zero 0
		.amdhsa_exception_fp_ieee_overflow 0
		.amdhsa_exception_fp_ieee_underflow 0
		.amdhsa_exception_fp_ieee_inexact 0
		.amdhsa_exception_int_div_zero 0
	.end_amdhsa_kernel
	.section	.text._ZL22rocblas_gemvtsm_kernelILb0ELi256EPKDF16_PKfKPfEviiT2_lPKT1_lilS9_lilS6_lPT3_lil,"axG",@progbits,_ZL22rocblas_gemvtsm_kernelILb0ELi256EPKDF16_PKfKPfEviiT2_lPKT1_lilS9_lilS6_lPT3_lil,comdat
.Lfunc_end518:
	.size	_ZL22rocblas_gemvtsm_kernelILb0ELi256EPKDF16_PKfKPfEviiT2_lPKT1_lilS9_lilS6_lPT3_lil, .Lfunc_end518-_ZL22rocblas_gemvtsm_kernelILb0ELi256EPKDF16_PKfKPfEviiT2_lPKT1_lilS9_lilS6_lPT3_lil
                                        ; -- End function
	.section	.AMDGPU.csdata,"",@progbits
; Kernel info:
; codeLenInByte = 1216
; NumSgprs: 32
; NumVgprs: 20
; NumAgprs: 0
; TotalNumVgprs: 20
; ScratchSize: 0
; MemoryBound: 0
; FloatMode: 240
; IeeeMode: 1
; LDSByteSize: 256 bytes/workgroup (compile time only)
; SGPRBlocks: 3
; VGPRBlocks: 2
; NumSGPRsForWavesPerEU: 32
; NumVGPRsForWavesPerEU: 20
; AccumOffset: 20
; Occupancy: 8
; WaveLimiterHint : 1
; COMPUTE_PGM_RSRC2:SCRATCH_EN: 0
; COMPUTE_PGM_RSRC2:USER_SGPR: 2
; COMPUTE_PGM_RSRC2:TRAP_HANDLER: 0
; COMPUTE_PGM_RSRC2:TGID_X_EN: 1
; COMPUTE_PGM_RSRC2:TGID_Y_EN: 0
; COMPUTE_PGM_RSRC2:TGID_Z_EN: 0
; COMPUTE_PGM_RSRC2:TIDIG_COMP_CNT: 0
; COMPUTE_PGM_RSRC3_GFX90A:ACCUM_OFFSET: 4
; COMPUTE_PGM_RSRC3_GFX90A:TG_SPLIT: 0
	.section	.text._ZL22rocblas_gemvtsm_kernelILb0ELi256EPKDF16_fKPfEviiT2_lPKT1_lilS7_lilS4_lPT3_lil,"axG",@progbits,_ZL22rocblas_gemvtsm_kernelILb0ELi256EPKDF16_fKPfEviiT2_lPKT1_lilS7_lilS4_lPT3_lil,comdat
	.globl	_ZL22rocblas_gemvtsm_kernelILb0ELi256EPKDF16_fKPfEviiT2_lPKT1_lilS7_lilS4_lPT3_lil ; -- Begin function _ZL22rocblas_gemvtsm_kernelILb0ELi256EPKDF16_fKPfEviiT2_lPKT1_lilS7_lilS4_lPT3_lil
	.p2align	8
	.type	_ZL22rocblas_gemvtsm_kernelILb0ELi256EPKDF16_fKPfEviiT2_lPKT1_lilS7_lilS4_lPT3_lil,@function
_ZL22rocblas_gemvtsm_kernelILb0ELi256EPKDF16_fKPfEviiT2_lPKT1_lilS7_lilS4_lPT3_lil: ; @_ZL22rocblas_gemvtsm_kernelILb0ELi256EPKDF16_fKPfEviiT2_lPKT1_lilS7_lilS4_lPT3_lil
; %bb.0:
	s_load_dwordx4 s[8:11], s[0:1], 0x0
	s_load_dword s22, s[0:1], 0x58
	s_waitcnt lgkmcnt(0)
	v_cmp_eq_f32_e64 s[18:19], s10, 0
	v_cmp_eq_f32_e64 s[4:5], s22, 1.0
	s_and_b64 s[4:5], s[18:19], s[4:5]
	s_and_b64 vcc, exec, s[4:5]
	s_cbranch_vccnz .LBB519_41
; %bb.1:
	v_cmp_neq_f32_e64 s[4:5], s10, 0
	s_mov_b32 s3, 0
	s_and_b64 vcc, exec, s[4:5]
	s_cbranch_vccnz .LBB519_3
; %bb.2:
	s_mov_b64 s[14:15], 0
	s_cbranch_execz .LBB519_4
	s_branch .LBB519_5
.LBB519_3:
                                        ; implicit-def: $sgpr14_sgpr15
.LBB519_4:
	s_load_dwordx4 s[12:15], s[0:1], 0x18
	s_lshl_b64 s[6:7], s[2:3], 3
	s_waitcnt lgkmcnt(0)
	s_add_u32 s6, s12, s6
	s_addc_u32 s7, s13, s7
	s_load_dwordx2 s[6:7], s[6:7], 0x0
	s_lshl_b64 s[12:13], s[14:15], 1
	s_waitcnt lgkmcnt(0)
	s_add_u32 s14, s6, s12
	s_addc_u32 s15, s7, s13
.LBB519_5:
	s_andn2_b64 vcc, exec, s[4:5]
	s_cbranch_vccnz .LBB519_7
; %bb.6:
	s_load_dwordx4 s[4:7], s[0:1], 0x38
	s_lshl_b64 s[12:13], s[2:3], 3
	s_waitcnt lgkmcnt(0)
	s_add_u32 s4, s4, s12
	s_addc_u32 s5, s5, s13
	s_load_dwordx2 s[4:5], s[4:5], 0x0
	s_lshl_b64 s[6:7], s[6:7], 1
	s_waitcnt lgkmcnt(0)
	s_add_u32 s16, s4, s6
	s_addc_u32 s17, s5, s7
	s_branch .LBB519_8
.LBB519_7:
	s_mov_b64 s[16:17], 0
.LBB519_8:
	s_load_dwordx4 s[4:7], s[0:1], 0x68
	s_load_dword s12, s[0:1], 0x78
	s_lshl_b64 s[2:3], s[2:3], 3
	s_waitcnt lgkmcnt(0)
	s_add_u32 s2, s4, s2
	s_addc_u32 s3, s5, s3
	s_load_dwordx2 s[4:5], s[2:3], 0x0
	s_andn2_b64 vcc, exec, s[18:19]
	s_mov_b64 s[2:3], -1
	s_cbranch_vccnz .LBB519_23
; %bb.9:
	s_cmp_gt_i32 s9, 0
	s_cselect_b64 s[18:19], -1, 0
	v_cmp_neq_f32_e64 s[2:3], s22, 0
	v_cndmask_b32_e64 v1, 0, 1, s[18:19]
	s_and_b64 vcc, exec, s[2:3]
	v_cmp_ne_u32_e64 s[2:3], 1, v1
	s_cbranch_vccnz .LBB519_16
; %bb.10:
	s_and_b64 vcc, exec, s[2:3]
	s_cbranch_vccnz .LBB519_15
; %bb.11:
	v_mad_i64_i32 v[2:3], s[18:19], s12, v0, 0
	s_ashr_i32 s13, s12, 31
	s_lshl_b64 s[18:19], s[6:7], 2
	s_waitcnt lgkmcnt(0)
	s_add_u32 s18, s4, s18
	s_addc_u32 s19, s5, s19
	v_lshl_add_u64 v[2:3], v[2:3], 2, s[18:19]
	s_lshl_b64 s[18:19], s[12:13], 10
	s_mov_b32 s11, 0
	v_mov_b32_e32 v1, 0
	s_branch .LBB519_13
.LBB519_12:                             ;   in Loop: Header=BB519_13 Depth=1
	s_or_b64 exec, exec, s[20:21]
	s_addk_i32 s11, 0x100
	s_cmp_ge_i32 s11, s9
	v_lshl_add_u64 v[2:3], v[2:3], 0, s[18:19]
	s_cbranch_scc1 .LBB519_15
.LBB519_13:                             ; =>This Inner Loop Header: Depth=1
	v_add_u32_e32 v4, s11, v0
	v_cmp_gt_i32_e32 vcc, s9, v4
	s_and_saveexec_b64 s[20:21], vcc
	s_cbranch_execz .LBB519_12
; %bb.14:                               ;   in Loop: Header=BB519_13 Depth=1
	global_store_dword v[2:3], v1, off
	s_branch .LBB519_12
.LBB519_15:
	s_cbranch_execz .LBB519_17
	s_branch .LBB519_22
.LBB519_16:
.LBB519_17:
	s_and_b64 vcc, exec, s[2:3]
	s_cbranch_vccnz .LBB519_22
; %bb.18:
	v_mad_i64_i32 v[2:3], s[2:3], s12, v0, 0
	s_ashr_i32 s13, s12, 31
	s_lshl_b64 s[2:3], s[6:7], 2
	s_waitcnt lgkmcnt(0)
	s_add_u32 s2, s4, s2
	s_addc_u32 s3, s5, s3
	v_lshl_add_u64 v[2:3], v[2:3], 2, s[2:3]
	s_lshl_b64 s[2:3], s[12:13], 10
	s_mov_b32 s11, 0
	s_branch .LBB519_20
.LBB519_19:                             ;   in Loop: Header=BB519_20 Depth=1
	s_or_b64 exec, exec, s[18:19]
	s_addk_i32 s11, 0x100
	s_cmp_ge_i32 s11, s9
	v_lshl_add_u64 v[2:3], v[2:3], 0, s[2:3]
	s_cbranch_scc1 .LBB519_22
.LBB519_20:                             ; =>This Inner Loop Header: Depth=1
	v_add_u32_e32 v1, s11, v0
	v_cmp_gt_i32_e32 vcc, s9, v1
	s_and_saveexec_b64 s[18:19], vcc
	s_cbranch_execz .LBB519_19
; %bb.21:                               ;   in Loop: Header=BB519_20 Depth=1
	global_load_dword v1, v[2:3], off
	s_waitcnt vmcnt(0)
	v_mul_f32_e32 v1, s22, v1
	global_store_dword v[2:3], v1, off
	s_branch .LBB519_19
.LBB519_22:
	s_mov_b64 s[2:3], 0
.LBB519_23:
	s_andn2_b64 vcc, exec, s[2:3]
	s_cbranch_vccnz .LBB519_41
; %bb.24:
	v_cmp_gt_i32_e32 vcc, s8, v0
	s_and_saveexec_b64 s[2:3], vcc
	s_cbranch_execz .LBB519_26
; %bb.25:
	s_load_dword s11, s[0:1], 0x48
	s_waitcnt lgkmcnt(0)
	v_mad_i64_i32 v[2:3], s[18:19], s11, v0, 0
	v_lshl_add_u64 v[2:3], v[2:3], 1, s[16:17]
	flat_load_ushort v1, v[2:3]
	v_lshlrev_b32_e32 v2, 2, v0
	s_waitcnt vmcnt(0) lgkmcnt(0)
	v_cvt_f32_f16_e32 v1, v1
	v_mul_f32_e32 v1, s10, v1
	ds_write_b32 v2, v1
.LBB519_26:
	s_or_b64 exec, exec, s[2:3]
	s_cmp_lt_i32 s9, 1
	s_waitcnt lgkmcnt(0)
	s_barrier
	s_cbranch_scc1 .LBB519_41
; %bb.27:
	s_load_dword s0, s[0:1], 0x28
	s_lshl_b64 s[2:3], s[6:7], 2
	s_add_u32 s10, s4, s2
	s_addc_u32 s11, s5, s3
	s_ashr_i32 s13, s12, 31
	s_waitcnt lgkmcnt(0)
	s_ashr_i32 s1, s0, 31
	s_cmp_gt_i32 s8, 0
	s_cselect_b64 s[2:3], -1, 0
	s_and_b32 s20, s8, 7
	s_cmp_gt_u32 s8, 7
	s_cselect_b64 s[4:5], -1, 0
	s_and_b32 s8, s8, 0x7ffffff8
	s_cmp_lg_u32 s20, 0
	v_mad_i64_i32 v[2:3], s[18:19], s0, v0, 0
	s_cselect_b64 s[6:7], -1, 0
	v_lshl_add_u64 v[2:3], v[2:3], 1, s[14:15]
	s_lshl_b64 s[14:15], s[0:1], 9
	v_cmp_neq_f32_e64 s[0:1], s22, 0
	s_mov_b32 s17, 0
	s_mov_b32 s21, 0
	v_cndmask_b32_e64 v1, 0, 1, s[0:1]
	v_cmp_ne_u32_e64 s[0:1], 1, v1
	v_cndmask_b32_e64 v1, 0, 1, s[2:3]
	v_cmp_ne_u32_e64 s[2:3], 1, v1
	;; [unrolled: 2-line block ×4, first 2 shown]
	s_branch .LBB519_30
.LBB519_28:                             ;   in Loop: Header=BB519_30 Depth=1
	global_store_dword v[4:5], v1, off
.LBB519_29:                             ;   in Loop: Header=BB519_30 Depth=1
	s_or_b64 exec, exec, s[18:19]
	s_addk_i32 s21, 0x100
	s_cmp_ge_i32 s21, s9
	v_lshl_add_u64 v[2:3], v[2:3], 0, s[14:15]
	s_cbranch_scc1 .LBB519_41
.LBB519_30:                             ; =>This Loop Header: Depth=1
                                        ;     Child Loop BB519_36 Depth 2
                                        ;     Child Loop BB519_40 Depth 2
	v_add_u32_e32 v1, s21, v0
	v_cmp_gt_i32_e32 vcc, s9, v1
	s_and_saveexec_b64 s[18:19], vcc
	s_cbranch_execz .LBB519_29
; %bb.31:                               ;   in Loop: Header=BB519_30 Depth=1
	v_mad_u64_u32 v[4:5], s[24:25], v1, s12, 0
	v_mov_b32_e32 v6, v5
	v_mad_u64_u32 v[6:7], s[24:25], v1, s13, v[6:7]
	v_mov_b32_e32 v5, v6
	s_and_b64 vcc, exec, s[0:1]
	v_lshl_add_u64 v[4:5], v[4:5], 2, s[10:11]
	s_cbranch_vccnz .LBB519_33
; %bb.32:                               ;   in Loop: Header=BB519_30 Depth=1
	global_load_dword v1, v[4:5], off
	s_waitcnt vmcnt(0)
	v_mul_f32_e32 v1, s22, v1
	s_and_b64 vcc, exec, s[2:3]
	s_cbranch_vccz .LBB519_34
	s_branch .LBB519_28
.LBB519_33:                             ;   in Loop: Header=BB519_30 Depth=1
	v_mov_b32_e32 v1, 0
	s_and_b64 vcc, exec, s[2:3]
	s_cbranch_vccnz .LBB519_28
.LBB519_34:                             ;   in Loop: Header=BB519_30 Depth=1
	s_mov_b32 s16, 0
	s_and_b64 vcc, exec, s[4:5]
	s_cbranch_vccnz .LBB519_38
; %bb.35:                               ;   in Loop: Header=BB519_30 Depth=1
	s_mov_b32 s23, 0
	v_mov_b64_e32 v[6:7], v[2:3]
.LBB519_36:                             ;   Parent Loop BB519_30 Depth=1
                                        ; =>  This Inner Loop Header: Depth=2
	flat_load_dwordx4 v[8:11], v[6:7]
	v_mov_b32_e32 v16, s16
	ds_read_b128 v[12:15], v16
	ds_read_b128 v[16:19], v16 offset:16
	s_add_i32 s23, s23, 8
	s_add_i32 s16, s16, 32
	v_lshl_add_u64 v[6:7], v[6:7], 0, 16
	s_cmp_eq_u32 s8, s23
	s_waitcnt vmcnt(0) lgkmcnt(0)
	v_fma_mix_f32 v1, v12, v8, v1 op_sel_hi:[0,1,0]
	v_fma_mix_f32 v1, v13, v8, v1 op_sel:[0,1,0] op_sel_hi:[0,1,0]
	v_fma_mix_f32 v1, v14, v9, v1 op_sel_hi:[0,1,0]
	v_fma_mix_f32 v1, v15, v9, v1 op_sel:[0,1,0] op_sel_hi:[0,1,0]
	;; [unrolled: 2-line block ×4, first 2 shown]
	s_cbranch_scc0 .LBB519_36
; %bb.37:                               ;   in Loop: Header=BB519_30 Depth=1
	s_mov_b32 s16, s8
.LBB519_38:                             ;   in Loop: Header=BB519_30 Depth=1
	s_and_b64 vcc, exec, s[6:7]
	s_cbranch_vccnz .LBB519_28
; %bb.39:                               ;   in Loop: Header=BB519_30 Depth=1
	s_lshl_b32 s23, s16, 2
	s_lshl_b32 s16, s16, 1
	v_lshl_add_u64 v[6:7], v[2:3], 0, s[16:17]
	s_mov_b32 s16, s20
.LBB519_40:                             ;   Parent Loop BB519_30 Depth=1
                                        ; =>  This Inner Loop Header: Depth=2
	flat_load_ushort v8, v[6:7]
	v_mov_b32_e32 v9, s23
	ds_read_b32 v9, v9
	s_add_i32 s23, s23, 4
	s_add_i32 s16, s16, -1
	v_lshl_add_u64 v[6:7], v[6:7], 0, 2
	s_cmp_lg_u32 s16, 0
	s_waitcnt vmcnt(0) lgkmcnt(0)
	v_fma_mix_f32 v1, v9, v8, v1 op_sel_hi:[0,1,0]
	s_cbranch_scc1 .LBB519_40
	s_branch .LBB519_28
.LBB519_41:
	s_endpgm
	.section	.rodata,"a",@progbits
	.p2align	6, 0x0
	.amdhsa_kernel _ZL22rocblas_gemvtsm_kernelILb0ELi256EPKDF16_fKPfEviiT2_lPKT1_lilS7_lilS4_lPT3_lil
		.amdhsa_group_segment_fixed_size 256
		.amdhsa_private_segment_fixed_size 0
		.amdhsa_kernarg_size 136
		.amdhsa_user_sgpr_count 2
		.amdhsa_user_sgpr_dispatch_ptr 0
		.amdhsa_user_sgpr_queue_ptr 0
		.amdhsa_user_sgpr_kernarg_segment_ptr 1
		.amdhsa_user_sgpr_dispatch_id 0
		.amdhsa_user_sgpr_kernarg_preload_length 0
		.amdhsa_user_sgpr_kernarg_preload_offset 0
		.amdhsa_user_sgpr_private_segment_size 0
		.amdhsa_uses_dynamic_stack 0
		.amdhsa_enable_private_segment 0
		.amdhsa_system_sgpr_workgroup_id_x 1
		.amdhsa_system_sgpr_workgroup_id_y 0
		.amdhsa_system_sgpr_workgroup_id_z 0
		.amdhsa_system_sgpr_workgroup_info 0
		.amdhsa_system_vgpr_workitem_id 0
		.amdhsa_next_free_vgpr 20
		.amdhsa_next_free_sgpr 26
		.amdhsa_accum_offset 20
		.amdhsa_reserve_vcc 1
		.amdhsa_float_round_mode_32 0
		.amdhsa_float_round_mode_16_64 0
		.amdhsa_float_denorm_mode_32 3
		.amdhsa_float_denorm_mode_16_64 3
		.amdhsa_dx10_clamp 1
		.amdhsa_ieee_mode 1
		.amdhsa_fp16_overflow 0
		.amdhsa_tg_split 0
		.amdhsa_exception_fp_ieee_invalid_op 0
		.amdhsa_exception_fp_denorm_src 0
		.amdhsa_exception_fp_ieee_div_zero 0
		.amdhsa_exception_fp_ieee_overflow 0
		.amdhsa_exception_fp_ieee_underflow 0
		.amdhsa_exception_fp_ieee_inexact 0
		.amdhsa_exception_int_div_zero 0
	.end_amdhsa_kernel
	.section	.text._ZL22rocblas_gemvtsm_kernelILb0ELi256EPKDF16_fKPfEviiT2_lPKT1_lilS7_lilS4_lPT3_lil,"axG",@progbits,_ZL22rocblas_gemvtsm_kernelILb0ELi256EPKDF16_fKPfEviiT2_lPKT1_lilS7_lilS4_lPT3_lil,comdat
.Lfunc_end519:
	.size	_ZL22rocblas_gemvtsm_kernelILb0ELi256EPKDF16_fKPfEviiT2_lPKT1_lilS7_lilS4_lPT3_lil, .Lfunc_end519-_ZL22rocblas_gemvtsm_kernelILb0ELi256EPKDF16_fKPfEviiT2_lPKT1_lilS7_lilS4_lPT3_lil
                                        ; -- End function
	.section	.AMDGPU.csdata,"",@progbits
; Kernel info:
; codeLenInByte = 1168
; NumSgprs: 32
; NumVgprs: 20
; NumAgprs: 0
; TotalNumVgprs: 20
; ScratchSize: 0
; MemoryBound: 0
; FloatMode: 240
; IeeeMode: 1
; LDSByteSize: 256 bytes/workgroup (compile time only)
; SGPRBlocks: 3
; VGPRBlocks: 2
; NumSGPRsForWavesPerEU: 32
; NumVGPRsForWavesPerEU: 20
; AccumOffset: 20
; Occupancy: 8
; WaveLimiterHint : 1
; COMPUTE_PGM_RSRC2:SCRATCH_EN: 0
; COMPUTE_PGM_RSRC2:USER_SGPR: 2
; COMPUTE_PGM_RSRC2:TRAP_HANDLER: 0
; COMPUTE_PGM_RSRC2:TGID_X_EN: 1
; COMPUTE_PGM_RSRC2:TGID_Y_EN: 0
; COMPUTE_PGM_RSRC2:TGID_Z_EN: 0
; COMPUTE_PGM_RSRC2:TIDIG_COMP_CNT: 0
; COMPUTE_PGM_RSRC3_GFX90A:ACCUM_OFFSET: 4
; COMPUTE_PGM_RSRC3_GFX90A:TG_SPLIT: 0
	.section	.text._ZL23rocblas_gemvt_sn_reduceILi256ELi8EfPKfKPfEviT2_lPT3_lilPT1_i,"axG",@progbits,_ZL23rocblas_gemvt_sn_reduceILi256ELi8EfPKfKPfEviT2_lPT3_lilPT1_i,comdat
	.globl	_ZL23rocblas_gemvt_sn_reduceILi256ELi8EfPKfKPfEviT2_lPT3_lilPT1_i ; -- Begin function _ZL23rocblas_gemvt_sn_reduceILi256ELi8EfPKfKPfEviT2_lPT3_lilPT1_i
	.p2align	8
	.type	_ZL23rocblas_gemvt_sn_reduceILi256ELi8EfPKfKPfEviT2_lPT3_lilPT1_i,@function
_ZL23rocblas_gemvt_sn_reduceILi256ELi8EfPKfKPfEviT2_lPT3_lilPT1_i: ; @_ZL23rocblas_gemvt_sn_reduceILi256ELi8EfPKfKPfEviT2_lPT3_lilPT1_i
; %bb.0:
	s_load_dword s18, s[0:1], 0x0
	s_load_dwordx8 s[8:15], s[0:1], 0x8
	s_mov_b32 s5, 0
	s_lshl_b64 s[6:7], s[4:5], 3
	v_lshlrev_b32_e32 v1, 3, v0
	s_waitcnt lgkmcnt(0)
	s_ashr_i32 s19, s18, 31
	s_add_u32 s6, s12, s6
	s_mul_i32 s2, s4, s11
	s_mul_hi_u32 s11, s4, s10
	s_addc_u32 s7, s13, s7
	s_add_i32 s11, s11, s2
	s_mul_i32 s10, s4, s10
	s_lshl_b64 s[12:13], s[10:11], 2
	s_load_dwordx2 s[6:7], s[6:7], 0x0
	s_add_u32 s8, s8, s12
	s_load_dwordx2 s[10:11], s[0:1], 0x38
	s_load_dword s12, s[0:1], 0x4c
	s_addc_u32 s9, s9, s13
	s_add_u32 s16, s0, 0x48
	s_addc_u32 s17, s1, 0
	s_load_dword s2, s[8:9], 0x0
	s_waitcnt lgkmcnt(0)
	s_mul_i32 s4, s12, s4
	s_add_i32 s4, s4, s3
	s_mul_i32 s8, s4, s19
	s_mul_hi_u32 s9, s4, s18
	s_add_i32 s9, s9, s8
	s_mul_i32 s8, s4, s18
	s_lshr_b32 s4, s19, 29
	s_add_i32 s4, s18, s4
	s_and_b32 s19, s4, -8
	v_cmp_gt_i32_e32 vcc, s19, v1
	v_mov_b32_e32 v3, 0
	s_and_saveexec_b64 s[12:13], vcc
	s_cbranch_execz .LBB520_4
; %bb.1:
	s_load_dword s4, s[16:17], 0xc
	s_lshl_b64 s[16:17], s[8:9], 2
	v_lshlrev_b32_e32 v2, 5, v0
	v_mov_b32_e32 v3, 0
	s_waitcnt lgkmcnt(0)
	s_and_b32 s4, s4, 0xffff
	s_lshl_b32 s20, s4, 3
	s_add_u32 s16, s10, s16
	s_addc_u32 s17, s11, s17
	v_lshl_add_u64 v[4:5], s[16:17], 0, v[2:3]
	s_lshl_b32 s4, s4, 5
	v_lshl_add_u64 v[4:5], v[4:5], 0, 28
	s_mov_b64 s[16:17], 0
.LBB520_2:                              ; =>This Inner Loop Header: Depth=1
	global_load_dwordx4 v[6:9], v[4:5], off offset:-28
	global_load_dwordx4 v[10:13], v[4:5], off offset:-12
	v_add_u32_e32 v1, s20, v1
	v_cmp_le_i32_e32 vcc, s19, v1
	v_lshl_add_u64 v[4:5], v[4:5], 0, s[4:5]
	s_or_b64 s[16:17], vcc, s[16:17]
	s_waitcnt vmcnt(1)
	v_add_f32_e32 v2, v3, v6
	v_add_f32_e32 v2, v2, v7
	;; [unrolled: 1-line block ×4, first 2 shown]
	s_waitcnt vmcnt(0)
	v_add_f32_e32 v2, v2, v10
	v_add_f32_e32 v2, v2, v11
	;; [unrolled: 1-line block ×4, first 2 shown]
	s_andn2_b64 exec, exec, s[16:17]
	s_cbranch_execnz .LBB520_2
; %bb.3:
	s_or_b64 exec, exec, s[16:17]
.LBB520_4:
	s_or_b64 exec, exec, s[12:13]
	s_sub_i32 s4, s18, s19
	v_cmp_gt_u32_e32 vcc, s4, v0
	s_and_saveexec_b64 s[4:5], vcc
	s_cbranch_execz .LBB520_6
; %bb.5:
	s_lshl_b64 s[8:9], s[8:9], 2
	s_add_u32 s8, s10, s8
	s_addc_u32 s9, s11, s9
	v_xad_u32 v4, v0, -1, s18
	v_mov_b32_e32 v5, 0
	v_lshl_add_u64 v[4:5], v[4:5], 2, s[8:9]
	global_load_dword v1, v[4:5], off
	s_waitcnt vmcnt(0)
	v_add_f32_e32 v3, v3, v1
.LBB520_6:
	s_or_b64 exec, exec, s[4:5]
	v_and_b32_e32 v2, 63, v0
	v_cmp_gt_u32_e32 vcc, 64, v0
	v_lshlrev_b32_e32 v1, 2, v2
	s_and_saveexec_b64 s[4:5], vcc
	s_cbranch_execz .LBB520_8
; %bb.7:
	v_mov_b32_e32 v4, 0
	ds_write_b32 v1, v4
.LBB520_8:
	s_or_b64 exec, exec, s[4:5]
	v_mbcnt_lo_u32_b32 v4, -1, 0
	v_mbcnt_hi_u32_b32 v4, -1, v4
	v_and_b32_e32 v5, 63, v4
	v_cmp_gt_u32_e64 s[4:5], 32, v5
	s_waitcnt lgkmcnt(0)
	s_barrier
	v_cndmask_b32_e64 v6, 0, 1, s[4:5]
	v_lshlrev_b32_e32 v6, 5, v6
	v_add_lshl_u32 v6, v6, v4, 2
	ds_bpermute_b32 v6, v6, v3
	v_cmp_gt_u32_e64 s[4:5], 48, v5
	s_waitcnt lgkmcnt(0)
	v_add_f32_e32 v3, v3, v6
	v_cndmask_b32_e64 v7, 0, 1, s[4:5]
	v_lshlrev_b32_e32 v7, 4, v7
	v_add_lshl_u32 v6, v7, v4, 2
	ds_bpermute_b32 v6, v6, v3
	v_cmp_gt_u32_e64 s[4:5], 56, v5
	s_waitcnt lgkmcnt(0)
	v_add_f32_e32 v3, v3, v6
	;; [unrolled: 7-line block ×4, first 2 shown]
	v_cndmask_b32_e64 v7, 0, 1, s[4:5]
	v_lshlrev_b32_e32 v7, 1, v7
	v_add_lshl_u32 v3, v7, v4, 2
	ds_bpermute_b32 v7, v3, v6
	v_cmp_ne_u32_e64 s[4:5], 63, v5
	s_waitcnt lgkmcnt(0)
	v_add_f32_e32 v5, v6, v7
	v_addc_co_u32_e64 v4, s[4:5], 0, v4, s[4:5]
	v_lshlrev_b32_e32 v4, 2, v4
	ds_bpermute_b32 v6, v4, v5
	v_cmp_eq_u32_e64 s[4:5], 0, v2
	s_and_saveexec_b64 s[8:9], s[4:5]
	s_cbranch_execz .LBB520_10
; %bb.9:
	v_lshrrev_b32_e32 v2, 4, v0
	v_and_b32_e32 v2, 12, v2
	s_waitcnt lgkmcnt(0)
	v_add_f32_e32 v5, v5, v6
	ds_write_b32 v2, v5
.LBB520_10:
	s_or_b64 exec, exec, s[8:9]
	v_cmp_gt_u32_e64 s[4:5], 4, v0
	v_mov_b32_e32 v2, 0
	s_waitcnt lgkmcnt(0)
	s_barrier
	s_and_saveexec_b64 s[8:9], s[4:5]
	s_cbranch_execnz .LBB520_14
; %bb.11:
	s_or_b64 exec, exec, s[8:9]
	s_and_saveexec_b64 s[4:5], vcc
	s_cbranch_execnz .LBB520_15
.LBB520_12:
	s_or_b64 exec, exec, s[4:5]
	v_cmp_eq_u32_e32 vcc, 0, v0
	s_and_saveexec_b64 s[4:5], vcc
	s_cbranch_execnz .LBB520_16
.LBB520_13:
	s_endpgm
.LBB520_14:
	ds_read_b32 v2, v1
	s_or_b64 exec, exec, s[8:9]
	s_and_saveexec_b64 s[4:5], vcc
	s_cbranch_execz .LBB520_12
.LBB520_15:
	s_waitcnt lgkmcnt(0)
	ds_bpermute_b32 v1, v3, v2
	s_waitcnt lgkmcnt(0)
	v_add_f32_e32 v1, v2, v1
	ds_bpermute_b32 v2, v4, v1
	s_waitcnt lgkmcnt(0)
	v_add_f32_e32 v2, v1, v2
	s_or_b64 exec, exec, s[4:5]
	v_cmp_eq_u32_e32 vcc, 0, v0
	s_and_saveexec_b64 s[4:5], vcc
	s_cbranch_execz .LBB520_13
.LBB520_16:
	s_load_dword s10, s[0:1], 0x28
	s_lshl_b64 s[0:1], s[14:15], 2
	v_cmp_eq_f32_e64 s[8:9], s2, 0
	s_waitcnt lgkmcnt(0)
	s_ashr_i32 s5, s10, 31
	s_mul_hi_u32 s11, s10, s3
	s_add_u32 s4, s6, s0
	s_mul_i32 s0, s5, s3
	s_addc_u32 s5, s7, s1
	s_add_i32 s1, s11, s0
	s_mul_i32 s0, s10, s3
	s_and_b64 vcc, exec, s[8:9]
	s_cbranch_vccnz .LBB520_18
; %bb.17:
	s_lshl_b64 s[6:7], s[0:1], 2
	s_add_u32 s6, s4, s6
	s_addc_u32 s7, s5, s7
	s_load_dword s3, s[6:7], 0x0
	s_waitcnt lgkmcnt(0)
	v_mov_b32_e32 v0, s3
	v_fmac_f32_e32 v2, s2, v0
.LBB520_18:
	s_lshl_b64 s[0:1], s[0:1], 2
	s_add_u32 s0, s4, s0
	s_addc_u32 s1, s5, s1
	v_mov_b32_e32 v0, 0
	global_store_dword v0, v2, s[0:1]
	s_endpgm
	.section	.rodata,"a",@progbits
	.p2align	6, 0x0
	.amdhsa_kernel _ZL23rocblas_gemvt_sn_reduceILi256ELi8EfPKfKPfEviT2_lPT3_lilPT1_i
		.amdhsa_group_segment_fixed_size 256
		.amdhsa_private_segment_fixed_size 0
		.amdhsa_kernarg_size 328
		.amdhsa_user_sgpr_count 2
		.amdhsa_user_sgpr_dispatch_ptr 0
		.amdhsa_user_sgpr_queue_ptr 0
		.amdhsa_user_sgpr_kernarg_segment_ptr 1
		.amdhsa_user_sgpr_dispatch_id 0
		.amdhsa_user_sgpr_kernarg_preload_length 0
		.amdhsa_user_sgpr_kernarg_preload_offset 0
		.amdhsa_user_sgpr_private_segment_size 0
		.amdhsa_uses_dynamic_stack 0
		.amdhsa_enable_private_segment 0
		.amdhsa_system_sgpr_workgroup_id_x 1
		.amdhsa_system_sgpr_workgroup_id_y 1
		.amdhsa_system_sgpr_workgroup_id_z 1
		.amdhsa_system_sgpr_workgroup_info 0
		.amdhsa_system_vgpr_workitem_id 0
		.amdhsa_next_free_vgpr 14
		.amdhsa_next_free_sgpr 21
		.amdhsa_accum_offset 16
		.amdhsa_reserve_vcc 1
		.amdhsa_float_round_mode_32 0
		.amdhsa_float_round_mode_16_64 0
		.amdhsa_float_denorm_mode_32 3
		.amdhsa_float_denorm_mode_16_64 3
		.amdhsa_dx10_clamp 1
		.amdhsa_ieee_mode 1
		.amdhsa_fp16_overflow 0
		.amdhsa_tg_split 0
		.amdhsa_exception_fp_ieee_invalid_op 0
		.amdhsa_exception_fp_denorm_src 0
		.amdhsa_exception_fp_ieee_div_zero 0
		.amdhsa_exception_fp_ieee_overflow 0
		.amdhsa_exception_fp_ieee_underflow 0
		.amdhsa_exception_fp_ieee_inexact 0
		.amdhsa_exception_int_div_zero 0
	.end_amdhsa_kernel
	.section	.text._ZL23rocblas_gemvt_sn_reduceILi256ELi8EfPKfKPfEviT2_lPT3_lilPT1_i,"axG",@progbits,_ZL23rocblas_gemvt_sn_reduceILi256ELi8EfPKfKPfEviT2_lPT3_lilPT1_i,comdat
.Lfunc_end520:
	.size	_ZL23rocblas_gemvt_sn_reduceILi256ELi8EfPKfKPfEviT2_lPT3_lilPT1_i, .Lfunc_end520-_ZL23rocblas_gemvt_sn_reduceILi256ELi8EfPKfKPfEviT2_lPT3_lilPT1_i
                                        ; -- End function
	.section	.AMDGPU.csdata,"",@progbits
; Kernel info:
; codeLenInByte = 1008
; NumSgprs: 27
; NumVgprs: 14
; NumAgprs: 0
; TotalNumVgprs: 14
; ScratchSize: 0
; MemoryBound: 0
; FloatMode: 240
; IeeeMode: 1
; LDSByteSize: 256 bytes/workgroup (compile time only)
; SGPRBlocks: 3
; VGPRBlocks: 1
; NumSGPRsForWavesPerEU: 27
; NumVGPRsForWavesPerEU: 14
; AccumOffset: 16
; Occupancy: 8
; WaveLimiterHint : 1
; COMPUTE_PGM_RSRC2:SCRATCH_EN: 0
; COMPUTE_PGM_RSRC2:USER_SGPR: 2
; COMPUTE_PGM_RSRC2:TRAP_HANDLER: 0
; COMPUTE_PGM_RSRC2:TGID_X_EN: 1
; COMPUTE_PGM_RSRC2:TGID_Y_EN: 1
; COMPUTE_PGM_RSRC2:TGID_Z_EN: 1
; COMPUTE_PGM_RSRC2:TIDIG_COMP_CNT: 0
; COMPUTE_PGM_RSRC3_GFX90A:ACCUM_OFFSET: 3
; COMPUTE_PGM_RSRC3_GFX90A:TG_SPLIT: 0
	.section	.text._ZL23rocblas_gemvt_sn_reduceILi256ELi8EffKPfEviT2_lPT3_lilPT1_i,"axG",@progbits,_ZL23rocblas_gemvt_sn_reduceILi256ELi8EffKPfEviT2_lPT3_lilPT1_i,comdat
	.globl	_ZL23rocblas_gemvt_sn_reduceILi256ELi8EffKPfEviT2_lPT3_lilPT1_i ; -- Begin function _ZL23rocblas_gemvt_sn_reduceILi256ELi8EffKPfEviT2_lPT3_lilPT1_i
	.p2align	8
	.type	_ZL23rocblas_gemvt_sn_reduceILi256ELi8EffKPfEviT2_lPT3_lilPT1_i,@function
_ZL23rocblas_gemvt_sn_reduceILi256ELi8EffKPfEviT2_lPT3_lilPT1_i: ; @_ZL23rocblas_gemvt_sn_reduceILi256ELi8EffKPfEviT2_lPT3_lilPT1_i
; %bb.0:
	s_load_dwordx4 s[8:11], s[0:1], 0x10
	s_load_dwordx2 s[6:7], s[0:1], 0x0
	s_mov_b32 s5, 0
	s_lshl_b64 s[12:13], s[4:5], 3
	v_lshlrev_b32_e32 v1, 3, v0
	s_waitcnt lgkmcnt(0)
	s_add_u32 s14, s8, s12
	s_addc_u32 s15, s9, s13
	s_load_dwordx2 s[12:13], s[0:1], 0x30
	s_load_dword s2, s[0:1], 0x44
	s_load_dwordx2 s[8:9], s[14:15], 0x0
	s_ashr_i32 s16, s6, 31
	s_add_u32 s18, s0, 64
	s_addc_u32 s19, s1, 0
	s_waitcnt lgkmcnt(0)
	s_mul_i32 s2, s2, s4
	s_add_i32 s2, s2, s3
	s_mul_i32 s4, s2, s16
	s_mul_hi_u32 s14, s2, s6
	s_add_i32 s15, s14, s4
	s_mul_i32 s14, s2, s6
	s_lshr_b32 s2, s16, 29
	s_add_i32 s2, s6, s2
	s_and_b32 s2, s2, -8
	v_cmp_gt_i32_e32 vcc, s2, v1
	v_mov_b32_e32 v3, 0
	s_and_saveexec_b64 s[16:17], vcc
	s_cbranch_execz .LBB521_4
; %bb.1:
	s_load_dword s4, s[18:19], 0xc
	s_lshl_b64 s[18:19], s[14:15], 2
	v_lshlrev_b32_e32 v2, 5, v0
	v_mov_b32_e32 v3, 0
	s_waitcnt lgkmcnt(0)
	s_and_b32 s4, s4, 0xffff
	s_lshl_b32 s20, s4, 3
	s_add_u32 s18, s12, s18
	s_addc_u32 s19, s13, s19
	v_lshl_add_u64 v[4:5], s[18:19], 0, v[2:3]
	s_lshl_b32 s4, s4, 5
	v_lshl_add_u64 v[4:5], v[4:5], 0, 28
	s_mov_b64 s[18:19], 0
.LBB521_2:                              ; =>This Inner Loop Header: Depth=1
	global_load_dwordx4 v[6:9], v[4:5], off offset:-28
	global_load_dwordx4 v[10:13], v[4:5], off offset:-12
	v_add_u32_e32 v1, s20, v1
	v_cmp_le_i32_e32 vcc, s2, v1
	v_lshl_add_u64 v[4:5], v[4:5], 0, s[4:5]
	s_or_b64 s[18:19], vcc, s[18:19]
	s_waitcnt vmcnt(1)
	v_add_f32_e32 v2, v3, v6
	v_add_f32_e32 v2, v2, v7
	;; [unrolled: 1-line block ×4, first 2 shown]
	s_waitcnt vmcnt(0)
	v_add_f32_e32 v2, v2, v10
	v_add_f32_e32 v2, v2, v11
	;; [unrolled: 1-line block ×4, first 2 shown]
	s_andn2_b64 exec, exec, s[18:19]
	s_cbranch_execnz .LBB521_2
; %bb.3:
	s_or_b64 exec, exec, s[18:19]
.LBB521_4:
	s_or_b64 exec, exec, s[16:17]
	s_sub_i32 s2, s6, s2
	v_cmp_gt_u32_e32 vcc, s2, v0
	s_and_saveexec_b64 s[4:5], vcc
	s_cbranch_execz .LBB521_6
; %bb.5:
	s_lshl_b64 s[14:15], s[14:15], 2
	s_add_u32 s12, s12, s14
	s_addc_u32 s13, s13, s15
	v_xad_u32 v4, v0, -1, s6
	v_mov_b32_e32 v5, 0
	v_lshl_add_u64 v[4:5], v[4:5], 2, s[12:13]
	global_load_dword v1, v[4:5], off
	s_waitcnt vmcnt(0)
	v_add_f32_e32 v3, v3, v1
.LBB521_6:
	s_or_b64 exec, exec, s[4:5]
	v_and_b32_e32 v2, 63, v0
	v_cmp_gt_u32_e32 vcc, 64, v0
	v_lshlrev_b32_e32 v1, 2, v2
	s_and_saveexec_b64 s[4:5], vcc
	s_cbranch_execz .LBB521_8
; %bb.7:
	v_mov_b32_e32 v4, 0
	ds_write_b32 v1, v4
.LBB521_8:
	s_or_b64 exec, exec, s[4:5]
	v_mbcnt_lo_u32_b32 v4, -1, 0
	v_mbcnt_hi_u32_b32 v4, -1, v4
	v_and_b32_e32 v5, 63, v4
	v_cmp_gt_u32_e64 s[4:5], 32, v5
	s_waitcnt lgkmcnt(0)
	s_barrier
	v_cndmask_b32_e64 v6, 0, 1, s[4:5]
	v_lshlrev_b32_e32 v6, 5, v6
	v_add_lshl_u32 v6, v6, v4, 2
	ds_bpermute_b32 v6, v6, v3
	v_cmp_gt_u32_e64 s[4:5], 48, v5
	s_waitcnt lgkmcnt(0)
	v_add_f32_e32 v3, v3, v6
	v_cndmask_b32_e64 v7, 0, 1, s[4:5]
	v_lshlrev_b32_e32 v7, 4, v7
	v_add_lshl_u32 v6, v7, v4, 2
	ds_bpermute_b32 v6, v6, v3
	v_cmp_gt_u32_e64 s[4:5], 56, v5
	s_waitcnt lgkmcnt(0)
	v_add_f32_e32 v3, v3, v6
	;; [unrolled: 7-line block ×4, first 2 shown]
	v_cndmask_b32_e64 v7, 0, 1, s[4:5]
	v_lshlrev_b32_e32 v7, 1, v7
	v_add_lshl_u32 v3, v7, v4, 2
	ds_bpermute_b32 v7, v3, v6
	v_cmp_ne_u32_e64 s[4:5], 63, v5
	s_waitcnt lgkmcnt(0)
	v_add_f32_e32 v5, v6, v7
	v_addc_co_u32_e64 v4, s[4:5], 0, v4, s[4:5]
	v_lshlrev_b32_e32 v4, 2, v4
	ds_bpermute_b32 v6, v4, v5
	v_cmp_eq_u32_e64 s[4:5], 0, v2
	s_and_saveexec_b64 s[12:13], s[4:5]
	s_cbranch_execz .LBB521_10
; %bb.9:
	v_lshrrev_b32_e32 v2, 4, v0
	v_and_b32_e32 v2, 12, v2
	s_waitcnt lgkmcnt(0)
	v_add_f32_e32 v5, v5, v6
	ds_write_b32 v2, v5
.LBB521_10:
	s_or_b64 exec, exec, s[12:13]
	v_cmp_gt_u32_e64 s[4:5], 4, v0
	v_mov_b32_e32 v2, 0
	s_waitcnt lgkmcnt(0)
	s_barrier
	s_and_saveexec_b64 s[12:13], s[4:5]
	s_cbranch_execnz .LBB521_14
; %bb.11:
	s_or_b64 exec, exec, s[12:13]
	s_and_saveexec_b64 s[4:5], vcc
	s_cbranch_execnz .LBB521_15
.LBB521_12:
	s_or_b64 exec, exec, s[4:5]
	v_cmp_eq_u32_e32 vcc, 0, v0
	s_and_saveexec_b64 s[4:5], vcc
	s_cbranch_execnz .LBB521_16
.LBB521_13:
	s_endpgm
.LBB521_14:
	ds_read_b32 v2, v1
	s_or_b64 exec, exec, s[12:13]
	s_and_saveexec_b64 s[4:5], vcc
	s_cbranch_execz .LBB521_12
.LBB521_15:
	s_waitcnt lgkmcnt(0)
	ds_bpermute_b32 v1, v3, v2
	s_waitcnt lgkmcnt(0)
	v_add_f32_e32 v1, v2, v1
	ds_bpermute_b32 v2, v4, v1
	s_waitcnt lgkmcnt(0)
	v_add_f32_e32 v2, v1, v2
	s_or_b64 exec, exec, s[4:5]
	v_cmp_eq_u32_e32 vcc, 0, v0
	s_and_saveexec_b64 s[4:5], vcc
	s_cbranch_execz .LBB521_13
.LBB521_16:
	s_load_dword s5, s[0:1], 0x20
	s_lshl_b64 s[0:1], s[10:11], 2
	v_cmp_eq_f32_e64 s[10:11], s7, 0
	s_waitcnt lgkmcnt(0)
	s_ashr_i32 s4, s5, 31
	s_mul_hi_u32 s6, s5, s3
	s_add_u32 s2, s8, s0
	s_mul_i32 s0, s4, s3
	s_addc_u32 s4, s9, s1
	s_add_i32 s1, s6, s0
	s_mul_i32 s0, s5, s3
	s_and_b64 vcc, exec, s[10:11]
	s_cbranch_vccnz .LBB521_18
; %bb.17:
	s_lshl_b64 s[8:9], s[0:1], 2
	s_add_u32 s8, s2, s8
	s_addc_u32 s9, s4, s9
	s_load_dword s3, s[8:9], 0x0
	v_mov_b32_e32 v0, s7
	s_waitcnt lgkmcnt(0)
	v_fmac_f32_e32 v2, s3, v0
.LBB521_18:
	s_lshl_b64 s[0:1], s[0:1], 2
	s_add_u32 s0, s2, s0
	s_addc_u32 s1, s4, s1
	v_mov_b32_e32 v0, 0
	global_store_dword v0, v2, s[0:1]
	s_endpgm
	.section	.rodata,"a",@progbits
	.p2align	6, 0x0
	.amdhsa_kernel _ZL23rocblas_gemvt_sn_reduceILi256ELi8EffKPfEviT2_lPT3_lilPT1_i
		.amdhsa_group_segment_fixed_size 256
		.amdhsa_private_segment_fixed_size 0
		.amdhsa_kernarg_size 320
		.amdhsa_user_sgpr_count 2
		.amdhsa_user_sgpr_dispatch_ptr 0
		.amdhsa_user_sgpr_queue_ptr 0
		.amdhsa_user_sgpr_kernarg_segment_ptr 1
		.amdhsa_user_sgpr_dispatch_id 0
		.amdhsa_user_sgpr_kernarg_preload_length 0
		.amdhsa_user_sgpr_kernarg_preload_offset 0
		.amdhsa_user_sgpr_private_segment_size 0
		.amdhsa_uses_dynamic_stack 0
		.amdhsa_enable_private_segment 0
		.amdhsa_system_sgpr_workgroup_id_x 1
		.amdhsa_system_sgpr_workgroup_id_y 1
		.amdhsa_system_sgpr_workgroup_id_z 1
		.amdhsa_system_sgpr_workgroup_info 0
		.amdhsa_system_vgpr_workitem_id 0
		.amdhsa_next_free_vgpr 14
		.amdhsa_next_free_sgpr 21
		.amdhsa_accum_offset 16
		.amdhsa_reserve_vcc 1
		.amdhsa_float_round_mode_32 0
		.amdhsa_float_round_mode_16_64 0
		.amdhsa_float_denorm_mode_32 3
		.amdhsa_float_denorm_mode_16_64 3
		.amdhsa_dx10_clamp 1
		.amdhsa_ieee_mode 1
		.amdhsa_fp16_overflow 0
		.amdhsa_tg_split 0
		.amdhsa_exception_fp_ieee_invalid_op 0
		.amdhsa_exception_fp_denorm_src 0
		.amdhsa_exception_fp_ieee_div_zero 0
		.amdhsa_exception_fp_ieee_overflow 0
		.amdhsa_exception_fp_ieee_underflow 0
		.amdhsa_exception_fp_ieee_inexact 0
		.amdhsa_exception_int_div_zero 0
	.end_amdhsa_kernel
	.section	.text._ZL23rocblas_gemvt_sn_reduceILi256ELi8EffKPfEviT2_lPT3_lilPT1_i,"axG",@progbits,_ZL23rocblas_gemvt_sn_reduceILi256ELi8EffKPfEviT2_lPT3_lilPT1_i,comdat
.Lfunc_end521:
	.size	_ZL23rocblas_gemvt_sn_reduceILi256ELi8EffKPfEviT2_lPT3_lilPT1_i, .Lfunc_end521-_ZL23rocblas_gemvt_sn_reduceILi256ELi8EffKPfEviT2_lPT3_lilPT1_i
                                        ; -- End function
	.section	.AMDGPU.csdata,"",@progbits
; Kernel info:
; codeLenInByte = 968
; NumSgprs: 27
; NumVgprs: 14
; NumAgprs: 0
; TotalNumVgprs: 14
; ScratchSize: 0
; MemoryBound: 0
; FloatMode: 240
; IeeeMode: 1
; LDSByteSize: 256 bytes/workgroup (compile time only)
; SGPRBlocks: 3
; VGPRBlocks: 1
; NumSGPRsForWavesPerEU: 27
; NumVGPRsForWavesPerEU: 14
; AccumOffset: 16
; Occupancy: 8
; WaveLimiterHint : 1
; COMPUTE_PGM_RSRC2:SCRATCH_EN: 0
; COMPUTE_PGM_RSRC2:USER_SGPR: 2
; COMPUTE_PGM_RSRC2:TRAP_HANDLER: 0
; COMPUTE_PGM_RSRC2:TGID_X_EN: 1
; COMPUTE_PGM_RSRC2:TGID_Y_EN: 1
; COMPUTE_PGM_RSRC2:TGID_Z_EN: 1
; COMPUTE_PGM_RSRC2:TIDIG_COMP_CNT: 0
; COMPUTE_PGM_RSRC3_GFX90A:ACCUM_OFFSET: 3
; COMPUTE_PGM_RSRC3_GFX90A:TG_SPLIT: 0
	.section	.text._ZL32rocblas_gemvt_warp_reduce_kernelILb0ELi256EiPKDF16_PKfKPfEviiT3_lPKT2_lT1_lS9_lSA_lS6_lPT4_lSA_li,"axG",@progbits,_ZL32rocblas_gemvt_warp_reduce_kernelILb0ELi256EiPKDF16_PKfKPfEviiT3_lPKT2_lT1_lS9_lSA_lS6_lPT4_lSA_li,comdat
	.globl	_ZL32rocblas_gemvt_warp_reduce_kernelILb0ELi256EiPKDF16_PKfKPfEviiT3_lPKT2_lT1_lS9_lSA_lS6_lPT4_lSA_li ; -- Begin function _ZL32rocblas_gemvt_warp_reduce_kernelILb0ELi256EiPKDF16_PKfKPfEviiT3_lPKT2_lT1_lS9_lSA_lS6_lPT4_lSA_li
	.p2align	8
	.type	_ZL32rocblas_gemvt_warp_reduce_kernelILb0ELi256EiPKDF16_PKfKPfEviiT3_lPKT2_lT1_lS9_lSA_lS6_lPT4_lSA_li,@function
_ZL32rocblas_gemvt_warp_reduce_kernelILb0ELi256EiPKDF16_PKfKPfEviiT3_lPKT2_lT1_lS9_lSA_lS6_lPT4_lSA_li: ; @_ZL32rocblas_gemvt_warp_reduce_kernelILb0ELi256EiPKDF16_PKfKPfEviiT3_lPKT2_lT1_lS9_lSA_lS6_lPT4_lSA_li
; %bb.0:
	s_load_dwordx8 s[12:19], s[0:1], 0x8
	s_load_dwordx8 s[4:11], s[0:1], 0x58
	s_mov_b32 s20, s3
	s_waitcnt lgkmcnt(0)
	s_mul_i32 s3, s3, s15
	s_mul_hi_u32 s15, s20, s14
	s_add_i32 s15, s15, s3
	s_mul_i32 s14, s20, s14
	s_lshl_b64 s[14:15], s[14:15], 2
	s_add_u32 s12, s12, s14
	s_mul_i32 s3, s20, s7
	s_mul_hi_u32 s7, s20, s6
	s_addc_u32 s13, s13, s15
	s_add_i32 s7, s7, s3
	s_mul_i32 s6, s20, s6
	s_lshl_b64 s[6:7], s[6:7], 2
	s_add_u32 s4, s4, s6
	s_addc_u32 s5, s5, s7
	s_load_dword s22, s[12:13], 0x0
	s_load_dword s3, s[4:5], 0x0
	s_waitcnt lgkmcnt(0)
	v_cmp_eq_f32_e64 s[4:5], s22, 0
	v_cmp_eq_f32_e64 s[6:7], s3, 1.0
	s_and_b64 s[6:7], s[4:5], s[6:7]
	s_and_b64 vcc, exec, s[6:7]
	s_cbranch_vccnz .LBB522_33
; %bb.1:
	s_mov_b32 s21, 0
	v_cmp_neq_f32_e64 s[6:7], s22, 0
	s_mov_b64 s[12:13], 0
	s_and_b64 vcc, exec, s[4:5]
	s_mov_b64 s[14:15], 0
	s_cbranch_vccnz .LBB522_3
; %bb.2:
	s_lshl_b64 s[14:15], s[20:21], 3
	s_add_u32 s14, s16, s14
	s_addc_u32 s15, s17, s15
	s_load_dwordx2 s[14:15], s[14:15], 0x0
	s_lshl_b64 s[16:17], s[18:19], 1
	s_waitcnt lgkmcnt(0)
	s_add_u32 s14, s14, s16
	s_addc_u32 s15, s15, s17
.LBB522_3:
	s_andn2_b64 vcc, exec, s[6:7]
	s_cbranch_vccnz .LBB522_5
; %bb.4:
	s_load_dwordx4 s[16:19], s[0:1], 0x38
	s_lshl_b64 s[6:7], s[20:21], 3
	s_waitcnt lgkmcnt(0)
	s_add_u32 s6, s16, s6
	s_addc_u32 s7, s17, s7
	s_load_dwordx2 s[6:7], s[6:7], 0x0
	s_lshl_b64 s[12:13], s[18:19], 1
	s_waitcnt lgkmcnt(0)
	s_add_u32 s12, s6, s12
	s_addc_u32 s13, s7, s13
.LBB522_5:
	s_lshl_b64 s[6:7], s[20:21], 3
	s_add_u32 s6, s8, s6
	s_addc_u32 s7, s9, s7
	s_load_dwordx2 s[8:9], s[6:7], 0x0
	s_load_dword s20, s[0:1], 0x78
	s_lshl_b64 s[6:7], s[10:11], 2
	s_waitcnt lgkmcnt(0)
	s_add_u32 s18, s8, s6
	s_addc_u32 s19, s9, s7
	s_andn2_b64 vcc, exec, s[4:5]
	v_cmp_eq_u32_e64 s[4:5], 0, v0
	s_cbranch_vccnz .LBB522_10
; %bb.6:
	s_mov_b64 s[10:11], 0
	s_mov_b64 s[6:7], 0
                                        ; implicit-def: $vgpr1
                                        ; implicit-def: $sgpr8_sgpr9
	s_and_saveexec_b64 s[16:17], s[4:5]
	s_cbranch_execz .LBB522_11
; %bb.7:
	v_cmp_eq_f32_e64 s[4:5], s3, 0
	s_mul_i32 s8, s2, s20
	v_mov_b32_e32 v1, 0
	s_ashr_i32 s9, s8, 31
	s_and_b64 vcc, exec, s[4:5]
	s_cbranch_vccnz .LBB522_9
; %bb.8:
	s_lshl_b64 s[4:5], s[8:9], 2
	s_add_u32 s4, s18, s4
	s_addc_u32 s5, s19, s5
	s_load_dword s4, s[4:5], 0x0
	s_waitcnt lgkmcnt(0)
	v_mov_b32_e32 v1, s4
	v_mul_f32_e32 v1, s3, v1
.LBB522_9:
	s_mov_b64 s[6:7], exec
	s_or_b64 exec, exec, s[16:17]
	s_and_b64 vcc, exec, s[10:11]
	s_cbranch_vccnz .LBB522_12
	s_branch .LBB522_31
.LBB522_10:
	s_mov_b64 s[6:7], 0
                                        ; implicit-def: $vgpr1
                                        ; implicit-def: $sgpr8_sgpr9
	s_cbranch_execnz .LBB522_12
	s_branch .LBB522_31
.LBB522_11:
	s_or_b64 exec, exec, s[16:17]
	s_and_b64 vcc, exec, s[10:11]
	s_cbranch_vccz .LBB522_31
.LBB522_12:
	s_load_dword s17, s[0:1], 0x0
	s_load_dword s4, s[0:1], 0x28
	;; [unrolled: 1-line block ×3, first 2 shown]
	v_mov_b32_e32 v3, 0
	s_waitcnt lgkmcnt(0)
	v_cmp_gt_i32_e32 vcc, s17, v0
	s_mul_i32 s0, s2, s4
	s_ashr_i32 s1, s0, 31
	s_lshl_b64 s[0:1], s[0:1], 1
	v_cndmask_b32_e32 v1, 0, v0, vcc
	s_add_u32 s0, s0, s14
	v_lshlrev_b32_e32 v2, 1, v1
	s_addc_u32 s1, s1, s15
	v_lshl_add_u64 v[4:5], s[0:1], 0, v[2:3]
	s_ashr_i32 s0, s17, 31
	s_lshr_b32 s0, s0, 24
	s_add_i32 s0, s17, s0
	s_and_b32 s0, s0, 0xffffff00
	v_cmp_gt_i32_e32 vcc, s0, v0
	s_and_saveexec_b64 s[4:5], vcc
	s_cbranch_execz .LBB522_16
; %bb.13:
	v_mul_lo_u32 v6, v0, s16
	s_lshl_b32 s1, s16, 8
	s_mov_b64 s[8:9], 0
	v_mov_b32_e32 v3, 0
	s_mov_b64 s[10:11], 0x200
	v_mov_b64_e32 v[8:9], v[4:5]
	v_mov_b32_e32 v1, v0
.LBB522_14:                             ; =>This Inner Loop Header: Depth=1
	v_ashrrev_i32_e32 v7, 31, v6
	v_lshl_add_u64 v[10:11], v[6:7], 1, s[12:13]
	flat_load_ushort v2, v[8:9]
	flat_load_ushort v7, v[10:11]
	v_add_u32_e32 v1, 0x100, v1
	v_cmp_le_i32_e32 vcc, s0, v1
	v_lshl_add_u64 v[8:9], v[8:9], 0, s[10:11]
	v_add_u32_e32 v6, s1, v6
	s_or_b64 s[8:9], vcc, s[8:9]
	s_waitcnt vmcnt(0) lgkmcnt(0)
	v_mul_f16_e32 v2, v2, v7
	v_cvt_f32_f16_e32 v2, v2
	v_add_f32_e32 v3, v3, v2
	s_andn2_b64 exec, exec, s[8:9]
	s_cbranch_execnz .LBB522_14
; %bb.15:
	s_or_b64 exec, exec, s[8:9]
.LBB522_16:
	s_or_b64 exec, exec, s[4:5]
	v_add_u32_e32 v1, s0, v0
	v_cmp_gt_i32_e32 vcc, s17, v1
	s_and_saveexec_b64 s[4:5], vcc
	s_cbranch_execz .LBB522_18
; %bb.17:
	s_ashr_i32 s1, s0, 31
	v_lshl_add_u64 v[4:5], s[0:1], 1, v[4:5]
	flat_load_ushort v2, v[4:5]
	v_mul_lo_u32 v4, v1, s16
	v_ashrrev_i32_e32 v5, 31, v4
	v_lshl_add_u64 v[4:5], v[4:5], 1, s[12:13]
	flat_load_ushort v1, v[4:5]
	s_waitcnt vmcnt(0) lgkmcnt(0)
	v_mul_f16_e32 v1, v2, v1
	v_cvt_f32_f16_e32 v1, v1
	v_add_f32_e32 v3, v3, v1
.LBB522_18:
	s_or_b64 exec, exec, s[4:5]
	v_and_b32_e32 v2, 63, v0
	v_cmp_gt_u32_e32 vcc, 64, v0
	v_lshlrev_b32_e32 v1, 2, v2
	s_and_saveexec_b64 s[0:1], vcc
	s_cbranch_execz .LBB522_20
; %bb.19:
	v_mov_b32_e32 v4, 0
	ds_write_b32 v1, v4
.LBB522_20:
	s_or_b64 exec, exec, s[0:1]
	v_mbcnt_lo_u32_b32 v4, -1, 0
	v_mbcnt_hi_u32_b32 v4, -1, v4
	v_and_b32_e32 v5, 63, v4
	v_cmp_gt_u32_e64 s[0:1], 32, v5
	s_waitcnt lgkmcnt(0)
	s_barrier
	v_cndmask_b32_e64 v6, 0, 1, s[0:1]
	v_lshlrev_b32_e32 v6, 5, v6
	v_add_lshl_u32 v6, v6, v4, 2
	ds_bpermute_b32 v6, v6, v3
	v_cmp_gt_u32_e64 s[0:1], 48, v5
	s_waitcnt lgkmcnt(0)
	v_add_f32_e32 v3, v3, v6
	v_cndmask_b32_e64 v7, 0, 1, s[0:1]
	v_lshlrev_b32_e32 v7, 4, v7
	v_add_lshl_u32 v6, v7, v4, 2
	ds_bpermute_b32 v6, v6, v3
	v_cmp_gt_u32_e64 s[0:1], 56, v5
	s_waitcnt lgkmcnt(0)
	v_add_f32_e32 v3, v3, v6
	;; [unrolled: 7-line block ×4, first 2 shown]
	v_cndmask_b32_e64 v7, 0, 1, s[0:1]
	v_lshlrev_b32_e32 v7, 1, v7
	v_add_lshl_u32 v3, v7, v4, 2
	ds_bpermute_b32 v7, v3, v6
	v_cmp_ne_u32_e64 s[0:1], 63, v5
	s_waitcnt lgkmcnt(0)
	v_add_f32_e32 v5, v6, v7
	v_addc_co_u32_e64 v4, s[0:1], 0, v4, s[0:1]
	v_lshlrev_b32_e32 v4, 2, v4
	ds_bpermute_b32 v6, v4, v5
	v_cmp_eq_u32_e64 s[0:1], 0, v2
	s_and_saveexec_b64 s[4:5], s[0:1]
	s_cbranch_execz .LBB522_22
; %bb.21:
	v_lshrrev_b32_e32 v2, 4, v0
	v_and_b32_e32 v2, 12, v2
	s_waitcnt lgkmcnt(0)
	v_add_f32_e32 v5, v5, v6
	ds_write_b32 v2, v5
.LBB522_22:
	s_or_b64 exec, exec, s[4:5]
	v_cmp_gt_u32_e64 s[0:1], 4, v0
	v_mov_b32_e32 v2, 0
	s_waitcnt lgkmcnt(0)
	s_barrier
	s_and_saveexec_b64 s[4:5], s[0:1]
	s_cbranch_execz .LBB522_24
; %bb.23:
	ds_read_b32 v2, v1
	s_or_b64 exec, exec, s[4:5]
	s_and_saveexec_b64 s[0:1], vcc
	s_cbranch_execz .LBB522_26
	s_branch .LBB522_25
.LBB522_24:
	s_or_b64 exec, exec, s[4:5]
	s_and_saveexec_b64 s[0:1], vcc
	s_cbranch_execz .LBB522_26
.LBB522_25:
	s_waitcnt lgkmcnt(0)
	ds_bpermute_b32 v1, v3, v2
	s_waitcnt lgkmcnt(0)
	v_add_f32_e32 v1, v2, v1
	ds_bpermute_b32 v2, v4, v1
	s_waitcnt lgkmcnt(0)
	v_add_f32_e32 v2, v1, v2
.LBB522_26:
	s_or_b64 exec, exec, s[0:1]
	v_cmp_eq_u32_e32 vcc, 0, v0
                                        ; implicit-def: $vgpr1
                                        ; implicit-def: $sgpr8_sgpr9
	s_and_saveexec_b64 s[0:1], vcc
	s_cbranch_execz .LBB522_30
; %bb.27:
	v_cmp_eq_f32_e64 s[4:5], s3, 0
	s_mul_i32 s8, s2, s20
	s_waitcnt lgkmcnt(0)
	v_mul_f32_e32 v1, s22, v2
	s_ashr_i32 s9, s8, 31
	s_and_b64 vcc, exec, s[4:5]
	s_cbranch_vccnz .LBB522_29
; %bb.28:
	s_lshl_b64 s[4:5], s[8:9], 2
	s_add_u32 s4, s18, s4
	s_addc_u32 s5, s19, s5
	s_load_dword s2, s[4:5], 0x0
	s_waitcnt lgkmcnt(0)
	v_mov_b32_e32 v0, s2
	v_fmac_f32_e32 v1, s3, v0
.LBB522_29:
	s_or_b64 s[6:7], s[6:7], exec
.LBB522_30:
	s_or_b64 exec, exec, s[0:1]
.LBB522_31:
	s_and_saveexec_b64 s[0:1], s[6:7]
	s_cbranch_execz .LBB522_33
; %bb.32:
	s_lshl_b64 s[0:1], s[8:9], 2
	s_add_u32 s0, s18, s0
	s_addc_u32 s1, s19, s1
	v_mov_b32_e32 v0, 0
	global_store_dword v0, v1, s[0:1]
.LBB522_33:
	s_endpgm
	.section	.rodata,"a",@progbits
	.p2align	6, 0x0
	.amdhsa_kernel _ZL32rocblas_gemvt_warp_reduce_kernelILb0ELi256EiPKDF16_PKfKPfEviiT3_lPKT2_lT1_lS9_lSA_lS6_lPT4_lSA_li
		.amdhsa_group_segment_fixed_size 256
		.amdhsa_private_segment_fixed_size 0
		.amdhsa_kernarg_size 140
		.amdhsa_user_sgpr_count 2
		.amdhsa_user_sgpr_dispatch_ptr 0
		.amdhsa_user_sgpr_queue_ptr 0
		.amdhsa_user_sgpr_kernarg_segment_ptr 1
		.amdhsa_user_sgpr_dispatch_id 0
		.amdhsa_user_sgpr_kernarg_preload_length 0
		.amdhsa_user_sgpr_kernarg_preload_offset 0
		.amdhsa_user_sgpr_private_segment_size 0
		.amdhsa_uses_dynamic_stack 0
		.amdhsa_enable_private_segment 0
		.amdhsa_system_sgpr_workgroup_id_x 1
		.amdhsa_system_sgpr_workgroup_id_y 0
		.amdhsa_system_sgpr_workgroup_id_z 1
		.amdhsa_system_sgpr_workgroup_info 0
		.amdhsa_system_vgpr_workitem_id 0
		.amdhsa_next_free_vgpr 12
		.amdhsa_next_free_sgpr 23
		.amdhsa_accum_offset 12
		.amdhsa_reserve_vcc 1
		.amdhsa_float_round_mode_32 0
		.amdhsa_float_round_mode_16_64 0
		.amdhsa_float_denorm_mode_32 3
		.amdhsa_float_denorm_mode_16_64 3
		.amdhsa_dx10_clamp 1
		.amdhsa_ieee_mode 1
		.amdhsa_fp16_overflow 0
		.amdhsa_tg_split 0
		.amdhsa_exception_fp_ieee_invalid_op 0
		.amdhsa_exception_fp_denorm_src 0
		.amdhsa_exception_fp_ieee_div_zero 0
		.amdhsa_exception_fp_ieee_overflow 0
		.amdhsa_exception_fp_ieee_underflow 0
		.amdhsa_exception_fp_ieee_inexact 0
		.amdhsa_exception_int_div_zero 0
	.end_amdhsa_kernel
	.section	.text._ZL32rocblas_gemvt_warp_reduce_kernelILb0ELi256EiPKDF16_PKfKPfEviiT3_lPKT2_lT1_lS9_lSA_lS6_lPT4_lSA_li,"axG",@progbits,_ZL32rocblas_gemvt_warp_reduce_kernelILb0ELi256EiPKDF16_PKfKPfEviiT3_lPKT2_lT1_lS9_lSA_lS6_lPT4_lSA_li,comdat
.Lfunc_end522:
	.size	_ZL32rocblas_gemvt_warp_reduce_kernelILb0ELi256EiPKDF16_PKfKPfEviiT3_lPKT2_lT1_lS9_lSA_lS6_lPT4_lSA_li, .Lfunc_end522-_ZL32rocblas_gemvt_warp_reduce_kernelILb0ELi256EiPKDF16_PKfKPfEviiT3_lPKT2_lT1_lS9_lSA_lS6_lPT4_lSA_li
                                        ; -- End function
	.section	.AMDGPU.csdata,"",@progbits
; Kernel info:
; codeLenInByte = 1320
; NumSgprs: 29
; NumVgprs: 12
; NumAgprs: 0
; TotalNumVgprs: 12
; ScratchSize: 0
; MemoryBound: 0
; FloatMode: 240
; IeeeMode: 1
; LDSByteSize: 256 bytes/workgroup (compile time only)
; SGPRBlocks: 3
; VGPRBlocks: 1
; NumSGPRsForWavesPerEU: 29
; NumVGPRsForWavesPerEU: 12
; AccumOffset: 12
; Occupancy: 8
; WaveLimiterHint : 1
; COMPUTE_PGM_RSRC2:SCRATCH_EN: 0
; COMPUTE_PGM_RSRC2:USER_SGPR: 2
; COMPUTE_PGM_RSRC2:TRAP_HANDLER: 0
; COMPUTE_PGM_RSRC2:TGID_X_EN: 1
; COMPUTE_PGM_RSRC2:TGID_Y_EN: 0
; COMPUTE_PGM_RSRC2:TGID_Z_EN: 1
; COMPUTE_PGM_RSRC2:TIDIG_COMP_CNT: 0
; COMPUTE_PGM_RSRC3_GFX90A:ACCUM_OFFSET: 2
; COMPUTE_PGM_RSRC3_GFX90A:TG_SPLIT: 0
	.section	.text._ZL32rocblas_gemvt_warp_reduce_kernelILb0ELi256ElPKDF16_PKfKPfEviiT3_lPKT2_lT1_lS9_lSA_lS6_lPT4_lSA_li,"axG",@progbits,_ZL32rocblas_gemvt_warp_reduce_kernelILb0ELi256ElPKDF16_PKfKPfEviiT3_lPKT2_lT1_lS9_lSA_lS6_lPT4_lSA_li,comdat
	.globl	_ZL32rocblas_gemvt_warp_reduce_kernelILb0ELi256ElPKDF16_PKfKPfEviiT3_lPKT2_lT1_lS9_lSA_lS6_lPT4_lSA_li ; -- Begin function _ZL32rocblas_gemvt_warp_reduce_kernelILb0ELi256ElPKDF16_PKfKPfEviiT3_lPKT2_lT1_lS9_lSA_lS6_lPT4_lSA_li
	.p2align	8
	.type	_ZL32rocblas_gemvt_warp_reduce_kernelILb0ELi256ElPKDF16_PKfKPfEviiT3_lPKT2_lT1_lS9_lSA_lS6_lPT4_lSA_li,@function
_ZL32rocblas_gemvt_warp_reduce_kernelILb0ELi256ElPKDF16_PKfKPfEviiT3_lPKT2_lT1_lS9_lSA_lS6_lPT4_lSA_li: ; @_ZL32rocblas_gemvt_warp_reduce_kernelILb0ELi256ElPKDF16_PKfKPfEviiT3_lPKT2_lT1_lS9_lSA_lS6_lPT4_lSA_li
; %bb.0:
	s_load_dwordx8 s[12:19], s[0:1], 0x8
	s_load_dwordx8 s[4:11], s[0:1], 0x58
	s_mov_b32 s24, s3
	s_waitcnt lgkmcnt(0)
	s_mul_i32 s3, s3, s15
	s_mul_hi_u32 s15, s24, s14
	s_add_i32 s15, s15, s3
	s_mul_i32 s14, s24, s14
	s_lshl_b64 s[14:15], s[14:15], 2
	s_add_u32 s12, s12, s14
	s_mul_i32 s3, s24, s7
	s_mul_hi_u32 s7, s24, s6
	s_addc_u32 s13, s13, s15
	s_add_i32 s7, s7, s3
	s_mul_i32 s6, s24, s6
	s_lshl_b64 s[6:7], s[6:7], 2
	s_add_u32 s4, s4, s6
	s_addc_u32 s5, s5, s7
	s_load_dword s30, s[12:13], 0x0
	s_load_dword s3, s[4:5], 0x0
	s_waitcnt lgkmcnt(0)
	v_cmp_eq_f32_e64 s[26:27], s30, 0
	v_cmp_eq_f32_e64 s[4:5], s3, 1.0
	s_and_b64 s[4:5], s[26:27], s[4:5]
	s_and_b64 vcc, exec, s[4:5]
	s_cbranch_vccnz .LBB523_33
; %bb.1:
	s_load_dwordx2 s[20:21], s[0:1], 0x28
	s_load_dwordx2 s[12:13], s[0:1], 0x78
	s_mov_b32 s25, 0
	v_cmp_neq_f32_e64 s[28:29], s30, 0
	s_mov_b64 s[14:15], 0
	s_and_b64 vcc, exec, s[26:27]
	s_mov_b64 s[22:23], 0
	s_cbranch_vccnz .LBB523_3
; %bb.2:
	s_lshl_b64 s[4:5], s[24:25], 3
	s_add_u32 s4, s16, s4
	s_addc_u32 s5, s17, s5
	s_load_dwordx2 s[4:5], s[4:5], 0x0
	s_lshl_b64 s[6:7], s[18:19], 1
	s_waitcnt lgkmcnt(0)
	s_add_u32 s22, s4, s6
	s_addc_u32 s23, s5, s7
.LBB523_3:
	s_load_dwordx4 s[4:7], s[0:1], 0x38
	s_load_dwordx2 s[16:17], s[0:1], 0x48
	s_andn2_b64 vcc, exec, s[28:29]
	s_cbranch_vccnz .LBB523_5
; %bb.4:
	s_lshl_b64 s[14:15], s[24:25], 3
	s_waitcnt lgkmcnt(0)
	s_add_u32 s4, s4, s14
	s_addc_u32 s5, s5, s15
	s_load_dwordx2 s[4:5], s[4:5], 0x0
	s_lshl_b64 s[6:7], s[6:7], 1
	s_waitcnt lgkmcnt(0)
	s_add_u32 s14, s4, s6
	s_addc_u32 s15, s5, s7
.LBB523_5:
	s_waitcnt lgkmcnt(0)
	s_lshl_b64 s[4:5], s[24:25], 3
	s_add_u32 s4, s8, s4
	s_addc_u32 s5, s9, s5
	s_load_dwordx2 s[4:5], s[4:5], 0x0
	s_lshl_b64 s[6:7], s[10:11], 2
	s_waitcnt lgkmcnt(0)
	s_add_u32 s24, s4, s6
	s_addc_u32 s25, s5, s7
	s_andn2_b64 vcc, exec, s[26:27]
	v_cmp_eq_u32_e64 s[4:5], 0, v0
	s_cbranch_vccnz .LBB523_10
; %bb.6:
	s_mov_b64 s[10:11], 0
	s_mov_b64 s[6:7], 0
                                        ; implicit-def: $vgpr1
                                        ; implicit-def: $sgpr8_sgpr9
	s_and_saveexec_b64 s[18:19], s[4:5]
	s_cbranch_execz .LBB523_11
; %bb.7:
	s_ashr_i32 s6, s2, 31
	s_mul_i32 s7, s2, s13
	s_mul_hi_u32 s8, s2, s12
	v_cmp_eq_f32_e64 s[4:5], s3, 0
	s_add_i32 s7, s8, s7
	s_mul_i32 s6, s6, s12
	v_mov_b32_e32 v1, 0
	s_add_i32 s9, s7, s6
	s_mul_i32 s8, s2, s12
	s_and_b64 vcc, exec, s[4:5]
	s_cbranch_vccnz .LBB523_9
; %bb.8:
	s_lshl_b64 s[4:5], s[8:9], 2
	s_add_u32 s4, s24, s4
	s_addc_u32 s5, s25, s5
	s_load_dword s4, s[4:5], 0x0
	s_waitcnt lgkmcnt(0)
	v_mov_b32_e32 v1, s4
	v_mul_f32_e32 v1, s3, v1
.LBB523_9:
	s_mov_b64 s[6:7], exec
	s_or_b64 exec, exec, s[18:19]
	s_and_b64 vcc, exec, s[10:11]
	s_cbranch_vccnz .LBB523_12
	s_branch .LBB523_31
.LBB523_10:
	s_mov_b64 s[6:7], 0
                                        ; implicit-def: $vgpr1
                                        ; implicit-def: $sgpr8_sgpr9
	s_cbranch_execnz .LBB523_12
	s_branch .LBB523_31
.LBB523_11:
	s_or_b64 exec, exec, s[18:19]
	s_and_b64 vcc, exec, s[10:11]
	s_cbranch_vccz .LBB523_31
.LBB523_12:
	s_load_dword s1, s[0:1], 0x0
	s_ashr_i32 s26, s2, 31
	s_mul_i32 s0, s2, s21
	s_mul_hi_u32 s4, s2, s20
	s_add_i32 s0, s4, s0
	s_mul_i32 s4, s26, s20
	s_add_i32 s5, s0, s4
	s_mul_i32 s4, s2, s20
	s_lshl_b64 s[4:5], s[4:5], 1
	s_add_u32 s4, s4, s22
	s_addc_u32 s5, s5, s23
	s_waitcnt lgkmcnt(0)
	s_ashr_i32 s0, s1, 31
	v_cmp_gt_i32_e32 vcc, s1, v0
	s_lshr_b32 s0, s0, 24
	s_add_i32 s0, s1, s0
	v_cndmask_b32_e32 v1, 0, v0, vcc
	v_mov_b32_e32 v3, 0
	v_lshlrev_b32_e32 v2, 1, v1
	s_and_b32 s0, s0, 0xffffff00
	v_lshl_add_u64 v[4:5], s[4:5], 0, v[2:3]
	v_cmp_gt_i32_e32 vcc, s0, v0
	s_and_saveexec_b64 s[4:5], vcc
	s_cbranch_execz .LBB523_16
; %bb.13:
	v_mad_u64_u32 v[2:3], s[8:9], s16, v0, 0
	v_mov_b32_e32 v6, v3
	v_mad_u64_u32 v[6:7], s[8:9], s17, v0, v[6:7]
	v_mov_b32_e32 v3, v6
	v_lshl_add_u64 v[6:7], v[2:3], 1, s[14:15]
	s_lshl_b64 s[10:11], s[16:17], 9
	s_mov_b64 s[8:9], 0
	v_mov_b32_e32 v3, 0
	s_mov_b64 s[18:19], 0x200
	v_mov_b64_e32 v[8:9], v[4:5]
	v_mov_b32_e32 v1, v0
.LBB523_14:                             ; =>This Inner Loop Header: Depth=1
	flat_load_ushort v2, v[8:9]
	flat_load_ushort v10, v[6:7]
	v_add_u32_e32 v1, 0x100, v1
	v_cmp_le_i32_e32 vcc, s0, v1
	v_lshl_add_u64 v[8:9], v[8:9], 0, s[18:19]
	v_lshl_add_u64 v[6:7], v[6:7], 0, s[10:11]
	s_or_b64 s[8:9], vcc, s[8:9]
	s_waitcnt vmcnt(0) lgkmcnt(0)
	v_mul_f16_e32 v2, v2, v10
	v_cvt_f32_f16_e32 v2, v2
	v_add_f32_e32 v3, v3, v2
	s_andn2_b64 exec, exec, s[8:9]
	s_cbranch_execnz .LBB523_14
; %bb.15:
	s_or_b64 exec, exec, s[8:9]
.LBB523_16:
	s_or_b64 exec, exec, s[4:5]
	v_add_u32_e32 v1, s0, v0
	v_cmp_gt_i32_e32 vcc, s1, v1
	s_and_saveexec_b64 s[4:5], vcc
	s_cbranch_execz .LBB523_18
; %bb.17:
	s_ashr_i32 s1, s0, 31
	v_lshl_add_u64 v[4:5], s[0:1], 1, v[4:5]
	flat_load_ushort v2, v[4:5]
	v_ashrrev_i32_e32 v4, 31, v1
	v_mul_lo_u32 v6, v1, s17
	v_mul_lo_u32 v7, v4, s16
	v_mad_u64_u32 v[4:5], s[0:1], v1, s16, 0
	v_add3_u32 v5, v5, v6, v7
	v_lshl_add_u64 v[4:5], v[4:5], 1, s[14:15]
	flat_load_ushort v1, v[4:5]
	s_waitcnt vmcnt(0) lgkmcnt(0)
	v_mul_f16_e32 v1, v2, v1
	v_cvt_f32_f16_e32 v1, v1
	v_add_f32_e32 v3, v3, v1
.LBB523_18:
	s_or_b64 exec, exec, s[4:5]
	v_and_b32_e32 v2, 63, v0
	v_cmp_gt_u32_e32 vcc, 64, v0
	v_lshlrev_b32_e32 v1, 2, v2
	s_and_saveexec_b64 s[0:1], vcc
	s_cbranch_execz .LBB523_20
; %bb.19:
	v_mov_b32_e32 v4, 0
	ds_write_b32 v1, v4
.LBB523_20:
	s_or_b64 exec, exec, s[0:1]
	v_mbcnt_lo_u32_b32 v4, -1, 0
	v_mbcnt_hi_u32_b32 v4, -1, v4
	v_and_b32_e32 v5, 63, v4
	v_cmp_gt_u32_e64 s[0:1], 32, v5
	s_waitcnt lgkmcnt(0)
	s_barrier
	v_cndmask_b32_e64 v6, 0, 1, s[0:1]
	v_lshlrev_b32_e32 v6, 5, v6
	v_add_lshl_u32 v6, v6, v4, 2
	ds_bpermute_b32 v6, v6, v3
	v_cmp_gt_u32_e64 s[0:1], 48, v5
	s_waitcnt lgkmcnt(0)
	v_add_f32_e32 v3, v3, v6
	v_cndmask_b32_e64 v7, 0, 1, s[0:1]
	v_lshlrev_b32_e32 v7, 4, v7
	v_add_lshl_u32 v6, v7, v4, 2
	ds_bpermute_b32 v6, v6, v3
	v_cmp_gt_u32_e64 s[0:1], 56, v5
	s_waitcnt lgkmcnt(0)
	v_add_f32_e32 v3, v3, v6
	;; [unrolled: 7-line block ×4, first 2 shown]
	v_cndmask_b32_e64 v7, 0, 1, s[0:1]
	v_lshlrev_b32_e32 v7, 1, v7
	v_add_lshl_u32 v3, v7, v4, 2
	ds_bpermute_b32 v7, v3, v6
	v_cmp_ne_u32_e64 s[0:1], 63, v5
	s_waitcnt lgkmcnt(0)
	v_add_f32_e32 v5, v6, v7
	v_addc_co_u32_e64 v4, s[0:1], 0, v4, s[0:1]
	v_lshlrev_b32_e32 v4, 2, v4
	ds_bpermute_b32 v6, v4, v5
	v_cmp_eq_u32_e64 s[0:1], 0, v2
	s_and_saveexec_b64 s[4:5], s[0:1]
	s_cbranch_execz .LBB523_22
; %bb.21:
	v_lshrrev_b32_e32 v2, 4, v0
	v_and_b32_e32 v2, 12, v2
	s_waitcnt lgkmcnt(0)
	v_add_f32_e32 v5, v5, v6
	ds_write_b32 v2, v5
.LBB523_22:
	s_or_b64 exec, exec, s[4:5]
	v_cmp_gt_u32_e64 s[0:1], 4, v0
	v_mov_b32_e32 v2, 0
	s_waitcnt lgkmcnt(0)
	s_barrier
	s_and_saveexec_b64 s[4:5], s[0:1]
	s_cbranch_execz .LBB523_24
; %bb.23:
	ds_read_b32 v2, v1
	s_or_b64 exec, exec, s[4:5]
	s_and_saveexec_b64 s[0:1], vcc
	s_cbranch_execz .LBB523_26
	s_branch .LBB523_25
.LBB523_24:
	s_or_b64 exec, exec, s[4:5]
	s_and_saveexec_b64 s[0:1], vcc
	s_cbranch_execz .LBB523_26
.LBB523_25:
	s_waitcnt lgkmcnt(0)
	ds_bpermute_b32 v1, v3, v2
	s_waitcnt lgkmcnt(0)
	v_add_f32_e32 v1, v2, v1
	ds_bpermute_b32 v2, v4, v1
	s_waitcnt lgkmcnt(0)
	v_add_f32_e32 v2, v1, v2
.LBB523_26:
	s_or_b64 exec, exec, s[0:1]
	v_cmp_eq_u32_e32 vcc, 0, v0
                                        ; implicit-def: $vgpr1
                                        ; implicit-def: $sgpr8_sgpr9
	s_and_saveexec_b64 s[0:1], vcc
	s_cbranch_execz .LBB523_30
; %bb.27:
	s_mul_i32 s8, s2, s13
	s_mul_hi_u32 s9, s2, s12
	v_cmp_eq_f32_e64 s[4:5], s3, 0
	s_add_i32 s8, s9, s8
	s_mul_i32 s9, s26, s12
	s_waitcnt lgkmcnt(0)
	v_mul_f32_e32 v1, s30, v2
	s_add_i32 s9, s8, s9
	s_mul_i32 s8, s2, s12
	s_and_b64 vcc, exec, s[4:5]
	s_cbranch_vccnz .LBB523_29
; %bb.28:
	s_lshl_b64 s[4:5], s[8:9], 2
	s_add_u32 s4, s24, s4
	s_addc_u32 s5, s25, s5
	s_load_dword s2, s[4:5], 0x0
	s_waitcnt lgkmcnt(0)
	v_mov_b32_e32 v0, s2
	v_fmac_f32_e32 v1, s3, v0
.LBB523_29:
	s_or_b64 s[6:7], s[6:7], exec
.LBB523_30:
	s_or_b64 exec, exec, s[0:1]
.LBB523_31:
	s_and_saveexec_b64 s[0:1], s[6:7]
	s_cbranch_execz .LBB523_33
; %bb.32:
	s_lshl_b64 s[0:1], s[8:9], 2
	s_add_u32 s0, s24, s0
	s_addc_u32 s1, s25, s1
	v_mov_b32_e32 v0, 0
	global_store_dword v0, v1, s[0:1]
.LBB523_33:
	s_endpgm
	.section	.rodata,"a",@progbits
	.p2align	6, 0x0
	.amdhsa_kernel _ZL32rocblas_gemvt_warp_reduce_kernelILb0ELi256ElPKDF16_PKfKPfEviiT3_lPKT2_lT1_lS9_lSA_lS6_lPT4_lSA_li
		.amdhsa_group_segment_fixed_size 256
		.amdhsa_private_segment_fixed_size 0
		.amdhsa_kernarg_size 140
		.amdhsa_user_sgpr_count 2
		.amdhsa_user_sgpr_dispatch_ptr 0
		.amdhsa_user_sgpr_queue_ptr 0
		.amdhsa_user_sgpr_kernarg_segment_ptr 1
		.amdhsa_user_sgpr_dispatch_id 0
		.amdhsa_user_sgpr_kernarg_preload_length 0
		.amdhsa_user_sgpr_kernarg_preload_offset 0
		.amdhsa_user_sgpr_private_segment_size 0
		.amdhsa_uses_dynamic_stack 0
		.amdhsa_enable_private_segment 0
		.amdhsa_system_sgpr_workgroup_id_x 1
		.amdhsa_system_sgpr_workgroup_id_y 0
		.amdhsa_system_sgpr_workgroup_id_z 1
		.amdhsa_system_sgpr_workgroup_info 0
		.amdhsa_system_vgpr_workitem_id 0
		.amdhsa_next_free_vgpr 11
		.amdhsa_next_free_sgpr 31
		.amdhsa_accum_offset 12
		.amdhsa_reserve_vcc 1
		.amdhsa_float_round_mode_32 0
		.amdhsa_float_round_mode_16_64 0
		.amdhsa_float_denorm_mode_32 3
		.amdhsa_float_denorm_mode_16_64 3
		.amdhsa_dx10_clamp 1
		.amdhsa_ieee_mode 1
		.amdhsa_fp16_overflow 0
		.amdhsa_tg_split 0
		.amdhsa_exception_fp_ieee_invalid_op 0
		.amdhsa_exception_fp_denorm_src 0
		.amdhsa_exception_fp_ieee_div_zero 0
		.amdhsa_exception_fp_ieee_overflow 0
		.amdhsa_exception_fp_ieee_underflow 0
		.amdhsa_exception_fp_ieee_inexact 0
		.amdhsa_exception_int_div_zero 0
	.end_amdhsa_kernel
	.section	.text._ZL32rocblas_gemvt_warp_reduce_kernelILb0ELi256ElPKDF16_PKfKPfEviiT3_lPKT2_lT1_lS9_lSA_lS6_lPT4_lSA_li,"axG",@progbits,_ZL32rocblas_gemvt_warp_reduce_kernelILb0ELi256ElPKDF16_PKfKPfEviiT3_lPKT2_lT1_lS9_lSA_lS6_lPT4_lSA_li,comdat
.Lfunc_end523:
	.size	_ZL32rocblas_gemvt_warp_reduce_kernelILb0ELi256ElPKDF16_PKfKPfEviiT3_lPKT2_lT1_lS9_lSA_lS6_lPT4_lSA_li, .Lfunc_end523-_ZL32rocblas_gemvt_warp_reduce_kernelILb0ELi256ElPKDF16_PKfKPfEviiT3_lPKT2_lT1_lS9_lSA_lS6_lPT4_lSA_li
                                        ; -- End function
	.section	.AMDGPU.csdata,"",@progbits
; Kernel info:
; codeLenInByte = 1420
; NumSgprs: 37
; NumVgprs: 11
; NumAgprs: 0
; TotalNumVgprs: 11
; ScratchSize: 0
; MemoryBound: 0
; FloatMode: 240
; IeeeMode: 1
; LDSByteSize: 256 bytes/workgroup (compile time only)
; SGPRBlocks: 4
; VGPRBlocks: 1
; NumSGPRsForWavesPerEU: 37
; NumVGPRsForWavesPerEU: 11
; AccumOffset: 12
; Occupancy: 8
; WaveLimiterHint : 1
; COMPUTE_PGM_RSRC2:SCRATCH_EN: 0
; COMPUTE_PGM_RSRC2:USER_SGPR: 2
; COMPUTE_PGM_RSRC2:TRAP_HANDLER: 0
; COMPUTE_PGM_RSRC2:TGID_X_EN: 1
; COMPUTE_PGM_RSRC2:TGID_Y_EN: 0
; COMPUTE_PGM_RSRC2:TGID_Z_EN: 1
; COMPUTE_PGM_RSRC2:TIDIG_COMP_CNT: 0
; COMPUTE_PGM_RSRC3_GFX90A:ACCUM_OFFSET: 2
; COMPUTE_PGM_RSRC3_GFX90A:TG_SPLIT: 0
	.section	.text._ZL32rocblas_gemvt_warp_reduce_kernelILb0ELi256EiPKDF16_fKPfEviiT3_lPKT2_lT1_lS7_lS8_lS4_lPT4_lS8_li,"axG",@progbits,_ZL32rocblas_gemvt_warp_reduce_kernelILb0ELi256EiPKDF16_fKPfEviiT3_lPKT2_lT1_lS7_lS8_lS4_lPT4_lS8_li,comdat
	.globl	_ZL32rocblas_gemvt_warp_reduce_kernelILb0ELi256EiPKDF16_fKPfEviiT3_lPKT2_lT1_lS7_lS8_lS4_lPT4_lS8_li ; -- Begin function _ZL32rocblas_gemvt_warp_reduce_kernelILb0ELi256EiPKDF16_fKPfEviiT3_lPKT2_lT1_lS7_lS8_lS4_lPT4_lS8_li
	.p2align	8
	.type	_ZL32rocblas_gemvt_warp_reduce_kernelILb0ELi256EiPKDF16_fKPfEviiT3_lPKT2_lT1_lS7_lS8_lS4_lPT4_lS8_li,@function
_ZL32rocblas_gemvt_warp_reduce_kernelILb0ELi256EiPKDF16_fKPfEviiT3_lPKT2_lT1_lS7_lS8_lS4_lPT4_lS8_li: ; @_ZL32rocblas_gemvt_warp_reduce_kernelILb0ELi256EiPKDF16_fKPfEviiT3_lPKT2_lT1_lS7_lS8_lS4_lPT4_lS8_li
; %bb.0:
	s_mov_b32 s12, s3
	s_load_dword s18, s[0:1], 0x8
	s_load_dword s3, s[0:1], 0x58
	s_waitcnt lgkmcnt(0)
	v_cmp_eq_f32_e64 s[4:5], s18, 0
	v_cmp_eq_f32_e64 s[6:7], s3, 1.0
	s_and_b64 s[6:7], s[4:5], s[6:7]
	s_and_b64 vcc, exec, s[6:7]
	s_cbranch_vccnz .LBB524_35
; %bb.1:
	v_cmp_neq_f32_e64 s[8:9], s18, 0
	s_mov_b32 s13, 0
	s_and_b64 vcc, exec, s[8:9]
	s_cbranch_vccnz .LBB524_3
; %bb.2:
	s_mov_b64 s[10:11], 0
	s_cbranch_execz .LBB524_4
	s_branch .LBB524_5
.LBB524_3:
                                        ; implicit-def: $sgpr10_sgpr11
.LBB524_4:
	s_load_dwordx4 s[20:23], s[0:1], 0x18
	s_lshl_b64 s[6:7], s[12:13], 3
	s_waitcnt lgkmcnt(0)
	s_add_u32 s6, s20, s6
	s_addc_u32 s7, s21, s7
	s_load_dwordx2 s[6:7], s[6:7], 0x0
	s_lshl_b64 s[10:11], s[22:23], 1
	s_waitcnt lgkmcnt(0)
	s_add_u32 s10, s6, s10
	s_addc_u32 s11, s7, s11
.LBB524_5:
	s_mov_b64 s[6:7], 0
	s_andn2_b64 vcc, exec, s[8:9]
	s_mov_b64 s[8:9], 0
	s_cbranch_vccnz .LBB524_7
; %bb.6:
	s_load_dwordx4 s[20:23], s[0:1], 0x38
	s_lshl_b64 s[8:9], s[12:13], 3
	s_waitcnt lgkmcnt(0)
	s_add_u32 s8, s20, s8
	s_addc_u32 s9, s21, s9
	s_load_dwordx2 s[8:9], s[8:9], 0x0
	s_lshl_b64 s[14:15], s[22:23], 1
	s_waitcnt lgkmcnt(0)
	s_add_u32 s8, s8, s14
	s_addc_u32 s9, s9, s15
.LBB524_7:
	s_load_dwordx4 s[24:27], s[0:1], 0x68
	s_load_dword s21, s[0:1], 0x78
	s_lshl_b64 s[12:13], s[12:13], 3
	s_waitcnt lgkmcnt(0)
	s_add_u32 s12, s24, s12
	s_addc_u32 s13, s25, s13
	s_load_dwordx2 s[12:13], s[12:13], 0x0
	s_lshl_b64 s[14:15], s[26:27], 2
	s_waitcnt lgkmcnt(0)
	s_add_u32 s19, s12, s14
	s_addc_u32 s20, s13, s15
	s_andn2_b64 vcc, exec, s[4:5]
	v_cmp_eq_u32_e64 s[4:5], 0, v0
	s_cbranch_vccnz .LBB524_12
; %bb.8:
	s_mov_b64 s[14:15], 0
                                        ; implicit-def: $vgpr1
                                        ; implicit-def: $sgpr12_sgpr13
	s_and_saveexec_b64 s[16:17], s[4:5]
	s_cbranch_execz .LBB524_13
; %bb.9:
	v_cmp_eq_f32_e64 s[4:5], s3, 0
	s_mul_i32 s12, s2, s21
	v_mov_b32_e32 v1, 0
	s_ashr_i32 s13, s12, 31
	s_and_b64 vcc, exec, s[4:5]
	s_cbranch_vccnz .LBB524_11
; %bb.10:
	s_lshl_b64 s[4:5], s[12:13], 2
	s_add_u32 s4, s19, s4
	s_addc_u32 s5, s20, s5
	s_load_dword s4, s[4:5], 0x0
	v_mov_b32_e32 v1, s3
	s_waitcnt lgkmcnt(0)
	v_mul_f32_e32 v1, s4, v1
.LBB524_11:
	s_mov_b64 s[6:7], exec
	s_or_b64 exec, exec, s[16:17]
	s_and_b64 vcc, exec, s[14:15]
	s_cbranch_vccnz .LBB524_14
	s_branch .LBB524_33
.LBB524_12:
                                        ; implicit-def: $vgpr1
                                        ; implicit-def: $sgpr12_sgpr13
	s_cbranch_execnz .LBB524_14
	s_branch .LBB524_33
.LBB524_13:
	s_or_b64 exec, exec, s[16:17]
	s_and_b64 vcc, exec, s[14:15]
	s_cbranch_vccz .LBB524_33
.LBB524_14:
	s_load_dword s15, s[0:1], 0x0
	s_load_dword s4, s[0:1], 0x28
	;; [unrolled: 1-line block ×3, first 2 shown]
	v_mov_b32_e32 v3, 0
	s_waitcnt lgkmcnt(0)
	v_cmp_gt_i32_e32 vcc, s15, v0
	s_mul_i32 s0, s2, s4
	s_ashr_i32 s1, s0, 31
	s_lshl_b64 s[0:1], s[0:1], 1
	v_cndmask_b32_e32 v1, 0, v0, vcc
	s_add_u32 s0, s0, s10
	v_lshlrev_b32_e32 v2, 1, v1
	s_addc_u32 s1, s1, s11
	v_lshl_add_u64 v[4:5], s[0:1], 0, v[2:3]
	s_ashr_i32 s0, s15, 31
	s_lshr_b32 s0, s0, 24
	s_add_i32 s0, s15, s0
	s_and_b32 s0, s0, 0xffffff00
	v_cmp_gt_i32_e32 vcc, s0, v0
	s_and_saveexec_b64 s[4:5], vcc
	s_cbranch_execz .LBB524_18
; %bb.15:
	v_mul_lo_u32 v6, v0, s14
	s_lshl_b32 s1, s14, 8
	s_mov_b64 s[10:11], 0
	v_mov_b32_e32 v3, 0
	s_mov_b64 s[12:13], 0x200
	v_mov_b64_e32 v[8:9], v[4:5]
	v_mov_b32_e32 v1, v0
.LBB524_16:                             ; =>This Inner Loop Header: Depth=1
	v_ashrrev_i32_e32 v7, 31, v6
	v_lshl_add_u64 v[10:11], v[6:7], 1, s[8:9]
	flat_load_ushort v2, v[8:9]
	flat_load_ushort v7, v[10:11]
	v_add_u32_e32 v1, 0x100, v1
	v_cmp_le_i32_e32 vcc, s0, v1
	v_lshl_add_u64 v[8:9], v[8:9], 0, s[12:13]
	v_add_u32_e32 v6, s1, v6
	s_or_b64 s[10:11], vcc, s[10:11]
	s_waitcnt vmcnt(0) lgkmcnt(0)
	v_mul_f16_e32 v2, v2, v7
	v_cvt_f32_f16_e32 v2, v2
	v_add_f32_e32 v3, v3, v2
	s_andn2_b64 exec, exec, s[10:11]
	s_cbranch_execnz .LBB524_16
; %bb.17:
	s_or_b64 exec, exec, s[10:11]
.LBB524_18:
	s_or_b64 exec, exec, s[4:5]
	v_add_u32_e32 v1, s0, v0
	v_cmp_gt_i32_e32 vcc, s15, v1
	s_and_saveexec_b64 s[4:5], vcc
	s_cbranch_execz .LBB524_20
; %bb.19:
	s_ashr_i32 s1, s0, 31
	v_lshl_add_u64 v[4:5], s[0:1], 1, v[4:5]
	flat_load_ushort v2, v[4:5]
	v_mul_lo_u32 v4, v1, s14
	v_ashrrev_i32_e32 v5, 31, v4
	v_lshl_add_u64 v[4:5], v[4:5], 1, s[8:9]
	flat_load_ushort v1, v[4:5]
	s_waitcnt vmcnt(0) lgkmcnt(0)
	v_mul_f16_e32 v1, v2, v1
	v_cvt_f32_f16_e32 v1, v1
	v_add_f32_e32 v3, v3, v1
.LBB524_20:
	s_or_b64 exec, exec, s[4:5]
	v_and_b32_e32 v2, 63, v0
	v_cmp_gt_u32_e32 vcc, 64, v0
	v_lshlrev_b32_e32 v1, 2, v2
	s_and_saveexec_b64 s[0:1], vcc
	s_cbranch_execz .LBB524_22
; %bb.21:
	v_mov_b32_e32 v4, 0
	ds_write_b32 v1, v4
.LBB524_22:
	s_or_b64 exec, exec, s[0:1]
	v_mbcnt_lo_u32_b32 v4, -1, 0
	v_mbcnt_hi_u32_b32 v4, -1, v4
	v_and_b32_e32 v5, 63, v4
	v_cmp_gt_u32_e64 s[0:1], 32, v5
	s_waitcnt lgkmcnt(0)
	s_barrier
	v_cndmask_b32_e64 v6, 0, 1, s[0:1]
	v_lshlrev_b32_e32 v6, 5, v6
	v_add_lshl_u32 v6, v6, v4, 2
	ds_bpermute_b32 v6, v6, v3
	v_cmp_gt_u32_e64 s[0:1], 48, v5
	s_waitcnt lgkmcnt(0)
	v_add_f32_e32 v3, v3, v6
	v_cndmask_b32_e64 v7, 0, 1, s[0:1]
	v_lshlrev_b32_e32 v7, 4, v7
	v_add_lshl_u32 v6, v7, v4, 2
	ds_bpermute_b32 v6, v6, v3
	v_cmp_gt_u32_e64 s[0:1], 56, v5
	s_waitcnt lgkmcnt(0)
	v_add_f32_e32 v3, v3, v6
	;; [unrolled: 7-line block ×4, first 2 shown]
	v_cndmask_b32_e64 v7, 0, 1, s[0:1]
	v_lshlrev_b32_e32 v7, 1, v7
	v_add_lshl_u32 v3, v7, v4, 2
	ds_bpermute_b32 v7, v3, v6
	v_cmp_ne_u32_e64 s[0:1], 63, v5
	s_waitcnt lgkmcnt(0)
	v_add_f32_e32 v5, v6, v7
	v_addc_co_u32_e64 v4, s[0:1], 0, v4, s[0:1]
	v_lshlrev_b32_e32 v4, 2, v4
	ds_bpermute_b32 v6, v4, v5
	v_cmp_eq_u32_e64 s[0:1], 0, v2
	s_and_saveexec_b64 s[4:5], s[0:1]
	s_cbranch_execz .LBB524_24
; %bb.23:
	v_lshrrev_b32_e32 v2, 4, v0
	v_and_b32_e32 v2, 12, v2
	s_waitcnt lgkmcnt(0)
	v_add_f32_e32 v5, v5, v6
	ds_write_b32 v2, v5
.LBB524_24:
	s_or_b64 exec, exec, s[4:5]
	v_cmp_gt_u32_e64 s[0:1], 4, v0
	v_mov_b32_e32 v2, 0
	s_waitcnt lgkmcnt(0)
	s_barrier
	s_and_saveexec_b64 s[4:5], s[0:1]
	s_cbranch_execz .LBB524_26
; %bb.25:
	ds_read_b32 v2, v1
	s_or_b64 exec, exec, s[4:5]
	s_and_saveexec_b64 s[0:1], vcc
	s_cbranch_execz .LBB524_28
	s_branch .LBB524_27
.LBB524_26:
	s_or_b64 exec, exec, s[4:5]
	s_and_saveexec_b64 s[0:1], vcc
	s_cbranch_execz .LBB524_28
.LBB524_27:
	s_waitcnt lgkmcnt(0)
	ds_bpermute_b32 v1, v3, v2
	s_waitcnt lgkmcnt(0)
	v_add_f32_e32 v1, v2, v1
	ds_bpermute_b32 v2, v4, v1
	s_waitcnt lgkmcnt(0)
	v_add_f32_e32 v2, v1, v2
.LBB524_28:
	s_or_b64 exec, exec, s[0:1]
	v_cmp_eq_u32_e32 vcc, 0, v0
                                        ; implicit-def: $vgpr1
                                        ; implicit-def: $sgpr12_sgpr13
	s_and_saveexec_b64 s[0:1], vcc
	s_cbranch_execz .LBB524_32
; %bb.29:
	v_cmp_eq_f32_e64 s[4:5], s3, 0
	s_mul_i32 s12, s2, s21
	s_waitcnt lgkmcnt(0)
	v_mul_f32_e32 v1, s18, v2
	s_ashr_i32 s13, s12, 31
	s_and_b64 vcc, exec, s[4:5]
	s_cbranch_vccnz .LBB524_31
; %bb.30:
	s_lshl_b64 s[4:5], s[12:13], 2
	s_add_u32 s4, s19, s4
	s_addc_u32 s5, s20, s5
	s_load_dword s2, s[4:5], 0x0
	v_mov_b32_e32 v0, s3
	s_waitcnt lgkmcnt(0)
	v_fmac_f32_e32 v1, s2, v0
.LBB524_31:
	s_or_b64 s[6:7], s[6:7], exec
.LBB524_32:
	s_or_b64 exec, exec, s[0:1]
.LBB524_33:
	s_and_saveexec_b64 s[0:1], s[6:7]
	s_cbranch_execz .LBB524_35
; %bb.34:
	s_lshl_b64 s[0:1], s[12:13], 2
	s_add_u32 s0, s19, s0
	s_addc_u32 s1, s20, s1
	v_mov_b32_e32 v0, 0
	global_store_dword v0, v1, s[0:1]
.LBB524_35:
	s_endpgm
	.section	.rodata,"a",@progbits
	.p2align	6, 0x0
	.amdhsa_kernel _ZL32rocblas_gemvt_warp_reduce_kernelILb0ELi256EiPKDF16_fKPfEviiT3_lPKT2_lT1_lS7_lS8_lS4_lPT4_lS8_li
		.amdhsa_group_segment_fixed_size 256
		.amdhsa_private_segment_fixed_size 0
		.amdhsa_kernarg_size 140
		.amdhsa_user_sgpr_count 2
		.amdhsa_user_sgpr_dispatch_ptr 0
		.amdhsa_user_sgpr_queue_ptr 0
		.amdhsa_user_sgpr_kernarg_segment_ptr 1
		.amdhsa_user_sgpr_dispatch_id 0
		.amdhsa_user_sgpr_kernarg_preload_length 0
		.amdhsa_user_sgpr_kernarg_preload_offset 0
		.amdhsa_user_sgpr_private_segment_size 0
		.amdhsa_uses_dynamic_stack 0
		.amdhsa_enable_private_segment 0
		.amdhsa_system_sgpr_workgroup_id_x 1
		.amdhsa_system_sgpr_workgroup_id_y 0
		.amdhsa_system_sgpr_workgroup_id_z 1
		.amdhsa_system_sgpr_workgroup_info 0
		.amdhsa_system_vgpr_workitem_id 0
		.amdhsa_next_free_vgpr 12
		.amdhsa_next_free_sgpr 28
		.amdhsa_accum_offset 12
		.amdhsa_reserve_vcc 1
		.amdhsa_float_round_mode_32 0
		.amdhsa_float_round_mode_16_64 0
		.amdhsa_float_denorm_mode_32 3
		.amdhsa_float_denorm_mode_16_64 3
		.amdhsa_dx10_clamp 1
		.amdhsa_ieee_mode 1
		.amdhsa_fp16_overflow 0
		.amdhsa_tg_split 0
		.amdhsa_exception_fp_ieee_invalid_op 0
		.amdhsa_exception_fp_denorm_src 0
		.amdhsa_exception_fp_ieee_div_zero 0
		.amdhsa_exception_fp_ieee_overflow 0
		.amdhsa_exception_fp_ieee_underflow 0
		.amdhsa_exception_fp_ieee_inexact 0
		.amdhsa_exception_int_div_zero 0
	.end_amdhsa_kernel
	.section	.text._ZL32rocblas_gemvt_warp_reduce_kernelILb0ELi256EiPKDF16_fKPfEviiT3_lPKT2_lT1_lS7_lS8_lS4_lPT4_lS8_li,"axG",@progbits,_ZL32rocblas_gemvt_warp_reduce_kernelILb0ELi256EiPKDF16_fKPfEviiT3_lPKT2_lT1_lS7_lS8_lS4_lPT4_lS8_li,comdat
.Lfunc_end524:
	.size	_ZL32rocblas_gemvt_warp_reduce_kernelILb0ELi256EiPKDF16_fKPfEviiT3_lPKT2_lT1_lS7_lS8_lS4_lPT4_lS8_li, .Lfunc_end524-_ZL32rocblas_gemvt_warp_reduce_kernelILb0ELi256EiPKDF16_fKPfEviiT3_lPKT2_lT1_lS7_lS8_lS4_lPT4_lS8_li
                                        ; -- End function
	.section	.AMDGPU.csdata,"",@progbits
; Kernel info:
; codeLenInByte = 1272
; NumSgprs: 34
; NumVgprs: 12
; NumAgprs: 0
; TotalNumVgprs: 12
; ScratchSize: 0
; MemoryBound: 0
; FloatMode: 240
; IeeeMode: 1
; LDSByteSize: 256 bytes/workgroup (compile time only)
; SGPRBlocks: 4
; VGPRBlocks: 1
; NumSGPRsForWavesPerEU: 34
; NumVGPRsForWavesPerEU: 12
; AccumOffset: 12
; Occupancy: 8
; WaveLimiterHint : 1
; COMPUTE_PGM_RSRC2:SCRATCH_EN: 0
; COMPUTE_PGM_RSRC2:USER_SGPR: 2
; COMPUTE_PGM_RSRC2:TRAP_HANDLER: 0
; COMPUTE_PGM_RSRC2:TGID_X_EN: 1
; COMPUTE_PGM_RSRC2:TGID_Y_EN: 0
; COMPUTE_PGM_RSRC2:TGID_Z_EN: 1
; COMPUTE_PGM_RSRC2:TIDIG_COMP_CNT: 0
; COMPUTE_PGM_RSRC3_GFX90A:ACCUM_OFFSET: 2
; COMPUTE_PGM_RSRC3_GFX90A:TG_SPLIT: 0
	.section	.text._ZL32rocblas_gemvt_warp_reduce_kernelILb0ELi256ElPKDF16_fKPfEviiT3_lPKT2_lT1_lS7_lS8_lS4_lPT4_lS8_li,"axG",@progbits,_ZL32rocblas_gemvt_warp_reduce_kernelILb0ELi256ElPKDF16_fKPfEviiT3_lPKT2_lT1_lS7_lS8_lS4_lPT4_lS8_li,comdat
	.globl	_ZL32rocblas_gemvt_warp_reduce_kernelILb0ELi256ElPKDF16_fKPfEviiT3_lPKT2_lT1_lS7_lS8_lS4_lPT4_lS8_li ; -- Begin function _ZL32rocblas_gemvt_warp_reduce_kernelILb0ELi256ElPKDF16_fKPfEviiT3_lPKT2_lT1_lS7_lS8_lS4_lPT4_lS8_li
	.p2align	8
	.type	_ZL32rocblas_gemvt_warp_reduce_kernelILb0ELi256ElPKDF16_fKPfEviiT3_lPKT2_lT1_lS7_lS8_lS4_lPT4_lS8_li,@function
_ZL32rocblas_gemvt_warp_reduce_kernelILb0ELi256ElPKDF16_fKPfEviiT3_lPKT2_lT1_lS7_lS8_lS4_lPT4_lS8_li: ; @_ZL32rocblas_gemvt_warp_reduce_kernelILb0ELi256ElPKDF16_fKPfEviiT3_lPKT2_lT1_lS7_lS8_lS4_lPT4_lS8_li
; %bb.0:
	s_mov_b32 s20, s3
	s_load_dword s24, s[0:1], 0x8
	s_load_dword s3, s[0:1], 0x58
	s_waitcnt lgkmcnt(0)
	v_cmp_eq_f32_e64 s[18:19], s24, 0
	v_cmp_eq_f32_e64 s[4:5], s3, 1.0
	s_and_b64 s[4:5], s[18:19], s[4:5]
	s_and_b64 vcc, exec, s[4:5]
	s_cbranch_vccnz .LBB525_35
; %bb.1:
	s_load_dwordx4 s[4:7], s[0:1], 0x18
	s_load_dwordx2 s[14:15], s[0:1], 0x28
	v_cmp_neq_f32_e64 s[12:13], s24, 0
	s_mov_b32 s21, 0
	s_and_b64 vcc, exec, s[12:13]
	s_cbranch_vccnz .LBB525_3
; %bb.2:
	s_mov_b64 s[16:17], 0
	s_cbranch_execz .LBB525_4
	s_branch .LBB525_5
.LBB525_3:
                                        ; implicit-def: $sgpr16_sgpr17
.LBB525_4:
	s_lshl_b64 s[8:9], s[20:21], 3
	s_waitcnt lgkmcnt(0)
	s_add_u32 s4, s4, s8
	s_addc_u32 s5, s5, s9
	s_load_dwordx2 s[4:5], s[4:5], 0x0
	s_lshl_b64 s[6:7], s[6:7], 1
	s_waitcnt lgkmcnt(0)
	s_add_u32 s16, s4, s6
	s_addc_u32 s17, s5, s7
.LBB525_5:
	s_waitcnt lgkmcnt(0)
	s_load_dwordx4 s[4:7], s[0:1], 0x38
	s_load_dwordx2 s[10:11], s[0:1], 0x48
	s_mov_b64 s[8:9], 0
	s_andn2_b64 vcc, exec, s[12:13]
	s_mov_b64 s[12:13], 0
	s_cbranch_vccnz .LBB525_7
; %bb.6:
	s_lshl_b64 s[12:13], s[20:21], 3
	s_waitcnt lgkmcnt(0)
	s_add_u32 s4, s4, s12
	s_addc_u32 s5, s5, s13
	s_load_dwordx2 s[4:5], s[4:5], 0x0
	s_lshl_b64 s[6:7], s[6:7], 1
	s_waitcnt lgkmcnt(0)
	s_add_u32 s12, s4, s6
	s_addc_u32 s13, s5, s7
.LBB525_7:
	s_load_dwordx4 s[28:31], s[0:1], 0x68
	s_waitcnt lgkmcnt(0)
	s_load_dwordx2 s[6:7], s[0:1], 0x78
	s_lshl_b64 s[4:5], s[20:21], 3
	s_add_u32 s4, s28, s4
	s_addc_u32 s5, s29, s5
	s_load_dwordx2 s[4:5], s[4:5], 0x0
	s_lshl_b64 s[20:21], s[30:31], 2
	s_waitcnt lgkmcnt(0)
	s_add_u32 s25, s4, s20
	s_addc_u32 s26, s5, s21
	s_andn2_b64 vcc, exec, s[18:19]
	v_cmp_eq_u32_e64 s[4:5], 0, v0
	s_cbranch_vccnz .LBB525_12
; %bb.8:
	s_mov_b64 s[20:21], 0
                                        ; implicit-def: $vgpr1
                                        ; implicit-def: $sgpr18_sgpr19
	s_and_saveexec_b64 s[22:23], s[4:5]
	s_cbranch_execz .LBB525_13
; %bb.9:
	s_ashr_i32 s8, s2, 31
	s_mul_i32 s9, s2, s7
	s_mul_hi_u32 s18, s2, s6
	v_cmp_eq_f32_e64 s[4:5], s3, 0
	s_add_i32 s9, s18, s9
	s_mul_i32 s8, s8, s6
	v_mov_b32_e32 v1, 0
	s_add_i32 s19, s9, s8
	s_mul_i32 s18, s2, s6
	s_and_b64 vcc, exec, s[4:5]
	s_cbranch_vccnz .LBB525_11
; %bb.10:
	s_lshl_b64 s[4:5], s[18:19], 2
	s_add_u32 s4, s25, s4
	s_addc_u32 s5, s26, s5
	s_load_dword s4, s[4:5], 0x0
	v_mov_b32_e32 v1, s3
	s_waitcnt lgkmcnt(0)
	v_mul_f32_e32 v1, s4, v1
.LBB525_11:
	s_mov_b64 s[8:9], exec
	s_or_b64 exec, exec, s[22:23]
	s_and_b64 vcc, exec, s[20:21]
	s_cbranch_vccnz .LBB525_14
	s_branch .LBB525_33
.LBB525_12:
                                        ; implicit-def: $vgpr1
                                        ; implicit-def: $sgpr18_sgpr19
	s_cbranch_execnz .LBB525_14
	s_branch .LBB525_33
.LBB525_13:
	s_or_b64 exec, exec, s[22:23]
	s_and_b64 vcc, exec, s[20:21]
	s_cbranch_vccz .LBB525_33
.LBB525_14:
	s_load_dword s1, s[0:1], 0x0
	s_ashr_i32 s20, s2, 31
	s_mul_i32 s0, s2, s15
	s_mul_hi_u32 s4, s2, s14
	s_add_i32 s0, s4, s0
	s_mul_i32 s4, s20, s14
	s_add_i32 s5, s0, s4
	s_mul_i32 s4, s2, s14
	s_lshl_b64 s[4:5], s[4:5], 1
	s_add_u32 s4, s4, s16
	s_addc_u32 s5, s5, s17
	s_waitcnt lgkmcnt(0)
	s_ashr_i32 s0, s1, 31
	v_cmp_gt_i32_e32 vcc, s1, v0
	s_lshr_b32 s0, s0, 24
	s_add_i32 s0, s1, s0
	v_cndmask_b32_e32 v1, 0, v0, vcc
	v_mov_b32_e32 v3, 0
	v_lshlrev_b32_e32 v2, 1, v1
	s_and_b32 s0, s0, 0xffffff00
	v_lshl_add_u64 v[4:5], s[4:5], 0, v[2:3]
	v_cmp_gt_i32_e32 vcc, s0, v0
	s_and_saveexec_b64 s[4:5], vcc
	s_cbranch_execz .LBB525_18
; %bb.15:
	v_mad_u64_u32 v[2:3], s[14:15], s10, v0, 0
	v_mov_b32_e32 v6, v3
	v_mad_u64_u32 v[6:7], s[14:15], s11, v0, v[6:7]
	v_mov_b32_e32 v3, v6
	v_lshl_add_u64 v[6:7], v[2:3], 1, s[12:13]
	s_lshl_b64 s[16:17], s[10:11], 9
	s_mov_b64 s[14:15], 0
	v_mov_b32_e32 v3, 0
	s_mov_b64 s[18:19], 0x200
	v_mov_b64_e32 v[8:9], v[4:5]
	v_mov_b32_e32 v1, v0
.LBB525_16:                             ; =>This Inner Loop Header: Depth=1
	flat_load_ushort v2, v[8:9]
	flat_load_ushort v10, v[6:7]
	v_add_u32_e32 v1, 0x100, v1
	v_cmp_le_i32_e32 vcc, s0, v1
	v_lshl_add_u64 v[8:9], v[8:9], 0, s[18:19]
	v_lshl_add_u64 v[6:7], v[6:7], 0, s[16:17]
	s_or_b64 s[14:15], vcc, s[14:15]
	s_waitcnt vmcnt(0) lgkmcnt(0)
	v_mul_f16_e32 v2, v2, v10
	v_cvt_f32_f16_e32 v2, v2
	v_add_f32_e32 v3, v3, v2
	s_andn2_b64 exec, exec, s[14:15]
	s_cbranch_execnz .LBB525_16
; %bb.17:
	s_or_b64 exec, exec, s[14:15]
.LBB525_18:
	s_or_b64 exec, exec, s[4:5]
	v_add_u32_e32 v1, s0, v0
	v_cmp_gt_i32_e32 vcc, s1, v1
	s_and_saveexec_b64 s[4:5], vcc
	s_cbranch_execz .LBB525_20
; %bb.19:
	s_ashr_i32 s1, s0, 31
	v_lshl_add_u64 v[4:5], s[0:1], 1, v[4:5]
	flat_load_ushort v2, v[4:5]
	v_ashrrev_i32_e32 v4, 31, v1
	v_mul_lo_u32 v6, v1, s11
	v_mul_lo_u32 v7, v4, s10
	v_mad_u64_u32 v[4:5], s[0:1], v1, s10, 0
	v_add3_u32 v5, v5, v6, v7
	v_lshl_add_u64 v[4:5], v[4:5], 1, s[12:13]
	flat_load_ushort v1, v[4:5]
	s_waitcnt vmcnt(0) lgkmcnt(0)
	v_mul_f16_e32 v1, v2, v1
	v_cvt_f32_f16_e32 v1, v1
	v_add_f32_e32 v3, v3, v1
.LBB525_20:
	s_or_b64 exec, exec, s[4:5]
	v_and_b32_e32 v2, 63, v0
	v_cmp_gt_u32_e32 vcc, 64, v0
	v_lshlrev_b32_e32 v1, 2, v2
	s_and_saveexec_b64 s[0:1], vcc
	s_cbranch_execz .LBB525_22
; %bb.21:
	v_mov_b32_e32 v4, 0
	ds_write_b32 v1, v4
.LBB525_22:
	s_or_b64 exec, exec, s[0:1]
	v_mbcnt_lo_u32_b32 v4, -1, 0
	v_mbcnt_hi_u32_b32 v4, -1, v4
	v_and_b32_e32 v5, 63, v4
	v_cmp_gt_u32_e64 s[0:1], 32, v5
	s_waitcnt lgkmcnt(0)
	s_barrier
	v_cndmask_b32_e64 v6, 0, 1, s[0:1]
	v_lshlrev_b32_e32 v6, 5, v6
	v_add_lshl_u32 v6, v6, v4, 2
	ds_bpermute_b32 v6, v6, v3
	v_cmp_gt_u32_e64 s[0:1], 48, v5
	s_waitcnt lgkmcnt(0)
	v_add_f32_e32 v3, v3, v6
	v_cndmask_b32_e64 v7, 0, 1, s[0:1]
	v_lshlrev_b32_e32 v7, 4, v7
	v_add_lshl_u32 v6, v7, v4, 2
	ds_bpermute_b32 v6, v6, v3
	v_cmp_gt_u32_e64 s[0:1], 56, v5
	s_waitcnt lgkmcnt(0)
	v_add_f32_e32 v3, v3, v6
	;; [unrolled: 7-line block ×4, first 2 shown]
	v_cndmask_b32_e64 v7, 0, 1, s[0:1]
	v_lshlrev_b32_e32 v7, 1, v7
	v_add_lshl_u32 v3, v7, v4, 2
	ds_bpermute_b32 v7, v3, v6
	v_cmp_ne_u32_e64 s[0:1], 63, v5
	s_waitcnt lgkmcnt(0)
	v_add_f32_e32 v5, v6, v7
	v_addc_co_u32_e64 v4, s[0:1], 0, v4, s[0:1]
	v_lshlrev_b32_e32 v4, 2, v4
	ds_bpermute_b32 v6, v4, v5
	v_cmp_eq_u32_e64 s[0:1], 0, v2
	s_and_saveexec_b64 s[4:5], s[0:1]
	s_cbranch_execz .LBB525_24
; %bb.23:
	v_lshrrev_b32_e32 v2, 4, v0
	v_and_b32_e32 v2, 12, v2
	s_waitcnt lgkmcnt(0)
	v_add_f32_e32 v5, v5, v6
	ds_write_b32 v2, v5
.LBB525_24:
	s_or_b64 exec, exec, s[4:5]
	v_cmp_gt_u32_e64 s[0:1], 4, v0
	v_mov_b32_e32 v2, 0
	s_waitcnt lgkmcnt(0)
	s_barrier
	s_and_saveexec_b64 s[4:5], s[0:1]
	s_cbranch_execz .LBB525_26
; %bb.25:
	ds_read_b32 v2, v1
	s_or_b64 exec, exec, s[4:5]
	s_and_saveexec_b64 s[0:1], vcc
	s_cbranch_execz .LBB525_28
	s_branch .LBB525_27
.LBB525_26:
	s_or_b64 exec, exec, s[4:5]
	s_and_saveexec_b64 s[0:1], vcc
	s_cbranch_execz .LBB525_28
.LBB525_27:
	s_waitcnt lgkmcnt(0)
	ds_bpermute_b32 v1, v3, v2
	s_waitcnt lgkmcnt(0)
	v_add_f32_e32 v1, v2, v1
	ds_bpermute_b32 v2, v4, v1
	s_waitcnt lgkmcnt(0)
	v_add_f32_e32 v2, v1, v2
.LBB525_28:
	s_or_b64 exec, exec, s[0:1]
	v_cmp_eq_u32_e32 vcc, 0, v0
                                        ; implicit-def: $vgpr1
                                        ; implicit-def: $sgpr18_sgpr19
	s_and_saveexec_b64 s[0:1], vcc
	s_cbranch_execz .LBB525_32
; %bb.29:
	s_mul_i32 s7, s2, s7
	s_mul_hi_u32 s10, s2, s6
	v_cmp_eq_f32_e64 s[4:5], s3, 0
	s_add_i32 s7, s10, s7
	s_mul_i32 s10, s20, s6
	s_waitcnt lgkmcnt(0)
	v_mul_f32_e32 v1, s24, v2
	s_add_i32 s19, s7, s10
	s_mul_i32 s18, s2, s6
	s_and_b64 vcc, exec, s[4:5]
	s_cbranch_vccnz .LBB525_31
; %bb.30:
	s_lshl_b64 s[4:5], s[18:19], 2
	s_add_u32 s4, s25, s4
	s_addc_u32 s5, s26, s5
	s_load_dword s2, s[4:5], 0x0
	v_mov_b32_e32 v0, s3
	s_waitcnt lgkmcnt(0)
	v_fmac_f32_e32 v1, s2, v0
.LBB525_31:
	s_or_b64 s[8:9], s[8:9], exec
.LBB525_32:
	s_or_b64 exec, exec, s[0:1]
.LBB525_33:
	s_and_saveexec_b64 s[0:1], s[8:9]
	s_cbranch_execz .LBB525_35
; %bb.34:
	s_lshl_b64 s[0:1], s[18:19], 2
	s_add_u32 s0, s25, s0
	s_addc_u32 s1, s26, s1
	v_mov_b32_e32 v0, 0
	global_store_dword v0, v1, s[0:1]
.LBB525_35:
	s_endpgm
	.section	.rodata,"a",@progbits
	.p2align	6, 0x0
	.amdhsa_kernel _ZL32rocblas_gemvt_warp_reduce_kernelILb0ELi256ElPKDF16_fKPfEviiT3_lPKT2_lT1_lS7_lS8_lS4_lPT4_lS8_li
		.amdhsa_group_segment_fixed_size 256
		.amdhsa_private_segment_fixed_size 0
		.amdhsa_kernarg_size 140
		.amdhsa_user_sgpr_count 2
		.amdhsa_user_sgpr_dispatch_ptr 0
		.amdhsa_user_sgpr_queue_ptr 0
		.amdhsa_user_sgpr_kernarg_segment_ptr 1
		.amdhsa_user_sgpr_dispatch_id 0
		.amdhsa_user_sgpr_kernarg_preload_length 0
		.amdhsa_user_sgpr_kernarg_preload_offset 0
		.amdhsa_user_sgpr_private_segment_size 0
		.amdhsa_uses_dynamic_stack 0
		.amdhsa_enable_private_segment 0
		.amdhsa_system_sgpr_workgroup_id_x 1
		.amdhsa_system_sgpr_workgroup_id_y 0
		.amdhsa_system_sgpr_workgroup_id_z 1
		.amdhsa_system_sgpr_workgroup_info 0
		.amdhsa_system_vgpr_workitem_id 0
		.amdhsa_next_free_vgpr 11
		.amdhsa_next_free_sgpr 32
		.amdhsa_accum_offset 12
		.amdhsa_reserve_vcc 1
		.amdhsa_float_round_mode_32 0
		.amdhsa_float_round_mode_16_64 0
		.amdhsa_float_denorm_mode_32 3
		.amdhsa_float_denorm_mode_16_64 3
		.amdhsa_dx10_clamp 1
		.amdhsa_ieee_mode 1
		.amdhsa_fp16_overflow 0
		.amdhsa_tg_split 0
		.amdhsa_exception_fp_ieee_invalid_op 0
		.amdhsa_exception_fp_denorm_src 0
		.amdhsa_exception_fp_ieee_div_zero 0
		.amdhsa_exception_fp_ieee_overflow 0
		.amdhsa_exception_fp_ieee_underflow 0
		.amdhsa_exception_fp_ieee_inexact 0
		.amdhsa_exception_int_div_zero 0
	.end_amdhsa_kernel
	.section	.text._ZL32rocblas_gemvt_warp_reduce_kernelILb0ELi256ElPKDF16_fKPfEviiT3_lPKT2_lT1_lS7_lS8_lS4_lPT4_lS8_li,"axG",@progbits,_ZL32rocblas_gemvt_warp_reduce_kernelILb0ELi256ElPKDF16_fKPfEviiT3_lPKT2_lT1_lS7_lS8_lS4_lPT4_lS8_li,comdat
.Lfunc_end525:
	.size	_ZL32rocblas_gemvt_warp_reduce_kernelILb0ELi256ElPKDF16_fKPfEviiT3_lPKT2_lT1_lS7_lS8_lS4_lPT4_lS8_li, .Lfunc_end525-_ZL32rocblas_gemvt_warp_reduce_kernelILb0ELi256ElPKDF16_fKPfEviiT3_lPKT2_lT1_lS7_lS8_lS4_lPT4_lS8_li
                                        ; -- End function
	.section	.AMDGPU.csdata,"",@progbits
; Kernel info:
; codeLenInByte = 1372
; NumSgprs: 38
; NumVgprs: 11
; NumAgprs: 0
; TotalNumVgprs: 11
; ScratchSize: 0
; MemoryBound: 0
; FloatMode: 240
; IeeeMode: 1
; LDSByteSize: 256 bytes/workgroup (compile time only)
; SGPRBlocks: 4
; VGPRBlocks: 1
; NumSGPRsForWavesPerEU: 38
; NumVGPRsForWavesPerEU: 11
; AccumOffset: 12
; Occupancy: 8
; WaveLimiterHint : 1
; COMPUTE_PGM_RSRC2:SCRATCH_EN: 0
; COMPUTE_PGM_RSRC2:USER_SGPR: 2
; COMPUTE_PGM_RSRC2:TRAP_HANDLER: 0
; COMPUTE_PGM_RSRC2:TGID_X_EN: 1
; COMPUTE_PGM_RSRC2:TGID_Y_EN: 0
; COMPUTE_PGM_RSRC2:TGID_Z_EN: 1
; COMPUTE_PGM_RSRC2:TIDIG_COMP_CNT: 0
; COMPUTE_PGM_RSRC3_GFX90A:ACCUM_OFFSET: 2
; COMPUTE_PGM_RSRC3_GFX90A:TG_SPLIT: 0
	.section	.text._ZL20rocblas_gemvt_kernelILb0ELi256EPKDF16_PKfKPfEviiT2_lPKT1_lilS9_lilS6_lPT3_lili,"axG",@progbits,_ZL20rocblas_gemvt_kernelILb0ELi256EPKDF16_PKfKPfEviiT2_lPKT1_lilS9_lilS6_lPT3_lili,comdat
	.globl	_ZL20rocblas_gemvt_kernelILb0ELi256EPKDF16_PKfKPfEviiT2_lPKT1_lilS9_lilS6_lPT3_lili ; -- Begin function _ZL20rocblas_gemvt_kernelILb0ELi256EPKDF16_PKfKPfEviiT2_lPKT1_lilS9_lilS6_lPT3_lili
	.p2align	8
	.type	_ZL20rocblas_gemvt_kernelILb0ELi256EPKDF16_PKfKPfEviiT2_lPKT1_lilS9_lilS6_lPT3_lili,@function
_ZL20rocblas_gemvt_kernelILb0ELi256EPKDF16_PKfKPfEviiT2_lPKT1_lilS9_lilS6_lPT3_lili: ; @_ZL20rocblas_gemvt_kernelILb0ELi256EPKDF16_PKfKPfEviiT2_lPKT1_lilS9_lilS6_lPT3_lili
; %bb.0:
	s_load_dwordx8 s[12:19], s[0:1], 0x8
	s_load_dwordx8 s[4:11], s[0:1], 0x58
	s_mov_b32 s20, s3
	s_waitcnt lgkmcnt(0)
	s_mul_i32 s3, s3, s15
	s_mul_hi_u32 s15, s20, s14
	s_add_i32 s15, s15, s3
	s_mul_i32 s14, s20, s14
	s_lshl_b64 s[14:15], s[14:15], 2
	s_add_u32 s12, s12, s14
	s_addc_u32 s13, s13, s15
	s_load_dword s3, s[12:13], 0x0
	s_mul_i32 s7, s20, s7
	s_mul_hi_u32 s12, s20, s6
	s_add_i32 s7, s12, s7
	s_mul_i32 s6, s20, s6
	s_lshl_b64 s[6:7], s[6:7], 2
	s_add_u32 s4, s4, s6
	s_addc_u32 s5, s5, s7
	s_load_dword s22, s[4:5], 0x0
	s_waitcnt lgkmcnt(0)
	v_cmp_eq_f32_e64 s[4:5], s3, 0
	v_cmp_eq_f32_e64 s[6:7], s22, 1.0
	s_and_b64 s[6:7], s[4:5], s[6:7]
	s_and_b64 vcc, exec, s[6:7]
	s_cbranch_vccnz .LBB526_40
; %bb.1:
	s_mov_b32 s21, 0
	v_cmp_neq_f32_e64 s[6:7], s3, 0
	s_mov_b64 s[12:13], 0
	s_and_b64 vcc, exec, s[4:5]
	s_mov_b64 s[14:15], 0
	s_cbranch_vccnz .LBB526_3
; %bb.2:
	s_lshl_b64 s[14:15], s[20:21], 3
	s_add_u32 s14, s16, s14
	s_addc_u32 s15, s17, s15
	s_load_dwordx2 s[14:15], s[14:15], 0x0
	s_lshl_b64 s[16:17], s[18:19], 1
	s_waitcnt lgkmcnt(0)
	s_add_u32 s14, s14, s16
	s_addc_u32 s15, s15, s17
.LBB526_3:
	s_andn2_b64 vcc, exec, s[6:7]
	s_cbranch_vccnz .LBB526_5
; %bb.4:
	s_load_dwordx4 s[16:19], s[0:1], 0x38
	s_lshl_b64 s[6:7], s[20:21], 3
	s_waitcnt lgkmcnt(0)
	s_add_u32 s6, s16, s6
	s_addc_u32 s7, s17, s7
	s_load_dwordx2 s[6:7], s[6:7], 0x0
	s_lshl_b64 s[12:13], s[18:19], 1
	s_waitcnt lgkmcnt(0)
	s_add_u32 s12, s6, s12
	s_addc_u32 s13, s7, s13
.LBB526_5:
	s_lshl_b64 s[6:7], s[20:21], 3
	s_add_u32 s6, s8, s6
	s_addc_u32 s7, s9, s7
	s_load_dwordx2 s[8:9], s[6:7], 0x0
	s_load_dword s20, s[0:1], 0x78
	s_lshl_b64 s[6:7], s[10:11], 2
	s_waitcnt lgkmcnt(0)
	s_add_u32 s18, s8, s6
	s_addc_u32 s19, s9, s7
	s_andn2_b64 vcc, exec, s[4:5]
	v_cmp_eq_u32_e64 s[4:5], 0, v0
	s_cbranch_vccnz .LBB526_10
; %bb.6:
	s_mov_b64 s[10:11], 0
	s_mov_b64 s[6:7], 0
                                        ; implicit-def: $vgpr1
                                        ; implicit-def: $sgpr8_sgpr9
	s_and_saveexec_b64 s[16:17], s[4:5]
	s_cbranch_execz .LBB526_11
; %bb.7:
	v_cmp_eq_f32_e64 s[4:5], s22, 0
	v_mov_b32_e32 v1, 0
	s_mul_hi_i32 s9, s20, s2
	s_mul_i32 s8, s20, s2
	s_and_b64 vcc, exec, s[4:5]
	s_cbranch_vccnz .LBB526_9
; %bb.8:
	s_lshl_b64 s[4:5], s[8:9], 2
	s_add_u32 s4, s18, s4
	s_addc_u32 s5, s19, s5
	s_load_dword s4, s[4:5], 0x0
	s_waitcnt lgkmcnt(0)
	v_mov_b32_e32 v1, s4
	v_mul_f32_e32 v1, s22, v1
.LBB526_9:
	s_mov_b64 s[6:7], exec
	s_or_b64 exec, exec, s[16:17]
	s_and_b64 vcc, exec, s[10:11]
	s_cbranch_vccnz .LBB526_12
	s_branch .LBB526_38
.LBB526_10:
	s_mov_b64 s[6:7], 0
                                        ; implicit-def: $vgpr1
                                        ; implicit-def: $sgpr8_sgpr9
	s_cbranch_execnz .LBB526_12
	s_branch .LBB526_38
.LBB526_11:
	s_or_b64 exec, exec, s[16:17]
	s_and_b64 vcc, exec, s[10:11]
	s_cbranch_vccz .LBB526_38
.LBB526_12:
	s_load_dword s16, s[0:1], 0x0
	s_load_dword s5, s[0:1], 0x28
	;; [unrolled: 1-line block ×3, first 2 shown]
	v_mov_b32_e32 v3, 0
	s_mov_b32 s1, 0
	s_waitcnt lgkmcnt(0)
	v_cmp_gt_i32_e32 vcc, s16, v0
	s_mul_hi_i32 s9, s5, s2
	s_mul_i32 s8, s5, s2
	s_lshl_b64 s[8:9], s[8:9], 1
	s_add_u32 s8, s8, s14
	s_addc_u32 s9, s9, s15
	s_ashr_i32 s0, s16, 31
	s_lshr_b32 s0, s0, 24
	v_cndmask_b32_e32 v1, 0, v0, vcc
	s_add_i32 s0, s16, s0
	v_lshlrev_b32_e32 v2, 1, v1
	s_and_b32 s0, s0, 0xffffff00
	s_cmpk_lt_i32 s16, 0x100
	v_lshl_add_u64 v[4:5], s[8:9], 0, v[2:3]
	s_cbranch_scc1 .LBB526_15
; %bb.13:
	s_ashr_i32 s5, s4, 31
	v_mad_i64_i32 v[2:3], s[8:9], s4, v0, 0
	v_lshl_add_u64 v[6:7], v[2:3], 1, s[12:13]
	s_lshl_b64 s[8:9], s[4:5], 9
	v_mov_b32_e32 v3, 0
	s_mov_b64 s[10:11], 0x200
	v_mov_b64_e32 v[8:9], v[4:5]
.LBB526_14:                             ; =>This Inner Loop Header: Depth=1
	flat_load_ushort v1, v[8:9]
	flat_load_ushort v2, v[6:7]
	s_addk_i32 s1, 0x100
	v_lshl_add_u64 v[6:7], v[6:7], 0, s[8:9]
	v_lshl_add_u64 v[8:9], v[8:9], 0, s[10:11]
	s_cmp_ge_i32 s1, s0
	s_waitcnt vmcnt(0) lgkmcnt(0)
	v_mul_f16_e32 v1, v1, v2
	v_cvt_f32_f16_e32 v1, v1
	v_add_f32_e32 v3, v3, v1
	s_cbranch_scc0 .LBB526_14
.LBB526_15:
	v_add_u32_e32 v1, s0, v0
	v_cmp_gt_i32_e32 vcc, s16, v1
	s_and_saveexec_b64 s[8:9], vcc
	s_cbranch_execz .LBB526_17
; %bb.16:
	s_ashr_i32 s1, s0, 31
	v_lshl_add_u64 v[4:5], s[0:1], 1, v[4:5]
	flat_load_ushort v2, v[4:5]
	v_mad_i64_i32 v[4:5], s[0:1], s4, v1, 0
	v_lshl_add_u64 v[4:5], v[4:5], 1, s[12:13]
	flat_load_ushort v1, v[4:5]
	s_waitcnt vmcnt(0) lgkmcnt(0)
	v_mul_f16_e32 v1, v2, v1
	v_cvt_f32_f16_e32 v1, v1
	v_add_f32_e32 v3, v3, v1
.LBB526_17:
	s_or_b64 exec, exec, s[8:9]
	s_movk_i32 s0, 0x80
	v_lshlrev_b32_e32 v1, 2, v0
	v_cmp_gt_u32_e32 vcc, s0, v0
	ds_write_b32 v1, v3
	s_waitcnt lgkmcnt(0)
	s_barrier
	s_and_saveexec_b64 s[0:1], vcc
	s_cbranch_execz .LBB526_19
; %bb.18:
	ds_read2st64_b32 v[2:3], v1 offset1:2
	s_waitcnt lgkmcnt(0)
	v_add_f32_e32 v2, v3, v2
	ds_write_b32 v1, v2
.LBB526_19:
	s_or_b64 exec, exec, s[0:1]
	v_cmp_gt_u32_e32 vcc, 64, v0
	s_waitcnt lgkmcnt(0)
	s_barrier
	s_and_saveexec_b64 s[0:1], vcc
	s_cbranch_execz .LBB526_21
; %bb.20:
	ds_read2st64_b32 v[2:3], v1 offset1:1
	s_waitcnt lgkmcnt(0)
	v_add_f32_e32 v2, v3, v2
	ds_write_b32 v1, v2
.LBB526_21:
	s_or_b64 exec, exec, s[0:1]
	v_cmp_gt_u32_e32 vcc, 32, v0
	s_waitcnt lgkmcnt(0)
	s_barrier
	s_and_saveexec_b64 s[0:1], vcc
	s_cbranch_execz .LBB526_23
; %bb.22:
	ds_read2_b32 v[2:3], v1 offset1:32
	s_waitcnt lgkmcnt(0)
	v_add_f32_e32 v2, v3, v2
	ds_write_b32 v1, v2
.LBB526_23:
	s_or_b64 exec, exec, s[0:1]
	v_cmp_gt_u32_e32 vcc, 16, v0
	s_waitcnt lgkmcnt(0)
	s_barrier
	s_and_saveexec_b64 s[0:1], vcc
	s_cbranch_execz .LBB526_25
; %bb.24:
	ds_read2_b32 v[2:3], v1 offset1:16
	s_waitcnt lgkmcnt(0)
	v_add_f32_e32 v2, v3, v2
	ds_write_b32 v1, v2
.LBB526_25:
	;; [unrolled: 12-line block ×5, first 2 shown]
	s_or_b64 exec, exec, s[0:1]
	v_cmp_eq_u32_e32 vcc, 0, v0
	s_waitcnt lgkmcnt(0)
	s_barrier
	s_and_saveexec_b64 s[0:1], vcc
	s_cbranch_execz .LBB526_33
; %bb.32:
	v_mov_b32_e32 v2, 0
	ds_read_b64 v[0:1], v2
	s_waitcnt lgkmcnt(0)
	v_add_f32_e32 v0, v1, v0
	ds_write_b32 v2, v0
.LBB526_33:
	s_or_b64 exec, exec, s[0:1]
	s_waitcnt lgkmcnt(0)
	s_barrier
	s_waitcnt lgkmcnt(0)
                                        ; implicit-def: $vgpr1
                                        ; implicit-def: $sgpr8_sgpr9
	s_and_saveexec_b64 s[0:1], vcc
	s_cbranch_execz .LBB526_37
; %bb.34:
	v_mov_b32_e32 v0, 0
	ds_read_b32 v0, v0
	v_cmp_eq_f32_e64 s[4:5], s22, 0
	s_mul_hi_i32 s9, s20, s2
	s_mul_i32 s8, s20, s2
	s_and_b64 vcc, exec, s[4:5]
	s_waitcnt lgkmcnt(0)
	v_mul_f32_e32 v1, s3, v0
	s_cbranch_vccnz .LBB526_36
; %bb.35:
	s_lshl_b64 s[2:3], s[8:9], 2
	s_add_u32 s2, s18, s2
	s_addc_u32 s3, s19, s3
	s_load_dword s2, s[2:3], 0x0
	s_waitcnt lgkmcnt(0)
	v_mov_b32_e32 v0, s2
	v_fmac_f32_e32 v1, s22, v0
.LBB526_36:
	s_or_b64 s[6:7], s[6:7], exec
.LBB526_37:
	s_or_b64 exec, exec, s[0:1]
.LBB526_38:
	s_and_saveexec_b64 s[0:1], s[6:7]
	s_cbranch_execz .LBB526_40
; %bb.39:
	s_lshl_b64 s[0:1], s[8:9], 2
	s_add_u32 s0, s18, s0
	s_addc_u32 s1, s19, s1
	v_mov_b32_e32 v0, 0
	global_store_dword v0, v1, s[0:1]
.LBB526_40:
	s_endpgm
	.section	.rodata,"a",@progbits
	.p2align	6, 0x0
	.amdhsa_kernel _ZL20rocblas_gemvt_kernelILb0ELi256EPKDF16_PKfKPfEviiT2_lPKT1_lilS9_lilS6_lPT3_lili
		.amdhsa_group_segment_fixed_size 1024
		.amdhsa_private_segment_fixed_size 0
		.amdhsa_kernarg_size 140
		.amdhsa_user_sgpr_count 2
		.amdhsa_user_sgpr_dispatch_ptr 0
		.amdhsa_user_sgpr_queue_ptr 0
		.amdhsa_user_sgpr_kernarg_segment_ptr 1
		.amdhsa_user_sgpr_dispatch_id 0
		.amdhsa_user_sgpr_kernarg_preload_length 0
		.amdhsa_user_sgpr_kernarg_preload_offset 0
		.amdhsa_user_sgpr_private_segment_size 0
		.amdhsa_uses_dynamic_stack 0
		.amdhsa_enable_private_segment 0
		.amdhsa_system_sgpr_workgroup_id_x 1
		.amdhsa_system_sgpr_workgroup_id_y 0
		.amdhsa_system_sgpr_workgroup_id_z 1
		.amdhsa_system_sgpr_workgroup_info 0
		.amdhsa_system_vgpr_workitem_id 0
		.amdhsa_next_free_vgpr 10
		.amdhsa_next_free_sgpr 23
		.amdhsa_accum_offset 12
		.amdhsa_reserve_vcc 1
		.amdhsa_float_round_mode_32 0
		.amdhsa_float_round_mode_16_64 0
		.amdhsa_float_denorm_mode_32 3
		.amdhsa_float_denorm_mode_16_64 3
		.amdhsa_dx10_clamp 1
		.amdhsa_ieee_mode 1
		.amdhsa_fp16_overflow 0
		.amdhsa_tg_split 0
		.amdhsa_exception_fp_ieee_invalid_op 0
		.amdhsa_exception_fp_denorm_src 0
		.amdhsa_exception_fp_ieee_div_zero 0
		.amdhsa_exception_fp_ieee_overflow 0
		.amdhsa_exception_fp_ieee_underflow 0
		.amdhsa_exception_fp_ieee_inexact 0
		.amdhsa_exception_int_div_zero 0
	.end_amdhsa_kernel
	.section	.text._ZL20rocblas_gemvt_kernelILb0ELi256EPKDF16_PKfKPfEviiT2_lPKT1_lilS9_lilS6_lPT3_lili,"axG",@progbits,_ZL20rocblas_gemvt_kernelILb0ELi256EPKDF16_PKfKPfEviiT2_lPKT1_lilS9_lilS6_lPT3_lili,comdat
.Lfunc_end526:
	.size	_ZL20rocblas_gemvt_kernelILb0ELi256EPKDF16_PKfKPfEviiT2_lPKT1_lilS9_lilS6_lPT3_lili, .Lfunc_end526-_ZL20rocblas_gemvt_kernelILb0ELi256EPKDF16_PKfKPfEviiT2_lPKT1_lilS9_lilS6_lPT3_lili
                                        ; -- End function
	.section	.AMDGPU.csdata,"",@progbits
; Kernel info:
; codeLenInByte = 1256
; NumSgprs: 29
; NumVgprs: 10
; NumAgprs: 0
; TotalNumVgprs: 10
; ScratchSize: 0
; MemoryBound: 0
; FloatMode: 240
; IeeeMode: 1
; LDSByteSize: 1024 bytes/workgroup (compile time only)
; SGPRBlocks: 3
; VGPRBlocks: 1
; NumSGPRsForWavesPerEU: 29
; NumVGPRsForWavesPerEU: 10
; AccumOffset: 12
; Occupancy: 8
; WaveLimiterHint : 1
; COMPUTE_PGM_RSRC2:SCRATCH_EN: 0
; COMPUTE_PGM_RSRC2:USER_SGPR: 2
; COMPUTE_PGM_RSRC2:TRAP_HANDLER: 0
; COMPUTE_PGM_RSRC2:TGID_X_EN: 1
; COMPUTE_PGM_RSRC2:TGID_Y_EN: 0
; COMPUTE_PGM_RSRC2:TGID_Z_EN: 1
; COMPUTE_PGM_RSRC2:TIDIG_COMP_CNT: 0
; COMPUTE_PGM_RSRC3_GFX90A:ACCUM_OFFSET: 2
; COMPUTE_PGM_RSRC3_GFX90A:TG_SPLIT: 0
	.section	.text._ZL20rocblas_gemvt_kernelILb0ELi256EPKDF16_fKPfEviiT2_lPKT1_lilS7_lilS4_lPT3_lili,"axG",@progbits,_ZL20rocblas_gemvt_kernelILb0ELi256EPKDF16_fKPfEviiT2_lPKT1_lilS7_lilS4_lPT3_lili,comdat
	.globl	_ZL20rocblas_gemvt_kernelILb0ELi256EPKDF16_fKPfEviiT2_lPKT1_lilS7_lilS4_lPT3_lili ; -- Begin function _ZL20rocblas_gemvt_kernelILb0ELi256EPKDF16_fKPfEviiT2_lPKT1_lilS7_lilS4_lPT3_lili
	.p2align	8
	.type	_ZL20rocblas_gemvt_kernelILb0ELi256EPKDF16_fKPfEviiT2_lPKT1_lilS7_lilS4_lPT3_lili,@function
_ZL20rocblas_gemvt_kernelILb0ELi256EPKDF16_fKPfEviiT2_lPKT1_lilS7_lilS4_lPT3_lili: ; @_ZL20rocblas_gemvt_kernelILb0ELi256EPKDF16_fKPfEviiT2_lPKT1_lilS7_lilS4_lPT3_lili
; %bb.0:
	s_mov_b32 s12, s3
	s_load_dword s18, s[0:1], 0x8
	s_load_dword s3, s[0:1], 0x58
	s_waitcnt lgkmcnt(0)
	v_cmp_eq_f32_e64 s[4:5], s18, 0
	v_cmp_eq_f32_e64 s[6:7], s3, 1.0
	s_and_b64 s[6:7], s[4:5], s[6:7]
	s_and_b64 vcc, exec, s[6:7]
	s_cbranch_vccnz .LBB527_42
; %bb.1:
	v_cmp_neq_f32_e64 s[8:9], s18, 0
	s_mov_b32 s13, 0
	s_and_b64 vcc, exec, s[8:9]
	s_cbranch_vccnz .LBB527_3
; %bb.2:
	s_mov_b64 s[10:11], 0
	s_cbranch_execz .LBB527_4
	s_branch .LBB527_5
.LBB527_3:
                                        ; implicit-def: $sgpr10_sgpr11
.LBB527_4:
	s_load_dwordx4 s[20:23], s[0:1], 0x18
	s_lshl_b64 s[6:7], s[12:13], 3
	s_waitcnt lgkmcnt(0)
	s_add_u32 s6, s20, s6
	s_addc_u32 s7, s21, s7
	s_load_dwordx2 s[6:7], s[6:7], 0x0
	s_lshl_b64 s[10:11], s[22:23], 1
	s_waitcnt lgkmcnt(0)
	s_add_u32 s10, s6, s10
	s_addc_u32 s11, s7, s11
.LBB527_5:
	s_mov_b64 s[6:7], 0
	s_andn2_b64 vcc, exec, s[8:9]
	s_mov_b64 s[8:9], 0
	s_cbranch_vccnz .LBB527_7
; %bb.6:
	s_load_dwordx4 s[20:23], s[0:1], 0x38
	s_lshl_b64 s[8:9], s[12:13], 3
	s_waitcnt lgkmcnt(0)
	s_add_u32 s8, s20, s8
	s_addc_u32 s9, s21, s9
	s_load_dwordx2 s[8:9], s[8:9], 0x0
	s_lshl_b64 s[14:15], s[22:23], 1
	s_waitcnt lgkmcnt(0)
	s_add_u32 s8, s8, s14
	s_addc_u32 s9, s9, s15
.LBB527_7:
	s_load_dwordx4 s[24:27], s[0:1], 0x68
	s_load_dword s21, s[0:1], 0x78
	s_lshl_b64 s[12:13], s[12:13], 3
	s_waitcnt lgkmcnt(0)
	s_add_u32 s12, s24, s12
	s_addc_u32 s13, s25, s13
	s_load_dwordx2 s[12:13], s[12:13], 0x0
	s_lshl_b64 s[14:15], s[26:27], 2
	s_waitcnt lgkmcnt(0)
	s_add_u32 s19, s12, s14
	s_addc_u32 s20, s13, s15
	s_andn2_b64 vcc, exec, s[4:5]
	v_cmp_eq_u32_e64 s[4:5], 0, v0
	s_cbranch_vccnz .LBB527_12
; %bb.8:
	s_mov_b64 s[14:15], 0
                                        ; implicit-def: $vgpr1
                                        ; implicit-def: $sgpr12_sgpr13
	s_and_saveexec_b64 s[16:17], s[4:5]
	s_cbranch_execz .LBB527_13
; %bb.9:
	v_cmp_eq_f32_e64 s[4:5], s3, 0
	v_mov_b32_e32 v1, 0
	s_mul_hi_i32 s13, s21, s2
	s_mul_i32 s12, s21, s2
	s_and_b64 vcc, exec, s[4:5]
	s_cbranch_vccnz .LBB527_11
; %bb.10:
	s_lshl_b64 s[4:5], s[12:13], 2
	s_add_u32 s4, s19, s4
	s_addc_u32 s5, s20, s5
	s_load_dword s4, s[4:5], 0x0
	v_mov_b32_e32 v1, s3
	s_waitcnt lgkmcnt(0)
	v_mul_f32_e32 v1, s4, v1
.LBB527_11:
	s_mov_b64 s[6:7], exec
	s_or_b64 exec, exec, s[16:17]
	s_and_b64 vcc, exec, s[14:15]
	s_cbranch_vccnz .LBB527_14
	s_branch .LBB527_40
.LBB527_12:
                                        ; implicit-def: $vgpr1
                                        ; implicit-def: $sgpr12_sgpr13
	s_cbranch_execnz .LBB527_14
	s_branch .LBB527_40
.LBB527_13:
	s_or_b64 exec, exec, s[16:17]
	s_and_b64 vcc, exec, s[14:15]
	s_cbranch_vccz .LBB527_40
.LBB527_14:
	s_load_dword s14, s[0:1], 0x0
	s_load_dword s5, s[0:1], 0x28
	;; [unrolled: 1-line block ×3, first 2 shown]
	v_mov_b32_e32 v3, 0
	s_mov_b32 s1, 0
	s_waitcnt lgkmcnt(0)
	v_cmp_gt_i32_e32 vcc, s14, v0
	s_mul_hi_i32 s13, s5, s2
	s_mul_i32 s12, s5, s2
	s_lshl_b64 s[12:13], s[12:13], 1
	s_add_u32 s10, s12, s10
	s_addc_u32 s11, s13, s11
	s_ashr_i32 s0, s14, 31
	s_lshr_b32 s0, s0, 24
	v_cndmask_b32_e32 v1, 0, v0, vcc
	s_add_i32 s0, s14, s0
	v_lshlrev_b32_e32 v2, 1, v1
	s_and_b32 s0, s0, 0xffffff00
	s_cmpk_lt_i32 s14, 0x100
	v_lshl_add_u64 v[4:5], s[10:11], 0, v[2:3]
	s_cbranch_scc1 .LBB527_17
; %bb.15:
	s_ashr_i32 s5, s4, 31
	v_mad_i64_i32 v[2:3], s[10:11], s4, v0, 0
	v_lshl_add_u64 v[6:7], v[2:3], 1, s[8:9]
	s_lshl_b64 s[10:11], s[4:5], 9
	v_mov_b32_e32 v3, 0
	s_mov_b64 s[12:13], 0x200
	v_mov_b64_e32 v[8:9], v[4:5]
.LBB527_16:                             ; =>This Inner Loop Header: Depth=1
	flat_load_ushort v1, v[8:9]
	flat_load_ushort v2, v[6:7]
	s_addk_i32 s1, 0x100
	v_lshl_add_u64 v[6:7], v[6:7], 0, s[10:11]
	v_lshl_add_u64 v[8:9], v[8:9], 0, s[12:13]
	s_cmp_ge_i32 s1, s0
	s_waitcnt vmcnt(0) lgkmcnt(0)
	v_mul_f16_e32 v1, v1, v2
	v_cvt_f32_f16_e32 v1, v1
	v_add_f32_e32 v3, v3, v1
	s_cbranch_scc0 .LBB527_16
.LBB527_17:
	v_add_u32_e32 v1, s0, v0
	v_cmp_gt_i32_e32 vcc, s14, v1
	s_and_saveexec_b64 s[10:11], vcc
	s_cbranch_execz .LBB527_19
; %bb.18:
	s_ashr_i32 s1, s0, 31
	v_lshl_add_u64 v[4:5], s[0:1], 1, v[4:5]
	flat_load_ushort v2, v[4:5]
	v_mad_i64_i32 v[4:5], s[0:1], s4, v1, 0
	v_lshl_add_u64 v[4:5], v[4:5], 1, s[8:9]
	flat_load_ushort v1, v[4:5]
	s_waitcnt vmcnt(0) lgkmcnt(0)
	v_mul_f16_e32 v1, v2, v1
	v_cvt_f32_f16_e32 v1, v1
	v_add_f32_e32 v3, v3, v1
.LBB527_19:
	s_or_b64 exec, exec, s[10:11]
	s_movk_i32 s0, 0x80
	v_lshlrev_b32_e32 v1, 2, v0
	v_cmp_gt_u32_e32 vcc, s0, v0
	ds_write_b32 v1, v3
	s_waitcnt lgkmcnt(0)
	s_barrier
	s_and_saveexec_b64 s[0:1], vcc
	s_cbranch_execz .LBB527_21
; %bb.20:
	ds_read2st64_b32 v[2:3], v1 offset1:2
	s_waitcnt lgkmcnt(0)
	v_add_f32_e32 v2, v3, v2
	ds_write_b32 v1, v2
.LBB527_21:
	s_or_b64 exec, exec, s[0:1]
	v_cmp_gt_u32_e32 vcc, 64, v0
	s_waitcnt lgkmcnt(0)
	s_barrier
	s_and_saveexec_b64 s[0:1], vcc
	s_cbranch_execz .LBB527_23
; %bb.22:
	ds_read2st64_b32 v[2:3], v1 offset1:1
	s_waitcnt lgkmcnt(0)
	v_add_f32_e32 v2, v3, v2
	ds_write_b32 v1, v2
.LBB527_23:
	s_or_b64 exec, exec, s[0:1]
	v_cmp_gt_u32_e32 vcc, 32, v0
	s_waitcnt lgkmcnt(0)
	s_barrier
	s_and_saveexec_b64 s[0:1], vcc
	s_cbranch_execz .LBB527_25
; %bb.24:
	ds_read2_b32 v[2:3], v1 offset1:32
	s_waitcnt lgkmcnt(0)
	v_add_f32_e32 v2, v3, v2
	ds_write_b32 v1, v2
.LBB527_25:
	s_or_b64 exec, exec, s[0:1]
	v_cmp_gt_u32_e32 vcc, 16, v0
	s_waitcnt lgkmcnt(0)
	s_barrier
	s_and_saveexec_b64 s[0:1], vcc
	s_cbranch_execz .LBB527_27
; %bb.26:
	ds_read2_b32 v[2:3], v1 offset1:16
	s_waitcnt lgkmcnt(0)
	v_add_f32_e32 v2, v3, v2
	ds_write_b32 v1, v2
.LBB527_27:
	;; [unrolled: 12-line block ×5, first 2 shown]
	s_or_b64 exec, exec, s[0:1]
	v_cmp_eq_u32_e32 vcc, 0, v0
	s_waitcnt lgkmcnt(0)
	s_barrier
	s_and_saveexec_b64 s[0:1], vcc
	s_cbranch_execz .LBB527_35
; %bb.34:
	v_mov_b32_e32 v2, 0
	ds_read_b64 v[0:1], v2
	s_waitcnt lgkmcnt(0)
	v_add_f32_e32 v0, v1, v0
	ds_write_b32 v2, v0
.LBB527_35:
	s_or_b64 exec, exec, s[0:1]
	s_waitcnt lgkmcnt(0)
	s_barrier
	s_waitcnt lgkmcnt(0)
                                        ; implicit-def: $vgpr1
                                        ; implicit-def: $sgpr12_sgpr13
	s_and_saveexec_b64 s[0:1], vcc
	s_cbranch_execz .LBB527_39
; %bb.36:
	v_mov_b32_e32 v0, 0
	ds_read_b32 v0, v0
	v_cmp_eq_f32_e64 s[4:5], s3, 0
	s_mul_hi_i32 s13, s21, s2
	s_mul_i32 s12, s21, s2
	s_and_b64 vcc, exec, s[4:5]
	s_waitcnt lgkmcnt(0)
	v_mul_f32_e32 v1, s18, v0
	s_cbranch_vccnz .LBB527_38
; %bb.37:
	s_lshl_b64 s[4:5], s[12:13], 2
	s_add_u32 s4, s19, s4
	s_addc_u32 s5, s20, s5
	s_load_dword s2, s[4:5], 0x0
	v_mov_b32_e32 v0, s3
	s_waitcnt lgkmcnt(0)
	v_fmac_f32_e32 v1, s2, v0
.LBB527_38:
	s_or_b64 s[6:7], s[6:7], exec
.LBB527_39:
	s_or_b64 exec, exec, s[0:1]
.LBB527_40:
	s_and_saveexec_b64 s[0:1], s[6:7]
	s_cbranch_execz .LBB527_42
; %bb.41:
	s_lshl_b64 s[0:1], s[12:13], 2
	s_add_u32 s0, s19, s0
	s_addc_u32 s1, s20, s1
	v_mov_b32_e32 v0, 0
	global_store_dword v0, v1, s[0:1]
.LBB527_42:
	s_endpgm
	.section	.rodata,"a",@progbits
	.p2align	6, 0x0
	.amdhsa_kernel _ZL20rocblas_gemvt_kernelILb0ELi256EPKDF16_fKPfEviiT2_lPKT1_lilS7_lilS4_lPT3_lili
		.amdhsa_group_segment_fixed_size 1024
		.amdhsa_private_segment_fixed_size 0
		.amdhsa_kernarg_size 140
		.amdhsa_user_sgpr_count 2
		.amdhsa_user_sgpr_dispatch_ptr 0
		.amdhsa_user_sgpr_queue_ptr 0
		.amdhsa_user_sgpr_kernarg_segment_ptr 1
		.amdhsa_user_sgpr_dispatch_id 0
		.amdhsa_user_sgpr_kernarg_preload_length 0
		.amdhsa_user_sgpr_kernarg_preload_offset 0
		.amdhsa_user_sgpr_private_segment_size 0
		.amdhsa_uses_dynamic_stack 0
		.amdhsa_enable_private_segment 0
		.amdhsa_system_sgpr_workgroup_id_x 1
		.amdhsa_system_sgpr_workgroup_id_y 0
		.amdhsa_system_sgpr_workgroup_id_z 1
		.amdhsa_system_sgpr_workgroup_info 0
		.amdhsa_system_vgpr_workitem_id 0
		.amdhsa_next_free_vgpr 10
		.amdhsa_next_free_sgpr 28
		.amdhsa_accum_offset 12
		.amdhsa_reserve_vcc 1
		.amdhsa_float_round_mode_32 0
		.amdhsa_float_round_mode_16_64 0
		.amdhsa_float_denorm_mode_32 3
		.amdhsa_float_denorm_mode_16_64 3
		.amdhsa_dx10_clamp 1
		.amdhsa_ieee_mode 1
		.amdhsa_fp16_overflow 0
		.amdhsa_tg_split 0
		.amdhsa_exception_fp_ieee_invalid_op 0
		.amdhsa_exception_fp_denorm_src 0
		.amdhsa_exception_fp_ieee_div_zero 0
		.amdhsa_exception_fp_ieee_overflow 0
		.amdhsa_exception_fp_ieee_underflow 0
		.amdhsa_exception_fp_ieee_inexact 0
		.amdhsa_exception_int_div_zero 0
	.end_amdhsa_kernel
	.section	.text._ZL20rocblas_gemvt_kernelILb0ELi256EPKDF16_fKPfEviiT2_lPKT1_lilS7_lilS4_lPT3_lili,"axG",@progbits,_ZL20rocblas_gemvt_kernelILb0ELi256EPKDF16_fKPfEviiT2_lPKT1_lilS7_lilS4_lPT3_lili,comdat
.Lfunc_end527:
	.size	_ZL20rocblas_gemvt_kernelILb0ELi256EPKDF16_fKPfEviiT2_lPKT1_lilS7_lilS4_lPT3_lili, .Lfunc_end527-_ZL20rocblas_gemvt_kernelILb0ELi256EPKDF16_fKPfEviiT2_lPKT1_lilS7_lilS4_lPT3_lili
                                        ; -- End function
	.section	.AMDGPU.csdata,"",@progbits
; Kernel info:
; codeLenInByte = 1208
; NumSgprs: 34
; NumVgprs: 10
; NumAgprs: 0
; TotalNumVgprs: 10
; ScratchSize: 0
; MemoryBound: 0
; FloatMode: 240
; IeeeMode: 1
; LDSByteSize: 1024 bytes/workgroup (compile time only)
; SGPRBlocks: 4
; VGPRBlocks: 1
; NumSGPRsForWavesPerEU: 34
; NumVGPRsForWavesPerEU: 10
; AccumOffset: 12
; Occupancy: 8
; WaveLimiterHint : 1
; COMPUTE_PGM_RSRC2:SCRATCH_EN: 0
; COMPUTE_PGM_RSRC2:USER_SGPR: 2
; COMPUTE_PGM_RSRC2:TRAP_HANDLER: 0
; COMPUTE_PGM_RSRC2:TGID_X_EN: 1
; COMPUTE_PGM_RSRC2:TGID_Y_EN: 0
; COMPUTE_PGM_RSRC2:TGID_Z_EN: 1
; COMPUTE_PGM_RSRC2:TIDIG_COMP_CNT: 0
; COMPUTE_PGM_RSRC3_GFX90A:ACCUM_OFFSET: 2
; COMPUTE_PGM_RSRC3_GFX90A:TG_SPLIT: 0
	.section	.text._ZL32rocblas_gemvt_warp_reduce_kernelILb0ELi1024EiPKDF16_PKfKPfEviiT3_lPKT2_lT1_lS9_lSA_lS6_lPT4_lSA_li,"axG",@progbits,_ZL32rocblas_gemvt_warp_reduce_kernelILb0ELi1024EiPKDF16_PKfKPfEviiT3_lPKT2_lT1_lS9_lSA_lS6_lPT4_lSA_li,comdat
	.globl	_ZL32rocblas_gemvt_warp_reduce_kernelILb0ELi1024EiPKDF16_PKfKPfEviiT3_lPKT2_lT1_lS9_lSA_lS6_lPT4_lSA_li ; -- Begin function _ZL32rocblas_gemvt_warp_reduce_kernelILb0ELi1024EiPKDF16_PKfKPfEviiT3_lPKT2_lT1_lS9_lSA_lS6_lPT4_lSA_li
	.p2align	8
	.type	_ZL32rocblas_gemvt_warp_reduce_kernelILb0ELi1024EiPKDF16_PKfKPfEviiT3_lPKT2_lT1_lS9_lSA_lS6_lPT4_lSA_li,@function
_ZL32rocblas_gemvt_warp_reduce_kernelILb0ELi1024EiPKDF16_PKfKPfEviiT3_lPKT2_lT1_lS9_lSA_lS6_lPT4_lSA_li: ; @_ZL32rocblas_gemvt_warp_reduce_kernelILb0ELi1024EiPKDF16_PKfKPfEviiT3_lPKT2_lT1_lS9_lSA_lS6_lPT4_lSA_li
; %bb.0:
	s_load_dwordx8 s[12:19], s[0:1], 0x8
	s_load_dwordx8 s[4:11], s[0:1], 0x58
	s_mov_b32 s20, s3
	s_waitcnt lgkmcnt(0)
	s_mul_i32 s3, s3, s15
	s_mul_hi_u32 s15, s20, s14
	s_add_i32 s15, s15, s3
	s_mul_i32 s14, s20, s14
	s_lshl_b64 s[14:15], s[14:15], 2
	s_add_u32 s12, s12, s14
	s_mul_i32 s3, s20, s7
	s_mul_hi_u32 s7, s20, s6
	s_addc_u32 s13, s13, s15
	s_add_i32 s7, s7, s3
	s_mul_i32 s6, s20, s6
	s_lshl_b64 s[6:7], s[6:7], 2
	s_add_u32 s4, s4, s6
	s_addc_u32 s5, s5, s7
	s_load_dword s22, s[12:13], 0x0
	s_load_dword s3, s[4:5], 0x0
	s_waitcnt lgkmcnt(0)
	v_cmp_eq_f32_e64 s[4:5], s22, 0
	v_cmp_eq_f32_e64 s[6:7], s3, 1.0
	s_and_b64 s[6:7], s[4:5], s[6:7]
	s_and_b64 vcc, exec, s[6:7]
	s_cbranch_vccnz .LBB528_33
; %bb.1:
	s_mov_b32 s21, 0
	v_cmp_neq_f32_e64 s[6:7], s22, 0
	s_mov_b64 s[12:13], 0
	s_and_b64 vcc, exec, s[4:5]
	s_mov_b64 s[14:15], 0
	s_cbranch_vccnz .LBB528_3
; %bb.2:
	s_lshl_b64 s[14:15], s[20:21], 3
	s_add_u32 s14, s16, s14
	s_addc_u32 s15, s17, s15
	s_load_dwordx2 s[14:15], s[14:15], 0x0
	s_lshl_b64 s[16:17], s[18:19], 1
	s_waitcnt lgkmcnt(0)
	s_add_u32 s14, s14, s16
	s_addc_u32 s15, s15, s17
.LBB528_3:
	s_andn2_b64 vcc, exec, s[6:7]
	s_cbranch_vccnz .LBB528_5
; %bb.4:
	s_load_dwordx4 s[16:19], s[0:1], 0x38
	s_lshl_b64 s[6:7], s[20:21], 3
	s_waitcnt lgkmcnt(0)
	s_add_u32 s6, s16, s6
	s_addc_u32 s7, s17, s7
	s_load_dwordx2 s[6:7], s[6:7], 0x0
	s_lshl_b64 s[12:13], s[18:19], 1
	s_waitcnt lgkmcnt(0)
	s_add_u32 s12, s6, s12
	s_addc_u32 s13, s7, s13
.LBB528_5:
	s_lshl_b64 s[6:7], s[20:21], 3
	s_add_u32 s6, s8, s6
	s_addc_u32 s7, s9, s7
	s_load_dwordx2 s[8:9], s[6:7], 0x0
	s_load_dword s20, s[0:1], 0x78
	s_lshl_b64 s[6:7], s[10:11], 2
	s_waitcnt lgkmcnt(0)
	s_add_u32 s18, s8, s6
	s_addc_u32 s19, s9, s7
	s_andn2_b64 vcc, exec, s[4:5]
	v_cmp_eq_u32_e64 s[4:5], 0, v0
	s_cbranch_vccnz .LBB528_10
; %bb.6:
	s_mov_b64 s[10:11], 0
	s_mov_b64 s[6:7], 0
                                        ; implicit-def: $vgpr1
                                        ; implicit-def: $sgpr8_sgpr9
	s_and_saveexec_b64 s[16:17], s[4:5]
	s_cbranch_execz .LBB528_11
; %bb.7:
	v_cmp_eq_f32_e64 s[4:5], s3, 0
	s_mul_i32 s8, s2, s20
	v_mov_b32_e32 v1, 0
	s_ashr_i32 s9, s8, 31
	s_and_b64 vcc, exec, s[4:5]
	s_cbranch_vccnz .LBB528_9
; %bb.8:
	s_lshl_b64 s[4:5], s[8:9], 2
	s_add_u32 s4, s18, s4
	s_addc_u32 s5, s19, s5
	s_load_dword s4, s[4:5], 0x0
	s_waitcnt lgkmcnt(0)
	v_mov_b32_e32 v1, s4
	v_mul_f32_e32 v1, s3, v1
.LBB528_9:
	s_mov_b64 s[6:7], exec
	s_or_b64 exec, exec, s[16:17]
	s_and_b64 vcc, exec, s[10:11]
	s_cbranch_vccnz .LBB528_12
	s_branch .LBB528_31
.LBB528_10:
	s_mov_b64 s[6:7], 0
                                        ; implicit-def: $vgpr1
                                        ; implicit-def: $sgpr8_sgpr9
	s_cbranch_execnz .LBB528_12
	s_branch .LBB528_31
.LBB528_11:
	s_or_b64 exec, exec, s[16:17]
	s_and_b64 vcc, exec, s[10:11]
	s_cbranch_vccz .LBB528_31
.LBB528_12:
	s_load_dword s17, s[0:1], 0x0
	s_load_dword s4, s[0:1], 0x28
	;; [unrolled: 1-line block ×3, first 2 shown]
	v_mov_b32_e32 v3, 0
	s_waitcnt lgkmcnt(0)
	v_cmp_gt_i32_e32 vcc, s17, v0
	s_mul_i32 s0, s2, s4
	s_ashr_i32 s1, s0, 31
	s_lshl_b64 s[0:1], s[0:1], 1
	v_cndmask_b32_e32 v1, 0, v0, vcc
	s_add_u32 s0, s0, s14
	v_lshlrev_b32_e32 v2, 1, v1
	s_addc_u32 s1, s1, s15
	v_lshl_add_u64 v[4:5], s[0:1], 0, v[2:3]
	s_ashr_i32 s0, s17, 31
	s_lshr_b32 s0, s0, 22
	s_add_i32 s0, s17, s0
	s_and_b32 s0, s0, 0xfffffc00
	v_cmp_gt_i32_e32 vcc, s0, v0
	s_and_saveexec_b64 s[4:5], vcc
	s_cbranch_execz .LBB528_16
; %bb.13:
	v_mul_lo_u32 v6, v0, s16
	s_lshl_b32 s1, s16, 10
	s_mov_b64 s[8:9], 0
	v_mov_b32_e32 v3, 0
	s_mov_b64 s[10:11], 0x800
	v_mov_b64_e32 v[8:9], v[4:5]
	v_mov_b32_e32 v1, v0
.LBB528_14:                             ; =>This Inner Loop Header: Depth=1
	v_ashrrev_i32_e32 v7, 31, v6
	v_lshl_add_u64 v[10:11], v[6:7], 1, s[12:13]
	flat_load_ushort v2, v[8:9]
	flat_load_ushort v7, v[10:11]
	v_add_u32_e32 v1, 0x400, v1
	v_cmp_le_i32_e32 vcc, s0, v1
	v_lshl_add_u64 v[8:9], v[8:9], 0, s[10:11]
	v_add_u32_e32 v6, s1, v6
	s_or_b64 s[8:9], vcc, s[8:9]
	s_waitcnt vmcnt(0) lgkmcnt(0)
	v_mul_f16_e32 v2, v2, v7
	v_cvt_f32_f16_e32 v2, v2
	v_add_f32_e32 v3, v3, v2
	s_andn2_b64 exec, exec, s[8:9]
	s_cbranch_execnz .LBB528_14
; %bb.15:
	s_or_b64 exec, exec, s[8:9]
.LBB528_16:
	s_or_b64 exec, exec, s[4:5]
	v_or_b32_e32 v1, s0, v0
	v_cmp_gt_i32_e32 vcc, s17, v1
	s_and_saveexec_b64 s[4:5], vcc
	s_cbranch_execz .LBB528_18
; %bb.17:
	s_ashr_i32 s1, s0, 31
	v_lshl_add_u64 v[4:5], s[0:1], 1, v[4:5]
	flat_load_ushort v2, v[4:5]
	v_mul_lo_u32 v4, v1, s16
	v_ashrrev_i32_e32 v5, 31, v4
	v_lshl_add_u64 v[4:5], v[4:5], 1, s[12:13]
	flat_load_ushort v1, v[4:5]
	s_waitcnt vmcnt(0) lgkmcnt(0)
	v_mul_f16_e32 v1, v2, v1
	v_cvt_f32_f16_e32 v1, v1
	v_add_f32_e32 v3, v3, v1
.LBB528_18:
	s_or_b64 exec, exec, s[4:5]
	v_and_b32_e32 v2, 63, v0
	v_cmp_gt_u32_e32 vcc, 64, v0
	v_lshlrev_b32_e32 v1, 2, v2
	s_and_saveexec_b64 s[0:1], vcc
	s_cbranch_execz .LBB528_20
; %bb.19:
	v_mov_b32_e32 v4, 0
	ds_write_b32 v1, v4
.LBB528_20:
	s_or_b64 exec, exec, s[0:1]
	v_mbcnt_lo_u32_b32 v4, -1, 0
	v_mbcnt_hi_u32_b32 v6, -1, v4
	v_and_b32_e32 v7, 63, v6
	v_cmp_gt_u32_e64 s[0:1], 32, v7
	s_waitcnt lgkmcnt(0)
	s_barrier
	v_cndmask_b32_e64 v4, 0, 1, s[0:1]
	v_lshlrev_b32_e32 v4, 5, v4
	v_add_lshl_u32 v4, v4, v6, 2
	ds_bpermute_b32 v4, v4, v3
	v_cmp_gt_u32_e64 s[0:1], 48, v7
	s_waitcnt lgkmcnt(0)
	v_add_f32_e32 v3, v3, v4
	v_cndmask_b32_e64 v5, 0, 1, s[0:1]
	v_lshlrev_b32_e32 v5, 4, v5
	v_add_lshl_u32 v4, v5, v6, 2
	ds_bpermute_b32 v4, v4, v3
	v_cmp_gt_u32_e64 s[0:1], 56, v7
	s_waitcnt lgkmcnt(0)
	v_add_f32_e32 v4, v3, v4
	;; [unrolled: 7-line block ×4, first 2 shown]
	v_cndmask_b32_e64 v9, 0, 1, s[0:1]
	v_lshlrev_b32_e32 v9, 1, v9
	v_add_lshl_u32 v5, v9, v6, 2
	ds_bpermute_b32 v9, v5, v8
	v_cmp_ne_u32_e64 s[0:1], 63, v7
	s_waitcnt lgkmcnt(0)
	v_add_f32_e32 v7, v8, v9
	v_addc_co_u32_e64 v6, s[0:1], 0, v6, s[0:1]
	v_lshlrev_b32_e32 v6, 2, v6
	ds_bpermute_b32 v8, v6, v7
	v_cmp_eq_u32_e64 s[0:1], 0, v2
	s_and_saveexec_b64 s[4:5], s[0:1]
	s_cbranch_execz .LBB528_22
; %bb.21:
	v_lshrrev_b32_e32 v2, 4, v0
	v_and_b32_e32 v2, 60, v2
	s_waitcnt lgkmcnt(0)
	v_add_f32_e32 v7, v7, v8
	ds_write_b32 v2, v7
.LBB528_22:
	s_or_b64 exec, exec, s[4:5]
	v_cmp_gt_u32_e64 s[0:1], 16, v0
	v_mov_b32_e32 v2, 0
	s_waitcnt lgkmcnt(0)
	s_barrier
	s_and_saveexec_b64 s[4:5], s[0:1]
	s_cbranch_execz .LBB528_24
; %bb.23:
	ds_read_b32 v2, v1
	s_or_b64 exec, exec, s[4:5]
	s_and_saveexec_b64 s[0:1], vcc
	s_cbranch_execz .LBB528_26
	s_branch .LBB528_25
.LBB528_24:
	s_or_b64 exec, exec, s[4:5]
	s_and_saveexec_b64 s[0:1], vcc
	s_cbranch_execz .LBB528_26
.LBB528_25:
	s_waitcnt lgkmcnt(0)
	ds_bpermute_b32 v1, v3, v2
	s_waitcnt lgkmcnt(0)
	v_add_f32_e32 v1, v2, v1
	ds_bpermute_b32 v2, v4, v1
	s_waitcnt lgkmcnt(0)
	v_add_f32_e32 v1, v1, v2
	;; [unrolled: 3-line block ×4, first 2 shown]
.LBB528_26:
	s_or_b64 exec, exec, s[0:1]
	v_cmp_eq_u32_e32 vcc, 0, v0
                                        ; implicit-def: $vgpr1
                                        ; implicit-def: $sgpr8_sgpr9
	s_and_saveexec_b64 s[0:1], vcc
	s_cbranch_execz .LBB528_30
; %bb.27:
	v_cmp_eq_f32_e64 s[4:5], s3, 0
	s_mul_i32 s8, s2, s20
	s_waitcnt lgkmcnt(0)
	v_mul_f32_e32 v1, s22, v2
	s_ashr_i32 s9, s8, 31
	s_and_b64 vcc, exec, s[4:5]
	s_cbranch_vccnz .LBB528_29
; %bb.28:
	s_lshl_b64 s[4:5], s[8:9], 2
	s_add_u32 s4, s18, s4
	s_addc_u32 s5, s19, s5
	s_load_dword s2, s[4:5], 0x0
	s_waitcnt lgkmcnt(0)
	v_mov_b32_e32 v0, s2
	v_fmac_f32_e32 v1, s3, v0
.LBB528_29:
	s_or_b64 s[6:7], s[6:7], exec
.LBB528_30:
	s_or_b64 exec, exec, s[0:1]
.LBB528_31:
	s_and_saveexec_b64 s[0:1], s[6:7]
	s_cbranch_execz .LBB528_33
; %bb.32:
	s_lshl_b64 s[0:1], s[8:9], 2
	s_add_u32 s0, s18, s0
	s_addc_u32 s1, s19, s1
	v_mov_b32_e32 v0, 0
	global_store_dword v0, v1, s[0:1]
.LBB528_33:
	s_endpgm
	.section	.rodata,"a",@progbits
	.p2align	6, 0x0
	.amdhsa_kernel _ZL32rocblas_gemvt_warp_reduce_kernelILb0ELi1024EiPKDF16_PKfKPfEviiT3_lPKT2_lT1_lS9_lSA_lS6_lPT4_lSA_li
		.amdhsa_group_segment_fixed_size 256
		.amdhsa_private_segment_fixed_size 0
		.amdhsa_kernarg_size 140
		.amdhsa_user_sgpr_count 2
		.amdhsa_user_sgpr_dispatch_ptr 0
		.amdhsa_user_sgpr_queue_ptr 0
		.amdhsa_user_sgpr_kernarg_segment_ptr 1
		.amdhsa_user_sgpr_dispatch_id 0
		.amdhsa_user_sgpr_kernarg_preload_length 0
		.amdhsa_user_sgpr_kernarg_preload_offset 0
		.amdhsa_user_sgpr_private_segment_size 0
		.amdhsa_uses_dynamic_stack 0
		.amdhsa_enable_private_segment 0
		.amdhsa_system_sgpr_workgroup_id_x 1
		.amdhsa_system_sgpr_workgroup_id_y 0
		.amdhsa_system_sgpr_workgroup_id_z 1
		.amdhsa_system_sgpr_workgroup_info 0
		.amdhsa_system_vgpr_workitem_id 0
		.amdhsa_next_free_vgpr 12
		.amdhsa_next_free_sgpr 23
		.amdhsa_accum_offset 12
		.amdhsa_reserve_vcc 1
		.amdhsa_float_round_mode_32 0
		.amdhsa_float_round_mode_16_64 0
		.amdhsa_float_denorm_mode_32 3
		.amdhsa_float_denorm_mode_16_64 3
		.amdhsa_dx10_clamp 1
		.amdhsa_ieee_mode 1
		.amdhsa_fp16_overflow 0
		.amdhsa_tg_split 0
		.amdhsa_exception_fp_ieee_invalid_op 0
		.amdhsa_exception_fp_denorm_src 0
		.amdhsa_exception_fp_ieee_div_zero 0
		.amdhsa_exception_fp_ieee_overflow 0
		.amdhsa_exception_fp_ieee_underflow 0
		.amdhsa_exception_fp_ieee_inexact 0
		.amdhsa_exception_int_div_zero 0
	.end_amdhsa_kernel
	.section	.text._ZL32rocblas_gemvt_warp_reduce_kernelILb0ELi1024EiPKDF16_PKfKPfEviiT3_lPKT2_lT1_lS9_lSA_lS6_lPT4_lSA_li,"axG",@progbits,_ZL32rocblas_gemvt_warp_reduce_kernelILb0ELi1024EiPKDF16_PKfKPfEviiT3_lPKT2_lT1_lS9_lSA_lS6_lPT4_lSA_li,comdat
.Lfunc_end528:
	.size	_ZL32rocblas_gemvt_warp_reduce_kernelILb0ELi1024EiPKDF16_PKfKPfEviiT3_lPKT2_lT1_lS9_lSA_lS6_lPT4_lSA_li, .Lfunc_end528-_ZL32rocblas_gemvt_warp_reduce_kernelILb0ELi1024EiPKDF16_PKfKPfEviiT3_lPKT2_lT1_lS9_lSA_lS6_lPT4_lSA_li
                                        ; -- End function
	.section	.AMDGPU.csdata,"",@progbits
; Kernel info:
; codeLenInByte = 1352
; NumSgprs: 29
; NumVgprs: 12
; NumAgprs: 0
; TotalNumVgprs: 12
; ScratchSize: 0
; MemoryBound: 0
; FloatMode: 240
; IeeeMode: 1
; LDSByteSize: 256 bytes/workgroup (compile time only)
; SGPRBlocks: 3
; VGPRBlocks: 1
; NumSGPRsForWavesPerEU: 29
; NumVGPRsForWavesPerEU: 12
; AccumOffset: 12
; Occupancy: 8
; WaveLimiterHint : 1
; COMPUTE_PGM_RSRC2:SCRATCH_EN: 0
; COMPUTE_PGM_RSRC2:USER_SGPR: 2
; COMPUTE_PGM_RSRC2:TRAP_HANDLER: 0
; COMPUTE_PGM_RSRC2:TGID_X_EN: 1
; COMPUTE_PGM_RSRC2:TGID_Y_EN: 0
; COMPUTE_PGM_RSRC2:TGID_Z_EN: 1
; COMPUTE_PGM_RSRC2:TIDIG_COMP_CNT: 0
; COMPUTE_PGM_RSRC3_GFX90A:ACCUM_OFFSET: 2
; COMPUTE_PGM_RSRC3_GFX90A:TG_SPLIT: 0
	.section	.text._ZL32rocblas_gemvt_warp_reduce_kernelILb0ELi1024ElPKDF16_PKfKPfEviiT3_lPKT2_lT1_lS9_lSA_lS6_lPT4_lSA_li,"axG",@progbits,_ZL32rocblas_gemvt_warp_reduce_kernelILb0ELi1024ElPKDF16_PKfKPfEviiT3_lPKT2_lT1_lS9_lSA_lS6_lPT4_lSA_li,comdat
	.globl	_ZL32rocblas_gemvt_warp_reduce_kernelILb0ELi1024ElPKDF16_PKfKPfEviiT3_lPKT2_lT1_lS9_lSA_lS6_lPT4_lSA_li ; -- Begin function _ZL32rocblas_gemvt_warp_reduce_kernelILb0ELi1024ElPKDF16_PKfKPfEviiT3_lPKT2_lT1_lS9_lSA_lS6_lPT4_lSA_li
	.p2align	8
	.type	_ZL32rocblas_gemvt_warp_reduce_kernelILb0ELi1024ElPKDF16_PKfKPfEviiT3_lPKT2_lT1_lS9_lSA_lS6_lPT4_lSA_li,@function
_ZL32rocblas_gemvt_warp_reduce_kernelILb0ELi1024ElPKDF16_PKfKPfEviiT3_lPKT2_lT1_lS9_lSA_lS6_lPT4_lSA_li: ; @_ZL32rocblas_gemvt_warp_reduce_kernelILb0ELi1024ElPKDF16_PKfKPfEviiT3_lPKT2_lT1_lS9_lSA_lS6_lPT4_lSA_li
; %bb.0:
	s_load_dwordx8 s[12:19], s[0:1], 0x8
	s_load_dwordx8 s[4:11], s[0:1], 0x58
	s_mov_b32 s24, s3
	s_waitcnt lgkmcnt(0)
	s_mul_i32 s3, s3, s15
	s_mul_hi_u32 s15, s24, s14
	s_add_i32 s15, s15, s3
	s_mul_i32 s14, s24, s14
	s_lshl_b64 s[14:15], s[14:15], 2
	s_add_u32 s12, s12, s14
	s_mul_i32 s3, s24, s7
	s_mul_hi_u32 s7, s24, s6
	s_addc_u32 s13, s13, s15
	s_add_i32 s7, s7, s3
	s_mul_i32 s6, s24, s6
	s_lshl_b64 s[6:7], s[6:7], 2
	s_add_u32 s4, s4, s6
	s_addc_u32 s5, s5, s7
	s_load_dword s30, s[12:13], 0x0
	s_load_dword s3, s[4:5], 0x0
	s_waitcnt lgkmcnt(0)
	v_cmp_eq_f32_e64 s[26:27], s30, 0
	v_cmp_eq_f32_e64 s[4:5], s3, 1.0
	s_and_b64 s[4:5], s[26:27], s[4:5]
	s_and_b64 vcc, exec, s[4:5]
	s_cbranch_vccnz .LBB529_33
; %bb.1:
	s_load_dwordx2 s[20:21], s[0:1], 0x28
	s_load_dwordx2 s[12:13], s[0:1], 0x78
	s_mov_b32 s25, 0
	v_cmp_neq_f32_e64 s[28:29], s30, 0
	s_mov_b64 s[14:15], 0
	s_and_b64 vcc, exec, s[26:27]
	s_mov_b64 s[22:23], 0
	s_cbranch_vccnz .LBB529_3
; %bb.2:
	s_lshl_b64 s[4:5], s[24:25], 3
	s_add_u32 s4, s16, s4
	s_addc_u32 s5, s17, s5
	s_load_dwordx2 s[4:5], s[4:5], 0x0
	s_lshl_b64 s[6:7], s[18:19], 1
	s_waitcnt lgkmcnt(0)
	s_add_u32 s22, s4, s6
	s_addc_u32 s23, s5, s7
.LBB529_3:
	s_load_dwordx4 s[4:7], s[0:1], 0x38
	s_load_dwordx2 s[16:17], s[0:1], 0x48
	s_andn2_b64 vcc, exec, s[28:29]
	s_cbranch_vccnz .LBB529_5
; %bb.4:
	s_lshl_b64 s[14:15], s[24:25], 3
	s_waitcnt lgkmcnt(0)
	s_add_u32 s4, s4, s14
	s_addc_u32 s5, s5, s15
	s_load_dwordx2 s[4:5], s[4:5], 0x0
	s_lshl_b64 s[6:7], s[6:7], 1
	s_waitcnt lgkmcnt(0)
	s_add_u32 s14, s4, s6
	s_addc_u32 s15, s5, s7
.LBB529_5:
	s_waitcnt lgkmcnt(0)
	s_lshl_b64 s[4:5], s[24:25], 3
	s_add_u32 s4, s8, s4
	s_addc_u32 s5, s9, s5
	s_load_dwordx2 s[4:5], s[4:5], 0x0
	s_lshl_b64 s[6:7], s[10:11], 2
	s_waitcnt lgkmcnt(0)
	s_add_u32 s24, s4, s6
	s_addc_u32 s25, s5, s7
	s_andn2_b64 vcc, exec, s[26:27]
	v_cmp_eq_u32_e64 s[4:5], 0, v0
	s_cbranch_vccnz .LBB529_10
; %bb.6:
	s_mov_b64 s[10:11], 0
	s_mov_b64 s[6:7], 0
                                        ; implicit-def: $vgpr1
                                        ; implicit-def: $sgpr8_sgpr9
	s_and_saveexec_b64 s[18:19], s[4:5]
	s_cbranch_execz .LBB529_11
; %bb.7:
	s_ashr_i32 s6, s2, 31
	s_mul_i32 s7, s2, s13
	s_mul_hi_u32 s8, s2, s12
	v_cmp_eq_f32_e64 s[4:5], s3, 0
	s_add_i32 s7, s8, s7
	s_mul_i32 s6, s6, s12
	v_mov_b32_e32 v1, 0
	s_add_i32 s9, s7, s6
	s_mul_i32 s8, s2, s12
	s_and_b64 vcc, exec, s[4:5]
	s_cbranch_vccnz .LBB529_9
; %bb.8:
	s_lshl_b64 s[4:5], s[8:9], 2
	s_add_u32 s4, s24, s4
	s_addc_u32 s5, s25, s5
	s_load_dword s4, s[4:5], 0x0
	s_waitcnt lgkmcnt(0)
	v_mov_b32_e32 v1, s4
	v_mul_f32_e32 v1, s3, v1
.LBB529_9:
	s_mov_b64 s[6:7], exec
	s_or_b64 exec, exec, s[18:19]
	s_and_b64 vcc, exec, s[10:11]
	s_cbranch_vccnz .LBB529_12
	s_branch .LBB529_31
.LBB529_10:
	s_mov_b64 s[6:7], 0
                                        ; implicit-def: $vgpr1
                                        ; implicit-def: $sgpr8_sgpr9
	s_cbranch_execnz .LBB529_12
	s_branch .LBB529_31
.LBB529_11:
	s_or_b64 exec, exec, s[18:19]
	s_and_b64 vcc, exec, s[10:11]
	s_cbranch_vccz .LBB529_31
.LBB529_12:
	s_load_dword s1, s[0:1], 0x0
	s_ashr_i32 s26, s2, 31
	s_mul_i32 s0, s2, s21
	s_mul_hi_u32 s4, s2, s20
	s_add_i32 s0, s4, s0
	s_mul_i32 s4, s26, s20
	s_add_i32 s5, s0, s4
	s_mul_i32 s4, s2, s20
	s_lshl_b64 s[4:5], s[4:5], 1
	s_add_u32 s4, s4, s22
	s_addc_u32 s5, s5, s23
	s_waitcnt lgkmcnt(0)
	s_ashr_i32 s0, s1, 31
	v_cmp_gt_i32_e32 vcc, s1, v0
	s_lshr_b32 s0, s0, 22
	s_add_i32 s0, s1, s0
	v_cndmask_b32_e32 v1, 0, v0, vcc
	v_mov_b32_e32 v3, 0
	v_lshlrev_b32_e32 v2, 1, v1
	s_and_b32 s0, s0, 0xfffffc00
	v_lshl_add_u64 v[4:5], s[4:5], 0, v[2:3]
	v_cmp_gt_i32_e32 vcc, s0, v0
	s_and_saveexec_b64 s[4:5], vcc
	s_cbranch_execz .LBB529_16
; %bb.13:
	v_mad_u64_u32 v[2:3], s[8:9], s16, v0, 0
	v_mov_b32_e32 v6, v3
	v_mad_u64_u32 v[6:7], s[8:9], s17, v0, v[6:7]
	v_mov_b32_e32 v3, v6
	v_lshl_add_u64 v[6:7], v[2:3], 1, s[14:15]
	s_lshl_b64 s[10:11], s[16:17], 11
	s_mov_b64 s[8:9], 0
	v_mov_b32_e32 v3, 0
	s_mov_b64 s[18:19], 0x800
	v_mov_b64_e32 v[8:9], v[4:5]
	v_mov_b32_e32 v1, v0
.LBB529_14:                             ; =>This Inner Loop Header: Depth=1
	flat_load_ushort v2, v[8:9]
	flat_load_ushort v10, v[6:7]
	v_add_u32_e32 v1, 0x400, v1
	v_cmp_le_i32_e32 vcc, s0, v1
	v_lshl_add_u64 v[8:9], v[8:9], 0, s[18:19]
	v_lshl_add_u64 v[6:7], v[6:7], 0, s[10:11]
	s_or_b64 s[8:9], vcc, s[8:9]
	s_waitcnt vmcnt(0) lgkmcnt(0)
	v_mul_f16_e32 v2, v2, v10
	v_cvt_f32_f16_e32 v2, v2
	v_add_f32_e32 v3, v3, v2
	s_andn2_b64 exec, exec, s[8:9]
	s_cbranch_execnz .LBB529_14
; %bb.15:
	s_or_b64 exec, exec, s[8:9]
.LBB529_16:
	s_or_b64 exec, exec, s[4:5]
	v_or_b32_e32 v1, s0, v0
	v_cmp_gt_i32_e32 vcc, s1, v1
	s_and_saveexec_b64 s[4:5], vcc
	s_cbranch_execz .LBB529_18
; %bb.17:
	s_ashr_i32 s1, s0, 31
	v_lshl_add_u64 v[4:5], s[0:1], 1, v[4:5]
	flat_load_ushort v2, v[4:5]
	v_ashrrev_i32_e32 v4, 31, v1
	v_mul_lo_u32 v6, v1, s17
	v_mul_lo_u32 v7, v4, s16
	v_mad_u64_u32 v[4:5], s[0:1], v1, s16, 0
	v_add3_u32 v5, v5, v6, v7
	v_lshl_add_u64 v[4:5], v[4:5], 1, s[14:15]
	flat_load_ushort v1, v[4:5]
	s_waitcnt vmcnt(0) lgkmcnt(0)
	v_mul_f16_e32 v1, v2, v1
	v_cvt_f32_f16_e32 v1, v1
	v_add_f32_e32 v3, v3, v1
.LBB529_18:
	s_or_b64 exec, exec, s[4:5]
	v_and_b32_e32 v2, 63, v0
	v_cmp_gt_u32_e32 vcc, 64, v0
	v_lshlrev_b32_e32 v1, 2, v2
	s_and_saveexec_b64 s[0:1], vcc
	s_cbranch_execz .LBB529_20
; %bb.19:
	v_mov_b32_e32 v4, 0
	ds_write_b32 v1, v4
.LBB529_20:
	s_or_b64 exec, exec, s[0:1]
	v_mbcnt_lo_u32_b32 v4, -1, 0
	v_mbcnt_hi_u32_b32 v6, -1, v4
	v_and_b32_e32 v7, 63, v6
	v_cmp_gt_u32_e64 s[0:1], 32, v7
	s_waitcnt lgkmcnt(0)
	s_barrier
	v_cndmask_b32_e64 v4, 0, 1, s[0:1]
	v_lshlrev_b32_e32 v4, 5, v4
	v_add_lshl_u32 v4, v4, v6, 2
	ds_bpermute_b32 v4, v4, v3
	v_cmp_gt_u32_e64 s[0:1], 48, v7
	s_waitcnt lgkmcnt(0)
	v_add_f32_e32 v3, v3, v4
	v_cndmask_b32_e64 v5, 0, 1, s[0:1]
	v_lshlrev_b32_e32 v5, 4, v5
	v_add_lshl_u32 v4, v5, v6, 2
	ds_bpermute_b32 v4, v4, v3
	v_cmp_gt_u32_e64 s[0:1], 56, v7
	s_waitcnt lgkmcnt(0)
	v_add_f32_e32 v4, v3, v4
	;; [unrolled: 7-line block ×4, first 2 shown]
	v_cndmask_b32_e64 v9, 0, 1, s[0:1]
	v_lshlrev_b32_e32 v9, 1, v9
	v_add_lshl_u32 v5, v9, v6, 2
	ds_bpermute_b32 v9, v5, v8
	v_cmp_ne_u32_e64 s[0:1], 63, v7
	s_waitcnt lgkmcnt(0)
	v_add_f32_e32 v7, v8, v9
	v_addc_co_u32_e64 v6, s[0:1], 0, v6, s[0:1]
	v_lshlrev_b32_e32 v6, 2, v6
	ds_bpermute_b32 v8, v6, v7
	v_cmp_eq_u32_e64 s[0:1], 0, v2
	s_and_saveexec_b64 s[4:5], s[0:1]
	s_cbranch_execz .LBB529_22
; %bb.21:
	v_lshrrev_b32_e32 v2, 4, v0
	v_and_b32_e32 v2, 60, v2
	s_waitcnt lgkmcnt(0)
	v_add_f32_e32 v7, v7, v8
	ds_write_b32 v2, v7
.LBB529_22:
	s_or_b64 exec, exec, s[4:5]
	v_cmp_gt_u32_e64 s[0:1], 16, v0
	v_mov_b32_e32 v2, 0
	s_waitcnt lgkmcnt(0)
	s_barrier
	s_and_saveexec_b64 s[4:5], s[0:1]
	s_cbranch_execz .LBB529_24
; %bb.23:
	ds_read_b32 v2, v1
	s_or_b64 exec, exec, s[4:5]
	s_and_saveexec_b64 s[0:1], vcc
	s_cbranch_execz .LBB529_26
	s_branch .LBB529_25
.LBB529_24:
	s_or_b64 exec, exec, s[4:5]
	s_and_saveexec_b64 s[0:1], vcc
	s_cbranch_execz .LBB529_26
.LBB529_25:
	s_waitcnt lgkmcnt(0)
	ds_bpermute_b32 v1, v3, v2
	s_waitcnt lgkmcnt(0)
	v_add_f32_e32 v1, v2, v1
	ds_bpermute_b32 v2, v4, v1
	s_waitcnt lgkmcnt(0)
	v_add_f32_e32 v1, v1, v2
	ds_bpermute_b32 v2, v5, v1
	s_waitcnt lgkmcnt(0)
	v_add_f32_e32 v1, v1, v2
	ds_bpermute_b32 v2, v6, v1
	s_waitcnt lgkmcnt(0)
	v_add_f32_e32 v2, v1, v2
.LBB529_26:
	s_or_b64 exec, exec, s[0:1]
	v_cmp_eq_u32_e32 vcc, 0, v0
                                        ; implicit-def: $vgpr1
                                        ; implicit-def: $sgpr8_sgpr9
	s_and_saveexec_b64 s[0:1], vcc
	s_cbranch_execz .LBB529_30
; %bb.27:
	s_mul_i32 s8, s2, s13
	s_mul_hi_u32 s9, s2, s12
	v_cmp_eq_f32_e64 s[4:5], s3, 0
	s_add_i32 s8, s9, s8
	s_mul_i32 s9, s26, s12
	s_waitcnt lgkmcnt(0)
	v_mul_f32_e32 v1, s30, v2
	s_add_i32 s9, s8, s9
	s_mul_i32 s8, s2, s12
	s_and_b64 vcc, exec, s[4:5]
	s_cbranch_vccnz .LBB529_29
; %bb.28:
	s_lshl_b64 s[4:5], s[8:9], 2
	s_add_u32 s4, s24, s4
	s_addc_u32 s5, s25, s5
	s_load_dword s2, s[4:5], 0x0
	s_waitcnt lgkmcnt(0)
	v_mov_b32_e32 v0, s2
	v_fmac_f32_e32 v1, s3, v0
.LBB529_29:
	s_or_b64 s[6:7], s[6:7], exec
.LBB529_30:
	s_or_b64 exec, exec, s[0:1]
.LBB529_31:
	s_and_saveexec_b64 s[0:1], s[6:7]
	s_cbranch_execz .LBB529_33
; %bb.32:
	s_lshl_b64 s[0:1], s[8:9], 2
	s_add_u32 s0, s24, s0
	s_addc_u32 s1, s25, s1
	v_mov_b32_e32 v0, 0
	global_store_dword v0, v1, s[0:1]
.LBB529_33:
	s_endpgm
	.section	.rodata,"a",@progbits
	.p2align	6, 0x0
	.amdhsa_kernel _ZL32rocblas_gemvt_warp_reduce_kernelILb0ELi1024ElPKDF16_PKfKPfEviiT3_lPKT2_lT1_lS9_lSA_lS6_lPT4_lSA_li
		.amdhsa_group_segment_fixed_size 256
		.amdhsa_private_segment_fixed_size 0
		.amdhsa_kernarg_size 140
		.amdhsa_user_sgpr_count 2
		.amdhsa_user_sgpr_dispatch_ptr 0
		.amdhsa_user_sgpr_queue_ptr 0
		.amdhsa_user_sgpr_kernarg_segment_ptr 1
		.amdhsa_user_sgpr_dispatch_id 0
		.amdhsa_user_sgpr_kernarg_preload_length 0
		.amdhsa_user_sgpr_kernarg_preload_offset 0
		.amdhsa_user_sgpr_private_segment_size 0
		.amdhsa_uses_dynamic_stack 0
		.amdhsa_enable_private_segment 0
		.amdhsa_system_sgpr_workgroup_id_x 1
		.amdhsa_system_sgpr_workgroup_id_y 0
		.amdhsa_system_sgpr_workgroup_id_z 1
		.amdhsa_system_sgpr_workgroup_info 0
		.amdhsa_system_vgpr_workitem_id 0
		.amdhsa_next_free_vgpr 11
		.amdhsa_next_free_sgpr 31
		.amdhsa_accum_offset 12
		.amdhsa_reserve_vcc 1
		.amdhsa_float_round_mode_32 0
		.amdhsa_float_round_mode_16_64 0
		.amdhsa_float_denorm_mode_32 3
		.amdhsa_float_denorm_mode_16_64 3
		.amdhsa_dx10_clamp 1
		.amdhsa_ieee_mode 1
		.amdhsa_fp16_overflow 0
		.amdhsa_tg_split 0
		.amdhsa_exception_fp_ieee_invalid_op 0
		.amdhsa_exception_fp_denorm_src 0
		.amdhsa_exception_fp_ieee_div_zero 0
		.amdhsa_exception_fp_ieee_overflow 0
		.amdhsa_exception_fp_ieee_underflow 0
		.amdhsa_exception_fp_ieee_inexact 0
		.amdhsa_exception_int_div_zero 0
	.end_amdhsa_kernel
	.section	.text._ZL32rocblas_gemvt_warp_reduce_kernelILb0ELi1024ElPKDF16_PKfKPfEviiT3_lPKT2_lT1_lS9_lSA_lS6_lPT4_lSA_li,"axG",@progbits,_ZL32rocblas_gemvt_warp_reduce_kernelILb0ELi1024ElPKDF16_PKfKPfEviiT3_lPKT2_lT1_lS9_lSA_lS6_lPT4_lSA_li,comdat
.Lfunc_end529:
	.size	_ZL32rocblas_gemvt_warp_reduce_kernelILb0ELi1024ElPKDF16_PKfKPfEviiT3_lPKT2_lT1_lS9_lSA_lS6_lPT4_lSA_li, .Lfunc_end529-_ZL32rocblas_gemvt_warp_reduce_kernelILb0ELi1024ElPKDF16_PKfKPfEviiT3_lPKT2_lT1_lS9_lSA_lS6_lPT4_lSA_li
                                        ; -- End function
	.section	.AMDGPU.csdata,"",@progbits
; Kernel info:
; codeLenInByte = 1452
; NumSgprs: 37
; NumVgprs: 11
; NumAgprs: 0
; TotalNumVgprs: 11
; ScratchSize: 0
; MemoryBound: 0
; FloatMode: 240
; IeeeMode: 1
; LDSByteSize: 256 bytes/workgroup (compile time only)
; SGPRBlocks: 4
; VGPRBlocks: 1
; NumSGPRsForWavesPerEU: 37
; NumVGPRsForWavesPerEU: 11
; AccumOffset: 12
; Occupancy: 8
; WaveLimiterHint : 1
; COMPUTE_PGM_RSRC2:SCRATCH_EN: 0
; COMPUTE_PGM_RSRC2:USER_SGPR: 2
; COMPUTE_PGM_RSRC2:TRAP_HANDLER: 0
; COMPUTE_PGM_RSRC2:TGID_X_EN: 1
; COMPUTE_PGM_RSRC2:TGID_Y_EN: 0
; COMPUTE_PGM_RSRC2:TGID_Z_EN: 1
; COMPUTE_PGM_RSRC2:TIDIG_COMP_CNT: 0
; COMPUTE_PGM_RSRC3_GFX90A:ACCUM_OFFSET: 2
; COMPUTE_PGM_RSRC3_GFX90A:TG_SPLIT: 0
	.section	.text._ZL32rocblas_gemvt_warp_reduce_kernelILb0ELi1024EiPKDF16_fKPfEviiT3_lPKT2_lT1_lS7_lS8_lS4_lPT4_lS8_li,"axG",@progbits,_ZL32rocblas_gemvt_warp_reduce_kernelILb0ELi1024EiPKDF16_fKPfEviiT3_lPKT2_lT1_lS7_lS8_lS4_lPT4_lS8_li,comdat
	.globl	_ZL32rocblas_gemvt_warp_reduce_kernelILb0ELi1024EiPKDF16_fKPfEviiT3_lPKT2_lT1_lS7_lS8_lS4_lPT4_lS8_li ; -- Begin function _ZL32rocblas_gemvt_warp_reduce_kernelILb0ELi1024EiPKDF16_fKPfEviiT3_lPKT2_lT1_lS7_lS8_lS4_lPT4_lS8_li
	.p2align	8
	.type	_ZL32rocblas_gemvt_warp_reduce_kernelILb0ELi1024EiPKDF16_fKPfEviiT3_lPKT2_lT1_lS7_lS8_lS4_lPT4_lS8_li,@function
_ZL32rocblas_gemvt_warp_reduce_kernelILb0ELi1024EiPKDF16_fKPfEviiT3_lPKT2_lT1_lS7_lS8_lS4_lPT4_lS8_li: ; @_ZL32rocblas_gemvt_warp_reduce_kernelILb0ELi1024EiPKDF16_fKPfEviiT3_lPKT2_lT1_lS7_lS8_lS4_lPT4_lS8_li
; %bb.0:
	s_mov_b32 s12, s3
	s_load_dword s18, s[0:1], 0x8
	s_load_dword s3, s[0:1], 0x58
	s_waitcnt lgkmcnt(0)
	v_cmp_eq_f32_e64 s[4:5], s18, 0
	v_cmp_eq_f32_e64 s[6:7], s3, 1.0
	s_and_b64 s[6:7], s[4:5], s[6:7]
	s_and_b64 vcc, exec, s[6:7]
	s_cbranch_vccnz .LBB530_35
; %bb.1:
	v_cmp_neq_f32_e64 s[8:9], s18, 0
	s_mov_b32 s13, 0
	s_and_b64 vcc, exec, s[8:9]
	s_cbranch_vccnz .LBB530_3
; %bb.2:
	s_mov_b64 s[10:11], 0
	s_cbranch_execz .LBB530_4
	s_branch .LBB530_5
.LBB530_3:
                                        ; implicit-def: $sgpr10_sgpr11
.LBB530_4:
	s_load_dwordx4 s[20:23], s[0:1], 0x18
	s_lshl_b64 s[6:7], s[12:13], 3
	s_waitcnt lgkmcnt(0)
	s_add_u32 s6, s20, s6
	s_addc_u32 s7, s21, s7
	s_load_dwordx2 s[6:7], s[6:7], 0x0
	s_lshl_b64 s[10:11], s[22:23], 1
	s_waitcnt lgkmcnt(0)
	s_add_u32 s10, s6, s10
	s_addc_u32 s11, s7, s11
.LBB530_5:
	s_mov_b64 s[6:7], 0
	s_andn2_b64 vcc, exec, s[8:9]
	s_mov_b64 s[8:9], 0
	s_cbranch_vccnz .LBB530_7
; %bb.6:
	s_load_dwordx4 s[20:23], s[0:1], 0x38
	s_lshl_b64 s[8:9], s[12:13], 3
	s_waitcnt lgkmcnt(0)
	s_add_u32 s8, s20, s8
	s_addc_u32 s9, s21, s9
	s_load_dwordx2 s[8:9], s[8:9], 0x0
	s_lshl_b64 s[14:15], s[22:23], 1
	s_waitcnt lgkmcnt(0)
	s_add_u32 s8, s8, s14
	s_addc_u32 s9, s9, s15
.LBB530_7:
	s_load_dwordx4 s[24:27], s[0:1], 0x68
	s_load_dword s21, s[0:1], 0x78
	s_lshl_b64 s[12:13], s[12:13], 3
	s_waitcnt lgkmcnt(0)
	s_add_u32 s12, s24, s12
	s_addc_u32 s13, s25, s13
	s_load_dwordx2 s[12:13], s[12:13], 0x0
	s_lshl_b64 s[14:15], s[26:27], 2
	s_waitcnt lgkmcnt(0)
	s_add_u32 s19, s12, s14
	s_addc_u32 s20, s13, s15
	s_andn2_b64 vcc, exec, s[4:5]
	v_cmp_eq_u32_e64 s[4:5], 0, v0
	s_cbranch_vccnz .LBB530_12
; %bb.8:
	s_mov_b64 s[14:15], 0
                                        ; implicit-def: $vgpr1
                                        ; implicit-def: $sgpr12_sgpr13
	s_and_saveexec_b64 s[16:17], s[4:5]
	s_cbranch_execz .LBB530_13
; %bb.9:
	v_cmp_eq_f32_e64 s[4:5], s3, 0
	s_mul_i32 s12, s2, s21
	v_mov_b32_e32 v1, 0
	s_ashr_i32 s13, s12, 31
	s_and_b64 vcc, exec, s[4:5]
	s_cbranch_vccnz .LBB530_11
; %bb.10:
	s_lshl_b64 s[4:5], s[12:13], 2
	s_add_u32 s4, s19, s4
	s_addc_u32 s5, s20, s5
	s_load_dword s4, s[4:5], 0x0
	v_mov_b32_e32 v1, s3
	s_waitcnt lgkmcnt(0)
	v_mul_f32_e32 v1, s4, v1
.LBB530_11:
	s_mov_b64 s[6:7], exec
	s_or_b64 exec, exec, s[16:17]
	s_and_b64 vcc, exec, s[14:15]
	s_cbranch_vccnz .LBB530_14
	s_branch .LBB530_33
.LBB530_12:
                                        ; implicit-def: $vgpr1
                                        ; implicit-def: $sgpr12_sgpr13
	s_cbranch_execnz .LBB530_14
	s_branch .LBB530_33
.LBB530_13:
	s_or_b64 exec, exec, s[16:17]
	s_and_b64 vcc, exec, s[14:15]
	s_cbranch_vccz .LBB530_33
.LBB530_14:
	s_load_dword s15, s[0:1], 0x0
	s_load_dword s4, s[0:1], 0x28
	s_load_dword s14, s[0:1], 0x48
	v_mov_b32_e32 v3, 0
	s_waitcnt lgkmcnt(0)
	v_cmp_gt_i32_e32 vcc, s15, v0
	s_mul_i32 s0, s2, s4
	s_ashr_i32 s1, s0, 31
	s_lshl_b64 s[0:1], s[0:1], 1
	v_cndmask_b32_e32 v1, 0, v0, vcc
	s_add_u32 s0, s0, s10
	v_lshlrev_b32_e32 v2, 1, v1
	s_addc_u32 s1, s1, s11
	v_lshl_add_u64 v[4:5], s[0:1], 0, v[2:3]
	s_ashr_i32 s0, s15, 31
	s_lshr_b32 s0, s0, 22
	s_add_i32 s0, s15, s0
	s_and_b32 s0, s0, 0xfffffc00
	v_cmp_gt_i32_e32 vcc, s0, v0
	s_and_saveexec_b64 s[4:5], vcc
	s_cbranch_execz .LBB530_18
; %bb.15:
	v_mul_lo_u32 v6, v0, s14
	s_lshl_b32 s1, s14, 10
	s_mov_b64 s[10:11], 0
	v_mov_b32_e32 v3, 0
	s_mov_b64 s[12:13], 0x800
	v_mov_b64_e32 v[8:9], v[4:5]
	v_mov_b32_e32 v1, v0
.LBB530_16:                             ; =>This Inner Loop Header: Depth=1
	v_ashrrev_i32_e32 v7, 31, v6
	v_lshl_add_u64 v[10:11], v[6:7], 1, s[8:9]
	flat_load_ushort v2, v[8:9]
	flat_load_ushort v7, v[10:11]
	v_add_u32_e32 v1, 0x400, v1
	v_cmp_le_i32_e32 vcc, s0, v1
	v_lshl_add_u64 v[8:9], v[8:9], 0, s[12:13]
	v_add_u32_e32 v6, s1, v6
	s_or_b64 s[10:11], vcc, s[10:11]
	s_waitcnt vmcnt(0) lgkmcnt(0)
	v_mul_f16_e32 v2, v2, v7
	v_cvt_f32_f16_e32 v2, v2
	v_add_f32_e32 v3, v3, v2
	s_andn2_b64 exec, exec, s[10:11]
	s_cbranch_execnz .LBB530_16
; %bb.17:
	s_or_b64 exec, exec, s[10:11]
.LBB530_18:
	s_or_b64 exec, exec, s[4:5]
	v_or_b32_e32 v1, s0, v0
	v_cmp_gt_i32_e32 vcc, s15, v1
	s_and_saveexec_b64 s[4:5], vcc
	s_cbranch_execz .LBB530_20
; %bb.19:
	s_ashr_i32 s1, s0, 31
	v_lshl_add_u64 v[4:5], s[0:1], 1, v[4:5]
	flat_load_ushort v2, v[4:5]
	v_mul_lo_u32 v4, v1, s14
	v_ashrrev_i32_e32 v5, 31, v4
	v_lshl_add_u64 v[4:5], v[4:5], 1, s[8:9]
	flat_load_ushort v1, v[4:5]
	s_waitcnt vmcnt(0) lgkmcnt(0)
	v_mul_f16_e32 v1, v2, v1
	v_cvt_f32_f16_e32 v1, v1
	v_add_f32_e32 v3, v3, v1
.LBB530_20:
	s_or_b64 exec, exec, s[4:5]
	v_and_b32_e32 v2, 63, v0
	v_cmp_gt_u32_e32 vcc, 64, v0
	v_lshlrev_b32_e32 v1, 2, v2
	s_and_saveexec_b64 s[0:1], vcc
	s_cbranch_execz .LBB530_22
; %bb.21:
	v_mov_b32_e32 v4, 0
	ds_write_b32 v1, v4
.LBB530_22:
	s_or_b64 exec, exec, s[0:1]
	v_mbcnt_lo_u32_b32 v4, -1, 0
	v_mbcnt_hi_u32_b32 v6, -1, v4
	v_and_b32_e32 v7, 63, v6
	v_cmp_gt_u32_e64 s[0:1], 32, v7
	s_waitcnt lgkmcnt(0)
	s_barrier
	v_cndmask_b32_e64 v4, 0, 1, s[0:1]
	v_lshlrev_b32_e32 v4, 5, v4
	v_add_lshl_u32 v4, v4, v6, 2
	ds_bpermute_b32 v4, v4, v3
	v_cmp_gt_u32_e64 s[0:1], 48, v7
	s_waitcnt lgkmcnt(0)
	v_add_f32_e32 v3, v3, v4
	v_cndmask_b32_e64 v5, 0, 1, s[0:1]
	v_lshlrev_b32_e32 v5, 4, v5
	v_add_lshl_u32 v4, v5, v6, 2
	ds_bpermute_b32 v4, v4, v3
	v_cmp_gt_u32_e64 s[0:1], 56, v7
	s_waitcnt lgkmcnt(0)
	v_add_f32_e32 v4, v3, v4
	;; [unrolled: 7-line block ×4, first 2 shown]
	v_cndmask_b32_e64 v9, 0, 1, s[0:1]
	v_lshlrev_b32_e32 v9, 1, v9
	v_add_lshl_u32 v5, v9, v6, 2
	ds_bpermute_b32 v9, v5, v8
	v_cmp_ne_u32_e64 s[0:1], 63, v7
	s_waitcnt lgkmcnt(0)
	v_add_f32_e32 v7, v8, v9
	v_addc_co_u32_e64 v6, s[0:1], 0, v6, s[0:1]
	v_lshlrev_b32_e32 v6, 2, v6
	ds_bpermute_b32 v8, v6, v7
	v_cmp_eq_u32_e64 s[0:1], 0, v2
	s_and_saveexec_b64 s[4:5], s[0:1]
	s_cbranch_execz .LBB530_24
; %bb.23:
	v_lshrrev_b32_e32 v2, 4, v0
	v_and_b32_e32 v2, 60, v2
	s_waitcnt lgkmcnt(0)
	v_add_f32_e32 v7, v7, v8
	ds_write_b32 v2, v7
.LBB530_24:
	s_or_b64 exec, exec, s[4:5]
	v_cmp_gt_u32_e64 s[0:1], 16, v0
	v_mov_b32_e32 v2, 0
	s_waitcnt lgkmcnt(0)
	s_barrier
	s_and_saveexec_b64 s[4:5], s[0:1]
	s_cbranch_execz .LBB530_26
; %bb.25:
	ds_read_b32 v2, v1
	s_or_b64 exec, exec, s[4:5]
	s_and_saveexec_b64 s[0:1], vcc
	s_cbranch_execz .LBB530_28
	s_branch .LBB530_27
.LBB530_26:
	s_or_b64 exec, exec, s[4:5]
	s_and_saveexec_b64 s[0:1], vcc
	s_cbranch_execz .LBB530_28
.LBB530_27:
	s_waitcnt lgkmcnt(0)
	ds_bpermute_b32 v1, v3, v2
	s_waitcnt lgkmcnt(0)
	v_add_f32_e32 v1, v2, v1
	ds_bpermute_b32 v2, v4, v1
	s_waitcnt lgkmcnt(0)
	v_add_f32_e32 v1, v1, v2
	;; [unrolled: 3-line block ×4, first 2 shown]
.LBB530_28:
	s_or_b64 exec, exec, s[0:1]
	v_cmp_eq_u32_e32 vcc, 0, v0
                                        ; implicit-def: $vgpr1
                                        ; implicit-def: $sgpr12_sgpr13
	s_and_saveexec_b64 s[0:1], vcc
	s_cbranch_execz .LBB530_32
; %bb.29:
	v_cmp_eq_f32_e64 s[4:5], s3, 0
	s_mul_i32 s12, s2, s21
	s_waitcnt lgkmcnt(0)
	v_mul_f32_e32 v1, s18, v2
	s_ashr_i32 s13, s12, 31
	s_and_b64 vcc, exec, s[4:5]
	s_cbranch_vccnz .LBB530_31
; %bb.30:
	s_lshl_b64 s[4:5], s[12:13], 2
	s_add_u32 s4, s19, s4
	s_addc_u32 s5, s20, s5
	s_load_dword s2, s[4:5], 0x0
	v_mov_b32_e32 v0, s3
	s_waitcnt lgkmcnt(0)
	v_fmac_f32_e32 v1, s2, v0
.LBB530_31:
	s_or_b64 s[6:7], s[6:7], exec
.LBB530_32:
	s_or_b64 exec, exec, s[0:1]
.LBB530_33:
	s_and_saveexec_b64 s[0:1], s[6:7]
	s_cbranch_execz .LBB530_35
; %bb.34:
	s_lshl_b64 s[0:1], s[12:13], 2
	s_add_u32 s0, s19, s0
	s_addc_u32 s1, s20, s1
	v_mov_b32_e32 v0, 0
	global_store_dword v0, v1, s[0:1]
.LBB530_35:
	s_endpgm
	.section	.rodata,"a",@progbits
	.p2align	6, 0x0
	.amdhsa_kernel _ZL32rocblas_gemvt_warp_reduce_kernelILb0ELi1024EiPKDF16_fKPfEviiT3_lPKT2_lT1_lS7_lS8_lS4_lPT4_lS8_li
		.amdhsa_group_segment_fixed_size 256
		.amdhsa_private_segment_fixed_size 0
		.amdhsa_kernarg_size 140
		.amdhsa_user_sgpr_count 2
		.amdhsa_user_sgpr_dispatch_ptr 0
		.amdhsa_user_sgpr_queue_ptr 0
		.amdhsa_user_sgpr_kernarg_segment_ptr 1
		.amdhsa_user_sgpr_dispatch_id 0
		.amdhsa_user_sgpr_kernarg_preload_length 0
		.amdhsa_user_sgpr_kernarg_preload_offset 0
		.amdhsa_user_sgpr_private_segment_size 0
		.amdhsa_uses_dynamic_stack 0
		.amdhsa_enable_private_segment 0
		.amdhsa_system_sgpr_workgroup_id_x 1
		.amdhsa_system_sgpr_workgroup_id_y 0
		.amdhsa_system_sgpr_workgroup_id_z 1
		.amdhsa_system_sgpr_workgroup_info 0
		.amdhsa_system_vgpr_workitem_id 0
		.amdhsa_next_free_vgpr 12
		.amdhsa_next_free_sgpr 28
		.amdhsa_accum_offset 12
		.amdhsa_reserve_vcc 1
		.amdhsa_float_round_mode_32 0
		.amdhsa_float_round_mode_16_64 0
		.amdhsa_float_denorm_mode_32 3
		.amdhsa_float_denorm_mode_16_64 3
		.amdhsa_dx10_clamp 1
		.amdhsa_ieee_mode 1
		.amdhsa_fp16_overflow 0
		.amdhsa_tg_split 0
		.amdhsa_exception_fp_ieee_invalid_op 0
		.amdhsa_exception_fp_denorm_src 0
		.amdhsa_exception_fp_ieee_div_zero 0
		.amdhsa_exception_fp_ieee_overflow 0
		.amdhsa_exception_fp_ieee_underflow 0
		.amdhsa_exception_fp_ieee_inexact 0
		.amdhsa_exception_int_div_zero 0
	.end_amdhsa_kernel
	.section	.text._ZL32rocblas_gemvt_warp_reduce_kernelILb0ELi1024EiPKDF16_fKPfEviiT3_lPKT2_lT1_lS7_lS8_lS4_lPT4_lS8_li,"axG",@progbits,_ZL32rocblas_gemvt_warp_reduce_kernelILb0ELi1024EiPKDF16_fKPfEviiT3_lPKT2_lT1_lS7_lS8_lS4_lPT4_lS8_li,comdat
.Lfunc_end530:
	.size	_ZL32rocblas_gemvt_warp_reduce_kernelILb0ELi1024EiPKDF16_fKPfEviiT3_lPKT2_lT1_lS7_lS8_lS4_lPT4_lS8_li, .Lfunc_end530-_ZL32rocblas_gemvt_warp_reduce_kernelILb0ELi1024EiPKDF16_fKPfEviiT3_lPKT2_lT1_lS7_lS8_lS4_lPT4_lS8_li
                                        ; -- End function
	.section	.AMDGPU.csdata,"",@progbits
; Kernel info:
; codeLenInByte = 1304
; NumSgprs: 34
; NumVgprs: 12
; NumAgprs: 0
; TotalNumVgprs: 12
; ScratchSize: 0
; MemoryBound: 0
; FloatMode: 240
; IeeeMode: 1
; LDSByteSize: 256 bytes/workgroup (compile time only)
; SGPRBlocks: 4
; VGPRBlocks: 1
; NumSGPRsForWavesPerEU: 34
; NumVGPRsForWavesPerEU: 12
; AccumOffset: 12
; Occupancy: 8
; WaveLimiterHint : 1
; COMPUTE_PGM_RSRC2:SCRATCH_EN: 0
; COMPUTE_PGM_RSRC2:USER_SGPR: 2
; COMPUTE_PGM_RSRC2:TRAP_HANDLER: 0
; COMPUTE_PGM_RSRC2:TGID_X_EN: 1
; COMPUTE_PGM_RSRC2:TGID_Y_EN: 0
; COMPUTE_PGM_RSRC2:TGID_Z_EN: 1
; COMPUTE_PGM_RSRC2:TIDIG_COMP_CNT: 0
; COMPUTE_PGM_RSRC3_GFX90A:ACCUM_OFFSET: 2
; COMPUTE_PGM_RSRC3_GFX90A:TG_SPLIT: 0
	.section	.text._ZL32rocblas_gemvt_warp_reduce_kernelILb0ELi1024ElPKDF16_fKPfEviiT3_lPKT2_lT1_lS7_lS8_lS4_lPT4_lS8_li,"axG",@progbits,_ZL32rocblas_gemvt_warp_reduce_kernelILb0ELi1024ElPKDF16_fKPfEviiT3_lPKT2_lT1_lS7_lS8_lS4_lPT4_lS8_li,comdat
	.globl	_ZL32rocblas_gemvt_warp_reduce_kernelILb0ELi1024ElPKDF16_fKPfEviiT3_lPKT2_lT1_lS7_lS8_lS4_lPT4_lS8_li ; -- Begin function _ZL32rocblas_gemvt_warp_reduce_kernelILb0ELi1024ElPKDF16_fKPfEviiT3_lPKT2_lT1_lS7_lS8_lS4_lPT4_lS8_li
	.p2align	8
	.type	_ZL32rocblas_gemvt_warp_reduce_kernelILb0ELi1024ElPKDF16_fKPfEviiT3_lPKT2_lT1_lS7_lS8_lS4_lPT4_lS8_li,@function
_ZL32rocblas_gemvt_warp_reduce_kernelILb0ELi1024ElPKDF16_fKPfEviiT3_lPKT2_lT1_lS7_lS8_lS4_lPT4_lS8_li: ; @_ZL32rocblas_gemvt_warp_reduce_kernelILb0ELi1024ElPKDF16_fKPfEviiT3_lPKT2_lT1_lS7_lS8_lS4_lPT4_lS8_li
; %bb.0:
	s_mov_b32 s20, s3
	s_load_dword s24, s[0:1], 0x8
	s_load_dword s3, s[0:1], 0x58
	s_waitcnt lgkmcnt(0)
	v_cmp_eq_f32_e64 s[18:19], s24, 0
	v_cmp_eq_f32_e64 s[4:5], s3, 1.0
	s_and_b64 s[4:5], s[18:19], s[4:5]
	s_and_b64 vcc, exec, s[4:5]
	s_cbranch_vccnz .LBB531_35
; %bb.1:
	s_load_dwordx4 s[4:7], s[0:1], 0x18
	s_load_dwordx2 s[14:15], s[0:1], 0x28
	v_cmp_neq_f32_e64 s[12:13], s24, 0
	s_mov_b32 s21, 0
	s_and_b64 vcc, exec, s[12:13]
	s_cbranch_vccnz .LBB531_3
; %bb.2:
	s_mov_b64 s[16:17], 0
	s_cbranch_execz .LBB531_4
	s_branch .LBB531_5
.LBB531_3:
                                        ; implicit-def: $sgpr16_sgpr17
.LBB531_4:
	s_lshl_b64 s[8:9], s[20:21], 3
	s_waitcnt lgkmcnt(0)
	s_add_u32 s4, s4, s8
	s_addc_u32 s5, s5, s9
	s_load_dwordx2 s[4:5], s[4:5], 0x0
	s_lshl_b64 s[6:7], s[6:7], 1
	s_waitcnt lgkmcnt(0)
	s_add_u32 s16, s4, s6
	s_addc_u32 s17, s5, s7
.LBB531_5:
	s_waitcnt lgkmcnt(0)
	s_load_dwordx4 s[4:7], s[0:1], 0x38
	s_load_dwordx2 s[10:11], s[0:1], 0x48
	s_mov_b64 s[8:9], 0
	s_andn2_b64 vcc, exec, s[12:13]
	s_mov_b64 s[12:13], 0
	s_cbranch_vccnz .LBB531_7
; %bb.6:
	s_lshl_b64 s[12:13], s[20:21], 3
	s_waitcnt lgkmcnt(0)
	s_add_u32 s4, s4, s12
	s_addc_u32 s5, s5, s13
	s_load_dwordx2 s[4:5], s[4:5], 0x0
	s_lshl_b64 s[6:7], s[6:7], 1
	s_waitcnt lgkmcnt(0)
	s_add_u32 s12, s4, s6
	s_addc_u32 s13, s5, s7
.LBB531_7:
	s_load_dwordx4 s[28:31], s[0:1], 0x68
	s_waitcnt lgkmcnt(0)
	s_load_dwordx2 s[6:7], s[0:1], 0x78
	s_lshl_b64 s[4:5], s[20:21], 3
	s_add_u32 s4, s28, s4
	s_addc_u32 s5, s29, s5
	s_load_dwordx2 s[4:5], s[4:5], 0x0
	s_lshl_b64 s[20:21], s[30:31], 2
	s_waitcnt lgkmcnt(0)
	s_add_u32 s25, s4, s20
	s_addc_u32 s26, s5, s21
	s_andn2_b64 vcc, exec, s[18:19]
	v_cmp_eq_u32_e64 s[4:5], 0, v0
	s_cbranch_vccnz .LBB531_12
; %bb.8:
	s_mov_b64 s[20:21], 0
                                        ; implicit-def: $vgpr1
                                        ; implicit-def: $sgpr18_sgpr19
	s_and_saveexec_b64 s[22:23], s[4:5]
	s_cbranch_execz .LBB531_13
; %bb.9:
	s_ashr_i32 s8, s2, 31
	s_mul_i32 s9, s2, s7
	s_mul_hi_u32 s18, s2, s6
	v_cmp_eq_f32_e64 s[4:5], s3, 0
	s_add_i32 s9, s18, s9
	s_mul_i32 s8, s8, s6
	v_mov_b32_e32 v1, 0
	s_add_i32 s19, s9, s8
	s_mul_i32 s18, s2, s6
	s_and_b64 vcc, exec, s[4:5]
	s_cbranch_vccnz .LBB531_11
; %bb.10:
	s_lshl_b64 s[4:5], s[18:19], 2
	s_add_u32 s4, s25, s4
	s_addc_u32 s5, s26, s5
	s_load_dword s4, s[4:5], 0x0
	v_mov_b32_e32 v1, s3
	s_waitcnt lgkmcnt(0)
	v_mul_f32_e32 v1, s4, v1
.LBB531_11:
	s_mov_b64 s[8:9], exec
	s_or_b64 exec, exec, s[22:23]
	s_and_b64 vcc, exec, s[20:21]
	s_cbranch_vccnz .LBB531_14
	s_branch .LBB531_33
.LBB531_12:
                                        ; implicit-def: $vgpr1
                                        ; implicit-def: $sgpr18_sgpr19
	s_cbranch_execnz .LBB531_14
	s_branch .LBB531_33
.LBB531_13:
	s_or_b64 exec, exec, s[22:23]
	s_and_b64 vcc, exec, s[20:21]
	s_cbranch_vccz .LBB531_33
.LBB531_14:
	s_load_dword s1, s[0:1], 0x0
	s_ashr_i32 s20, s2, 31
	s_mul_i32 s0, s2, s15
	s_mul_hi_u32 s4, s2, s14
	s_add_i32 s0, s4, s0
	s_mul_i32 s4, s20, s14
	s_add_i32 s5, s0, s4
	s_mul_i32 s4, s2, s14
	s_lshl_b64 s[4:5], s[4:5], 1
	s_add_u32 s4, s4, s16
	s_addc_u32 s5, s5, s17
	s_waitcnt lgkmcnt(0)
	s_ashr_i32 s0, s1, 31
	v_cmp_gt_i32_e32 vcc, s1, v0
	s_lshr_b32 s0, s0, 22
	s_add_i32 s0, s1, s0
	v_cndmask_b32_e32 v1, 0, v0, vcc
	v_mov_b32_e32 v3, 0
	v_lshlrev_b32_e32 v2, 1, v1
	s_and_b32 s0, s0, 0xfffffc00
	v_lshl_add_u64 v[4:5], s[4:5], 0, v[2:3]
	v_cmp_gt_i32_e32 vcc, s0, v0
	s_and_saveexec_b64 s[4:5], vcc
	s_cbranch_execz .LBB531_18
; %bb.15:
	v_mad_u64_u32 v[2:3], s[14:15], s10, v0, 0
	v_mov_b32_e32 v6, v3
	v_mad_u64_u32 v[6:7], s[14:15], s11, v0, v[6:7]
	v_mov_b32_e32 v3, v6
	v_lshl_add_u64 v[6:7], v[2:3], 1, s[12:13]
	s_lshl_b64 s[16:17], s[10:11], 11
	s_mov_b64 s[14:15], 0
	v_mov_b32_e32 v3, 0
	s_mov_b64 s[18:19], 0x800
	v_mov_b64_e32 v[8:9], v[4:5]
	v_mov_b32_e32 v1, v0
.LBB531_16:                             ; =>This Inner Loop Header: Depth=1
	flat_load_ushort v2, v[8:9]
	flat_load_ushort v10, v[6:7]
	v_add_u32_e32 v1, 0x400, v1
	v_cmp_le_i32_e32 vcc, s0, v1
	v_lshl_add_u64 v[8:9], v[8:9], 0, s[18:19]
	v_lshl_add_u64 v[6:7], v[6:7], 0, s[16:17]
	s_or_b64 s[14:15], vcc, s[14:15]
	s_waitcnt vmcnt(0) lgkmcnt(0)
	v_mul_f16_e32 v2, v2, v10
	v_cvt_f32_f16_e32 v2, v2
	v_add_f32_e32 v3, v3, v2
	s_andn2_b64 exec, exec, s[14:15]
	s_cbranch_execnz .LBB531_16
; %bb.17:
	s_or_b64 exec, exec, s[14:15]
.LBB531_18:
	s_or_b64 exec, exec, s[4:5]
	v_or_b32_e32 v1, s0, v0
	v_cmp_gt_i32_e32 vcc, s1, v1
	s_and_saveexec_b64 s[4:5], vcc
	s_cbranch_execz .LBB531_20
; %bb.19:
	s_ashr_i32 s1, s0, 31
	v_lshl_add_u64 v[4:5], s[0:1], 1, v[4:5]
	flat_load_ushort v2, v[4:5]
	v_ashrrev_i32_e32 v4, 31, v1
	v_mul_lo_u32 v6, v1, s11
	v_mul_lo_u32 v7, v4, s10
	v_mad_u64_u32 v[4:5], s[0:1], v1, s10, 0
	v_add3_u32 v5, v5, v6, v7
	v_lshl_add_u64 v[4:5], v[4:5], 1, s[12:13]
	flat_load_ushort v1, v[4:5]
	s_waitcnt vmcnt(0) lgkmcnt(0)
	v_mul_f16_e32 v1, v2, v1
	v_cvt_f32_f16_e32 v1, v1
	v_add_f32_e32 v3, v3, v1
.LBB531_20:
	s_or_b64 exec, exec, s[4:5]
	v_and_b32_e32 v2, 63, v0
	v_cmp_gt_u32_e32 vcc, 64, v0
	v_lshlrev_b32_e32 v1, 2, v2
	s_and_saveexec_b64 s[0:1], vcc
	s_cbranch_execz .LBB531_22
; %bb.21:
	v_mov_b32_e32 v4, 0
	ds_write_b32 v1, v4
.LBB531_22:
	s_or_b64 exec, exec, s[0:1]
	v_mbcnt_lo_u32_b32 v4, -1, 0
	v_mbcnt_hi_u32_b32 v6, -1, v4
	v_and_b32_e32 v7, 63, v6
	v_cmp_gt_u32_e64 s[0:1], 32, v7
	s_waitcnt lgkmcnt(0)
	s_barrier
	v_cndmask_b32_e64 v4, 0, 1, s[0:1]
	v_lshlrev_b32_e32 v4, 5, v4
	v_add_lshl_u32 v4, v4, v6, 2
	ds_bpermute_b32 v4, v4, v3
	v_cmp_gt_u32_e64 s[0:1], 48, v7
	s_waitcnt lgkmcnt(0)
	v_add_f32_e32 v3, v3, v4
	v_cndmask_b32_e64 v5, 0, 1, s[0:1]
	v_lshlrev_b32_e32 v5, 4, v5
	v_add_lshl_u32 v4, v5, v6, 2
	ds_bpermute_b32 v4, v4, v3
	v_cmp_gt_u32_e64 s[0:1], 56, v7
	s_waitcnt lgkmcnt(0)
	v_add_f32_e32 v4, v3, v4
	v_cndmask_b32_e64 v5, 0, 1, s[0:1]
	v_lshlrev_b32_e32 v5, 3, v5
	v_add_lshl_u32 v3, v5, v6, 2
	ds_bpermute_b32 v5, v3, v4
	v_cmp_gt_u32_e64 s[0:1], 60, v7
	s_waitcnt lgkmcnt(0)
	v_add_f32_e32 v5, v4, v5
	v_cndmask_b32_e64 v8, 0, 1, s[0:1]
	v_lshlrev_b32_e32 v8, 2, v8
	v_add_lshl_u32 v4, v8, v6, 2
	ds_bpermute_b32 v8, v4, v5
	v_cmp_gt_u32_e64 s[0:1], 62, v7
	s_waitcnt lgkmcnt(0)
	v_add_f32_e32 v8, v5, v8
	v_cndmask_b32_e64 v9, 0, 1, s[0:1]
	v_lshlrev_b32_e32 v9, 1, v9
	v_add_lshl_u32 v5, v9, v6, 2
	ds_bpermute_b32 v9, v5, v8
	v_cmp_ne_u32_e64 s[0:1], 63, v7
	s_waitcnt lgkmcnt(0)
	v_add_f32_e32 v7, v8, v9
	v_addc_co_u32_e64 v6, s[0:1], 0, v6, s[0:1]
	v_lshlrev_b32_e32 v6, 2, v6
	ds_bpermute_b32 v8, v6, v7
	v_cmp_eq_u32_e64 s[0:1], 0, v2
	s_and_saveexec_b64 s[4:5], s[0:1]
	s_cbranch_execz .LBB531_24
; %bb.23:
	v_lshrrev_b32_e32 v2, 4, v0
	v_and_b32_e32 v2, 60, v2
	s_waitcnt lgkmcnt(0)
	v_add_f32_e32 v7, v7, v8
	ds_write_b32 v2, v7
.LBB531_24:
	s_or_b64 exec, exec, s[4:5]
	v_cmp_gt_u32_e64 s[0:1], 16, v0
	v_mov_b32_e32 v2, 0
	s_waitcnt lgkmcnt(0)
	s_barrier
	s_and_saveexec_b64 s[4:5], s[0:1]
	s_cbranch_execz .LBB531_26
; %bb.25:
	ds_read_b32 v2, v1
	s_or_b64 exec, exec, s[4:5]
	s_and_saveexec_b64 s[0:1], vcc
	s_cbranch_execz .LBB531_28
	s_branch .LBB531_27
.LBB531_26:
	s_or_b64 exec, exec, s[4:5]
	s_and_saveexec_b64 s[0:1], vcc
	s_cbranch_execz .LBB531_28
.LBB531_27:
	s_waitcnt lgkmcnt(0)
	ds_bpermute_b32 v1, v3, v2
	s_waitcnt lgkmcnt(0)
	v_add_f32_e32 v1, v2, v1
	ds_bpermute_b32 v2, v4, v1
	s_waitcnt lgkmcnt(0)
	v_add_f32_e32 v1, v1, v2
	;; [unrolled: 3-line block ×4, first 2 shown]
.LBB531_28:
	s_or_b64 exec, exec, s[0:1]
	v_cmp_eq_u32_e32 vcc, 0, v0
                                        ; implicit-def: $vgpr1
                                        ; implicit-def: $sgpr18_sgpr19
	s_and_saveexec_b64 s[0:1], vcc
	s_cbranch_execz .LBB531_32
; %bb.29:
	s_mul_i32 s7, s2, s7
	s_mul_hi_u32 s10, s2, s6
	v_cmp_eq_f32_e64 s[4:5], s3, 0
	s_add_i32 s7, s10, s7
	s_mul_i32 s10, s20, s6
	s_waitcnt lgkmcnt(0)
	v_mul_f32_e32 v1, s24, v2
	s_add_i32 s19, s7, s10
	s_mul_i32 s18, s2, s6
	s_and_b64 vcc, exec, s[4:5]
	s_cbranch_vccnz .LBB531_31
; %bb.30:
	s_lshl_b64 s[4:5], s[18:19], 2
	s_add_u32 s4, s25, s4
	s_addc_u32 s5, s26, s5
	s_load_dword s2, s[4:5], 0x0
	v_mov_b32_e32 v0, s3
	s_waitcnt lgkmcnt(0)
	v_fmac_f32_e32 v1, s2, v0
.LBB531_31:
	s_or_b64 s[8:9], s[8:9], exec
.LBB531_32:
	s_or_b64 exec, exec, s[0:1]
.LBB531_33:
	s_and_saveexec_b64 s[0:1], s[8:9]
	s_cbranch_execz .LBB531_35
; %bb.34:
	s_lshl_b64 s[0:1], s[18:19], 2
	s_add_u32 s0, s25, s0
	s_addc_u32 s1, s26, s1
	v_mov_b32_e32 v0, 0
	global_store_dword v0, v1, s[0:1]
.LBB531_35:
	s_endpgm
	.section	.rodata,"a",@progbits
	.p2align	6, 0x0
	.amdhsa_kernel _ZL32rocblas_gemvt_warp_reduce_kernelILb0ELi1024ElPKDF16_fKPfEviiT3_lPKT2_lT1_lS7_lS8_lS4_lPT4_lS8_li
		.amdhsa_group_segment_fixed_size 256
		.amdhsa_private_segment_fixed_size 0
		.amdhsa_kernarg_size 140
		.amdhsa_user_sgpr_count 2
		.amdhsa_user_sgpr_dispatch_ptr 0
		.amdhsa_user_sgpr_queue_ptr 0
		.amdhsa_user_sgpr_kernarg_segment_ptr 1
		.amdhsa_user_sgpr_dispatch_id 0
		.amdhsa_user_sgpr_kernarg_preload_length 0
		.amdhsa_user_sgpr_kernarg_preload_offset 0
		.amdhsa_user_sgpr_private_segment_size 0
		.amdhsa_uses_dynamic_stack 0
		.amdhsa_enable_private_segment 0
		.amdhsa_system_sgpr_workgroup_id_x 1
		.amdhsa_system_sgpr_workgroup_id_y 0
		.amdhsa_system_sgpr_workgroup_id_z 1
		.amdhsa_system_sgpr_workgroup_info 0
		.amdhsa_system_vgpr_workitem_id 0
		.amdhsa_next_free_vgpr 11
		.amdhsa_next_free_sgpr 32
		.amdhsa_accum_offset 12
		.amdhsa_reserve_vcc 1
		.amdhsa_float_round_mode_32 0
		.amdhsa_float_round_mode_16_64 0
		.amdhsa_float_denorm_mode_32 3
		.amdhsa_float_denorm_mode_16_64 3
		.amdhsa_dx10_clamp 1
		.amdhsa_ieee_mode 1
		.amdhsa_fp16_overflow 0
		.amdhsa_tg_split 0
		.amdhsa_exception_fp_ieee_invalid_op 0
		.amdhsa_exception_fp_denorm_src 0
		.amdhsa_exception_fp_ieee_div_zero 0
		.amdhsa_exception_fp_ieee_overflow 0
		.amdhsa_exception_fp_ieee_underflow 0
		.amdhsa_exception_fp_ieee_inexact 0
		.amdhsa_exception_int_div_zero 0
	.end_amdhsa_kernel
	.section	.text._ZL32rocblas_gemvt_warp_reduce_kernelILb0ELi1024ElPKDF16_fKPfEviiT3_lPKT2_lT1_lS7_lS8_lS4_lPT4_lS8_li,"axG",@progbits,_ZL32rocblas_gemvt_warp_reduce_kernelILb0ELi1024ElPKDF16_fKPfEviiT3_lPKT2_lT1_lS7_lS8_lS4_lPT4_lS8_li,comdat
.Lfunc_end531:
	.size	_ZL32rocblas_gemvt_warp_reduce_kernelILb0ELi1024ElPKDF16_fKPfEviiT3_lPKT2_lT1_lS7_lS8_lS4_lPT4_lS8_li, .Lfunc_end531-_ZL32rocblas_gemvt_warp_reduce_kernelILb0ELi1024ElPKDF16_fKPfEviiT3_lPKT2_lT1_lS7_lS8_lS4_lPT4_lS8_li
                                        ; -- End function
	.section	.AMDGPU.csdata,"",@progbits
; Kernel info:
; codeLenInByte = 1404
; NumSgprs: 38
; NumVgprs: 11
; NumAgprs: 0
; TotalNumVgprs: 11
; ScratchSize: 0
; MemoryBound: 0
; FloatMode: 240
; IeeeMode: 1
; LDSByteSize: 256 bytes/workgroup (compile time only)
; SGPRBlocks: 4
; VGPRBlocks: 1
; NumSGPRsForWavesPerEU: 38
; NumVGPRsForWavesPerEU: 11
; AccumOffset: 12
; Occupancy: 8
; WaveLimiterHint : 1
; COMPUTE_PGM_RSRC2:SCRATCH_EN: 0
; COMPUTE_PGM_RSRC2:USER_SGPR: 2
; COMPUTE_PGM_RSRC2:TRAP_HANDLER: 0
; COMPUTE_PGM_RSRC2:TGID_X_EN: 1
; COMPUTE_PGM_RSRC2:TGID_Y_EN: 0
; COMPUTE_PGM_RSRC2:TGID_Z_EN: 1
; COMPUTE_PGM_RSRC2:TIDIG_COMP_CNT: 0
; COMPUTE_PGM_RSRC3_GFX90A:ACCUM_OFFSET: 2
; COMPUTE_PGM_RSRC3_GFX90A:TG_SPLIT: 0
	.section	.text._ZL22rocblas_gemvtsm_kernelILb1ELi256EPKDF16_PKfKPfEviiT2_lPKT1_lilS9_lilS6_lPT3_lil,"axG",@progbits,_ZL22rocblas_gemvtsm_kernelILb1ELi256EPKDF16_PKfKPfEviiT2_lPKT1_lilS9_lilS6_lPT3_lil,comdat
	.globl	_ZL22rocblas_gemvtsm_kernelILb1ELi256EPKDF16_PKfKPfEviiT2_lPKT1_lilS9_lilS6_lPT3_lil ; -- Begin function _ZL22rocblas_gemvtsm_kernelILb1ELi256EPKDF16_PKfKPfEviiT2_lPKT1_lilS9_lilS6_lPT3_lil
	.p2align	8
	.type	_ZL22rocblas_gemvtsm_kernelILb1ELi256EPKDF16_PKfKPfEviiT2_lPKT1_lilS9_lilS6_lPT3_lil,@function
_ZL22rocblas_gemvtsm_kernelILb1ELi256EPKDF16_PKfKPfEviiT2_lPKT1_lilS9_lilS6_lPT3_lil: ; @_ZL22rocblas_gemvtsm_kernelILb1ELi256EPKDF16_PKfKPfEviiT2_lPKT1_lilS9_lilS6_lPT3_lil
; %bb.0:
	s_load_dwordx8 s[12:19], s[0:1], 0x8
	s_load_dwordx8 s[4:11], s[0:1], 0x58
	s_waitcnt lgkmcnt(0)
	s_mul_i32 s3, s2, s15
	s_mul_hi_u32 s15, s2, s14
	s_add_i32 s15, s15, s3
	s_mul_i32 s14, s2, s14
	s_lshl_b64 s[14:15], s[14:15], 2
	s_add_u32 s12, s12, s14
	s_mul_i32 s3, s2, s7
	s_mul_hi_u32 s7, s2, s6
	s_addc_u32 s13, s13, s15
	s_add_i32 s7, s7, s3
	s_mul_i32 s6, s2, s6
	s_lshl_b64 s[6:7], s[6:7], 2
	s_add_u32 s4, s4, s6
	s_addc_u32 s5, s5, s7
	s_load_dword s23, s[12:13], 0x0
	s_load_dword s22, s[4:5], 0x0
	s_waitcnt lgkmcnt(0)
	v_cmp_eq_f32_e64 s[20:21], s23, 0
	v_cmp_eq_f32_e64 s[4:5], s22, 1.0
	s_and_b64 s[4:5], s[20:21], s[4:5]
	s_and_b64 vcc, exec, s[4:5]
	s_cbranch_vccnz .LBB532_38
; %bb.1:
	s_mov_b32 s3, 0
	v_cmp_neq_f32_e64 s[12:13], s23, 0
	s_mov_b64 s[6:7], 0
	s_and_b64 vcc, exec, s[20:21]
	s_mov_b64 s[4:5], 0
	s_cbranch_vccnz .LBB532_3
; %bb.2:
	s_lshl_b64 s[4:5], s[2:3], 3
	s_add_u32 s4, s16, s4
	s_addc_u32 s5, s17, s5
	s_load_dwordx2 s[4:5], s[4:5], 0x0
	s_lshl_b64 s[14:15], s[18:19], 1
	s_waitcnt lgkmcnt(0)
	s_add_u32 s4, s4, s14
	s_addc_u32 s5, s5, s15
.LBB532_3:
	s_andn2_b64 vcc, exec, s[12:13]
	s_cbranch_vccnz .LBB532_5
; %bb.4:
	s_load_dwordx4 s[12:15], s[0:1], 0x38
	s_lshl_b64 s[6:7], s[2:3], 3
	s_waitcnt lgkmcnt(0)
	s_add_u32 s6, s12, s6
	s_addc_u32 s7, s13, s7
	s_load_dwordx2 s[6:7], s[6:7], 0x0
	s_lshl_b64 s[12:13], s[14:15], 1
	s_waitcnt lgkmcnt(0)
	s_add_u32 s6, s6, s12
	s_addc_u32 s7, s7, s13
.LBB532_5:
	s_lshl_b64 s[2:3], s[2:3], 3
	s_add_u32 s2, s8, s2
	s_addc_u32 s3, s9, s3
	s_load_dwordx2 s[12:13], s[0:1], 0x0
	s_load_dword s14, s[0:1], 0x78
	s_load_dwordx2 s[8:9], s[2:3], 0x0
	s_andn2_b64 vcc, exec, s[20:21]
	s_mov_b64 s[2:3], -1
	s_cbranch_vccnz .LBB532_20
; %bb.6:
	s_waitcnt lgkmcnt(0)
	s_cmp_gt_i32 s13, 0
	s_cselect_b64 s[16:17], -1, 0
	v_cmp_neq_f32_e64 s[2:3], s22, 0
	v_cndmask_b32_e64 v1, 0, 1, s[16:17]
	s_and_b64 vcc, exec, s[2:3]
	v_cmp_ne_u32_e64 s[2:3], 1, v1
	s_cbranch_vccnz .LBB532_13
; %bb.7:
	s_and_b64 vcc, exec, s[2:3]
	s_cbranch_vccnz .LBB532_12
; %bb.8:
	v_mad_i64_i32 v[2:3], s[16:17], s14, v0, 0
	s_ashr_i32 s15, s14, 31
	s_lshl_b64 s[16:17], s[10:11], 2
	s_add_u32 s16, s8, s16
	s_addc_u32 s17, s9, s17
	v_lshl_add_u64 v[2:3], v[2:3], 2, s[16:17]
	s_lshl_b64 s[16:17], s[14:15], 10
	s_mov_b32 s15, 0
	v_mov_b32_e32 v1, 0
	s_branch .LBB532_10
.LBB532_9:                              ;   in Loop: Header=BB532_10 Depth=1
	s_or_b64 exec, exec, s[18:19]
	s_addk_i32 s15, 0x100
	s_cmp_ge_i32 s15, s13
	v_lshl_add_u64 v[2:3], v[2:3], 0, s[16:17]
	s_cbranch_scc1 .LBB532_12
.LBB532_10:                             ; =>This Inner Loop Header: Depth=1
	v_add_u32_e32 v4, s15, v0
	v_cmp_gt_i32_e32 vcc, s13, v4
	s_and_saveexec_b64 s[18:19], vcc
	s_cbranch_execz .LBB532_9
; %bb.11:                               ;   in Loop: Header=BB532_10 Depth=1
	global_store_dword v[2:3], v1, off
	s_branch .LBB532_9
.LBB532_12:
	s_cbranch_execz .LBB532_14
	s_branch .LBB532_19
.LBB532_13:
.LBB532_14:
	s_and_b64 vcc, exec, s[2:3]
	s_cbranch_vccnz .LBB532_19
; %bb.15:
	v_mad_i64_i32 v[2:3], s[2:3], s14, v0, 0
	s_ashr_i32 s15, s14, 31
	s_lshl_b64 s[2:3], s[10:11], 2
	s_add_u32 s2, s8, s2
	s_addc_u32 s3, s9, s3
	v_lshl_add_u64 v[2:3], v[2:3], 2, s[2:3]
	s_lshl_b64 s[2:3], s[14:15], 10
	s_mov_b32 s15, 0
	s_branch .LBB532_17
.LBB532_16:                             ;   in Loop: Header=BB532_17 Depth=1
	s_or_b64 exec, exec, s[16:17]
	s_addk_i32 s15, 0x100
	s_cmp_ge_i32 s15, s13
	v_lshl_add_u64 v[2:3], v[2:3], 0, s[2:3]
	s_cbranch_scc1 .LBB532_19
.LBB532_17:                             ; =>This Inner Loop Header: Depth=1
	v_add_u32_e32 v1, s15, v0
	v_cmp_gt_i32_e32 vcc, s13, v1
	s_and_saveexec_b64 s[16:17], vcc
	s_cbranch_execz .LBB532_16
; %bb.18:                               ;   in Loop: Header=BB532_17 Depth=1
	global_load_dword v1, v[2:3], off
	s_waitcnt vmcnt(0)
	v_mul_f32_e32 v1, s22, v1
	global_store_dword v[2:3], v1, off
	s_branch .LBB532_16
.LBB532_19:
	s_mov_b64 s[2:3], 0
.LBB532_20:
	s_andn2_b64 vcc, exec, s[2:3]
	s_cbranch_vccnz .LBB532_38
; %bb.21:
	s_waitcnt lgkmcnt(0)
	v_cmp_gt_i32_e32 vcc, s12, v0
	s_and_saveexec_b64 s[2:3], vcc
	s_cbranch_execz .LBB532_23
; %bb.22:
	s_load_dword s15, s[0:1], 0x48
	s_waitcnt lgkmcnt(0)
	v_mad_i64_i32 v[2:3], s[16:17], s15, v0, 0
	v_lshl_add_u64 v[2:3], v[2:3], 1, s[6:7]
	flat_load_ushort v1, v[2:3]
	v_lshlrev_b32_e32 v2, 2, v0
	s_waitcnt vmcnt(0) lgkmcnt(0)
	v_cvt_f32_f16_e32 v1, v1
	v_mul_f32_e32 v1, s23, v1
	ds_write_b32 v2, v1
.LBB532_23:
	s_or_b64 exec, exec, s[2:3]
	s_cmp_lt_i32 s13, 1
	s_waitcnt lgkmcnt(0)
	s_barrier
	s_cbranch_scc1 .LBB532_38
; %bb.24:
	s_load_dword s0, s[0:1], 0x28
	s_lshl_b64 s[2:3], s[10:11], 2
	s_add_u32 s8, s8, s2
	s_addc_u32 s9, s9, s3
	s_ashr_i32 s15, s14, 31
	s_waitcnt lgkmcnt(0)
	s_ashr_i32 s1, s0, 31
	s_cmp_gt_i32 s12, 0
	s_cselect_b64 s[2:3], -1, 0
	s_and_b32 s20, s12, 7
	s_cmp_gt_u32 s12, 7
	s_cselect_b64 s[6:7], -1, 0
	s_and_b32 s12, s12, 0x7ffffff8
	s_cmp_lg_u32 s20, 0
	v_mad_i64_i32 v[2:3], s[16:17], s0, v0, 0
	s_cselect_b64 s[18:19], -1, 0
	s_lshl_b64 s[16:17], s[0:1], 9
	v_cmp_neq_f32_e64 s[0:1], s22, 0
	v_lshl_add_u64 v[2:3], v[2:3], 1, s[4:5]
	s_mov_b32 s11, 0
	v_cndmask_b32_e64 v1, 0, 1, s[0:1]
	v_cmp_ne_u32_e64 s[0:1], 1, v1
	v_cndmask_b32_e64 v1, 0, 1, s[2:3]
	v_cmp_ne_u32_e64 s[2:3], 1, v1
	;; [unrolled: 2-line block ×4, first 2 shown]
	s_mov_b32 s21, 0
	s_branch .LBB532_27
.LBB532_25:                             ;   in Loop: Header=BB532_27 Depth=1
	global_store_dword v[4:5], v1, off
.LBB532_26:                             ;   in Loop: Header=BB532_27 Depth=1
	s_or_b64 exec, exec, s[18:19]
	s_addk_i32 s21, 0x100
	s_cmp_ge_i32 s21, s13
	v_lshl_add_u64 v[2:3], v[2:3], 0, s[16:17]
	s_cbranch_scc1 .LBB532_38
.LBB532_27:                             ; =>This Loop Header: Depth=1
                                        ;     Child Loop BB532_33 Depth 2
                                        ;     Child Loop BB532_37 Depth 2
	v_add_u32_e32 v1, s21, v0
	v_cmp_gt_i32_e32 vcc, s13, v1
	s_and_saveexec_b64 s[18:19], vcc
	s_cbranch_execz .LBB532_26
; %bb.28:                               ;   in Loop: Header=BB532_27 Depth=1
	v_mad_u64_u32 v[4:5], s[24:25], v1, s14, 0
	v_mov_b32_e32 v6, v5
	v_mad_u64_u32 v[6:7], s[24:25], v1, s15, v[6:7]
	v_mov_b32_e32 v5, v6
	s_and_b64 vcc, exec, s[0:1]
	v_lshl_add_u64 v[4:5], v[4:5], 2, s[8:9]
	s_cbranch_vccnz .LBB532_30
; %bb.29:                               ;   in Loop: Header=BB532_27 Depth=1
	global_load_dword v1, v[4:5], off
	s_waitcnt vmcnt(0)
	v_mul_f32_e32 v1, s22, v1
	s_and_b64 vcc, exec, s[2:3]
	s_cbranch_vccz .LBB532_31
	s_branch .LBB532_25
.LBB532_30:                             ;   in Loop: Header=BB532_27 Depth=1
	v_mov_b32_e32 v1, 0
	s_and_b64 vcc, exec, s[2:3]
	s_cbranch_vccnz .LBB532_25
.LBB532_31:                             ;   in Loop: Header=BB532_27 Depth=1
	s_mov_b32 s10, 0
	s_and_b64 vcc, exec, s[4:5]
	s_cbranch_vccnz .LBB532_35
; %bb.32:                               ;   in Loop: Header=BB532_27 Depth=1
	s_mov_b32 s23, 0
	v_mov_b64_e32 v[6:7], v[2:3]
.LBB532_33:                             ;   Parent Loop BB532_27 Depth=1
                                        ; =>  This Inner Loop Header: Depth=2
	flat_load_dwordx4 v[8:11], v[6:7]
	v_mov_b32_e32 v16, s10
	ds_read_b128 v[12:15], v16
	ds_read_b128 v[16:19], v16 offset:16
	s_add_i32 s23, s23, 8
	s_add_i32 s10, s10, 32
	v_lshl_add_u64 v[6:7], v[6:7], 0, 16
	s_cmp_eq_u32 s12, s23
	s_waitcnt vmcnt(0) lgkmcnt(0)
	v_fma_mix_f32 v1, v12, v8, v1 op_sel_hi:[0,1,0]
	v_fma_mix_f32 v1, v13, v8, v1 op_sel:[0,1,0] op_sel_hi:[0,1,0]
	v_fma_mix_f32 v1, v14, v9, v1 op_sel_hi:[0,1,0]
	v_fma_mix_f32 v1, v15, v9, v1 op_sel:[0,1,0] op_sel_hi:[0,1,0]
	;; [unrolled: 2-line block ×4, first 2 shown]
	s_cbranch_scc0 .LBB532_33
; %bb.34:                               ;   in Loop: Header=BB532_27 Depth=1
	s_mov_b32 s10, s12
.LBB532_35:                             ;   in Loop: Header=BB532_27 Depth=1
	s_and_b64 vcc, exec, s[6:7]
	s_cbranch_vccnz .LBB532_25
; %bb.36:                               ;   in Loop: Header=BB532_27 Depth=1
	s_lshl_b32 s23, s10, 2
	s_lshl_b32 s10, s10, 1
	v_lshl_add_u64 v[6:7], v[2:3], 0, s[10:11]
	s_mov_b32 s10, s20
.LBB532_37:                             ;   Parent Loop BB532_27 Depth=1
                                        ; =>  This Inner Loop Header: Depth=2
	flat_load_ushort v8, v[6:7]
	v_mov_b32_e32 v9, s23
	ds_read_b32 v9, v9
	s_add_i32 s23, s23, 4
	s_add_i32 s10, s10, -1
	v_lshl_add_u64 v[6:7], v[6:7], 0, 2
	s_cmp_lg_u32 s10, 0
	s_waitcnt vmcnt(0) lgkmcnt(0)
	v_fma_mix_f32 v1, v9, v8, v1 op_sel_hi:[0,1,0]
	s_cbranch_scc1 .LBB532_37
	s_branch .LBB532_25
.LBB532_38:
	s_endpgm
	.section	.rodata,"a",@progbits
	.p2align	6, 0x0
	.amdhsa_kernel _ZL22rocblas_gemvtsm_kernelILb1ELi256EPKDF16_PKfKPfEviiT2_lPKT1_lilS9_lilS6_lPT3_lil
		.amdhsa_group_segment_fixed_size 256
		.amdhsa_private_segment_fixed_size 0
		.amdhsa_kernarg_size 136
		.amdhsa_user_sgpr_count 2
		.amdhsa_user_sgpr_dispatch_ptr 0
		.amdhsa_user_sgpr_queue_ptr 0
		.amdhsa_user_sgpr_kernarg_segment_ptr 1
		.amdhsa_user_sgpr_dispatch_id 0
		.amdhsa_user_sgpr_kernarg_preload_length 0
		.amdhsa_user_sgpr_kernarg_preload_offset 0
		.amdhsa_user_sgpr_private_segment_size 0
		.amdhsa_uses_dynamic_stack 0
		.amdhsa_enable_private_segment 0
		.amdhsa_system_sgpr_workgroup_id_x 1
		.amdhsa_system_sgpr_workgroup_id_y 0
		.amdhsa_system_sgpr_workgroup_id_z 0
		.amdhsa_system_sgpr_workgroup_info 0
		.amdhsa_system_vgpr_workitem_id 0
		.amdhsa_next_free_vgpr 20
		.amdhsa_next_free_sgpr 26
		.amdhsa_accum_offset 20
		.amdhsa_reserve_vcc 1
		.amdhsa_float_round_mode_32 0
		.amdhsa_float_round_mode_16_64 0
		.amdhsa_float_denorm_mode_32 3
		.amdhsa_float_denorm_mode_16_64 3
		.amdhsa_dx10_clamp 1
		.amdhsa_ieee_mode 1
		.amdhsa_fp16_overflow 0
		.amdhsa_tg_split 0
		.amdhsa_exception_fp_ieee_invalid_op 0
		.amdhsa_exception_fp_denorm_src 0
		.amdhsa_exception_fp_ieee_div_zero 0
		.amdhsa_exception_fp_ieee_overflow 0
		.amdhsa_exception_fp_ieee_underflow 0
		.amdhsa_exception_fp_ieee_inexact 0
		.amdhsa_exception_int_div_zero 0
	.end_amdhsa_kernel
	.section	.text._ZL22rocblas_gemvtsm_kernelILb1ELi256EPKDF16_PKfKPfEviiT2_lPKT1_lilS9_lilS6_lPT3_lil,"axG",@progbits,_ZL22rocblas_gemvtsm_kernelILb1ELi256EPKDF16_PKfKPfEviiT2_lPKT1_lilS9_lilS6_lPT3_lil,comdat
.Lfunc_end532:
	.size	_ZL22rocblas_gemvtsm_kernelILb1ELi256EPKDF16_PKfKPfEviiT2_lPKT1_lilS9_lilS6_lPT3_lil, .Lfunc_end532-_ZL22rocblas_gemvtsm_kernelILb1ELi256EPKDF16_PKfKPfEviiT2_lPKT1_lilS9_lilS6_lPT3_lil
                                        ; -- End function
	.section	.AMDGPU.csdata,"",@progbits
; Kernel info:
; codeLenInByte = 1216
; NumSgprs: 32
; NumVgprs: 20
; NumAgprs: 0
; TotalNumVgprs: 20
; ScratchSize: 0
; MemoryBound: 0
; FloatMode: 240
; IeeeMode: 1
; LDSByteSize: 256 bytes/workgroup (compile time only)
; SGPRBlocks: 3
; VGPRBlocks: 2
; NumSGPRsForWavesPerEU: 32
; NumVGPRsForWavesPerEU: 20
; AccumOffset: 20
; Occupancy: 8
; WaveLimiterHint : 1
; COMPUTE_PGM_RSRC2:SCRATCH_EN: 0
; COMPUTE_PGM_RSRC2:USER_SGPR: 2
; COMPUTE_PGM_RSRC2:TRAP_HANDLER: 0
; COMPUTE_PGM_RSRC2:TGID_X_EN: 1
; COMPUTE_PGM_RSRC2:TGID_Y_EN: 0
; COMPUTE_PGM_RSRC2:TGID_Z_EN: 0
; COMPUTE_PGM_RSRC2:TIDIG_COMP_CNT: 0
; COMPUTE_PGM_RSRC3_GFX90A:ACCUM_OFFSET: 4
; COMPUTE_PGM_RSRC3_GFX90A:TG_SPLIT: 0
	.section	.text._ZL22rocblas_gemvtsm_kernelILb1ELi256EPKDF16_fKPfEviiT2_lPKT1_lilS7_lilS4_lPT3_lil,"axG",@progbits,_ZL22rocblas_gemvtsm_kernelILb1ELi256EPKDF16_fKPfEviiT2_lPKT1_lilS7_lilS4_lPT3_lil,comdat
	.globl	_ZL22rocblas_gemvtsm_kernelILb1ELi256EPKDF16_fKPfEviiT2_lPKT1_lilS7_lilS4_lPT3_lil ; -- Begin function _ZL22rocblas_gemvtsm_kernelILb1ELi256EPKDF16_fKPfEviiT2_lPKT1_lilS7_lilS4_lPT3_lil
	.p2align	8
	.type	_ZL22rocblas_gemvtsm_kernelILb1ELi256EPKDF16_fKPfEviiT2_lPKT1_lilS7_lilS4_lPT3_lil,@function
_ZL22rocblas_gemvtsm_kernelILb1ELi256EPKDF16_fKPfEviiT2_lPKT1_lilS7_lilS4_lPT3_lil: ; @_ZL22rocblas_gemvtsm_kernelILb1ELi256EPKDF16_fKPfEviiT2_lPKT1_lilS7_lilS4_lPT3_lil
; %bb.0:
	s_load_dwordx4 s[8:11], s[0:1], 0x0
	s_load_dword s22, s[0:1], 0x58
	s_waitcnt lgkmcnt(0)
	v_cmp_eq_f32_e64 s[18:19], s10, 0
	v_cmp_eq_f32_e64 s[4:5], s22, 1.0
	s_and_b64 s[4:5], s[18:19], s[4:5]
	s_and_b64 vcc, exec, s[4:5]
	s_cbranch_vccnz .LBB533_41
; %bb.1:
	v_cmp_neq_f32_e64 s[4:5], s10, 0
	s_mov_b32 s3, 0
	s_and_b64 vcc, exec, s[4:5]
	s_cbranch_vccnz .LBB533_3
; %bb.2:
	s_mov_b64 s[14:15], 0
	s_cbranch_execz .LBB533_4
	s_branch .LBB533_5
.LBB533_3:
                                        ; implicit-def: $sgpr14_sgpr15
.LBB533_4:
	s_load_dwordx4 s[12:15], s[0:1], 0x18
	s_lshl_b64 s[6:7], s[2:3], 3
	s_waitcnt lgkmcnt(0)
	s_add_u32 s6, s12, s6
	s_addc_u32 s7, s13, s7
	s_load_dwordx2 s[6:7], s[6:7], 0x0
	s_lshl_b64 s[12:13], s[14:15], 1
	s_waitcnt lgkmcnt(0)
	s_add_u32 s14, s6, s12
	s_addc_u32 s15, s7, s13
.LBB533_5:
	s_andn2_b64 vcc, exec, s[4:5]
	s_cbranch_vccnz .LBB533_7
; %bb.6:
	s_load_dwordx4 s[4:7], s[0:1], 0x38
	s_lshl_b64 s[12:13], s[2:3], 3
	s_waitcnt lgkmcnt(0)
	s_add_u32 s4, s4, s12
	s_addc_u32 s5, s5, s13
	s_load_dwordx2 s[4:5], s[4:5], 0x0
	s_lshl_b64 s[6:7], s[6:7], 1
	s_waitcnt lgkmcnt(0)
	s_add_u32 s16, s4, s6
	s_addc_u32 s17, s5, s7
	s_branch .LBB533_8
.LBB533_7:
	s_mov_b64 s[16:17], 0
.LBB533_8:
	s_load_dwordx4 s[4:7], s[0:1], 0x68
	s_load_dword s12, s[0:1], 0x78
	s_lshl_b64 s[2:3], s[2:3], 3
	s_waitcnt lgkmcnt(0)
	s_add_u32 s2, s4, s2
	s_addc_u32 s3, s5, s3
	s_load_dwordx2 s[4:5], s[2:3], 0x0
	s_andn2_b64 vcc, exec, s[18:19]
	s_mov_b64 s[2:3], -1
	s_cbranch_vccnz .LBB533_23
; %bb.9:
	s_cmp_gt_i32 s9, 0
	s_cselect_b64 s[18:19], -1, 0
	v_cmp_neq_f32_e64 s[2:3], s22, 0
	v_cndmask_b32_e64 v1, 0, 1, s[18:19]
	s_and_b64 vcc, exec, s[2:3]
	v_cmp_ne_u32_e64 s[2:3], 1, v1
	s_cbranch_vccnz .LBB533_16
; %bb.10:
	s_and_b64 vcc, exec, s[2:3]
	s_cbranch_vccnz .LBB533_15
; %bb.11:
	v_mad_i64_i32 v[2:3], s[18:19], s12, v0, 0
	s_ashr_i32 s13, s12, 31
	s_lshl_b64 s[18:19], s[6:7], 2
	s_waitcnt lgkmcnt(0)
	s_add_u32 s18, s4, s18
	s_addc_u32 s19, s5, s19
	v_lshl_add_u64 v[2:3], v[2:3], 2, s[18:19]
	s_lshl_b64 s[18:19], s[12:13], 10
	s_mov_b32 s11, 0
	v_mov_b32_e32 v1, 0
	s_branch .LBB533_13
.LBB533_12:                             ;   in Loop: Header=BB533_13 Depth=1
	s_or_b64 exec, exec, s[20:21]
	s_addk_i32 s11, 0x100
	s_cmp_ge_i32 s11, s9
	v_lshl_add_u64 v[2:3], v[2:3], 0, s[18:19]
	s_cbranch_scc1 .LBB533_15
.LBB533_13:                             ; =>This Inner Loop Header: Depth=1
	v_add_u32_e32 v4, s11, v0
	v_cmp_gt_i32_e32 vcc, s9, v4
	s_and_saveexec_b64 s[20:21], vcc
	s_cbranch_execz .LBB533_12
; %bb.14:                               ;   in Loop: Header=BB533_13 Depth=1
	global_store_dword v[2:3], v1, off
	s_branch .LBB533_12
.LBB533_15:
	s_cbranch_execz .LBB533_17
	s_branch .LBB533_22
.LBB533_16:
.LBB533_17:
	s_and_b64 vcc, exec, s[2:3]
	s_cbranch_vccnz .LBB533_22
; %bb.18:
	v_mad_i64_i32 v[2:3], s[2:3], s12, v0, 0
	s_ashr_i32 s13, s12, 31
	s_lshl_b64 s[2:3], s[6:7], 2
	s_waitcnt lgkmcnt(0)
	s_add_u32 s2, s4, s2
	s_addc_u32 s3, s5, s3
	v_lshl_add_u64 v[2:3], v[2:3], 2, s[2:3]
	s_lshl_b64 s[2:3], s[12:13], 10
	s_mov_b32 s11, 0
	s_branch .LBB533_20
.LBB533_19:                             ;   in Loop: Header=BB533_20 Depth=1
	s_or_b64 exec, exec, s[18:19]
	s_addk_i32 s11, 0x100
	s_cmp_ge_i32 s11, s9
	v_lshl_add_u64 v[2:3], v[2:3], 0, s[2:3]
	s_cbranch_scc1 .LBB533_22
.LBB533_20:                             ; =>This Inner Loop Header: Depth=1
	v_add_u32_e32 v1, s11, v0
	v_cmp_gt_i32_e32 vcc, s9, v1
	s_and_saveexec_b64 s[18:19], vcc
	s_cbranch_execz .LBB533_19
; %bb.21:                               ;   in Loop: Header=BB533_20 Depth=1
	global_load_dword v1, v[2:3], off
	s_waitcnt vmcnt(0)
	v_mul_f32_e32 v1, s22, v1
	global_store_dword v[2:3], v1, off
	s_branch .LBB533_19
.LBB533_22:
	s_mov_b64 s[2:3], 0
.LBB533_23:
	s_andn2_b64 vcc, exec, s[2:3]
	s_cbranch_vccnz .LBB533_41
; %bb.24:
	v_cmp_gt_i32_e32 vcc, s8, v0
	s_and_saveexec_b64 s[2:3], vcc
	s_cbranch_execz .LBB533_26
; %bb.25:
	s_load_dword s11, s[0:1], 0x48
	s_waitcnt lgkmcnt(0)
	v_mad_i64_i32 v[2:3], s[18:19], s11, v0, 0
	v_lshl_add_u64 v[2:3], v[2:3], 1, s[16:17]
	flat_load_ushort v1, v[2:3]
	v_lshlrev_b32_e32 v2, 2, v0
	s_waitcnt vmcnt(0) lgkmcnt(0)
	v_cvt_f32_f16_e32 v1, v1
	v_mul_f32_e32 v1, s10, v1
	ds_write_b32 v2, v1
.LBB533_26:
	s_or_b64 exec, exec, s[2:3]
	s_cmp_lt_i32 s9, 1
	s_waitcnt lgkmcnt(0)
	s_barrier
	s_cbranch_scc1 .LBB533_41
; %bb.27:
	s_load_dword s0, s[0:1], 0x28
	s_lshl_b64 s[2:3], s[6:7], 2
	s_add_u32 s10, s4, s2
	s_addc_u32 s11, s5, s3
	s_ashr_i32 s13, s12, 31
	s_waitcnt lgkmcnt(0)
	s_ashr_i32 s1, s0, 31
	s_cmp_gt_i32 s8, 0
	s_cselect_b64 s[2:3], -1, 0
	s_and_b32 s20, s8, 7
	s_cmp_gt_u32 s8, 7
	s_cselect_b64 s[4:5], -1, 0
	s_and_b32 s8, s8, 0x7ffffff8
	s_cmp_lg_u32 s20, 0
	v_mad_i64_i32 v[2:3], s[18:19], s0, v0, 0
	s_cselect_b64 s[6:7], -1, 0
	v_lshl_add_u64 v[2:3], v[2:3], 1, s[14:15]
	s_lshl_b64 s[14:15], s[0:1], 9
	v_cmp_neq_f32_e64 s[0:1], s22, 0
	s_mov_b32 s17, 0
	s_mov_b32 s21, 0
	v_cndmask_b32_e64 v1, 0, 1, s[0:1]
	v_cmp_ne_u32_e64 s[0:1], 1, v1
	v_cndmask_b32_e64 v1, 0, 1, s[2:3]
	v_cmp_ne_u32_e64 s[2:3], 1, v1
	;; [unrolled: 2-line block ×4, first 2 shown]
	s_branch .LBB533_30
.LBB533_28:                             ;   in Loop: Header=BB533_30 Depth=1
	global_store_dword v[4:5], v1, off
.LBB533_29:                             ;   in Loop: Header=BB533_30 Depth=1
	s_or_b64 exec, exec, s[18:19]
	s_addk_i32 s21, 0x100
	s_cmp_ge_i32 s21, s9
	v_lshl_add_u64 v[2:3], v[2:3], 0, s[14:15]
	s_cbranch_scc1 .LBB533_41
.LBB533_30:                             ; =>This Loop Header: Depth=1
                                        ;     Child Loop BB533_36 Depth 2
                                        ;     Child Loop BB533_40 Depth 2
	v_add_u32_e32 v1, s21, v0
	v_cmp_gt_i32_e32 vcc, s9, v1
	s_and_saveexec_b64 s[18:19], vcc
	s_cbranch_execz .LBB533_29
; %bb.31:                               ;   in Loop: Header=BB533_30 Depth=1
	v_mad_u64_u32 v[4:5], s[24:25], v1, s12, 0
	v_mov_b32_e32 v6, v5
	v_mad_u64_u32 v[6:7], s[24:25], v1, s13, v[6:7]
	v_mov_b32_e32 v5, v6
	s_and_b64 vcc, exec, s[0:1]
	v_lshl_add_u64 v[4:5], v[4:5], 2, s[10:11]
	s_cbranch_vccnz .LBB533_33
; %bb.32:                               ;   in Loop: Header=BB533_30 Depth=1
	global_load_dword v1, v[4:5], off
	s_waitcnt vmcnt(0)
	v_mul_f32_e32 v1, s22, v1
	s_and_b64 vcc, exec, s[2:3]
	s_cbranch_vccz .LBB533_34
	s_branch .LBB533_28
.LBB533_33:                             ;   in Loop: Header=BB533_30 Depth=1
	v_mov_b32_e32 v1, 0
	s_and_b64 vcc, exec, s[2:3]
	s_cbranch_vccnz .LBB533_28
.LBB533_34:                             ;   in Loop: Header=BB533_30 Depth=1
	s_mov_b32 s16, 0
	s_and_b64 vcc, exec, s[4:5]
	s_cbranch_vccnz .LBB533_38
; %bb.35:                               ;   in Loop: Header=BB533_30 Depth=1
	s_mov_b32 s23, 0
	v_mov_b64_e32 v[6:7], v[2:3]
.LBB533_36:                             ;   Parent Loop BB533_30 Depth=1
                                        ; =>  This Inner Loop Header: Depth=2
	flat_load_dwordx4 v[8:11], v[6:7]
	v_mov_b32_e32 v16, s16
	ds_read_b128 v[12:15], v16
	ds_read_b128 v[16:19], v16 offset:16
	s_add_i32 s23, s23, 8
	s_add_i32 s16, s16, 32
	v_lshl_add_u64 v[6:7], v[6:7], 0, 16
	s_cmp_eq_u32 s8, s23
	s_waitcnt vmcnt(0) lgkmcnt(0)
	v_fma_mix_f32 v1, v12, v8, v1 op_sel_hi:[0,1,0]
	v_fma_mix_f32 v1, v13, v8, v1 op_sel:[0,1,0] op_sel_hi:[0,1,0]
	v_fma_mix_f32 v1, v14, v9, v1 op_sel_hi:[0,1,0]
	v_fma_mix_f32 v1, v15, v9, v1 op_sel:[0,1,0] op_sel_hi:[0,1,0]
	;; [unrolled: 2-line block ×4, first 2 shown]
	s_cbranch_scc0 .LBB533_36
; %bb.37:                               ;   in Loop: Header=BB533_30 Depth=1
	s_mov_b32 s16, s8
.LBB533_38:                             ;   in Loop: Header=BB533_30 Depth=1
	s_and_b64 vcc, exec, s[6:7]
	s_cbranch_vccnz .LBB533_28
; %bb.39:                               ;   in Loop: Header=BB533_30 Depth=1
	s_lshl_b32 s23, s16, 2
	s_lshl_b32 s16, s16, 1
	v_lshl_add_u64 v[6:7], v[2:3], 0, s[16:17]
	s_mov_b32 s16, s20
.LBB533_40:                             ;   Parent Loop BB533_30 Depth=1
                                        ; =>  This Inner Loop Header: Depth=2
	flat_load_ushort v8, v[6:7]
	v_mov_b32_e32 v9, s23
	ds_read_b32 v9, v9
	s_add_i32 s23, s23, 4
	s_add_i32 s16, s16, -1
	v_lshl_add_u64 v[6:7], v[6:7], 0, 2
	s_cmp_lg_u32 s16, 0
	s_waitcnt vmcnt(0) lgkmcnt(0)
	v_fma_mix_f32 v1, v9, v8, v1 op_sel_hi:[0,1,0]
	s_cbranch_scc1 .LBB533_40
	s_branch .LBB533_28
.LBB533_41:
	s_endpgm
	.section	.rodata,"a",@progbits
	.p2align	6, 0x0
	.amdhsa_kernel _ZL22rocblas_gemvtsm_kernelILb1ELi256EPKDF16_fKPfEviiT2_lPKT1_lilS7_lilS4_lPT3_lil
		.amdhsa_group_segment_fixed_size 256
		.amdhsa_private_segment_fixed_size 0
		.amdhsa_kernarg_size 136
		.amdhsa_user_sgpr_count 2
		.amdhsa_user_sgpr_dispatch_ptr 0
		.amdhsa_user_sgpr_queue_ptr 0
		.amdhsa_user_sgpr_kernarg_segment_ptr 1
		.amdhsa_user_sgpr_dispatch_id 0
		.amdhsa_user_sgpr_kernarg_preload_length 0
		.amdhsa_user_sgpr_kernarg_preload_offset 0
		.amdhsa_user_sgpr_private_segment_size 0
		.amdhsa_uses_dynamic_stack 0
		.amdhsa_enable_private_segment 0
		.amdhsa_system_sgpr_workgroup_id_x 1
		.amdhsa_system_sgpr_workgroup_id_y 0
		.amdhsa_system_sgpr_workgroup_id_z 0
		.amdhsa_system_sgpr_workgroup_info 0
		.amdhsa_system_vgpr_workitem_id 0
		.amdhsa_next_free_vgpr 20
		.amdhsa_next_free_sgpr 26
		.amdhsa_accum_offset 20
		.amdhsa_reserve_vcc 1
		.amdhsa_float_round_mode_32 0
		.amdhsa_float_round_mode_16_64 0
		.amdhsa_float_denorm_mode_32 3
		.amdhsa_float_denorm_mode_16_64 3
		.amdhsa_dx10_clamp 1
		.amdhsa_ieee_mode 1
		.amdhsa_fp16_overflow 0
		.amdhsa_tg_split 0
		.amdhsa_exception_fp_ieee_invalid_op 0
		.amdhsa_exception_fp_denorm_src 0
		.amdhsa_exception_fp_ieee_div_zero 0
		.amdhsa_exception_fp_ieee_overflow 0
		.amdhsa_exception_fp_ieee_underflow 0
		.amdhsa_exception_fp_ieee_inexact 0
		.amdhsa_exception_int_div_zero 0
	.end_amdhsa_kernel
	.section	.text._ZL22rocblas_gemvtsm_kernelILb1ELi256EPKDF16_fKPfEviiT2_lPKT1_lilS7_lilS4_lPT3_lil,"axG",@progbits,_ZL22rocblas_gemvtsm_kernelILb1ELi256EPKDF16_fKPfEviiT2_lPKT1_lilS7_lilS4_lPT3_lil,comdat
.Lfunc_end533:
	.size	_ZL22rocblas_gemvtsm_kernelILb1ELi256EPKDF16_fKPfEviiT2_lPKT1_lilS7_lilS4_lPT3_lil, .Lfunc_end533-_ZL22rocblas_gemvtsm_kernelILb1ELi256EPKDF16_fKPfEviiT2_lPKT1_lilS7_lilS4_lPT3_lil
                                        ; -- End function
	.section	.AMDGPU.csdata,"",@progbits
; Kernel info:
; codeLenInByte = 1168
; NumSgprs: 32
; NumVgprs: 20
; NumAgprs: 0
; TotalNumVgprs: 20
; ScratchSize: 0
; MemoryBound: 0
; FloatMode: 240
; IeeeMode: 1
; LDSByteSize: 256 bytes/workgroup (compile time only)
; SGPRBlocks: 3
; VGPRBlocks: 2
; NumSGPRsForWavesPerEU: 32
; NumVGPRsForWavesPerEU: 20
; AccumOffset: 20
; Occupancy: 8
; WaveLimiterHint : 1
; COMPUTE_PGM_RSRC2:SCRATCH_EN: 0
; COMPUTE_PGM_RSRC2:USER_SGPR: 2
; COMPUTE_PGM_RSRC2:TRAP_HANDLER: 0
; COMPUTE_PGM_RSRC2:TGID_X_EN: 1
; COMPUTE_PGM_RSRC2:TGID_Y_EN: 0
; COMPUTE_PGM_RSRC2:TGID_Z_EN: 0
; COMPUTE_PGM_RSRC2:TIDIG_COMP_CNT: 0
; COMPUTE_PGM_RSRC3_GFX90A:ACCUM_OFFSET: 4
; COMPUTE_PGM_RSRC3_GFX90A:TG_SPLIT: 0
	.section	.text._ZL20rocblas_gemvt_kernelILb1ELi256EPKDF16_PKfKPfEviiT2_lPKT1_lilS9_lilS6_lPT3_lili,"axG",@progbits,_ZL20rocblas_gemvt_kernelILb1ELi256EPKDF16_PKfKPfEviiT2_lPKT1_lilS9_lilS6_lPT3_lili,comdat
	.globl	_ZL20rocblas_gemvt_kernelILb1ELi256EPKDF16_PKfKPfEviiT2_lPKT1_lilS9_lilS6_lPT3_lili ; -- Begin function _ZL20rocblas_gemvt_kernelILb1ELi256EPKDF16_PKfKPfEviiT2_lPKT1_lilS9_lilS6_lPT3_lili
	.p2align	8
	.type	_ZL20rocblas_gemvt_kernelILb1ELi256EPKDF16_PKfKPfEviiT2_lPKT1_lilS9_lilS6_lPT3_lili,@function
_ZL20rocblas_gemvt_kernelILb1ELi256EPKDF16_PKfKPfEviiT2_lPKT1_lilS9_lilS6_lPT3_lili: ; @_ZL20rocblas_gemvt_kernelILb1ELi256EPKDF16_PKfKPfEviiT2_lPKT1_lilS9_lilS6_lPT3_lili
; %bb.0:
	s_load_dwordx8 s[12:19], s[0:1], 0x8
	s_load_dwordx8 s[4:11], s[0:1], 0x58
	s_mov_b32 s20, s3
	s_waitcnt lgkmcnt(0)
	s_mul_i32 s3, s3, s15
	s_mul_hi_u32 s15, s20, s14
	s_add_i32 s15, s15, s3
	s_mul_i32 s14, s20, s14
	s_lshl_b64 s[14:15], s[14:15], 2
	s_add_u32 s12, s12, s14
	s_addc_u32 s13, s13, s15
	s_load_dword s3, s[12:13], 0x0
	s_mul_i32 s7, s20, s7
	s_mul_hi_u32 s12, s20, s6
	s_add_i32 s7, s12, s7
	s_mul_i32 s6, s20, s6
	s_lshl_b64 s[6:7], s[6:7], 2
	s_add_u32 s4, s4, s6
	s_addc_u32 s5, s5, s7
	s_load_dword s22, s[4:5], 0x0
	s_waitcnt lgkmcnt(0)
	v_cmp_eq_f32_e64 s[4:5], s3, 0
	v_cmp_eq_f32_e64 s[6:7], s22, 1.0
	s_and_b64 s[6:7], s[4:5], s[6:7]
	s_and_b64 vcc, exec, s[6:7]
	s_cbranch_vccnz .LBB534_40
; %bb.1:
	s_mov_b32 s21, 0
	v_cmp_neq_f32_e64 s[6:7], s3, 0
	s_mov_b64 s[12:13], 0
	s_and_b64 vcc, exec, s[4:5]
	s_mov_b64 s[14:15], 0
	s_cbranch_vccnz .LBB534_3
; %bb.2:
	s_lshl_b64 s[14:15], s[20:21], 3
	s_add_u32 s14, s16, s14
	s_addc_u32 s15, s17, s15
	s_load_dwordx2 s[14:15], s[14:15], 0x0
	s_lshl_b64 s[16:17], s[18:19], 1
	s_waitcnt lgkmcnt(0)
	s_add_u32 s14, s14, s16
	s_addc_u32 s15, s15, s17
.LBB534_3:
	s_andn2_b64 vcc, exec, s[6:7]
	s_cbranch_vccnz .LBB534_5
; %bb.4:
	s_load_dwordx4 s[16:19], s[0:1], 0x38
	s_lshl_b64 s[6:7], s[20:21], 3
	s_waitcnt lgkmcnt(0)
	s_add_u32 s6, s16, s6
	s_addc_u32 s7, s17, s7
	s_load_dwordx2 s[6:7], s[6:7], 0x0
	s_lshl_b64 s[12:13], s[18:19], 1
	s_waitcnt lgkmcnt(0)
	s_add_u32 s12, s6, s12
	s_addc_u32 s13, s7, s13
.LBB534_5:
	s_lshl_b64 s[6:7], s[20:21], 3
	s_add_u32 s6, s8, s6
	s_addc_u32 s7, s9, s7
	s_load_dwordx2 s[8:9], s[6:7], 0x0
	s_load_dword s20, s[0:1], 0x78
	s_lshl_b64 s[6:7], s[10:11], 2
	s_waitcnt lgkmcnt(0)
	s_add_u32 s18, s8, s6
	s_addc_u32 s19, s9, s7
	s_andn2_b64 vcc, exec, s[4:5]
	v_cmp_eq_u32_e64 s[4:5], 0, v0
	s_cbranch_vccnz .LBB534_10
; %bb.6:
	s_mov_b64 s[10:11], 0
	s_mov_b64 s[6:7], 0
                                        ; implicit-def: $vgpr1
                                        ; implicit-def: $sgpr8_sgpr9
	s_and_saveexec_b64 s[16:17], s[4:5]
	s_cbranch_execz .LBB534_11
; %bb.7:
	v_cmp_eq_f32_e64 s[4:5], s22, 0
	v_mov_b32_e32 v1, 0
	s_mul_hi_i32 s9, s20, s2
	s_mul_i32 s8, s20, s2
	s_and_b64 vcc, exec, s[4:5]
	s_cbranch_vccnz .LBB534_9
; %bb.8:
	s_lshl_b64 s[4:5], s[8:9], 2
	s_add_u32 s4, s18, s4
	s_addc_u32 s5, s19, s5
	s_load_dword s4, s[4:5], 0x0
	s_waitcnt lgkmcnt(0)
	v_mov_b32_e32 v1, s4
	v_mul_f32_e32 v1, s22, v1
.LBB534_9:
	s_mov_b64 s[6:7], exec
	s_or_b64 exec, exec, s[16:17]
	s_and_b64 vcc, exec, s[10:11]
	s_cbranch_vccnz .LBB534_12
	s_branch .LBB534_38
.LBB534_10:
	s_mov_b64 s[6:7], 0
                                        ; implicit-def: $vgpr1
                                        ; implicit-def: $sgpr8_sgpr9
	s_cbranch_execnz .LBB534_12
	s_branch .LBB534_38
.LBB534_11:
	s_or_b64 exec, exec, s[16:17]
	s_and_b64 vcc, exec, s[10:11]
	s_cbranch_vccz .LBB534_38
.LBB534_12:
	s_load_dword s16, s[0:1], 0x0
	s_load_dword s5, s[0:1], 0x28
	;; [unrolled: 1-line block ×3, first 2 shown]
	v_mov_b32_e32 v3, 0
	s_mov_b32 s1, 0
	s_waitcnt lgkmcnt(0)
	v_cmp_gt_i32_e32 vcc, s16, v0
	s_mul_hi_i32 s9, s5, s2
	s_mul_i32 s8, s5, s2
	s_lshl_b64 s[8:9], s[8:9], 1
	s_add_u32 s8, s8, s14
	s_addc_u32 s9, s9, s15
	s_ashr_i32 s0, s16, 31
	s_lshr_b32 s0, s0, 24
	v_cndmask_b32_e32 v1, 0, v0, vcc
	s_add_i32 s0, s16, s0
	v_lshlrev_b32_e32 v2, 1, v1
	s_and_b32 s0, s0, 0xffffff00
	s_cmpk_lt_i32 s16, 0x100
	v_lshl_add_u64 v[4:5], s[8:9], 0, v[2:3]
	s_cbranch_scc1 .LBB534_15
; %bb.13:
	s_ashr_i32 s5, s4, 31
	v_mad_i64_i32 v[2:3], s[8:9], s4, v0, 0
	v_lshl_add_u64 v[6:7], v[2:3], 1, s[12:13]
	s_lshl_b64 s[8:9], s[4:5], 9
	v_mov_b32_e32 v3, 0
	s_mov_b64 s[10:11], 0x200
	v_mov_b64_e32 v[8:9], v[4:5]
.LBB534_14:                             ; =>This Inner Loop Header: Depth=1
	flat_load_ushort v1, v[8:9]
	flat_load_ushort v2, v[6:7]
	s_addk_i32 s1, 0x100
	v_lshl_add_u64 v[6:7], v[6:7], 0, s[8:9]
	v_lshl_add_u64 v[8:9], v[8:9], 0, s[10:11]
	s_cmp_ge_i32 s1, s0
	s_waitcnt vmcnt(0) lgkmcnt(0)
	v_mul_f16_e32 v1, v1, v2
	v_cvt_f32_f16_e32 v1, v1
	v_add_f32_e32 v3, v3, v1
	s_cbranch_scc0 .LBB534_14
.LBB534_15:
	v_add_u32_e32 v1, s0, v0
	v_cmp_gt_i32_e32 vcc, s16, v1
	s_and_saveexec_b64 s[8:9], vcc
	s_cbranch_execz .LBB534_17
; %bb.16:
	s_ashr_i32 s1, s0, 31
	v_lshl_add_u64 v[4:5], s[0:1], 1, v[4:5]
	flat_load_ushort v2, v[4:5]
	v_mad_i64_i32 v[4:5], s[0:1], s4, v1, 0
	v_lshl_add_u64 v[4:5], v[4:5], 1, s[12:13]
	flat_load_ushort v1, v[4:5]
	s_waitcnt vmcnt(0) lgkmcnt(0)
	v_mul_f16_e32 v1, v2, v1
	v_cvt_f32_f16_e32 v1, v1
	v_add_f32_e32 v3, v3, v1
.LBB534_17:
	s_or_b64 exec, exec, s[8:9]
	s_movk_i32 s0, 0x80
	v_lshlrev_b32_e32 v1, 2, v0
	v_cmp_gt_u32_e32 vcc, s0, v0
	ds_write_b32 v1, v3
	s_waitcnt lgkmcnt(0)
	s_barrier
	s_and_saveexec_b64 s[0:1], vcc
	s_cbranch_execz .LBB534_19
; %bb.18:
	ds_read2st64_b32 v[2:3], v1 offset1:2
	s_waitcnt lgkmcnt(0)
	v_add_f32_e32 v2, v3, v2
	ds_write_b32 v1, v2
.LBB534_19:
	s_or_b64 exec, exec, s[0:1]
	v_cmp_gt_u32_e32 vcc, 64, v0
	s_waitcnt lgkmcnt(0)
	s_barrier
	s_and_saveexec_b64 s[0:1], vcc
	s_cbranch_execz .LBB534_21
; %bb.20:
	ds_read2st64_b32 v[2:3], v1 offset1:1
	s_waitcnt lgkmcnt(0)
	v_add_f32_e32 v2, v3, v2
	ds_write_b32 v1, v2
.LBB534_21:
	s_or_b64 exec, exec, s[0:1]
	v_cmp_gt_u32_e32 vcc, 32, v0
	s_waitcnt lgkmcnt(0)
	s_barrier
	s_and_saveexec_b64 s[0:1], vcc
	s_cbranch_execz .LBB534_23
; %bb.22:
	ds_read2_b32 v[2:3], v1 offset1:32
	s_waitcnt lgkmcnt(0)
	v_add_f32_e32 v2, v3, v2
	ds_write_b32 v1, v2
.LBB534_23:
	s_or_b64 exec, exec, s[0:1]
	v_cmp_gt_u32_e32 vcc, 16, v0
	s_waitcnt lgkmcnt(0)
	s_barrier
	s_and_saveexec_b64 s[0:1], vcc
	s_cbranch_execz .LBB534_25
; %bb.24:
	ds_read2_b32 v[2:3], v1 offset1:16
	s_waitcnt lgkmcnt(0)
	v_add_f32_e32 v2, v3, v2
	ds_write_b32 v1, v2
.LBB534_25:
	;; [unrolled: 12-line block ×5, first 2 shown]
	s_or_b64 exec, exec, s[0:1]
	v_cmp_eq_u32_e32 vcc, 0, v0
	s_waitcnt lgkmcnt(0)
	s_barrier
	s_and_saveexec_b64 s[0:1], vcc
	s_cbranch_execz .LBB534_33
; %bb.32:
	v_mov_b32_e32 v2, 0
	ds_read_b64 v[0:1], v2
	s_waitcnt lgkmcnt(0)
	v_add_f32_e32 v0, v1, v0
	ds_write_b32 v2, v0
.LBB534_33:
	s_or_b64 exec, exec, s[0:1]
	s_waitcnt lgkmcnt(0)
	s_barrier
	s_waitcnt lgkmcnt(0)
                                        ; implicit-def: $vgpr1
                                        ; implicit-def: $sgpr8_sgpr9
	s_and_saveexec_b64 s[0:1], vcc
	s_cbranch_execz .LBB534_37
; %bb.34:
	v_mov_b32_e32 v0, 0
	ds_read_b32 v0, v0
	v_cmp_eq_f32_e64 s[4:5], s22, 0
	s_mul_hi_i32 s9, s20, s2
	s_mul_i32 s8, s20, s2
	s_and_b64 vcc, exec, s[4:5]
	s_waitcnt lgkmcnt(0)
	v_mul_f32_e32 v1, s3, v0
	s_cbranch_vccnz .LBB534_36
; %bb.35:
	s_lshl_b64 s[2:3], s[8:9], 2
	s_add_u32 s2, s18, s2
	s_addc_u32 s3, s19, s3
	s_load_dword s2, s[2:3], 0x0
	s_waitcnt lgkmcnt(0)
	v_mov_b32_e32 v0, s2
	v_fmac_f32_e32 v1, s22, v0
.LBB534_36:
	s_or_b64 s[6:7], s[6:7], exec
.LBB534_37:
	s_or_b64 exec, exec, s[0:1]
.LBB534_38:
	s_and_saveexec_b64 s[0:1], s[6:7]
	s_cbranch_execz .LBB534_40
; %bb.39:
	s_lshl_b64 s[0:1], s[8:9], 2
	s_add_u32 s0, s18, s0
	s_addc_u32 s1, s19, s1
	v_mov_b32_e32 v0, 0
	global_store_dword v0, v1, s[0:1]
.LBB534_40:
	s_endpgm
	.section	.rodata,"a",@progbits
	.p2align	6, 0x0
	.amdhsa_kernel _ZL20rocblas_gemvt_kernelILb1ELi256EPKDF16_PKfKPfEviiT2_lPKT1_lilS9_lilS6_lPT3_lili
		.amdhsa_group_segment_fixed_size 1024
		.amdhsa_private_segment_fixed_size 0
		.amdhsa_kernarg_size 140
		.amdhsa_user_sgpr_count 2
		.amdhsa_user_sgpr_dispatch_ptr 0
		.amdhsa_user_sgpr_queue_ptr 0
		.amdhsa_user_sgpr_kernarg_segment_ptr 1
		.amdhsa_user_sgpr_dispatch_id 0
		.amdhsa_user_sgpr_kernarg_preload_length 0
		.amdhsa_user_sgpr_kernarg_preload_offset 0
		.amdhsa_user_sgpr_private_segment_size 0
		.amdhsa_uses_dynamic_stack 0
		.amdhsa_enable_private_segment 0
		.amdhsa_system_sgpr_workgroup_id_x 1
		.amdhsa_system_sgpr_workgroup_id_y 0
		.amdhsa_system_sgpr_workgroup_id_z 1
		.amdhsa_system_sgpr_workgroup_info 0
		.amdhsa_system_vgpr_workitem_id 0
		.amdhsa_next_free_vgpr 10
		.amdhsa_next_free_sgpr 23
		.amdhsa_accum_offset 12
		.amdhsa_reserve_vcc 1
		.amdhsa_float_round_mode_32 0
		.amdhsa_float_round_mode_16_64 0
		.amdhsa_float_denorm_mode_32 3
		.amdhsa_float_denorm_mode_16_64 3
		.amdhsa_dx10_clamp 1
		.amdhsa_ieee_mode 1
		.amdhsa_fp16_overflow 0
		.amdhsa_tg_split 0
		.amdhsa_exception_fp_ieee_invalid_op 0
		.amdhsa_exception_fp_denorm_src 0
		.amdhsa_exception_fp_ieee_div_zero 0
		.amdhsa_exception_fp_ieee_overflow 0
		.amdhsa_exception_fp_ieee_underflow 0
		.amdhsa_exception_fp_ieee_inexact 0
		.amdhsa_exception_int_div_zero 0
	.end_amdhsa_kernel
	.section	.text._ZL20rocblas_gemvt_kernelILb1ELi256EPKDF16_PKfKPfEviiT2_lPKT1_lilS9_lilS6_lPT3_lili,"axG",@progbits,_ZL20rocblas_gemvt_kernelILb1ELi256EPKDF16_PKfKPfEviiT2_lPKT1_lilS9_lilS6_lPT3_lili,comdat
.Lfunc_end534:
	.size	_ZL20rocblas_gemvt_kernelILb1ELi256EPKDF16_PKfKPfEviiT2_lPKT1_lilS9_lilS6_lPT3_lili, .Lfunc_end534-_ZL20rocblas_gemvt_kernelILb1ELi256EPKDF16_PKfKPfEviiT2_lPKT1_lilS9_lilS6_lPT3_lili
                                        ; -- End function
	.section	.AMDGPU.csdata,"",@progbits
; Kernel info:
; codeLenInByte = 1256
; NumSgprs: 29
; NumVgprs: 10
; NumAgprs: 0
; TotalNumVgprs: 10
; ScratchSize: 0
; MemoryBound: 0
; FloatMode: 240
; IeeeMode: 1
; LDSByteSize: 1024 bytes/workgroup (compile time only)
; SGPRBlocks: 3
; VGPRBlocks: 1
; NumSGPRsForWavesPerEU: 29
; NumVGPRsForWavesPerEU: 10
; AccumOffset: 12
; Occupancy: 8
; WaveLimiterHint : 1
; COMPUTE_PGM_RSRC2:SCRATCH_EN: 0
; COMPUTE_PGM_RSRC2:USER_SGPR: 2
; COMPUTE_PGM_RSRC2:TRAP_HANDLER: 0
; COMPUTE_PGM_RSRC2:TGID_X_EN: 1
; COMPUTE_PGM_RSRC2:TGID_Y_EN: 0
; COMPUTE_PGM_RSRC2:TGID_Z_EN: 1
; COMPUTE_PGM_RSRC2:TIDIG_COMP_CNT: 0
; COMPUTE_PGM_RSRC3_GFX90A:ACCUM_OFFSET: 2
; COMPUTE_PGM_RSRC3_GFX90A:TG_SPLIT: 0
	.section	.text._ZL20rocblas_gemvt_kernelILb1ELi256EPKDF16_fKPfEviiT2_lPKT1_lilS7_lilS4_lPT3_lili,"axG",@progbits,_ZL20rocblas_gemvt_kernelILb1ELi256EPKDF16_fKPfEviiT2_lPKT1_lilS7_lilS4_lPT3_lili,comdat
	.globl	_ZL20rocblas_gemvt_kernelILb1ELi256EPKDF16_fKPfEviiT2_lPKT1_lilS7_lilS4_lPT3_lili ; -- Begin function _ZL20rocblas_gemvt_kernelILb1ELi256EPKDF16_fKPfEviiT2_lPKT1_lilS7_lilS4_lPT3_lili
	.p2align	8
	.type	_ZL20rocblas_gemvt_kernelILb1ELi256EPKDF16_fKPfEviiT2_lPKT1_lilS7_lilS4_lPT3_lili,@function
_ZL20rocblas_gemvt_kernelILb1ELi256EPKDF16_fKPfEviiT2_lPKT1_lilS7_lilS4_lPT3_lili: ; @_ZL20rocblas_gemvt_kernelILb1ELi256EPKDF16_fKPfEviiT2_lPKT1_lilS7_lilS4_lPT3_lili
; %bb.0:
	s_mov_b32 s12, s3
	s_load_dword s18, s[0:1], 0x8
	s_load_dword s3, s[0:1], 0x58
	s_waitcnt lgkmcnt(0)
	v_cmp_eq_f32_e64 s[4:5], s18, 0
	v_cmp_eq_f32_e64 s[6:7], s3, 1.0
	s_and_b64 s[6:7], s[4:5], s[6:7]
	s_and_b64 vcc, exec, s[6:7]
	s_cbranch_vccnz .LBB535_42
; %bb.1:
	v_cmp_neq_f32_e64 s[8:9], s18, 0
	s_mov_b32 s13, 0
	s_and_b64 vcc, exec, s[8:9]
	s_cbranch_vccnz .LBB535_3
; %bb.2:
	s_mov_b64 s[10:11], 0
	s_cbranch_execz .LBB535_4
	s_branch .LBB535_5
.LBB535_3:
                                        ; implicit-def: $sgpr10_sgpr11
.LBB535_4:
	s_load_dwordx4 s[20:23], s[0:1], 0x18
	s_lshl_b64 s[6:7], s[12:13], 3
	s_waitcnt lgkmcnt(0)
	s_add_u32 s6, s20, s6
	s_addc_u32 s7, s21, s7
	s_load_dwordx2 s[6:7], s[6:7], 0x0
	s_lshl_b64 s[10:11], s[22:23], 1
	s_waitcnt lgkmcnt(0)
	s_add_u32 s10, s6, s10
	s_addc_u32 s11, s7, s11
.LBB535_5:
	s_mov_b64 s[6:7], 0
	s_andn2_b64 vcc, exec, s[8:9]
	s_mov_b64 s[8:9], 0
	s_cbranch_vccnz .LBB535_7
; %bb.6:
	s_load_dwordx4 s[20:23], s[0:1], 0x38
	s_lshl_b64 s[8:9], s[12:13], 3
	s_waitcnt lgkmcnt(0)
	s_add_u32 s8, s20, s8
	s_addc_u32 s9, s21, s9
	s_load_dwordx2 s[8:9], s[8:9], 0x0
	s_lshl_b64 s[14:15], s[22:23], 1
	s_waitcnt lgkmcnt(0)
	s_add_u32 s8, s8, s14
	s_addc_u32 s9, s9, s15
.LBB535_7:
	s_load_dwordx4 s[24:27], s[0:1], 0x68
	s_load_dword s21, s[0:1], 0x78
	s_lshl_b64 s[12:13], s[12:13], 3
	s_waitcnt lgkmcnt(0)
	s_add_u32 s12, s24, s12
	s_addc_u32 s13, s25, s13
	s_load_dwordx2 s[12:13], s[12:13], 0x0
	s_lshl_b64 s[14:15], s[26:27], 2
	s_waitcnt lgkmcnt(0)
	s_add_u32 s19, s12, s14
	s_addc_u32 s20, s13, s15
	s_andn2_b64 vcc, exec, s[4:5]
	v_cmp_eq_u32_e64 s[4:5], 0, v0
	s_cbranch_vccnz .LBB535_12
; %bb.8:
	s_mov_b64 s[14:15], 0
                                        ; implicit-def: $vgpr1
                                        ; implicit-def: $sgpr12_sgpr13
	s_and_saveexec_b64 s[16:17], s[4:5]
	s_cbranch_execz .LBB535_13
; %bb.9:
	v_cmp_eq_f32_e64 s[4:5], s3, 0
	v_mov_b32_e32 v1, 0
	s_mul_hi_i32 s13, s21, s2
	s_mul_i32 s12, s21, s2
	s_and_b64 vcc, exec, s[4:5]
	s_cbranch_vccnz .LBB535_11
; %bb.10:
	s_lshl_b64 s[4:5], s[12:13], 2
	s_add_u32 s4, s19, s4
	s_addc_u32 s5, s20, s5
	s_load_dword s4, s[4:5], 0x0
	v_mov_b32_e32 v1, s3
	s_waitcnt lgkmcnt(0)
	v_mul_f32_e32 v1, s4, v1
.LBB535_11:
	s_mov_b64 s[6:7], exec
	s_or_b64 exec, exec, s[16:17]
	s_and_b64 vcc, exec, s[14:15]
	s_cbranch_vccnz .LBB535_14
	s_branch .LBB535_40
.LBB535_12:
                                        ; implicit-def: $vgpr1
                                        ; implicit-def: $sgpr12_sgpr13
	s_cbranch_execnz .LBB535_14
	s_branch .LBB535_40
.LBB535_13:
	s_or_b64 exec, exec, s[16:17]
	s_and_b64 vcc, exec, s[14:15]
	s_cbranch_vccz .LBB535_40
.LBB535_14:
	s_load_dword s14, s[0:1], 0x0
	s_load_dword s5, s[0:1], 0x28
	;; [unrolled: 1-line block ×3, first 2 shown]
	v_mov_b32_e32 v3, 0
	s_mov_b32 s1, 0
	s_waitcnt lgkmcnt(0)
	v_cmp_gt_i32_e32 vcc, s14, v0
	s_mul_hi_i32 s13, s5, s2
	s_mul_i32 s12, s5, s2
	s_lshl_b64 s[12:13], s[12:13], 1
	s_add_u32 s10, s12, s10
	s_addc_u32 s11, s13, s11
	s_ashr_i32 s0, s14, 31
	s_lshr_b32 s0, s0, 24
	v_cndmask_b32_e32 v1, 0, v0, vcc
	s_add_i32 s0, s14, s0
	v_lshlrev_b32_e32 v2, 1, v1
	s_and_b32 s0, s0, 0xffffff00
	s_cmpk_lt_i32 s14, 0x100
	v_lshl_add_u64 v[4:5], s[10:11], 0, v[2:3]
	s_cbranch_scc1 .LBB535_17
; %bb.15:
	s_ashr_i32 s5, s4, 31
	v_mad_i64_i32 v[2:3], s[10:11], s4, v0, 0
	v_lshl_add_u64 v[6:7], v[2:3], 1, s[8:9]
	s_lshl_b64 s[10:11], s[4:5], 9
	v_mov_b32_e32 v3, 0
	s_mov_b64 s[12:13], 0x200
	v_mov_b64_e32 v[8:9], v[4:5]
.LBB535_16:                             ; =>This Inner Loop Header: Depth=1
	flat_load_ushort v1, v[8:9]
	flat_load_ushort v2, v[6:7]
	s_addk_i32 s1, 0x100
	v_lshl_add_u64 v[6:7], v[6:7], 0, s[10:11]
	v_lshl_add_u64 v[8:9], v[8:9], 0, s[12:13]
	s_cmp_ge_i32 s1, s0
	s_waitcnt vmcnt(0) lgkmcnt(0)
	v_mul_f16_e32 v1, v1, v2
	v_cvt_f32_f16_e32 v1, v1
	v_add_f32_e32 v3, v3, v1
	s_cbranch_scc0 .LBB535_16
.LBB535_17:
	v_add_u32_e32 v1, s0, v0
	v_cmp_gt_i32_e32 vcc, s14, v1
	s_and_saveexec_b64 s[10:11], vcc
	s_cbranch_execz .LBB535_19
; %bb.18:
	s_ashr_i32 s1, s0, 31
	v_lshl_add_u64 v[4:5], s[0:1], 1, v[4:5]
	flat_load_ushort v2, v[4:5]
	v_mad_i64_i32 v[4:5], s[0:1], s4, v1, 0
	v_lshl_add_u64 v[4:5], v[4:5], 1, s[8:9]
	flat_load_ushort v1, v[4:5]
	s_waitcnt vmcnt(0) lgkmcnt(0)
	v_mul_f16_e32 v1, v2, v1
	v_cvt_f32_f16_e32 v1, v1
	v_add_f32_e32 v3, v3, v1
.LBB535_19:
	s_or_b64 exec, exec, s[10:11]
	s_movk_i32 s0, 0x80
	v_lshlrev_b32_e32 v1, 2, v0
	v_cmp_gt_u32_e32 vcc, s0, v0
	ds_write_b32 v1, v3
	s_waitcnt lgkmcnt(0)
	s_barrier
	s_and_saveexec_b64 s[0:1], vcc
	s_cbranch_execz .LBB535_21
; %bb.20:
	ds_read2st64_b32 v[2:3], v1 offset1:2
	s_waitcnt lgkmcnt(0)
	v_add_f32_e32 v2, v3, v2
	ds_write_b32 v1, v2
.LBB535_21:
	s_or_b64 exec, exec, s[0:1]
	v_cmp_gt_u32_e32 vcc, 64, v0
	s_waitcnt lgkmcnt(0)
	s_barrier
	s_and_saveexec_b64 s[0:1], vcc
	s_cbranch_execz .LBB535_23
; %bb.22:
	ds_read2st64_b32 v[2:3], v1 offset1:1
	s_waitcnt lgkmcnt(0)
	v_add_f32_e32 v2, v3, v2
	ds_write_b32 v1, v2
.LBB535_23:
	s_or_b64 exec, exec, s[0:1]
	v_cmp_gt_u32_e32 vcc, 32, v0
	s_waitcnt lgkmcnt(0)
	s_barrier
	s_and_saveexec_b64 s[0:1], vcc
	s_cbranch_execz .LBB535_25
; %bb.24:
	ds_read2_b32 v[2:3], v1 offset1:32
	s_waitcnt lgkmcnt(0)
	v_add_f32_e32 v2, v3, v2
	ds_write_b32 v1, v2
.LBB535_25:
	s_or_b64 exec, exec, s[0:1]
	v_cmp_gt_u32_e32 vcc, 16, v0
	s_waitcnt lgkmcnt(0)
	s_barrier
	s_and_saveexec_b64 s[0:1], vcc
	s_cbranch_execz .LBB535_27
; %bb.26:
	ds_read2_b32 v[2:3], v1 offset1:16
	s_waitcnt lgkmcnt(0)
	v_add_f32_e32 v2, v3, v2
	ds_write_b32 v1, v2
.LBB535_27:
	;; [unrolled: 12-line block ×5, first 2 shown]
	s_or_b64 exec, exec, s[0:1]
	v_cmp_eq_u32_e32 vcc, 0, v0
	s_waitcnt lgkmcnt(0)
	s_barrier
	s_and_saveexec_b64 s[0:1], vcc
	s_cbranch_execz .LBB535_35
; %bb.34:
	v_mov_b32_e32 v2, 0
	ds_read_b64 v[0:1], v2
	s_waitcnt lgkmcnt(0)
	v_add_f32_e32 v0, v1, v0
	ds_write_b32 v2, v0
.LBB535_35:
	s_or_b64 exec, exec, s[0:1]
	s_waitcnt lgkmcnt(0)
	s_barrier
	s_waitcnt lgkmcnt(0)
                                        ; implicit-def: $vgpr1
                                        ; implicit-def: $sgpr12_sgpr13
	s_and_saveexec_b64 s[0:1], vcc
	s_cbranch_execz .LBB535_39
; %bb.36:
	v_mov_b32_e32 v0, 0
	ds_read_b32 v0, v0
	v_cmp_eq_f32_e64 s[4:5], s3, 0
	s_mul_hi_i32 s13, s21, s2
	s_mul_i32 s12, s21, s2
	s_and_b64 vcc, exec, s[4:5]
	s_waitcnt lgkmcnt(0)
	v_mul_f32_e32 v1, s18, v0
	s_cbranch_vccnz .LBB535_38
; %bb.37:
	s_lshl_b64 s[4:5], s[12:13], 2
	s_add_u32 s4, s19, s4
	s_addc_u32 s5, s20, s5
	s_load_dword s2, s[4:5], 0x0
	v_mov_b32_e32 v0, s3
	s_waitcnt lgkmcnt(0)
	v_fmac_f32_e32 v1, s2, v0
.LBB535_38:
	s_or_b64 s[6:7], s[6:7], exec
.LBB535_39:
	s_or_b64 exec, exec, s[0:1]
.LBB535_40:
	s_and_saveexec_b64 s[0:1], s[6:7]
	s_cbranch_execz .LBB535_42
; %bb.41:
	s_lshl_b64 s[0:1], s[12:13], 2
	s_add_u32 s0, s19, s0
	s_addc_u32 s1, s20, s1
	v_mov_b32_e32 v0, 0
	global_store_dword v0, v1, s[0:1]
.LBB535_42:
	s_endpgm
	.section	.rodata,"a",@progbits
	.p2align	6, 0x0
	.amdhsa_kernel _ZL20rocblas_gemvt_kernelILb1ELi256EPKDF16_fKPfEviiT2_lPKT1_lilS7_lilS4_lPT3_lili
		.amdhsa_group_segment_fixed_size 1024
		.amdhsa_private_segment_fixed_size 0
		.amdhsa_kernarg_size 140
		.amdhsa_user_sgpr_count 2
		.amdhsa_user_sgpr_dispatch_ptr 0
		.amdhsa_user_sgpr_queue_ptr 0
		.amdhsa_user_sgpr_kernarg_segment_ptr 1
		.amdhsa_user_sgpr_dispatch_id 0
		.amdhsa_user_sgpr_kernarg_preload_length 0
		.amdhsa_user_sgpr_kernarg_preload_offset 0
		.amdhsa_user_sgpr_private_segment_size 0
		.amdhsa_uses_dynamic_stack 0
		.amdhsa_enable_private_segment 0
		.amdhsa_system_sgpr_workgroup_id_x 1
		.amdhsa_system_sgpr_workgroup_id_y 0
		.amdhsa_system_sgpr_workgroup_id_z 1
		.amdhsa_system_sgpr_workgroup_info 0
		.amdhsa_system_vgpr_workitem_id 0
		.amdhsa_next_free_vgpr 10
		.amdhsa_next_free_sgpr 28
		.amdhsa_accum_offset 12
		.amdhsa_reserve_vcc 1
		.amdhsa_float_round_mode_32 0
		.amdhsa_float_round_mode_16_64 0
		.amdhsa_float_denorm_mode_32 3
		.amdhsa_float_denorm_mode_16_64 3
		.amdhsa_dx10_clamp 1
		.amdhsa_ieee_mode 1
		.amdhsa_fp16_overflow 0
		.amdhsa_tg_split 0
		.amdhsa_exception_fp_ieee_invalid_op 0
		.amdhsa_exception_fp_denorm_src 0
		.amdhsa_exception_fp_ieee_div_zero 0
		.amdhsa_exception_fp_ieee_overflow 0
		.amdhsa_exception_fp_ieee_underflow 0
		.amdhsa_exception_fp_ieee_inexact 0
		.amdhsa_exception_int_div_zero 0
	.end_amdhsa_kernel
	.section	.text._ZL20rocblas_gemvt_kernelILb1ELi256EPKDF16_fKPfEviiT2_lPKT1_lilS7_lilS4_lPT3_lili,"axG",@progbits,_ZL20rocblas_gemvt_kernelILb1ELi256EPKDF16_fKPfEviiT2_lPKT1_lilS7_lilS4_lPT3_lili,comdat
.Lfunc_end535:
	.size	_ZL20rocblas_gemvt_kernelILb1ELi256EPKDF16_fKPfEviiT2_lPKT1_lilS7_lilS4_lPT3_lili, .Lfunc_end535-_ZL20rocblas_gemvt_kernelILb1ELi256EPKDF16_fKPfEviiT2_lPKT1_lilS7_lilS4_lPT3_lili
                                        ; -- End function
	.section	.AMDGPU.csdata,"",@progbits
; Kernel info:
; codeLenInByte = 1208
; NumSgprs: 34
; NumVgprs: 10
; NumAgprs: 0
; TotalNumVgprs: 10
; ScratchSize: 0
; MemoryBound: 0
; FloatMode: 240
; IeeeMode: 1
; LDSByteSize: 1024 bytes/workgroup (compile time only)
; SGPRBlocks: 4
; VGPRBlocks: 1
; NumSGPRsForWavesPerEU: 34
; NumVGPRsForWavesPerEU: 10
; AccumOffset: 12
; Occupancy: 8
; WaveLimiterHint : 1
; COMPUTE_PGM_RSRC2:SCRATCH_EN: 0
; COMPUTE_PGM_RSRC2:USER_SGPR: 2
; COMPUTE_PGM_RSRC2:TRAP_HANDLER: 0
; COMPUTE_PGM_RSRC2:TGID_X_EN: 1
; COMPUTE_PGM_RSRC2:TGID_Y_EN: 0
; COMPUTE_PGM_RSRC2:TGID_Z_EN: 1
; COMPUTE_PGM_RSRC2:TIDIG_COMP_CNT: 0
; COMPUTE_PGM_RSRC3_GFX90A:ACCUM_OFFSET: 2
; COMPUTE_PGM_RSRC3_GFX90A:TG_SPLIT: 0
	.section	.text._ZL32rocblas_gemvt_warp_reduce_kernelILb1ELi1024EiPKDF16_PKfKPfEviiT3_lPKT2_lT1_lS9_lSA_lS6_lPT4_lSA_li,"axG",@progbits,_ZL32rocblas_gemvt_warp_reduce_kernelILb1ELi1024EiPKDF16_PKfKPfEviiT3_lPKT2_lT1_lS9_lSA_lS6_lPT4_lSA_li,comdat
	.globl	_ZL32rocblas_gemvt_warp_reduce_kernelILb1ELi1024EiPKDF16_PKfKPfEviiT3_lPKT2_lT1_lS9_lSA_lS6_lPT4_lSA_li ; -- Begin function _ZL32rocblas_gemvt_warp_reduce_kernelILb1ELi1024EiPKDF16_PKfKPfEviiT3_lPKT2_lT1_lS9_lSA_lS6_lPT4_lSA_li
	.p2align	8
	.type	_ZL32rocblas_gemvt_warp_reduce_kernelILb1ELi1024EiPKDF16_PKfKPfEviiT3_lPKT2_lT1_lS9_lSA_lS6_lPT4_lSA_li,@function
_ZL32rocblas_gemvt_warp_reduce_kernelILb1ELi1024EiPKDF16_PKfKPfEviiT3_lPKT2_lT1_lS9_lSA_lS6_lPT4_lSA_li: ; @_ZL32rocblas_gemvt_warp_reduce_kernelILb1ELi1024EiPKDF16_PKfKPfEviiT3_lPKT2_lT1_lS9_lSA_lS6_lPT4_lSA_li
; %bb.0:
	s_load_dwordx8 s[12:19], s[0:1], 0x8
	s_load_dwordx8 s[4:11], s[0:1], 0x58
	s_mov_b32 s20, s3
	s_waitcnt lgkmcnt(0)
	s_mul_i32 s3, s3, s15
	s_mul_hi_u32 s15, s20, s14
	s_add_i32 s15, s15, s3
	s_mul_i32 s14, s20, s14
	s_lshl_b64 s[14:15], s[14:15], 2
	s_add_u32 s12, s12, s14
	s_mul_i32 s3, s20, s7
	s_mul_hi_u32 s7, s20, s6
	s_addc_u32 s13, s13, s15
	s_add_i32 s7, s7, s3
	s_mul_i32 s6, s20, s6
	s_lshl_b64 s[6:7], s[6:7], 2
	s_add_u32 s4, s4, s6
	s_addc_u32 s5, s5, s7
	s_load_dword s22, s[12:13], 0x0
	s_load_dword s3, s[4:5], 0x0
	s_waitcnt lgkmcnt(0)
	v_cmp_eq_f32_e64 s[4:5], s22, 0
	v_cmp_eq_f32_e64 s[6:7], s3, 1.0
	s_and_b64 s[6:7], s[4:5], s[6:7]
	s_and_b64 vcc, exec, s[6:7]
	s_cbranch_vccnz .LBB536_33
; %bb.1:
	s_mov_b32 s21, 0
	v_cmp_neq_f32_e64 s[6:7], s22, 0
	s_mov_b64 s[12:13], 0
	s_and_b64 vcc, exec, s[4:5]
	s_mov_b64 s[14:15], 0
	s_cbranch_vccnz .LBB536_3
; %bb.2:
	s_lshl_b64 s[14:15], s[20:21], 3
	s_add_u32 s14, s16, s14
	s_addc_u32 s15, s17, s15
	s_load_dwordx2 s[14:15], s[14:15], 0x0
	s_lshl_b64 s[16:17], s[18:19], 1
	s_waitcnt lgkmcnt(0)
	s_add_u32 s14, s14, s16
	s_addc_u32 s15, s15, s17
.LBB536_3:
	s_andn2_b64 vcc, exec, s[6:7]
	s_cbranch_vccnz .LBB536_5
; %bb.4:
	s_load_dwordx4 s[16:19], s[0:1], 0x38
	s_lshl_b64 s[6:7], s[20:21], 3
	s_waitcnt lgkmcnt(0)
	s_add_u32 s6, s16, s6
	s_addc_u32 s7, s17, s7
	s_load_dwordx2 s[6:7], s[6:7], 0x0
	s_lshl_b64 s[12:13], s[18:19], 1
	s_waitcnt lgkmcnt(0)
	s_add_u32 s12, s6, s12
	s_addc_u32 s13, s7, s13
.LBB536_5:
	s_lshl_b64 s[6:7], s[20:21], 3
	s_add_u32 s6, s8, s6
	s_addc_u32 s7, s9, s7
	s_load_dwordx2 s[8:9], s[6:7], 0x0
	s_load_dword s20, s[0:1], 0x78
	s_lshl_b64 s[6:7], s[10:11], 2
	s_waitcnt lgkmcnt(0)
	s_add_u32 s18, s8, s6
	s_addc_u32 s19, s9, s7
	s_andn2_b64 vcc, exec, s[4:5]
	v_cmp_eq_u32_e64 s[4:5], 0, v0
	s_cbranch_vccnz .LBB536_10
; %bb.6:
	s_mov_b64 s[10:11], 0
	s_mov_b64 s[6:7], 0
                                        ; implicit-def: $vgpr1
                                        ; implicit-def: $sgpr8_sgpr9
	s_and_saveexec_b64 s[16:17], s[4:5]
	s_cbranch_execz .LBB536_11
; %bb.7:
	v_cmp_eq_f32_e64 s[4:5], s3, 0
	s_mul_i32 s8, s2, s20
	v_mov_b32_e32 v1, 0
	s_ashr_i32 s9, s8, 31
	s_and_b64 vcc, exec, s[4:5]
	s_cbranch_vccnz .LBB536_9
; %bb.8:
	s_lshl_b64 s[4:5], s[8:9], 2
	s_add_u32 s4, s18, s4
	s_addc_u32 s5, s19, s5
	s_load_dword s4, s[4:5], 0x0
	s_waitcnt lgkmcnt(0)
	v_mov_b32_e32 v1, s4
	v_mul_f32_e32 v1, s3, v1
.LBB536_9:
	s_mov_b64 s[6:7], exec
	s_or_b64 exec, exec, s[16:17]
	s_and_b64 vcc, exec, s[10:11]
	s_cbranch_vccnz .LBB536_12
	s_branch .LBB536_31
.LBB536_10:
	s_mov_b64 s[6:7], 0
                                        ; implicit-def: $vgpr1
                                        ; implicit-def: $sgpr8_sgpr9
	s_cbranch_execnz .LBB536_12
	s_branch .LBB536_31
.LBB536_11:
	s_or_b64 exec, exec, s[16:17]
	s_and_b64 vcc, exec, s[10:11]
	s_cbranch_vccz .LBB536_31
.LBB536_12:
	s_load_dword s17, s[0:1], 0x0
	s_load_dword s4, s[0:1], 0x28
	;; [unrolled: 1-line block ×3, first 2 shown]
	v_mov_b32_e32 v3, 0
	s_waitcnt lgkmcnt(0)
	v_cmp_gt_i32_e32 vcc, s17, v0
	s_mul_i32 s0, s2, s4
	s_ashr_i32 s1, s0, 31
	s_lshl_b64 s[0:1], s[0:1], 1
	v_cndmask_b32_e32 v1, 0, v0, vcc
	s_add_u32 s0, s0, s14
	v_lshlrev_b32_e32 v2, 1, v1
	s_addc_u32 s1, s1, s15
	v_lshl_add_u64 v[4:5], s[0:1], 0, v[2:3]
	s_ashr_i32 s0, s17, 31
	s_lshr_b32 s0, s0, 22
	s_add_i32 s0, s17, s0
	s_and_b32 s0, s0, 0xfffffc00
	v_cmp_gt_i32_e32 vcc, s0, v0
	s_and_saveexec_b64 s[4:5], vcc
	s_cbranch_execz .LBB536_16
; %bb.13:
	v_mul_lo_u32 v6, v0, s16
	s_lshl_b32 s1, s16, 10
	s_mov_b64 s[8:9], 0
	v_mov_b32_e32 v3, 0
	s_mov_b64 s[10:11], 0x800
	v_mov_b64_e32 v[8:9], v[4:5]
	v_mov_b32_e32 v1, v0
.LBB536_14:                             ; =>This Inner Loop Header: Depth=1
	v_ashrrev_i32_e32 v7, 31, v6
	v_lshl_add_u64 v[10:11], v[6:7], 1, s[12:13]
	flat_load_ushort v2, v[8:9]
	flat_load_ushort v7, v[10:11]
	v_add_u32_e32 v1, 0x400, v1
	v_cmp_le_i32_e32 vcc, s0, v1
	v_lshl_add_u64 v[8:9], v[8:9], 0, s[10:11]
	v_add_u32_e32 v6, s1, v6
	s_or_b64 s[8:9], vcc, s[8:9]
	s_waitcnt vmcnt(0) lgkmcnt(0)
	v_mul_f16_e32 v2, v2, v7
	v_cvt_f32_f16_e32 v2, v2
	v_add_f32_e32 v3, v3, v2
	s_andn2_b64 exec, exec, s[8:9]
	s_cbranch_execnz .LBB536_14
; %bb.15:
	s_or_b64 exec, exec, s[8:9]
.LBB536_16:
	s_or_b64 exec, exec, s[4:5]
	v_or_b32_e32 v1, s0, v0
	v_cmp_gt_i32_e32 vcc, s17, v1
	s_and_saveexec_b64 s[4:5], vcc
	s_cbranch_execz .LBB536_18
; %bb.17:
	s_ashr_i32 s1, s0, 31
	v_lshl_add_u64 v[4:5], s[0:1], 1, v[4:5]
	flat_load_ushort v2, v[4:5]
	v_mul_lo_u32 v4, v1, s16
	v_ashrrev_i32_e32 v5, 31, v4
	v_lshl_add_u64 v[4:5], v[4:5], 1, s[12:13]
	flat_load_ushort v1, v[4:5]
	s_waitcnt vmcnt(0) lgkmcnt(0)
	v_mul_f16_e32 v1, v2, v1
	v_cvt_f32_f16_e32 v1, v1
	v_add_f32_e32 v3, v3, v1
.LBB536_18:
	s_or_b64 exec, exec, s[4:5]
	v_and_b32_e32 v2, 63, v0
	v_cmp_gt_u32_e32 vcc, 64, v0
	v_lshlrev_b32_e32 v1, 2, v2
	s_and_saveexec_b64 s[0:1], vcc
	s_cbranch_execz .LBB536_20
; %bb.19:
	v_mov_b32_e32 v4, 0
	ds_write_b32 v1, v4
.LBB536_20:
	s_or_b64 exec, exec, s[0:1]
	v_mbcnt_lo_u32_b32 v4, -1, 0
	v_mbcnt_hi_u32_b32 v6, -1, v4
	v_and_b32_e32 v7, 63, v6
	v_cmp_gt_u32_e64 s[0:1], 32, v7
	s_waitcnt lgkmcnt(0)
	s_barrier
	v_cndmask_b32_e64 v4, 0, 1, s[0:1]
	v_lshlrev_b32_e32 v4, 5, v4
	v_add_lshl_u32 v4, v4, v6, 2
	ds_bpermute_b32 v4, v4, v3
	v_cmp_gt_u32_e64 s[0:1], 48, v7
	s_waitcnt lgkmcnt(0)
	v_add_f32_e32 v3, v3, v4
	v_cndmask_b32_e64 v5, 0, 1, s[0:1]
	v_lshlrev_b32_e32 v5, 4, v5
	v_add_lshl_u32 v4, v5, v6, 2
	ds_bpermute_b32 v4, v4, v3
	v_cmp_gt_u32_e64 s[0:1], 56, v7
	s_waitcnt lgkmcnt(0)
	v_add_f32_e32 v4, v3, v4
	;; [unrolled: 7-line block ×4, first 2 shown]
	v_cndmask_b32_e64 v9, 0, 1, s[0:1]
	v_lshlrev_b32_e32 v9, 1, v9
	v_add_lshl_u32 v5, v9, v6, 2
	ds_bpermute_b32 v9, v5, v8
	v_cmp_ne_u32_e64 s[0:1], 63, v7
	s_waitcnt lgkmcnt(0)
	v_add_f32_e32 v7, v8, v9
	v_addc_co_u32_e64 v6, s[0:1], 0, v6, s[0:1]
	v_lshlrev_b32_e32 v6, 2, v6
	ds_bpermute_b32 v8, v6, v7
	v_cmp_eq_u32_e64 s[0:1], 0, v2
	s_and_saveexec_b64 s[4:5], s[0:1]
	s_cbranch_execz .LBB536_22
; %bb.21:
	v_lshrrev_b32_e32 v2, 4, v0
	v_and_b32_e32 v2, 60, v2
	s_waitcnt lgkmcnt(0)
	v_add_f32_e32 v7, v7, v8
	ds_write_b32 v2, v7
.LBB536_22:
	s_or_b64 exec, exec, s[4:5]
	v_cmp_gt_u32_e64 s[0:1], 16, v0
	v_mov_b32_e32 v2, 0
	s_waitcnt lgkmcnt(0)
	s_barrier
	s_and_saveexec_b64 s[4:5], s[0:1]
	s_cbranch_execz .LBB536_24
; %bb.23:
	ds_read_b32 v2, v1
	s_or_b64 exec, exec, s[4:5]
	s_and_saveexec_b64 s[0:1], vcc
	s_cbranch_execz .LBB536_26
	s_branch .LBB536_25
.LBB536_24:
	s_or_b64 exec, exec, s[4:5]
	s_and_saveexec_b64 s[0:1], vcc
	s_cbranch_execz .LBB536_26
.LBB536_25:
	s_waitcnt lgkmcnt(0)
	ds_bpermute_b32 v1, v3, v2
	s_waitcnt lgkmcnt(0)
	v_add_f32_e32 v1, v2, v1
	ds_bpermute_b32 v2, v4, v1
	s_waitcnt lgkmcnt(0)
	v_add_f32_e32 v1, v1, v2
	;; [unrolled: 3-line block ×4, first 2 shown]
.LBB536_26:
	s_or_b64 exec, exec, s[0:1]
	v_cmp_eq_u32_e32 vcc, 0, v0
                                        ; implicit-def: $vgpr1
                                        ; implicit-def: $sgpr8_sgpr9
	s_and_saveexec_b64 s[0:1], vcc
	s_cbranch_execz .LBB536_30
; %bb.27:
	v_cmp_eq_f32_e64 s[4:5], s3, 0
	s_mul_i32 s8, s2, s20
	s_waitcnt lgkmcnt(0)
	v_mul_f32_e32 v1, s22, v2
	s_ashr_i32 s9, s8, 31
	s_and_b64 vcc, exec, s[4:5]
	s_cbranch_vccnz .LBB536_29
; %bb.28:
	s_lshl_b64 s[4:5], s[8:9], 2
	s_add_u32 s4, s18, s4
	s_addc_u32 s5, s19, s5
	s_load_dword s2, s[4:5], 0x0
	s_waitcnt lgkmcnt(0)
	v_mov_b32_e32 v0, s2
	v_fmac_f32_e32 v1, s3, v0
.LBB536_29:
	s_or_b64 s[6:7], s[6:7], exec
.LBB536_30:
	s_or_b64 exec, exec, s[0:1]
.LBB536_31:
	s_and_saveexec_b64 s[0:1], s[6:7]
	s_cbranch_execz .LBB536_33
; %bb.32:
	s_lshl_b64 s[0:1], s[8:9], 2
	s_add_u32 s0, s18, s0
	s_addc_u32 s1, s19, s1
	v_mov_b32_e32 v0, 0
	global_store_dword v0, v1, s[0:1]
.LBB536_33:
	s_endpgm
	.section	.rodata,"a",@progbits
	.p2align	6, 0x0
	.amdhsa_kernel _ZL32rocblas_gemvt_warp_reduce_kernelILb1ELi1024EiPKDF16_PKfKPfEviiT3_lPKT2_lT1_lS9_lSA_lS6_lPT4_lSA_li
		.amdhsa_group_segment_fixed_size 256
		.amdhsa_private_segment_fixed_size 0
		.amdhsa_kernarg_size 140
		.amdhsa_user_sgpr_count 2
		.amdhsa_user_sgpr_dispatch_ptr 0
		.amdhsa_user_sgpr_queue_ptr 0
		.amdhsa_user_sgpr_kernarg_segment_ptr 1
		.amdhsa_user_sgpr_dispatch_id 0
		.amdhsa_user_sgpr_kernarg_preload_length 0
		.amdhsa_user_sgpr_kernarg_preload_offset 0
		.amdhsa_user_sgpr_private_segment_size 0
		.amdhsa_uses_dynamic_stack 0
		.amdhsa_enable_private_segment 0
		.amdhsa_system_sgpr_workgroup_id_x 1
		.amdhsa_system_sgpr_workgroup_id_y 0
		.amdhsa_system_sgpr_workgroup_id_z 1
		.amdhsa_system_sgpr_workgroup_info 0
		.amdhsa_system_vgpr_workitem_id 0
		.amdhsa_next_free_vgpr 12
		.amdhsa_next_free_sgpr 23
		.amdhsa_accum_offset 12
		.amdhsa_reserve_vcc 1
		.amdhsa_float_round_mode_32 0
		.amdhsa_float_round_mode_16_64 0
		.amdhsa_float_denorm_mode_32 3
		.amdhsa_float_denorm_mode_16_64 3
		.amdhsa_dx10_clamp 1
		.amdhsa_ieee_mode 1
		.amdhsa_fp16_overflow 0
		.amdhsa_tg_split 0
		.amdhsa_exception_fp_ieee_invalid_op 0
		.amdhsa_exception_fp_denorm_src 0
		.amdhsa_exception_fp_ieee_div_zero 0
		.amdhsa_exception_fp_ieee_overflow 0
		.amdhsa_exception_fp_ieee_underflow 0
		.amdhsa_exception_fp_ieee_inexact 0
		.amdhsa_exception_int_div_zero 0
	.end_amdhsa_kernel
	.section	.text._ZL32rocblas_gemvt_warp_reduce_kernelILb1ELi1024EiPKDF16_PKfKPfEviiT3_lPKT2_lT1_lS9_lSA_lS6_lPT4_lSA_li,"axG",@progbits,_ZL32rocblas_gemvt_warp_reduce_kernelILb1ELi1024EiPKDF16_PKfKPfEviiT3_lPKT2_lT1_lS9_lSA_lS6_lPT4_lSA_li,comdat
.Lfunc_end536:
	.size	_ZL32rocblas_gemvt_warp_reduce_kernelILb1ELi1024EiPKDF16_PKfKPfEviiT3_lPKT2_lT1_lS9_lSA_lS6_lPT4_lSA_li, .Lfunc_end536-_ZL32rocblas_gemvt_warp_reduce_kernelILb1ELi1024EiPKDF16_PKfKPfEviiT3_lPKT2_lT1_lS9_lSA_lS6_lPT4_lSA_li
                                        ; -- End function
	.section	.AMDGPU.csdata,"",@progbits
; Kernel info:
; codeLenInByte = 1352
; NumSgprs: 29
; NumVgprs: 12
; NumAgprs: 0
; TotalNumVgprs: 12
; ScratchSize: 0
; MemoryBound: 0
; FloatMode: 240
; IeeeMode: 1
; LDSByteSize: 256 bytes/workgroup (compile time only)
; SGPRBlocks: 3
; VGPRBlocks: 1
; NumSGPRsForWavesPerEU: 29
; NumVGPRsForWavesPerEU: 12
; AccumOffset: 12
; Occupancy: 8
; WaveLimiterHint : 1
; COMPUTE_PGM_RSRC2:SCRATCH_EN: 0
; COMPUTE_PGM_RSRC2:USER_SGPR: 2
; COMPUTE_PGM_RSRC2:TRAP_HANDLER: 0
; COMPUTE_PGM_RSRC2:TGID_X_EN: 1
; COMPUTE_PGM_RSRC2:TGID_Y_EN: 0
; COMPUTE_PGM_RSRC2:TGID_Z_EN: 1
; COMPUTE_PGM_RSRC2:TIDIG_COMP_CNT: 0
; COMPUTE_PGM_RSRC3_GFX90A:ACCUM_OFFSET: 2
; COMPUTE_PGM_RSRC3_GFX90A:TG_SPLIT: 0
	.section	.text._ZL32rocblas_gemvt_warp_reduce_kernelILb1ELi1024ElPKDF16_PKfKPfEviiT3_lPKT2_lT1_lS9_lSA_lS6_lPT4_lSA_li,"axG",@progbits,_ZL32rocblas_gemvt_warp_reduce_kernelILb1ELi1024ElPKDF16_PKfKPfEviiT3_lPKT2_lT1_lS9_lSA_lS6_lPT4_lSA_li,comdat
	.globl	_ZL32rocblas_gemvt_warp_reduce_kernelILb1ELi1024ElPKDF16_PKfKPfEviiT3_lPKT2_lT1_lS9_lSA_lS6_lPT4_lSA_li ; -- Begin function _ZL32rocblas_gemvt_warp_reduce_kernelILb1ELi1024ElPKDF16_PKfKPfEviiT3_lPKT2_lT1_lS9_lSA_lS6_lPT4_lSA_li
	.p2align	8
	.type	_ZL32rocblas_gemvt_warp_reduce_kernelILb1ELi1024ElPKDF16_PKfKPfEviiT3_lPKT2_lT1_lS9_lSA_lS6_lPT4_lSA_li,@function
_ZL32rocblas_gemvt_warp_reduce_kernelILb1ELi1024ElPKDF16_PKfKPfEviiT3_lPKT2_lT1_lS9_lSA_lS6_lPT4_lSA_li: ; @_ZL32rocblas_gemvt_warp_reduce_kernelILb1ELi1024ElPKDF16_PKfKPfEviiT3_lPKT2_lT1_lS9_lSA_lS6_lPT4_lSA_li
; %bb.0:
	s_load_dwordx8 s[12:19], s[0:1], 0x8
	s_load_dwordx8 s[4:11], s[0:1], 0x58
	s_mov_b32 s24, s3
	s_waitcnt lgkmcnt(0)
	s_mul_i32 s3, s3, s15
	s_mul_hi_u32 s15, s24, s14
	s_add_i32 s15, s15, s3
	s_mul_i32 s14, s24, s14
	s_lshl_b64 s[14:15], s[14:15], 2
	s_add_u32 s12, s12, s14
	s_mul_i32 s3, s24, s7
	s_mul_hi_u32 s7, s24, s6
	s_addc_u32 s13, s13, s15
	s_add_i32 s7, s7, s3
	s_mul_i32 s6, s24, s6
	s_lshl_b64 s[6:7], s[6:7], 2
	s_add_u32 s4, s4, s6
	s_addc_u32 s5, s5, s7
	s_load_dword s30, s[12:13], 0x0
	s_load_dword s3, s[4:5], 0x0
	s_waitcnt lgkmcnt(0)
	v_cmp_eq_f32_e64 s[26:27], s30, 0
	v_cmp_eq_f32_e64 s[4:5], s3, 1.0
	s_and_b64 s[4:5], s[26:27], s[4:5]
	s_and_b64 vcc, exec, s[4:5]
	s_cbranch_vccnz .LBB537_33
; %bb.1:
	s_load_dwordx2 s[20:21], s[0:1], 0x28
	s_load_dwordx2 s[12:13], s[0:1], 0x78
	s_mov_b32 s25, 0
	v_cmp_neq_f32_e64 s[28:29], s30, 0
	s_mov_b64 s[14:15], 0
	s_and_b64 vcc, exec, s[26:27]
	s_mov_b64 s[22:23], 0
	s_cbranch_vccnz .LBB537_3
; %bb.2:
	s_lshl_b64 s[4:5], s[24:25], 3
	s_add_u32 s4, s16, s4
	s_addc_u32 s5, s17, s5
	s_load_dwordx2 s[4:5], s[4:5], 0x0
	s_lshl_b64 s[6:7], s[18:19], 1
	s_waitcnt lgkmcnt(0)
	s_add_u32 s22, s4, s6
	s_addc_u32 s23, s5, s7
.LBB537_3:
	s_load_dwordx4 s[4:7], s[0:1], 0x38
	s_load_dwordx2 s[16:17], s[0:1], 0x48
	s_andn2_b64 vcc, exec, s[28:29]
	s_cbranch_vccnz .LBB537_5
; %bb.4:
	s_lshl_b64 s[14:15], s[24:25], 3
	s_waitcnt lgkmcnt(0)
	s_add_u32 s4, s4, s14
	s_addc_u32 s5, s5, s15
	s_load_dwordx2 s[4:5], s[4:5], 0x0
	s_lshl_b64 s[6:7], s[6:7], 1
	s_waitcnt lgkmcnt(0)
	s_add_u32 s14, s4, s6
	s_addc_u32 s15, s5, s7
.LBB537_5:
	s_waitcnt lgkmcnt(0)
	s_lshl_b64 s[4:5], s[24:25], 3
	s_add_u32 s4, s8, s4
	s_addc_u32 s5, s9, s5
	s_load_dwordx2 s[4:5], s[4:5], 0x0
	s_lshl_b64 s[6:7], s[10:11], 2
	s_waitcnt lgkmcnt(0)
	s_add_u32 s24, s4, s6
	s_addc_u32 s25, s5, s7
	s_andn2_b64 vcc, exec, s[26:27]
	v_cmp_eq_u32_e64 s[4:5], 0, v0
	s_cbranch_vccnz .LBB537_10
; %bb.6:
	s_mov_b64 s[10:11], 0
	s_mov_b64 s[6:7], 0
                                        ; implicit-def: $vgpr1
                                        ; implicit-def: $sgpr8_sgpr9
	s_and_saveexec_b64 s[18:19], s[4:5]
	s_cbranch_execz .LBB537_11
; %bb.7:
	s_ashr_i32 s6, s2, 31
	s_mul_i32 s7, s2, s13
	s_mul_hi_u32 s8, s2, s12
	v_cmp_eq_f32_e64 s[4:5], s3, 0
	s_add_i32 s7, s8, s7
	s_mul_i32 s6, s6, s12
	v_mov_b32_e32 v1, 0
	s_add_i32 s9, s7, s6
	s_mul_i32 s8, s2, s12
	s_and_b64 vcc, exec, s[4:5]
	s_cbranch_vccnz .LBB537_9
; %bb.8:
	s_lshl_b64 s[4:5], s[8:9], 2
	s_add_u32 s4, s24, s4
	s_addc_u32 s5, s25, s5
	s_load_dword s4, s[4:5], 0x0
	s_waitcnt lgkmcnt(0)
	v_mov_b32_e32 v1, s4
	v_mul_f32_e32 v1, s3, v1
.LBB537_9:
	s_mov_b64 s[6:7], exec
	s_or_b64 exec, exec, s[18:19]
	s_and_b64 vcc, exec, s[10:11]
	s_cbranch_vccnz .LBB537_12
	s_branch .LBB537_31
.LBB537_10:
	s_mov_b64 s[6:7], 0
                                        ; implicit-def: $vgpr1
                                        ; implicit-def: $sgpr8_sgpr9
	s_cbranch_execnz .LBB537_12
	s_branch .LBB537_31
.LBB537_11:
	s_or_b64 exec, exec, s[18:19]
	s_and_b64 vcc, exec, s[10:11]
	s_cbranch_vccz .LBB537_31
.LBB537_12:
	s_load_dword s1, s[0:1], 0x0
	s_ashr_i32 s26, s2, 31
	s_mul_i32 s0, s2, s21
	s_mul_hi_u32 s4, s2, s20
	s_add_i32 s0, s4, s0
	s_mul_i32 s4, s26, s20
	s_add_i32 s5, s0, s4
	s_mul_i32 s4, s2, s20
	s_lshl_b64 s[4:5], s[4:5], 1
	s_add_u32 s4, s4, s22
	s_addc_u32 s5, s5, s23
	s_waitcnt lgkmcnt(0)
	s_ashr_i32 s0, s1, 31
	v_cmp_gt_i32_e32 vcc, s1, v0
	s_lshr_b32 s0, s0, 22
	s_add_i32 s0, s1, s0
	v_cndmask_b32_e32 v1, 0, v0, vcc
	v_mov_b32_e32 v3, 0
	v_lshlrev_b32_e32 v2, 1, v1
	s_and_b32 s0, s0, 0xfffffc00
	v_lshl_add_u64 v[4:5], s[4:5], 0, v[2:3]
	v_cmp_gt_i32_e32 vcc, s0, v0
	s_and_saveexec_b64 s[4:5], vcc
	s_cbranch_execz .LBB537_16
; %bb.13:
	v_mad_u64_u32 v[2:3], s[8:9], s16, v0, 0
	v_mov_b32_e32 v6, v3
	v_mad_u64_u32 v[6:7], s[8:9], s17, v0, v[6:7]
	v_mov_b32_e32 v3, v6
	v_lshl_add_u64 v[6:7], v[2:3], 1, s[14:15]
	s_lshl_b64 s[10:11], s[16:17], 11
	s_mov_b64 s[8:9], 0
	v_mov_b32_e32 v3, 0
	s_mov_b64 s[18:19], 0x800
	v_mov_b64_e32 v[8:9], v[4:5]
	v_mov_b32_e32 v1, v0
.LBB537_14:                             ; =>This Inner Loop Header: Depth=1
	flat_load_ushort v2, v[8:9]
	flat_load_ushort v10, v[6:7]
	v_add_u32_e32 v1, 0x400, v1
	v_cmp_le_i32_e32 vcc, s0, v1
	v_lshl_add_u64 v[8:9], v[8:9], 0, s[18:19]
	v_lshl_add_u64 v[6:7], v[6:7], 0, s[10:11]
	s_or_b64 s[8:9], vcc, s[8:9]
	s_waitcnt vmcnt(0) lgkmcnt(0)
	v_mul_f16_e32 v2, v2, v10
	v_cvt_f32_f16_e32 v2, v2
	v_add_f32_e32 v3, v3, v2
	s_andn2_b64 exec, exec, s[8:9]
	s_cbranch_execnz .LBB537_14
; %bb.15:
	s_or_b64 exec, exec, s[8:9]
.LBB537_16:
	s_or_b64 exec, exec, s[4:5]
	v_or_b32_e32 v1, s0, v0
	v_cmp_gt_i32_e32 vcc, s1, v1
	s_and_saveexec_b64 s[4:5], vcc
	s_cbranch_execz .LBB537_18
; %bb.17:
	s_ashr_i32 s1, s0, 31
	v_lshl_add_u64 v[4:5], s[0:1], 1, v[4:5]
	flat_load_ushort v2, v[4:5]
	v_ashrrev_i32_e32 v4, 31, v1
	v_mul_lo_u32 v6, v1, s17
	v_mul_lo_u32 v7, v4, s16
	v_mad_u64_u32 v[4:5], s[0:1], v1, s16, 0
	v_add3_u32 v5, v5, v6, v7
	v_lshl_add_u64 v[4:5], v[4:5], 1, s[14:15]
	flat_load_ushort v1, v[4:5]
	s_waitcnt vmcnt(0) lgkmcnt(0)
	v_mul_f16_e32 v1, v2, v1
	v_cvt_f32_f16_e32 v1, v1
	v_add_f32_e32 v3, v3, v1
.LBB537_18:
	s_or_b64 exec, exec, s[4:5]
	v_and_b32_e32 v2, 63, v0
	v_cmp_gt_u32_e32 vcc, 64, v0
	v_lshlrev_b32_e32 v1, 2, v2
	s_and_saveexec_b64 s[0:1], vcc
	s_cbranch_execz .LBB537_20
; %bb.19:
	v_mov_b32_e32 v4, 0
	ds_write_b32 v1, v4
.LBB537_20:
	s_or_b64 exec, exec, s[0:1]
	v_mbcnt_lo_u32_b32 v4, -1, 0
	v_mbcnt_hi_u32_b32 v6, -1, v4
	v_and_b32_e32 v7, 63, v6
	v_cmp_gt_u32_e64 s[0:1], 32, v7
	s_waitcnt lgkmcnt(0)
	s_barrier
	v_cndmask_b32_e64 v4, 0, 1, s[0:1]
	v_lshlrev_b32_e32 v4, 5, v4
	v_add_lshl_u32 v4, v4, v6, 2
	ds_bpermute_b32 v4, v4, v3
	v_cmp_gt_u32_e64 s[0:1], 48, v7
	s_waitcnt lgkmcnt(0)
	v_add_f32_e32 v3, v3, v4
	v_cndmask_b32_e64 v5, 0, 1, s[0:1]
	v_lshlrev_b32_e32 v5, 4, v5
	v_add_lshl_u32 v4, v5, v6, 2
	ds_bpermute_b32 v4, v4, v3
	v_cmp_gt_u32_e64 s[0:1], 56, v7
	s_waitcnt lgkmcnt(0)
	v_add_f32_e32 v4, v3, v4
	;; [unrolled: 7-line block ×4, first 2 shown]
	v_cndmask_b32_e64 v9, 0, 1, s[0:1]
	v_lshlrev_b32_e32 v9, 1, v9
	v_add_lshl_u32 v5, v9, v6, 2
	ds_bpermute_b32 v9, v5, v8
	v_cmp_ne_u32_e64 s[0:1], 63, v7
	s_waitcnt lgkmcnt(0)
	v_add_f32_e32 v7, v8, v9
	v_addc_co_u32_e64 v6, s[0:1], 0, v6, s[0:1]
	v_lshlrev_b32_e32 v6, 2, v6
	ds_bpermute_b32 v8, v6, v7
	v_cmp_eq_u32_e64 s[0:1], 0, v2
	s_and_saveexec_b64 s[4:5], s[0:1]
	s_cbranch_execz .LBB537_22
; %bb.21:
	v_lshrrev_b32_e32 v2, 4, v0
	v_and_b32_e32 v2, 60, v2
	s_waitcnt lgkmcnt(0)
	v_add_f32_e32 v7, v7, v8
	ds_write_b32 v2, v7
.LBB537_22:
	s_or_b64 exec, exec, s[4:5]
	v_cmp_gt_u32_e64 s[0:1], 16, v0
	v_mov_b32_e32 v2, 0
	s_waitcnt lgkmcnt(0)
	s_barrier
	s_and_saveexec_b64 s[4:5], s[0:1]
	s_cbranch_execz .LBB537_24
; %bb.23:
	ds_read_b32 v2, v1
	s_or_b64 exec, exec, s[4:5]
	s_and_saveexec_b64 s[0:1], vcc
	s_cbranch_execz .LBB537_26
	s_branch .LBB537_25
.LBB537_24:
	s_or_b64 exec, exec, s[4:5]
	s_and_saveexec_b64 s[0:1], vcc
	s_cbranch_execz .LBB537_26
.LBB537_25:
	s_waitcnt lgkmcnt(0)
	ds_bpermute_b32 v1, v3, v2
	s_waitcnt lgkmcnt(0)
	v_add_f32_e32 v1, v2, v1
	ds_bpermute_b32 v2, v4, v1
	s_waitcnt lgkmcnt(0)
	v_add_f32_e32 v1, v1, v2
	;; [unrolled: 3-line block ×4, first 2 shown]
.LBB537_26:
	s_or_b64 exec, exec, s[0:1]
	v_cmp_eq_u32_e32 vcc, 0, v0
                                        ; implicit-def: $vgpr1
                                        ; implicit-def: $sgpr8_sgpr9
	s_and_saveexec_b64 s[0:1], vcc
	s_cbranch_execz .LBB537_30
; %bb.27:
	s_mul_i32 s8, s2, s13
	s_mul_hi_u32 s9, s2, s12
	v_cmp_eq_f32_e64 s[4:5], s3, 0
	s_add_i32 s8, s9, s8
	s_mul_i32 s9, s26, s12
	s_waitcnt lgkmcnt(0)
	v_mul_f32_e32 v1, s30, v2
	s_add_i32 s9, s8, s9
	s_mul_i32 s8, s2, s12
	s_and_b64 vcc, exec, s[4:5]
	s_cbranch_vccnz .LBB537_29
; %bb.28:
	s_lshl_b64 s[4:5], s[8:9], 2
	s_add_u32 s4, s24, s4
	s_addc_u32 s5, s25, s5
	s_load_dword s2, s[4:5], 0x0
	s_waitcnt lgkmcnt(0)
	v_mov_b32_e32 v0, s2
	v_fmac_f32_e32 v1, s3, v0
.LBB537_29:
	s_or_b64 s[6:7], s[6:7], exec
.LBB537_30:
	s_or_b64 exec, exec, s[0:1]
.LBB537_31:
	s_and_saveexec_b64 s[0:1], s[6:7]
	s_cbranch_execz .LBB537_33
; %bb.32:
	s_lshl_b64 s[0:1], s[8:9], 2
	s_add_u32 s0, s24, s0
	s_addc_u32 s1, s25, s1
	v_mov_b32_e32 v0, 0
	global_store_dword v0, v1, s[0:1]
.LBB537_33:
	s_endpgm
	.section	.rodata,"a",@progbits
	.p2align	6, 0x0
	.amdhsa_kernel _ZL32rocblas_gemvt_warp_reduce_kernelILb1ELi1024ElPKDF16_PKfKPfEviiT3_lPKT2_lT1_lS9_lSA_lS6_lPT4_lSA_li
		.amdhsa_group_segment_fixed_size 256
		.amdhsa_private_segment_fixed_size 0
		.amdhsa_kernarg_size 140
		.amdhsa_user_sgpr_count 2
		.amdhsa_user_sgpr_dispatch_ptr 0
		.amdhsa_user_sgpr_queue_ptr 0
		.amdhsa_user_sgpr_kernarg_segment_ptr 1
		.amdhsa_user_sgpr_dispatch_id 0
		.amdhsa_user_sgpr_kernarg_preload_length 0
		.amdhsa_user_sgpr_kernarg_preload_offset 0
		.amdhsa_user_sgpr_private_segment_size 0
		.amdhsa_uses_dynamic_stack 0
		.amdhsa_enable_private_segment 0
		.amdhsa_system_sgpr_workgroup_id_x 1
		.amdhsa_system_sgpr_workgroup_id_y 0
		.amdhsa_system_sgpr_workgroup_id_z 1
		.amdhsa_system_sgpr_workgroup_info 0
		.amdhsa_system_vgpr_workitem_id 0
		.amdhsa_next_free_vgpr 11
		.amdhsa_next_free_sgpr 31
		.amdhsa_accum_offset 12
		.amdhsa_reserve_vcc 1
		.amdhsa_float_round_mode_32 0
		.amdhsa_float_round_mode_16_64 0
		.amdhsa_float_denorm_mode_32 3
		.amdhsa_float_denorm_mode_16_64 3
		.amdhsa_dx10_clamp 1
		.amdhsa_ieee_mode 1
		.amdhsa_fp16_overflow 0
		.amdhsa_tg_split 0
		.amdhsa_exception_fp_ieee_invalid_op 0
		.amdhsa_exception_fp_denorm_src 0
		.amdhsa_exception_fp_ieee_div_zero 0
		.amdhsa_exception_fp_ieee_overflow 0
		.amdhsa_exception_fp_ieee_underflow 0
		.amdhsa_exception_fp_ieee_inexact 0
		.amdhsa_exception_int_div_zero 0
	.end_amdhsa_kernel
	.section	.text._ZL32rocblas_gemvt_warp_reduce_kernelILb1ELi1024ElPKDF16_PKfKPfEviiT3_lPKT2_lT1_lS9_lSA_lS6_lPT4_lSA_li,"axG",@progbits,_ZL32rocblas_gemvt_warp_reduce_kernelILb1ELi1024ElPKDF16_PKfKPfEviiT3_lPKT2_lT1_lS9_lSA_lS6_lPT4_lSA_li,comdat
.Lfunc_end537:
	.size	_ZL32rocblas_gemvt_warp_reduce_kernelILb1ELi1024ElPKDF16_PKfKPfEviiT3_lPKT2_lT1_lS9_lSA_lS6_lPT4_lSA_li, .Lfunc_end537-_ZL32rocblas_gemvt_warp_reduce_kernelILb1ELi1024ElPKDF16_PKfKPfEviiT3_lPKT2_lT1_lS9_lSA_lS6_lPT4_lSA_li
                                        ; -- End function
	.section	.AMDGPU.csdata,"",@progbits
; Kernel info:
; codeLenInByte = 1452
; NumSgprs: 37
; NumVgprs: 11
; NumAgprs: 0
; TotalNumVgprs: 11
; ScratchSize: 0
; MemoryBound: 0
; FloatMode: 240
; IeeeMode: 1
; LDSByteSize: 256 bytes/workgroup (compile time only)
; SGPRBlocks: 4
; VGPRBlocks: 1
; NumSGPRsForWavesPerEU: 37
; NumVGPRsForWavesPerEU: 11
; AccumOffset: 12
; Occupancy: 8
; WaveLimiterHint : 1
; COMPUTE_PGM_RSRC2:SCRATCH_EN: 0
; COMPUTE_PGM_RSRC2:USER_SGPR: 2
; COMPUTE_PGM_RSRC2:TRAP_HANDLER: 0
; COMPUTE_PGM_RSRC2:TGID_X_EN: 1
; COMPUTE_PGM_RSRC2:TGID_Y_EN: 0
; COMPUTE_PGM_RSRC2:TGID_Z_EN: 1
; COMPUTE_PGM_RSRC2:TIDIG_COMP_CNT: 0
; COMPUTE_PGM_RSRC3_GFX90A:ACCUM_OFFSET: 2
; COMPUTE_PGM_RSRC3_GFX90A:TG_SPLIT: 0
	.section	.text._ZL32rocblas_gemvt_warp_reduce_kernelILb1ELi1024EiPKDF16_fKPfEviiT3_lPKT2_lT1_lS7_lS8_lS4_lPT4_lS8_li,"axG",@progbits,_ZL32rocblas_gemvt_warp_reduce_kernelILb1ELi1024EiPKDF16_fKPfEviiT3_lPKT2_lT1_lS7_lS8_lS4_lPT4_lS8_li,comdat
	.globl	_ZL32rocblas_gemvt_warp_reduce_kernelILb1ELi1024EiPKDF16_fKPfEviiT3_lPKT2_lT1_lS7_lS8_lS4_lPT4_lS8_li ; -- Begin function _ZL32rocblas_gemvt_warp_reduce_kernelILb1ELi1024EiPKDF16_fKPfEviiT3_lPKT2_lT1_lS7_lS8_lS4_lPT4_lS8_li
	.p2align	8
	.type	_ZL32rocblas_gemvt_warp_reduce_kernelILb1ELi1024EiPKDF16_fKPfEviiT3_lPKT2_lT1_lS7_lS8_lS4_lPT4_lS8_li,@function
_ZL32rocblas_gemvt_warp_reduce_kernelILb1ELi1024EiPKDF16_fKPfEviiT3_lPKT2_lT1_lS7_lS8_lS4_lPT4_lS8_li: ; @_ZL32rocblas_gemvt_warp_reduce_kernelILb1ELi1024EiPKDF16_fKPfEviiT3_lPKT2_lT1_lS7_lS8_lS4_lPT4_lS8_li
; %bb.0:
	s_mov_b32 s12, s3
	s_load_dword s18, s[0:1], 0x8
	s_load_dword s3, s[0:1], 0x58
	s_waitcnt lgkmcnt(0)
	v_cmp_eq_f32_e64 s[4:5], s18, 0
	v_cmp_eq_f32_e64 s[6:7], s3, 1.0
	s_and_b64 s[6:7], s[4:5], s[6:7]
	s_and_b64 vcc, exec, s[6:7]
	s_cbranch_vccnz .LBB538_35
; %bb.1:
	v_cmp_neq_f32_e64 s[8:9], s18, 0
	s_mov_b32 s13, 0
	s_and_b64 vcc, exec, s[8:9]
	s_cbranch_vccnz .LBB538_3
; %bb.2:
	s_mov_b64 s[10:11], 0
	s_cbranch_execz .LBB538_4
	s_branch .LBB538_5
.LBB538_3:
                                        ; implicit-def: $sgpr10_sgpr11
.LBB538_4:
	s_load_dwordx4 s[20:23], s[0:1], 0x18
	s_lshl_b64 s[6:7], s[12:13], 3
	s_waitcnt lgkmcnt(0)
	s_add_u32 s6, s20, s6
	s_addc_u32 s7, s21, s7
	s_load_dwordx2 s[6:7], s[6:7], 0x0
	s_lshl_b64 s[10:11], s[22:23], 1
	s_waitcnt lgkmcnt(0)
	s_add_u32 s10, s6, s10
	s_addc_u32 s11, s7, s11
.LBB538_5:
	s_mov_b64 s[6:7], 0
	s_andn2_b64 vcc, exec, s[8:9]
	s_mov_b64 s[8:9], 0
	s_cbranch_vccnz .LBB538_7
; %bb.6:
	s_load_dwordx4 s[20:23], s[0:1], 0x38
	s_lshl_b64 s[8:9], s[12:13], 3
	s_waitcnt lgkmcnt(0)
	s_add_u32 s8, s20, s8
	s_addc_u32 s9, s21, s9
	s_load_dwordx2 s[8:9], s[8:9], 0x0
	s_lshl_b64 s[14:15], s[22:23], 1
	s_waitcnt lgkmcnt(0)
	s_add_u32 s8, s8, s14
	s_addc_u32 s9, s9, s15
.LBB538_7:
	s_load_dwordx4 s[24:27], s[0:1], 0x68
	s_load_dword s21, s[0:1], 0x78
	s_lshl_b64 s[12:13], s[12:13], 3
	s_waitcnt lgkmcnt(0)
	s_add_u32 s12, s24, s12
	s_addc_u32 s13, s25, s13
	s_load_dwordx2 s[12:13], s[12:13], 0x0
	s_lshl_b64 s[14:15], s[26:27], 2
	s_waitcnt lgkmcnt(0)
	s_add_u32 s19, s12, s14
	s_addc_u32 s20, s13, s15
	s_andn2_b64 vcc, exec, s[4:5]
	v_cmp_eq_u32_e64 s[4:5], 0, v0
	s_cbranch_vccnz .LBB538_12
; %bb.8:
	s_mov_b64 s[14:15], 0
                                        ; implicit-def: $vgpr1
                                        ; implicit-def: $sgpr12_sgpr13
	s_and_saveexec_b64 s[16:17], s[4:5]
	s_cbranch_execz .LBB538_13
; %bb.9:
	v_cmp_eq_f32_e64 s[4:5], s3, 0
	s_mul_i32 s12, s2, s21
	v_mov_b32_e32 v1, 0
	s_ashr_i32 s13, s12, 31
	s_and_b64 vcc, exec, s[4:5]
	s_cbranch_vccnz .LBB538_11
; %bb.10:
	s_lshl_b64 s[4:5], s[12:13], 2
	s_add_u32 s4, s19, s4
	s_addc_u32 s5, s20, s5
	s_load_dword s4, s[4:5], 0x0
	v_mov_b32_e32 v1, s3
	s_waitcnt lgkmcnt(0)
	v_mul_f32_e32 v1, s4, v1
.LBB538_11:
	s_mov_b64 s[6:7], exec
	s_or_b64 exec, exec, s[16:17]
	s_and_b64 vcc, exec, s[14:15]
	s_cbranch_vccnz .LBB538_14
	s_branch .LBB538_33
.LBB538_12:
                                        ; implicit-def: $vgpr1
                                        ; implicit-def: $sgpr12_sgpr13
	s_cbranch_execnz .LBB538_14
	s_branch .LBB538_33
.LBB538_13:
	s_or_b64 exec, exec, s[16:17]
	s_and_b64 vcc, exec, s[14:15]
	s_cbranch_vccz .LBB538_33
.LBB538_14:
	s_load_dword s15, s[0:1], 0x0
	s_load_dword s4, s[0:1], 0x28
	;; [unrolled: 1-line block ×3, first 2 shown]
	v_mov_b32_e32 v3, 0
	s_waitcnt lgkmcnt(0)
	v_cmp_gt_i32_e32 vcc, s15, v0
	s_mul_i32 s0, s2, s4
	s_ashr_i32 s1, s0, 31
	s_lshl_b64 s[0:1], s[0:1], 1
	v_cndmask_b32_e32 v1, 0, v0, vcc
	s_add_u32 s0, s0, s10
	v_lshlrev_b32_e32 v2, 1, v1
	s_addc_u32 s1, s1, s11
	v_lshl_add_u64 v[4:5], s[0:1], 0, v[2:3]
	s_ashr_i32 s0, s15, 31
	s_lshr_b32 s0, s0, 22
	s_add_i32 s0, s15, s0
	s_and_b32 s0, s0, 0xfffffc00
	v_cmp_gt_i32_e32 vcc, s0, v0
	s_and_saveexec_b64 s[4:5], vcc
	s_cbranch_execz .LBB538_18
; %bb.15:
	v_mul_lo_u32 v6, v0, s14
	s_lshl_b32 s1, s14, 10
	s_mov_b64 s[10:11], 0
	v_mov_b32_e32 v3, 0
	s_mov_b64 s[12:13], 0x800
	v_mov_b64_e32 v[8:9], v[4:5]
	v_mov_b32_e32 v1, v0
.LBB538_16:                             ; =>This Inner Loop Header: Depth=1
	v_ashrrev_i32_e32 v7, 31, v6
	v_lshl_add_u64 v[10:11], v[6:7], 1, s[8:9]
	flat_load_ushort v2, v[8:9]
	flat_load_ushort v7, v[10:11]
	v_add_u32_e32 v1, 0x400, v1
	v_cmp_le_i32_e32 vcc, s0, v1
	v_lshl_add_u64 v[8:9], v[8:9], 0, s[12:13]
	v_add_u32_e32 v6, s1, v6
	s_or_b64 s[10:11], vcc, s[10:11]
	s_waitcnt vmcnt(0) lgkmcnt(0)
	v_mul_f16_e32 v2, v2, v7
	v_cvt_f32_f16_e32 v2, v2
	v_add_f32_e32 v3, v3, v2
	s_andn2_b64 exec, exec, s[10:11]
	s_cbranch_execnz .LBB538_16
; %bb.17:
	s_or_b64 exec, exec, s[10:11]
.LBB538_18:
	s_or_b64 exec, exec, s[4:5]
	v_or_b32_e32 v1, s0, v0
	v_cmp_gt_i32_e32 vcc, s15, v1
	s_and_saveexec_b64 s[4:5], vcc
	s_cbranch_execz .LBB538_20
; %bb.19:
	s_ashr_i32 s1, s0, 31
	v_lshl_add_u64 v[4:5], s[0:1], 1, v[4:5]
	flat_load_ushort v2, v[4:5]
	v_mul_lo_u32 v4, v1, s14
	v_ashrrev_i32_e32 v5, 31, v4
	v_lshl_add_u64 v[4:5], v[4:5], 1, s[8:9]
	flat_load_ushort v1, v[4:5]
	s_waitcnt vmcnt(0) lgkmcnt(0)
	v_mul_f16_e32 v1, v2, v1
	v_cvt_f32_f16_e32 v1, v1
	v_add_f32_e32 v3, v3, v1
.LBB538_20:
	s_or_b64 exec, exec, s[4:5]
	v_and_b32_e32 v2, 63, v0
	v_cmp_gt_u32_e32 vcc, 64, v0
	v_lshlrev_b32_e32 v1, 2, v2
	s_and_saveexec_b64 s[0:1], vcc
	s_cbranch_execz .LBB538_22
; %bb.21:
	v_mov_b32_e32 v4, 0
	ds_write_b32 v1, v4
.LBB538_22:
	s_or_b64 exec, exec, s[0:1]
	v_mbcnt_lo_u32_b32 v4, -1, 0
	v_mbcnt_hi_u32_b32 v6, -1, v4
	v_and_b32_e32 v7, 63, v6
	v_cmp_gt_u32_e64 s[0:1], 32, v7
	s_waitcnt lgkmcnt(0)
	s_barrier
	v_cndmask_b32_e64 v4, 0, 1, s[0:1]
	v_lshlrev_b32_e32 v4, 5, v4
	v_add_lshl_u32 v4, v4, v6, 2
	ds_bpermute_b32 v4, v4, v3
	v_cmp_gt_u32_e64 s[0:1], 48, v7
	s_waitcnt lgkmcnt(0)
	v_add_f32_e32 v3, v3, v4
	v_cndmask_b32_e64 v5, 0, 1, s[0:1]
	v_lshlrev_b32_e32 v5, 4, v5
	v_add_lshl_u32 v4, v5, v6, 2
	ds_bpermute_b32 v4, v4, v3
	v_cmp_gt_u32_e64 s[0:1], 56, v7
	s_waitcnt lgkmcnt(0)
	v_add_f32_e32 v4, v3, v4
	v_cndmask_b32_e64 v5, 0, 1, s[0:1]
	v_lshlrev_b32_e32 v5, 3, v5
	v_add_lshl_u32 v3, v5, v6, 2
	ds_bpermute_b32 v5, v3, v4
	v_cmp_gt_u32_e64 s[0:1], 60, v7
	s_waitcnt lgkmcnt(0)
	v_add_f32_e32 v5, v4, v5
	v_cndmask_b32_e64 v8, 0, 1, s[0:1]
	v_lshlrev_b32_e32 v8, 2, v8
	v_add_lshl_u32 v4, v8, v6, 2
	ds_bpermute_b32 v8, v4, v5
	v_cmp_gt_u32_e64 s[0:1], 62, v7
	s_waitcnt lgkmcnt(0)
	v_add_f32_e32 v8, v5, v8
	v_cndmask_b32_e64 v9, 0, 1, s[0:1]
	v_lshlrev_b32_e32 v9, 1, v9
	v_add_lshl_u32 v5, v9, v6, 2
	ds_bpermute_b32 v9, v5, v8
	v_cmp_ne_u32_e64 s[0:1], 63, v7
	s_waitcnt lgkmcnt(0)
	v_add_f32_e32 v7, v8, v9
	v_addc_co_u32_e64 v6, s[0:1], 0, v6, s[0:1]
	v_lshlrev_b32_e32 v6, 2, v6
	ds_bpermute_b32 v8, v6, v7
	v_cmp_eq_u32_e64 s[0:1], 0, v2
	s_and_saveexec_b64 s[4:5], s[0:1]
	s_cbranch_execz .LBB538_24
; %bb.23:
	v_lshrrev_b32_e32 v2, 4, v0
	v_and_b32_e32 v2, 60, v2
	s_waitcnt lgkmcnt(0)
	v_add_f32_e32 v7, v7, v8
	ds_write_b32 v2, v7
.LBB538_24:
	s_or_b64 exec, exec, s[4:5]
	v_cmp_gt_u32_e64 s[0:1], 16, v0
	v_mov_b32_e32 v2, 0
	s_waitcnt lgkmcnt(0)
	s_barrier
	s_and_saveexec_b64 s[4:5], s[0:1]
	s_cbranch_execz .LBB538_26
; %bb.25:
	ds_read_b32 v2, v1
	s_or_b64 exec, exec, s[4:5]
	s_and_saveexec_b64 s[0:1], vcc
	s_cbranch_execz .LBB538_28
	s_branch .LBB538_27
.LBB538_26:
	s_or_b64 exec, exec, s[4:5]
	s_and_saveexec_b64 s[0:1], vcc
	s_cbranch_execz .LBB538_28
.LBB538_27:
	s_waitcnt lgkmcnt(0)
	ds_bpermute_b32 v1, v3, v2
	s_waitcnt lgkmcnt(0)
	v_add_f32_e32 v1, v2, v1
	ds_bpermute_b32 v2, v4, v1
	s_waitcnt lgkmcnt(0)
	v_add_f32_e32 v1, v1, v2
	;; [unrolled: 3-line block ×4, first 2 shown]
.LBB538_28:
	s_or_b64 exec, exec, s[0:1]
	v_cmp_eq_u32_e32 vcc, 0, v0
                                        ; implicit-def: $vgpr1
                                        ; implicit-def: $sgpr12_sgpr13
	s_and_saveexec_b64 s[0:1], vcc
	s_cbranch_execz .LBB538_32
; %bb.29:
	v_cmp_eq_f32_e64 s[4:5], s3, 0
	s_mul_i32 s12, s2, s21
	s_waitcnt lgkmcnt(0)
	v_mul_f32_e32 v1, s18, v2
	s_ashr_i32 s13, s12, 31
	s_and_b64 vcc, exec, s[4:5]
	s_cbranch_vccnz .LBB538_31
; %bb.30:
	s_lshl_b64 s[4:5], s[12:13], 2
	s_add_u32 s4, s19, s4
	s_addc_u32 s5, s20, s5
	s_load_dword s2, s[4:5], 0x0
	v_mov_b32_e32 v0, s3
	s_waitcnt lgkmcnt(0)
	v_fmac_f32_e32 v1, s2, v0
.LBB538_31:
	s_or_b64 s[6:7], s[6:7], exec
.LBB538_32:
	s_or_b64 exec, exec, s[0:1]
.LBB538_33:
	s_and_saveexec_b64 s[0:1], s[6:7]
	s_cbranch_execz .LBB538_35
; %bb.34:
	s_lshl_b64 s[0:1], s[12:13], 2
	s_add_u32 s0, s19, s0
	s_addc_u32 s1, s20, s1
	v_mov_b32_e32 v0, 0
	global_store_dword v0, v1, s[0:1]
.LBB538_35:
	s_endpgm
	.section	.rodata,"a",@progbits
	.p2align	6, 0x0
	.amdhsa_kernel _ZL32rocblas_gemvt_warp_reduce_kernelILb1ELi1024EiPKDF16_fKPfEviiT3_lPKT2_lT1_lS7_lS8_lS4_lPT4_lS8_li
		.amdhsa_group_segment_fixed_size 256
		.amdhsa_private_segment_fixed_size 0
		.amdhsa_kernarg_size 140
		.amdhsa_user_sgpr_count 2
		.amdhsa_user_sgpr_dispatch_ptr 0
		.amdhsa_user_sgpr_queue_ptr 0
		.amdhsa_user_sgpr_kernarg_segment_ptr 1
		.amdhsa_user_sgpr_dispatch_id 0
		.amdhsa_user_sgpr_kernarg_preload_length 0
		.amdhsa_user_sgpr_kernarg_preload_offset 0
		.amdhsa_user_sgpr_private_segment_size 0
		.amdhsa_uses_dynamic_stack 0
		.amdhsa_enable_private_segment 0
		.amdhsa_system_sgpr_workgroup_id_x 1
		.amdhsa_system_sgpr_workgroup_id_y 0
		.amdhsa_system_sgpr_workgroup_id_z 1
		.amdhsa_system_sgpr_workgroup_info 0
		.amdhsa_system_vgpr_workitem_id 0
		.amdhsa_next_free_vgpr 12
		.amdhsa_next_free_sgpr 28
		.amdhsa_accum_offset 12
		.amdhsa_reserve_vcc 1
		.amdhsa_float_round_mode_32 0
		.amdhsa_float_round_mode_16_64 0
		.amdhsa_float_denorm_mode_32 3
		.amdhsa_float_denorm_mode_16_64 3
		.amdhsa_dx10_clamp 1
		.amdhsa_ieee_mode 1
		.amdhsa_fp16_overflow 0
		.amdhsa_tg_split 0
		.amdhsa_exception_fp_ieee_invalid_op 0
		.amdhsa_exception_fp_denorm_src 0
		.amdhsa_exception_fp_ieee_div_zero 0
		.amdhsa_exception_fp_ieee_overflow 0
		.amdhsa_exception_fp_ieee_underflow 0
		.amdhsa_exception_fp_ieee_inexact 0
		.amdhsa_exception_int_div_zero 0
	.end_amdhsa_kernel
	.section	.text._ZL32rocblas_gemvt_warp_reduce_kernelILb1ELi1024EiPKDF16_fKPfEviiT3_lPKT2_lT1_lS7_lS8_lS4_lPT4_lS8_li,"axG",@progbits,_ZL32rocblas_gemvt_warp_reduce_kernelILb1ELi1024EiPKDF16_fKPfEviiT3_lPKT2_lT1_lS7_lS8_lS4_lPT4_lS8_li,comdat
.Lfunc_end538:
	.size	_ZL32rocblas_gemvt_warp_reduce_kernelILb1ELi1024EiPKDF16_fKPfEviiT3_lPKT2_lT1_lS7_lS8_lS4_lPT4_lS8_li, .Lfunc_end538-_ZL32rocblas_gemvt_warp_reduce_kernelILb1ELi1024EiPKDF16_fKPfEviiT3_lPKT2_lT1_lS7_lS8_lS4_lPT4_lS8_li
                                        ; -- End function
	.section	.AMDGPU.csdata,"",@progbits
; Kernel info:
; codeLenInByte = 1304
; NumSgprs: 34
; NumVgprs: 12
; NumAgprs: 0
; TotalNumVgprs: 12
; ScratchSize: 0
; MemoryBound: 0
; FloatMode: 240
; IeeeMode: 1
; LDSByteSize: 256 bytes/workgroup (compile time only)
; SGPRBlocks: 4
; VGPRBlocks: 1
; NumSGPRsForWavesPerEU: 34
; NumVGPRsForWavesPerEU: 12
; AccumOffset: 12
; Occupancy: 8
; WaveLimiterHint : 1
; COMPUTE_PGM_RSRC2:SCRATCH_EN: 0
; COMPUTE_PGM_RSRC2:USER_SGPR: 2
; COMPUTE_PGM_RSRC2:TRAP_HANDLER: 0
; COMPUTE_PGM_RSRC2:TGID_X_EN: 1
; COMPUTE_PGM_RSRC2:TGID_Y_EN: 0
; COMPUTE_PGM_RSRC2:TGID_Z_EN: 1
; COMPUTE_PGM_RSRC2:TIDIG_COMP_CNT: 0
; COMPUTE_PGM_RSRC3_GFX90A:ACCUM_OFFSET: 2
; COMPUTE_PGM_RSRC3_GFX90A:TG_SPLIT: 0
	.section	.text._ZL32rocblas_gemvt_warp_reduce_kernelILb1ELi1024ElPKDF16_fKPfEviiT3_lPKT2_lT1_lS7_lS8_lS4_lPT4_lS8_li,"axG",@progbits,_ZL32rocblas_gemvt_warp_reduce_kernelILb1ELi1024ElPKDF16_fKPfEviiT3_lPKT2_lT1_lS7_lS8_lS4_lPT4_lS8_li,comdat
	.globl	_ZL32rocblas_gemvt_warp_reduce_kernelILb1ELi1024ElPKDF16_fKPfEviiT3_lPKT2_lT1_lS7_lS8_lS4_lPT4_lS8_li ; -- Begin function _ZL32rocblas_gemvt_warp_reduce_kernelILb1ELi1024ElPKDF16_fKPfEviiT3_lPKT2_lT1_lS7_lS8_lS4_lPT4_lS8_li
	.p2align	8
	.type	_ZL32rocblas_gemvt_warp_reduce_kernelILb1ELi1024ElPKDF16_fKPfEviiT3_lPKT2_lT1_lS7_lS8_lS4_lPT4_lS8_li,@function
_ZL32rocblas_gemvt_warp_reduce_kernelILb1ELi1024ElPKDF16_fKPfEviiT3_lPKT2_lT1_lS7_lS8_lS4_lPT4_lS8_li: ; @_ZL32rocblas_gemvt_warp_reduce_kernelILb1ELi1024ElPKDF16_fKPfEviiT3_lPKT2_lT1_lS7_lS8_lS4_lPT4_lS8_li
; %bb.0:
	s_mov_b32 s20, s3
	s_load_dword s24, s[0:1], 0x8
	s_load_dword s3, s[0:1], 0x58
	s_waitcnt lgkmcnt(0)
	v_cmp_eq_f32_e64 s[18:19], s24, 0
	v_cmp_eq_f32_e64 s[4:5], s3, 1.0
	s_and_b64 s[4:5], s[18:19], s[4:5]
	s_and_b64 vcc, exec, s[4:5]
	s_cbranch_vccnz .LBB539_35
; %bb.1:
	s_load_dwordx4 s[4:7], s[0:1], 0x18
	s_load_dwordx2 s[14:15], s[0:1], 0x28
	v_cmp_neq_f32_e64 s[12:13], s24, 0
	s_mov_b32 s21, 0
	s_and_b64 vcc, exec, s[12:13]
	s_cbranch_vccnz .LBB539_3
; %bb.2:
	s_mov_b64 s[16:17], 0
	s_cbranch_execz .LBB539_4
	s_branch .LBB539_5
.LBB539_3:
                                        ; implicit-def: $sgpr16_sgpr17
.LBB539_4:
	s_lshl_b64 s[8:9], s[20:21], 3
	s_waitcnt lgkmcnt(0)
	s_add_u32 s4, s4, s8
	s_addc_u32 s5, s5, s9
	s_load_dwordx2 s[4:5], s[4:5], 0x0
	s_lshl_b64 s[6:7], s[6:7], 1
	s_waitcnt lgkmcnt(0)
	s_add_u32 s16, s4, s6
	s_addc_u32 s17, s5, s7
.LBB539_5:
	s_waitcnt lgkmcnt(0)
	s_load_dwordx4 s[4:7], s[0:1], 0x38
	s_load_dwordx2 s[10:11], s[0:1], 0x48
	s_mov_b64 s[8:9], 0
	s_andn2_b64 vcc, exec, s[12:13]
	s_mov_b64 s[12:13], 0
	s_cbranch_vccnz .LBB539_7
; %bb.6:
	s_lshl_b64 s[12:13], s[20:21], 3
	s_waitcnt lgkmcnt(0)
	s_add_u32 s4, s4, s12
	s_addc_u32 s5, s5, s13
	s_load_dwordx2 s[4:5], s[4:5], 0x0
	s_lshl_b64 s[6:7], s[6:7], 1
	s_waitcnt lgkmcnt(0)
	s_add_u32 s12, s4, s6
	s_addc_u32 s13, s5, s7
.LBB539_7:
	s_load_dwordx4 s[28:31], s[0:1], 0x68
	s_waitcnt lgkmcnt(0)
	s_load_dwordx2 s[6:7], s[0:1], 0x78
	s_lshl_b64 s[4:5], s[20:21], 3
	s_add_u32 s4, s28, s4
	s_addc_u32 s5, s29, s5
	s_load_dwordx2 s[4:5], s[4:5], 0x0
	s_lshl_b64 s[20:21], s[30:31], 2
	s_waitcnt lgkmcnt(0)
	s_add_u32 s25, s4, s20
	s_addc_u32 s26, s5, s21
	s_andn2_b64 vcc, exec, s[18:19]
	v_cmp_eq_u32_e64 s[4:5], 0, v0
	s_cbranch_vccnz .LBB539_12
; %bb.8:
	s_mov_b64 s[20:21], 0
                                        ; implicit-def: $vgpr1
                                        ; implicit-def: $sgpr18_sgpr19
	s_and_saveexec_b64 s[22:23], s[4:5]
	s_cbranch_execz .LBB539_13
; %bb.9:
	s_ashr_i32 s8, s2, 31
	s_mul_i32 s9, s2, s7
	s_mul_hi_u32 s18, s2, s6
	v_cmp_eq_f32_e64 s[4:5], s3, 0
	s_add_i32 s9, s18, s9
	s_mul_i32 s8, s8, s6
	v_mov_b32_e32 v1, 0
	s_add_i32 s19, s9, s8
	s_mul_i32 s18, s2, s6
	s_and_b64 vcc, exec, s[4:5]
	s_cbranch_vccnz .LBB539_11
; %bb.10:
	s_lshl_b64 s[4:5], s[18:19], 2
	s_add_u32 s4, s25, s4
	s_addc_u32 s5, s26, s5
	s_load_dword s4, s[4:5], 0x0
	v_mov_b32_e32 v1, s3
	s_waitcnt lgkmcnt(0)
	v_mul_f32_e32 v1, s4, v1
.LBB539_11:
	s_mov_b64 s[8:9], exec
	s_or_b64 exec, exec, s[22:23]
	s_and_b64 vcc, exec, s[20:21]
	s_cbranch_vccnz .LBB539_14
	s_branch .LBB539_33
.LBB539_12:
                                        ; implicit-def: $vgpr1
                                        ; implicit-def: $sgpr18_sgpr19
	s_cbranch_execnz .LBB539_14
	s_branch .LBB539_33
.LBB539_13:
	s_or_b64 exec, exec, s[22:23]
	s_and_b64 vcc, exec, s[20:21]
	s_cbranch_vccz .LBB539_33
.LBB539_14:
	s_load_dword s1, s[0:1], 0x0
	s_ashr_i32 s20, s2, 31
	s_mul_i32 s0, s2, s15
	s_mul_hi_u32 s4, s2, s14
	s_add_i32 s0, s4, s0
	s_mul_i32 s4, s20, s14
	s_add_i32 s5, s0, s4
	s_mul_i32 s4, s2, s14
	s_lshl_b64 s[4:5], s[4:5], 1
	s_add_u32 s4, s4, s16
	s_addc_u32 s5, s5, s17
	s_waitcnt lgkmcnt(0)
	s_ashr_i32 s0, s1, 31
	v_cmp_gt_i32_e32 vcc, s1, v0
	s_lshr_b32 s0, s0, 22
	s_add_i32 s0, s1, s0
	v_cndmask_b32_e32 v1, 0, v0, vcc
	v_mov_b32_e32 v3, 0
	v_lshlrev_b32_e32 v2, 1, v1
	s_and_b32 s0, s0, 0xfffffc00
	v_lshl_add_u64 v[4:5], s[4:5], 0, v[2:3]
	v_cmp_gt_i32_e32 vcc, s0, v0
	s_and_saveexec_b64 s[4:5], vcc
	s_cbranch_execz .LBB539_18
; %bb.15:
	v_mad_u64_u32 v[2:3], s[14:15], s10, v0, 0
	v_mov_b32_e32 v6, v3
	v_mad_u64_u32 v[6:7], s[14:15], s11, v0, v[6:7]
	v_mov_b32_e32 v3, v6
	v_lshl_add_u64 v[6:7], v[2:3], 1, s[12:13]
	s_lshl_b64 s[16:17], s[10:11], 11
	s_mov_b64 s[14:15], 0
	v_mov_b32_e32 v3, 0
	s_mov_b64 s[18:19], 0x800
	v_mov_b64_e32 v[8:9], v[4:5]
	v_mov_b32_e32 v1, v0
.LBB539_16:                             ; =>This Inner Loop Header: Depth=1
	flat_load_ushort v2, v[8:9]
	flat_load_ushort v10, v[6:7]
	v_add_u32_e32 v1, 0x400, v1
	v_cmp_le_i32_e32 vcc, s0, v1
	v_lshl_add_u64 v[8:9], v[8:9], 0, s[18:19]
	v_lshl_add_u64 v[6:7], v[6:7], 0, s[16:17]
	s_or_b64 s[14:15], vcc, s[14:15]
	s_waitcnt vmcnt(0) lgkmcnt(0)
	v_mul_f16_e32 v2, v2, v10
	v_cvt_f32_f16_e32 v2, v2
	v_add_f32_e32 v3, v3, v2
	s_andn2_b64 exec, exec, s[14:15]
	s_cbranch_execnz .LBB539_16
; %bb.17:
	s_or_b64 exec, exec, s[14:15]
.LBB539_18:
	s_or_b64 exec, exec, s[4:5]
	v_or_b32_e32 v1, s0, v0
	v_cmp_gt_i32_e32 vcc, s1, v1
	s_and_saveexec_b64 s[4:5], vcc
	s_cbranch_execz .LBB539_20
; %bb.19:
	s_ashr_i32 s1, s0, 31
	v_lshl_add_u64 v[4:5], s[0:1], 1, v[4:5]
	flat_load_ushort v2, v[4:5]
	v_ashrrev_i32_e32 v4, 31, v1
	v_mul_lo_u32 v6, v1, s11
	v_mul_lo_u32 v7, v4, s10
	v_mad_u64_u32 v[4:5], s[0:1], v1, s10, 0
	v_add3_u32 v5, v5, v6, v7
	v_lshl_add_u64 v[4:5], v[4:5], 1, s[12:13]
	flat_load_ushort v1, v[4:5]
	s_waitcnt vmcnt(0) lgkmcnt(0)
	v_mul_f16_e32 v1, v2, v1
	v_cvt_f32_f16_e32 v1, v1
	v_add_f32_e32 v3, v3, v1
.LBB539_20:
	s_or_b64 exec, exec, s[4:5]
	v_and_b32_e32 v2, 63, v0
	v_cmp_gt_u32_e32 vcc, 64, v0
	v_lshlrev_b32_e32 v1, 2, v2
	s_and_saveexec_b64 s[0:1], vcc
	s_cbranch_execz .LBB539_22
; %bb.21:
	v_mov_b32_e32 v4, 0
	ds_write_b32 v1, v4
.LBB539_22:
	s_or_b64 exec, exec, s[0:1]
	v_mbcnt_lo_u32_b32 v4, -1, 0
	v_mbcnt_hi_u32_b32 v6, -1, v4
	v_and_b32_e32 v7, 63, v6
	v_cmp_gt_u32_e64 s[0:1], 32, v7
	s_waitcnt lgkmcnt(0)
	s_barrier
	v_cndmask_b32_e64 v4, 0, 1, s[0:1]
	v_lshlrev_b32_e32 v4, 5, v4
	v_add_lshl_u32 v4, v4, v6, 2
	ds_bpermute_b32 v4, v4, v3
	v_cmp_gt_u32_e64 s[0:1], 48, v7
	s_waitcnt lgkmcnt(0)
	v_add_f32_e32 v3, v3, v4
	v_cndmask_b32_e64 v5, 0, 1, s[0:1]
	v_lshlrev_b32_e32 v5, 4, v5
	v_add_lshl_u32 v4, v5, v6, 2
	ds_bpermute_b32 v4, v4, v3
	v_cmp_gt_u32_e64 s[0:1], 56, v7
	s_waitcnt lgkmcnt(0)
	v_add_f32_e32 v4, v3, v4
	;; [unrolled: 7-line block ×4, first 2 shown]
	v_cndmask_b32_e64 v9, 0, 1, s[0:1]
	v_lshlrev_b32_e32 v9, 1, v9
	v_add_lshl_u32 v5, v9, v6, 2
	ds_bpermute_b32 v9, v5, v8
	v_cmp_ne_u32_e64 s[0:1], 63, v7
	s_waitcnt lgkmcnt(0)
	v_add_f32_e32 v7, v8, v9
	v_addc_co_u32_e64 v6, s[0:1], 0, v6, s[0:1]
	v_lshlrev_b32_e32 v6, 2, v6
	ds_bpermute_b32 v8, v6, v7
	v_cmp_eq_u32_e64 s[0:1], 0, v2
	s_and_saveexec_b64 s[4:5], s[0:1]
	s_cbranch_execz .LBB539_24
; %bb.23:
	v_lshrrev_b32_e32 v2, 4, v0
	v_and_b32_e32 v2, 60, v2
	s_waitcnt lgkmcnt(0)
	v_add_f32_e32 v7, v7, v8
	ds_write_b32 v2, v7
.LBB539_24:
	s_or_b64 exec, exec, s[4:5]
	v_cmp_gt_u32_e64 s[0:1], 16, v0
	v_mov_b32_e32 v2, 0
	s_waitcnt lgkmcnt(0)
	s_barrier
	s_and_saveexec_b64 s[4:5], s[0:1]
	s_cbranch_execz .LBB539_26
; %bb.25:
	ds_read_b32 v2, v1
	s_or_b64 exec, exec, s[4:5]
	s_and_saveexec_b64 s[0:1], vcc
	s_cbranch_execz .LBB539_28
	s_branch .LBB539_27
.LBB539_26:
	s_or_b64 exec, exec, s[4:5]
	s_and_saveexec_b64 s[0:1], vcc
	s_cbranch_execz .LBB539_28
.LBB539_27:
	s_waitcnt lgkmcnt(0)
	ds_bpermute_b32 v1, v3, v2
	s_waitcnt lgkmcnt(0)
	v_add_f32_e32 v1, v2, v1
	ds_bpermute_b32 v2, v4, v1
	s_waitcnt lgkmcnt(0)
	v_add_f32_e32 v1, v1, v2
	ds_bpermute_b32 v2, v5, v1
	s_waitcnt lgkmcnt(0)
	v_add_f32_e32 v1, v1, v2
	ds_bpermute_b32 v2, v6, v1
	s_waitcnt lgkmcnt(0)
	v_add_f32_e32 v2, v1, v2
.LBB539_28:
	s_or_b64 exec, exec, s[0:1]
	v_cmp_eq_u32_e32 vcc, 0, v0
                                        ; implicit-def: $vgpr1
                                        ; implicit-def: $sgpr18_sgpr19
	s_and_saveexec_b64 s[0:1], vcc
	s_cbranch_execz .LBB539_32
; %bb.29:
	s_mul_i32 s7, s2, s7
	s_mul_hi_u32 s10, s2, s6
	v_cmp_eq_f32_e64 s[4:5], s3, 0
	s_add_i32 s7, s10, s7
	s_mul_i32 s10, s20, s6
	s_waitcnt lgkmcnt(0)
	v_mul_f32_e32 v1, s24, v2
	s_add_i32 s19, s7, s10
	s_mul_i32 s18, s2, s6
	s_and_b64 vcc, exec, s[4:5]
	s_cbranch_vccnz .LBB539_31
; %bb.30:
	s_lshl_b64 s[4:5], s[18:19], 2
	s_add_u32 s4, s25, s4
	s_addc_u32 s5, s26, s5
	s_load_dword s2, s[4:5], 0x0
	v_mov_b32_e32 v0, s3
	s_waitcnt lgkmcnt(0)
	v_fmac_f32_e32 v1, s2, v0
.LBB539_31:
	s_or_b64 s[8:9], s[8:9], exec
.LBB539_32:
	s_or_b64 exec, exec, s[0:1]
.LBB539_33:
	s_and_saveexec_b64 s[0:1], s[8:9]
	s_cbranch_execz .LBB539_35
; %bb.34:
	s_lshl_b64 s[0:1], s[18:19], 2
	s_add_u32 s0, s25, s0
	s_addc_u32 s1, s26, s1
	v_mov_b32_e32 v0, 0
	global_store_dword v0, v1, s[0:1]
.LBB539_35:
	s_endpgm
	.section	.rodata,"a",@progbits
	.p2align	6, 0x0
	.amdhsa_kernel _ZL32rocblas_gemvt_warp_reduce_kernelILb1ELi1024ElPKDF16_fKPfEviiT3_lPKT2_lT1_lS7_lS8_lS4_lPT4_lS8_li
		.amdhsa_group_segment_fixed_size 256
		.amdhsa_private_segment_fixed_size 0
		.amdhsa_kernarg_size 140
		.amdhsa_user_sgpr_count 2
		.amdhsa_user_sgpr_dispatch_ptr 0
		.amdhsa_user_sgpr_queue_ptr 0
		.amdhsa_user_sgpr_kernarg_segment_ptr 1
		.amdhsa_user_sgpr_dispatch_id 0
		.amdhsa_user_sgpr_kernarg_preload_length 0
		.amdhsa_user_sgpr_kernarg_preload_offset 0
		.amdhsa_user_sgpr_private_segment_size 0
		.amdhsa_uses_dynamic_stack 0
		.amdhsa_enable_private_segment 0
		.amdhsa_system_sgpr_workgroup_id_x 1
		.amdhsa_system_sgpr_workgroup_id_y 0
		.amdhsa_system_sgpr_workgroup_id_z 1
		.amdhsa_system_sgpr_workgroup_info 0
		.amdhsa_system_vgpr_workitem_id 0
		.amdhsa_next_free_vgpr 11
		.amdhsa_next_free_sgpr 32
		.amdhsa_accum_offset 12
		.amdhsa_reserve_vcc 1
		.amdhsa_float_round_mode_32 0
		.amdhsa_float_round_mode_16_64 0
		.amdhsa_float_denorm_mode_32 3
		.amdhsa_float_denorm_mode_16_64 3
		.amdhsa_dx10_clamp 1
		.amdhsa_ieee_mode 1
		.amdhsa_fp16_overflow 0
		.amdhsa_tg_split 0
		.amdhsa_exception_fp_ieee_invalid_op 0
		.amdhsa_exception_fp_denorm_src 0
		.amdhsa_exception_fp_ieee_div_zero 0
		.amdhsa_exception_fp_ieee_overflow 0
		.amdhsa_exception_fp_ieee_underflow 0
		.amdhsa_exception_fp_ieee_inexact 0
		.amdhsa_exception_int_div_zero 0
	.end_amdhsa_kernel
	.section	.text._ZL32rocblas_gemvt_warp_reduce_kernelILb1ELi1024ElPKDF16_fKPfEviiT3_lPKT2_lT1_lS7_lS8_lS4_lPT4_lS8_li,"axG",@progbits,_ZL32rocblas_gemvt_warp_reduce_kernelILb1ELi1024ElPKDF16_fKPfEviiT3_lPKT2_lT1_lS7_lS8_lS4_lPT4_lS8_li,comdat
.Lfunc_end539:
	.size	_ZL32rocblas_gemvt_warp_reduce_kernelILb1ELi1024ElPKDF16_fKPfEviiT3_lPKT2_lT1_lS7_lS8_lS4_lPT4_lS8_li, .Lfunc_end539-_ZL32rocblas_gemvt_warp_reduce_kernelILb1ELi1024ElPKDF16_fKPfEviiT3_lPKT2_lT1_lS7_lS8_lS4_lPT4_lS8_li
                                        ; -- End function
	.section	.AMDGPU.csdata,"",@progbits
; Kernel info:
; codeLenInByte = 1404
; NumSgprs: 38
; NumVgprs: 11
; NumAgprs: 0
; TotalNumVgprs: 11
; ScratchSize: 0
; MemoryBound: 0
; FloatMode: 240
; IeeeMode: 1
; LDSByteSize: 256 bytes/workgroup (compile time only)
; SGPRBlocks: 4
; VGPRBlocks: 1
; NumSGPRsForWavesPerEU: 38
; NumVGPRsForWavesPerEU: 11
; AccumOffset: 12
; Occupancy: 8
; WaveLimiterHint : 1
; COMPUTE_PGM_RSRC2:SCRATCH_EN: 0
; COMPUTE_PGM_RSRC2:USER_SGPR: 2
; COMPUTE_PGM_RSRC2:TRAP_HANDLER: 0
; COMPUTE_PGM_RSRC2:TGID_X_EN: 1
; COMPUTE_PGM_RSRC2:TGID_Y_EN: 0
; COMPUTE_PGM_RSRC2:TGID_Z_EN: 1
; COMPUTE_PGM_RSRC2:TIDIG_COMP_CNT: 0
; COMPUTE_PGM_RSRC3_GFX90A:ACCUM_OFFSET: 2
; COMPUTE_PGM_RSRC3_GFX90A:TG_SPLIT: 0
	.section	.text._ZL34rocblas_gemvn_sm_mn_batched_kernelILi32ELi24E16rocblas_bfloat16PKfS0_EviiT2_lPKT1_lilS6_lilS3_lPT3_lili,"axG",@progbits,_ZL34rocblas_gemvn_sm_mn_batched_kernelILi32ELi24E16rocblas_bfloat16PKfS0_EviiT2_lPKT1_lilS6_lilS3_lPT3_lili,comdat
	.globl	_ZL34rocblas_gemvn_sm_mn_batched_kernelILi32ELi24E16rocblas_bfloat16PKfS0_EviiT2_lPKT1_lilS6_lilS3_lPT3_lili ; -- Begin function _ZL34rocblas_gemvn_sm_mn_batched_kernelILi32ELi24E16rocblas_bfloat16PKfS0_EviiT2_lPKT1_lilS6_lilS3_lPT3_lili
	.p2align	8
	.type	_ZL34rocblas_gemvn_sm_mn_batched_kernelILi32ELi24E16rocblas_bfloat16PKfS0_EviiT2_lPKT1_lilS6_lilS3_lPT3_lili,@function
_ZL34rocblas_gemvn_sm_mn_batched_kernelILi32ELi24E16rocblas_bfloat16PKfS0_EviiT2_lPKT1_lilS6_lilS3_lPT3_lili: ; @_ZL34rocblas_gemvn_sm_mn_batched_kernelILi32ELi24E16rocblas_bfloat16PKfS0_EviiT2_lPKT1_lilS6_lilS3_lPT3_lili
; %bb.0:
	s_load_dword s3, s[0:1], 0x9c
	s_load_dword s4, s[0:1], 0x88
	v_bfe_u32 v7, v0, 10, 10
	s_waitcnt lgkmcnt(0)
	s_lshr_b32 s3, s3, 16
	s_mul_i32 s2, s2, s3
	v_add_u32_e32 v1, s2, v7
	v_cmp_gt_i32_e32 vcc, s4, v1
	s_and_saveexec_b64 s[2:3], vcc
	s_cbranch_execz .LBB540_131
; %bb.1:
	s_load_dwordx8 s[4:11], s[0:1], 0x8
	s_load_dwordx8 s[12:19], s[0:1], 0x50
	s_waitcnt lgkmcnt(0)
	v_mad_u64_u32 v[4:5], s[2:3], v1, s6, 0
	v_mov_b32_e32 v6, v5
	v_mad_u64_u32 v[10:11], s[2:3], v1, s7, v[6:7]
	v_mov_b32_e32 v2, s4
	v_mov_b32_e32 v3, s5
	v_mov_b32_e32 v5, v10
	v_lshl_add_u64 v[2:3], v[4:5], 2, v[2:3]
	global_load_dword v5, v[2:3], off
	v_mad_u64_u32 v[2:3], s[2:3], v1, s16, 0
	v_mov_b32_e32 v4, v3
	v_mov_b32_e32 v8, s14
	v_mov_b32_e32 v9, s15
	s_waitcnt vmcnt(0)
	v_mad_u64_u32 v[10:11], s[2:3], v1, s17, v[4:5]
	v_mov_b32_e32 v3, v10
	v_lshl_add_u64 v[2:3], v[2:3], 2, v[8:9]
	global_load_dword v4, v[2:3], off
	v_cmp_neq_f32_e32 vcc, 0, v5
	s_waitcnt vmcnt(0)
	v_cmp_neq_f32_e64 s[2:3], 1.0, v4
	s_or_b64 s[2:3], vcc, s[2:3]
	s_and_b64 exec, exec, s[2:3]
	s_cbranch_execz .LBB540_131
; %bb.2:
	s_load_dwordx2 s[2:3], s[0:1], 0x80
	s_load_dword s33, s[0:1], 0x78
	s_load_dwordx2 s[4:5], s[0:1], 0x70
	s_load_dwordx2 s[14:15], s[0:1], 0x0
	v_cmp_eq_f32_e32 vcc, 0, v5
	s_waitcnt lgkmcnt(0)
	v_mad_u64_u32 v[2:3], s[6:7], v1, s2, 0
	v_mov_b32_e32 v6, v3
	v_mad_u64_u32 v[8:9], s[2:3], v1, s3, v[6:7]
	s_lshl_b64 s[2:3], s[4:5], 1
	s_add_u32 s2, s2, s18
	v_mov_b32_e32 v3, v8
	s_addc_u32 s3, s3, s19
	v_lshl_add_u64 v[2:3], v[2:3], 1, s[2:3]
	v_and_b32_e32 v6, 0x3ff, v0
	s_and_saveexec_b64 s[2:3], vcc
	s_xor_b64 s[4:5], exec, s[2:3]
	s_cbranch_execz .LBB540_16
; %bb.3:
	v_cmp_eq_f32_e64 s[2:3], 0, v4
	v_cmp_gt_i32_e32 vcc, s14, v6
	s_and_saveexec_b64 s[6:7], s[2:3]
	s_xor_b64 s[2:3], exec, s[6:7]
	s_cbranch_execz .LBB540_7
; %bb.4:
	s_and_saveexec_b64 s[6:7], vcc
	s_cbranch_execz .LBB540_6
; %bb.5:
	v_mad_i64_i32 v[0:1], s[16:17], s33, v6, 0
	v_lshl_add_u64 v[0:1], v[0:1], 1, v[2:3]
	v_mov_b32_e32 v2, 0
	global_store_short v[0:1], v2, off
.LBB540_6:
	s_or_b64 exec, exec, s[6:7]
                                        ; implicit-def: $vgpr6
                                        ; implicit-def: $vgpr2_vgpr3
                                        ; implicit-def: $vgpr4
.LBB540_7:
	s_andn2_saveexec_b64 s[2:3], s[2:3]
	s_cbranch_execz .LBB540_15
; %bb.8:
	s_and_saveexec_b64 s[6:7], vcc
	s_cbranch_execz .LBB540_14
; %bb.9:
	v_mad_i64_i32 v[0:1], s[16:17], s33, v6, 0
	v_lshl_add_u64 v[0:1], v[0:1], 1, v[2:3]
	global_load_ushort v2, v[0:1], off
	s_mov_b32 s16, 0x7f800000
	s_waitcnt vmcnt(0)
	v_lshlrev_b32_e32 v2, 16, v2
	v_mul_f32_e32 v2, v4, v2
	v_and_b32_e32 v3, 0x7f800000, v2
	v_cmp_ne_u32_e32 vcc, s16, v3
                                        ; implicit-def: $vgpr3
	s_and_saveexec_b64 s[16:17], vcc
	s_xor_b64 s[16:17], exec, s[16:17]
; %bb.10:
	v_bfe_u32 v3, v2, 16, 1
	s_movk_i32 s18, 0x7fff
	v_add3_u32 v3, v2, v3, s18
                                        ; implicit-def: $vgpr2
; %bb.11:
	s_andn2_saveexec_b64 s[16:17], s[16:17]
; %bb.12:
	v_mov_b32_e32 v3, 0
	v_or_b32_e32 v4, 0x10000, v2
	v_cmp_eq_u32_sdwa vcc, v2, v3 src0_sel:WORD_0 src1_sel:DWORD
	s_nop 1
	v_cndmask_b32_e32 v3, v4, v2, vcc
; %bb.13:
	s_or_b64 exec, exec, s[16:17]
	global_store_short_d16_hi v[0:1], v3, off
.LBB540_14:
	s_or_b64 exec, exec, s[6:7]
.LBB540_15:
	s_or_b64 exec, exec, s[2:3]
                                        ; implicit-def: $vgpr6
                                        ; implicit-def: $vgpr2_vgpr3
                                        ; implicit-def: $vgpr7
                                        ; implicit-def: $vgpr1
                                        ; implicit-def: $vgpr5
                                        ; implicit-def: $vgpr4
.LBB540_16:
	s_andn2_saveexec_b64 s[2:3], s[4:5]
	s_cbranch_execz .LBB540_131
; %bb.17:
	s_load_dwordx4 s[4:7], s[0:1], 0x30
	s_load_dwordx2 s[16:17], s[0:1], 0x40
	v_lshlrev_b32_e32 v7, 7, v7
	v_cmp_gt_i32_e32 vcc, s15, v6
	s_and_saveexec_b64 s[2:3], vcc
	s_cbranch_execz .LBB540_23
; %bb.18:
	v_mad_u64_u32 v[8:9], s[18:19], v1, s12, 0
	v_mov_b32_e32 v0, v9
	v_mad_u64_u32 v[10:11], s[12:13], v1, s13, v[0:1]
	s_waitcnt lgkmcnt(0)
	s_lshl_b64 s[12:13], s[16:17], 1
	s_load_dword s16, s[0:1], 0x48
	s_add_u32 s6, s12, s6
	v_mov_b32_e32 v9, v10
	s_addc_u32 s7, s13, s7
	v_lshl_add_u64 v[8:9], v[8:9], 1, s[6:7]
	s_waitcnt lgkmcnt(0)
	v_mad_i64_i32 v[10:11], s[6:7], s16, v6, 0
	v_lshl_add_u64 v[8:9], v[10:11], 1, v[8:9]
	global_load_ushort v0, v[8:9], off
	s_mov_b32 s6, 0x7f800000
	s_waitcnt vmcnt(0)
	v_lshlrev_b32_e32 v0, 16, v0
	v_mul_f32_e32 v0, v5, v0
	v_and_b32_e32 v5, 0x7f800000, v0
	v_cmp_ne_u32_e32 vcc, s6, v5
                                        ; implicit-def: $vgpr5
	s_and_saveexec_b64 s[6:7], vcc
	s_xor_b64 s[6:7], exec, s[6:7]
; %bb.19:
	v_bfe_u32 v5, v0, 16, 1
	s_movk_i32 s12, 0x7fff
	v_add3_u32 v5, v0, v5, s12
                                        ; implicit-def: $vgpr0
; %bb.20:
	s_andn2_saveexec_b64 s[6:7], s[6:7]
; %bb.21:
	v_mov_b32_e32 v5, 0
	v_or_b32_e32 v8, 0x10000, v0
	v_cmp_eq_u32_sdwa vcc, v0, v5 src0_sel:WORD_0 src1_sel:DWORD
	s_nop 1
	v_cndmask_b32_e32 v5, v8, v0, vcc
; %bb.22:
	s_or_b64 exec, exec, s[6:7]
	v_and_b32_e32 v0, 0xffff0000, v5
	v_lshl_add_u32 v5, v6, 2, v7
	ds_write_b32 v5, v0
.LBB540_23:
	s_or_b64 exec, exec, s[2:3]
	v_cmp_gt_i32_e32 vcc, s14, v6
	s_waitcnt lgkmcnt(0)
	s_barrier
	s_and_saveexec_b64 s[2:3], vcc
	s_cbranch_execz .LBB540_131
; %bb.24:
	v_cmp_neq_f32_e32 vcc, 0, v4
	v_mov_b32_e32 v8, 0
	s_and_saveexec_b64 s[2:3], vcc
	s_cbranch_execz .LBB540_30
; %bb.25:
	v_mad_i64_i32 v[8:9], s[6:7], s33, v6, 0
	v_lshl_add_u64 v[8:9], v[8:9], 1, v[2:3]
	global_load_ushort v0, v[8:9], off
	s_mov_b32 s6, 0x7f800000
	s_waitcnt vmcnt(0)
	v_lshlrev_b32_e32 v0, 16, v0
	v_mul_f32_e32 v0, v4, v0
	v_and_b32_e32 v4, 0x7f800000, v0
	v_cmp_ne_u32_e32 vcc, s6, v4
                                        ; implicit-def: $vgpr4
	s_and_saveexec_b64 s[6:7], vcc
	s_xor_b64 s[6:7], exec, s[6:7]
; %bb.26:
	v_bfe_u32 v4, v0, 16, 1
	s_movk_i32 s12, 0x7fff
	v_add3_u32 v4, v0, v4, s12
                                        ; implicit-def: $vgpr0
; %bb.27:
	s_andn2_saveexec_b64 s[6:7], s[6:7]
; %bb.28:
	v_mov_b32_e32 v4, 0
	v_or_b32_e32 v5, 0x10000, v0
	v_cmp_eq_u32_sdwa vcc, v0, v4 src0_sel:WORD_0 src1_sel:DWORD
	s_nop 1
	v_cndmask_b32_e32 v4, v5, v0, vcc
; %bb.29:
	s_or_b64 exec, exec, s[6:7]
	v_and_b32_e32 v8, 0xffff0000, v4
.LBB540_30:
	s_or_b64 exec, exec, s[2:3]
	v_mad_u64_u32 v[4:5], s[2:3], v1, s4, 0
	v_mov_b32_e32 v0, v5
	v_mad_u64_u32 v[0:1], s[2:3], v1, s5, v[0:1]
	s_lshl_b64 s[2:3], s[10:11], 1
	s_add_u32 s2, s2, s8
	v_mov_b32_e32 v5, v0
	s_addc_u32 s3, s3, s9
	v_lshl_add_u64 v[4:5], v[4:5], 1, s[2:3]
	v_lshlrev_b32_e32 v0, 1, v6
	v_mov_b32_e32 v1, 0
	s_cmp_gt_i32 s15, 0
	v_lshl_add_u64 v[4:5], v[4:5], 0, v[0:1]
	s_cselect_b64 s[2:3], -1, 0
	s_cmp_lt_i32 s15, 1
	v_mov_b32_e32 v12, 0
	s_cbranch_scc1 .LBB540_32
; %bb.31:
	global_load_ushort v0, v[4:5], off
	s_waitcnt vmcnt(0)
	v_lshlrev_b32_e32 v12, 16, v0
.LBB540_32:
	s_load_dword s38, s[0:1], 0x28
	s_waitcnt lgkmcnt(0)
	s_ashr_i32 s39, s38, 31
	s_cmp_gt_i32 s15, 1
	s_cselect_b64 s[0:1], -1, 0
	s_cmp_lt_i32 s15, 2
	s_cbranch_scc1 .LBB540_34
; %bb.33:
	v_lshl_add_u64 v[0:1], s[38:39], 1, v[4:5]
	global_load_ushort v0, v[0:1], off
	s_waitcnt vmcnt(0)
	v_lshlrev_b32_e32 v1, 16, v0
.LBB540_34:
	s_cmp_gt_i32 s15, 2
	s_cselect_b64 s[4:5], -1, 0
	s_cmp_lt_i32 s15, 3
	v_mov_b32_e32 v0, 0
	v_mov_b32_e32 v16, 0
	s_cbranch_scc1 .LBB540_36
; %bb.35:
	v_lshl_add_u64 v[10:11], s[38:39], 2, v[4:5]
	global_load_ushort v9, v[10:11], off
	s_waitcnt vmcnt(0)
	v_lshlrev_b32_e32 v16, 16, v9
.LBB540_36:
	s_cmp_gt_i32 s15, 3
	s_cselect_b64 s[6:7], -1, 0
	s_cmp_lt_i32 s15, 4
	s_cbranch_scc1 .LBB540_38
; %bb.37:
	v_mad_i64_i32 v[10:11], s[8:9], s38, 6, v[4:5]
	global_load_ushort v0, v[10:11], off
	s_waitcnt vmcnt(0)
	v_lshlrev_b32_e32 v0, 16, v0
.LBB540_38:
	s_cmp_gt_i32 s15, 4
	s_cselect_b64 s[8:9], -1, 0
	s_cmp_lt_i32 s15, 5
	v_mov_b32_e32 v9, 0
	v_mov_b32_e32 v18, 0
	s_cbranch_scc1 .LBB540_40
; %bb.39:
	v_lshl_add_u64 v[10:11], s[38:39], 3, v[4:5]
	global_load_ushort v10, v[10:11], off
	s_waitcnt vmcnt(0)
	v_lshlrev_b32_e32 v18, 16, v10
.LBB540_40:
	s_cmp_gt_i32 s15, 5
	s_cselect_b64 s[10:11], -1, 0
	s_cmp_lt_i32 s15, 6
	s_cbranch_scc1 .LBB540_42
; %bb.41:
	v_mad_i64_i32 v[10:11], s[12:13], s38, 10, v[4:5]
	global_load_ushort v9, v[10:11], off
	s_waitcnt vmcnt(0)
	v_lshlrev_b32_e32 v9, 16, v9
.LBB540_42:
	s_cmp_gt_i32 s15, 6
	s_cselect_b64 s[12:13], -1, 0
	s_cmp_lt_i32 s15, 7
	v_mov_b32_e32 v10, 0
	v_mov_b32_e32 v19, 0
	s_cbranch_scc1 .LBB540_44
; %bb.43:
	v_mad_i64_i32 v[14:15], s[16:17], s38, 12, v[4:5]
	global_load_ushort v11, v[14:15], off
	s_waitcnt vmcnt(0)
	v_lshlrev_b32_e32 v19, 16, v11
.LBB540_44:
	s_cmp_gt_i32 s15, 7
	s_cselect_b64 s[16:17], -1, 0
	s_cmp_lt_i32 s15, 8
	s_cbranch_scc1 .LBB540_46
; %bb.45:
	v_mad_i64_i32 v[10:11], s[18:19], s38, 14, v[4:5]
	global_load_ushort v10, v[10:11], off
	s_waitcnt vmcnt(0)
	v_lshlrev_b32_e32 v10, 16, v10
.LBB540_46:
	s_cmp_gt_i32 s15, 8
	s_cselect_b64 s[18:19], -1, 0
	s_cmp_lt_i32 s15, 9
	v_mov_b32_e32 v11, 0
	v_mov_b32_e32 v21, 0
	s_cbranch_scc1 .LBB540_48
; %bb.47:
	v_lshl_add_u64 v[14:15], s[38:39], 4, v[4:5]
	global_load_ushort v13, v[14:15], off
	s_waitcnt vmcnt(0)
	v_lshlrev_b32_e32 v21, 16, v13
.LBB540_48:
	s_cmp_gt_i32 s15, 9
	s_cselect_b64 s[20:21], -1, 0
	s_cmp_lt_i32 s15, 10
	s_cbranch_scc1 .LBB540_50
; %bb.49:
	v_mad_i64_i32 v[14:15], s[22:23], s38, 18, v[4:5]
	global_load_ushort v11, v[14:15], off
	s_waitcnt vmcnt(0)
	v_lshlrev_b32_e32 v11, 16, v11
.LBB540_50:
	s_cmp_gt_i32 s15, 10
	s_cselect_b64 s[22:23], -1, 0
	s_cmp_lt_i32 s15, 11
	v_mov_b32_e32 v13, 0
	v_mov_b32_e32 v23, 0
	s_cbranch_scc1 .LBB540_52
; %bb.51:
	v_mad_i64_i32 v[14:15], s[24:25], s38, 20, v[4:5]
	global_load_ushort v14, v[14:15], off
	s_waitcnt vmcnt(0)
	v_lshlrev_b32_e32 v23, 16, v14
.LBB540_52:
	s_cmp_gt_i32 s15, 11
	s_cselect_b64 s[24:25], -1, 0
	s_cmp_lt_i32 s15, 12
	s_cbranch_scc1 .LBB540_54
; %bb.53:
	v_mad_i64_i32 v[14:15], s[26:27], s38, 22, v[4:5]
	global_load_ushort v13, v[14:15], off
	s_waitcnt vmcnt(0)
	v_lshlrev_b32_e32 v13, 16, v13
.LBB540_54:
	s_cmp_gt_i32 s15, 12
	s_cselect_b64 s[26:27], -1, 0
	s_cmp_lt_i32 s15, 13
	v_mov_b32_e32 v14, 0
	v_mov_b32_e32 v25, 0
	s_cbranch_scc1 .LBB540_56
; %bb.55:
	v_mad_i64_i32 v[24:25], s[28:29], s38, 24, v[4:5]
	global_load_ushort v15, v[24:25], off
	s_waitcnt vmcnt(0)
	v_lshlrev_b32_e32 v25, 16, v15
.LBB540_56:
	;; [unrolled: 22-line block ×3, first 2 shown]
	s_cmp_gt_i32 s15, 15
	s_cselect_b64 s[34:35], -1, 0
	s_cmp_lt_i32 s15, 16
	s_cbranch_scc1 .LBB540_62
; %bb.61:
	v_mad_i64_i32 v[28:29], s[36:37], s38, 30, v[4:5]
	global_load_ushort v15, v[28:29], off
	s_waitcnt vmcnt(0)
	v_lshlrev_b32_e32 v15, 16, v15
.LBB540_62:
	s_cmp_gt_i32 s15, 16
	s_cselect_b64 s[36:37], -1, 0
	s_cmp_lt_i32 s15, 17
	v_mov_b32_e32 v17, 0
	v_mov_b32_e32 v30, 0
	s_cbranch_scc1 .LBB540_64
; %bb.63:
	s_lshl_b64 s[40:41], s[38:39], 5
	v_lshl_add_u64 v[28:29], v[4:5], 0, s[40:41]
	global_load_ushort v20, v[28:29], off
	s_waitcnt vmcnt(0)
	v_lshlrev_b32_e32 v30, 16, v20
.LBB540_64:
	s_cmp_gt_i32 s15, 17
	s_cselect_b64 s[40:41], -1, 0
	s_cmp_lt_i32 s15, 18
	s_cbranch_scc1 .LBB540_66
; %bb.65:
	v_mad_i64_i32 v[28:29], s[42:43], s38, 34, v[4:5]
	global_load_ushort v17, v[28:29], off
	s_waitcnt vmcnt(0)
	v_lshlrev_b32_e32 v17, 16, v17
.LBB540_66:
	s_cmp_gt_i32 s15, 18
	s_cselect_b64 s[42:43], -1, 0
	s_cmp_lt_i32 s15, 19
	v_mov_b32_e32 v20, 0
	v_mov_b32_e32 v32, 0
	s_cbranch_scc1 .LBB540_68
; %bb.67:
	v_mad_i64_i32 v[28:29], s[44:45], s38, 36, v[4:5]
	global_load_ushort v22, v[28:29], off
	s_waitcnt vmcnt(0)
	v_lshlrev_b32_e32 v32, 16, v22
.LBB540_68:
	s_cmp_gt_i32 s15, 19
	s_cselect_b64 s[44:45], -1, 0
	s_cmp_lt_i32 s15, 20
	s_cbranch_scc1 .LBB540_70
; %bb.69:
	v_mad_i64_i32 v[28:29], s[46:47], s38, 38, v[4:5]
	global_load_ushort v20, v[28:29], off
	s_waitcnt vmcnt(0)
	v_lshlrev_b32_e32 v20, 16, v20
.LBB540_70:
	s_cmp_gt_i32 s15, 20
	s_cselect_b64 s[46:47], -1, 0
	s_cmp_lt_i32 s15, 21
	v_mov_b32_e32 v22, 0
	v_mov_b32_e32 v33, 0
	s_cbranch_scc1 .LBB540_72
; %bb.71:
	v_mad_i64_i32 v[28:29], s[48:49], s38, 40, v[4:5]
	global_load_ushort v24, v[28:29], off
	s_waitcnt vmcnt(0)
	v_lshlrev_b32_e32 v33, 16, v24
.LBB540_72:
	s_cmp_gt_i32 s15, 21
	s_cselect_b64 s[48:49], -1, 0
	s_cmp_lt_i32 s15, 22
	s_cbranch_scc1 .LBB540_74
; %bb.73:
	v_mad_i64_i32 v[28:29], s[50:51], s38, 42, v[4:5]
	global_load_ushort v22, v[28:29], off
	s_waitcnt vmcnt(0)
	v_lshlrev_b32_e32 v22, 16, v22
.LBB540_74:
	s_cmp_gt_i32 s15, 22
	s_cselect_b64 s[50:51], -1, 0
	s_cmp_lt_i32 s15, 23
	v_mov_b32_e32 v24, 0
	v_mov_b32_e32 v34, 0
	s_cbranch_scc1 .LBB540_76
; %bb.75:
	v_mad_i64_i32 v[28:29], s[52:53], s38, 44, v[4:5]
	global_load_ushort v26, v[28:29], off
	s_waitcnt vmcnt(0)
	v_lshlrev_b32_e32 v34, 16, v26
.LBB540_76:
	s_cmp_gt_i32 s15, 23
	s_cselect_b64 s[52:53], -1, 0
	s_cmp_lt_i32 s15, 24
	s_cbranch_scc1 .LBB540_78
; %bb.77:
	v_mad_i64_i32 v[28:29], s[54:55], s38, 46, v[4:5]
	global_load_ushort v24, v[28:29], off
	s_waitcnt vmcnt(0)
	v_lshlrev_b32_e32 v24, 16, v24
.LBB540_78:
	s_cmp_gt_i32 s15, 24
	s_cselect_b64 s[54:55], -1, 0
	s_cmp_lt_i32 s15, 25
	v_mov_b32_e32 v26, 0
	v_mov_b32_e32 v35, 0
	s_cbranch_scc1 .LBB540_80
; %bb.79:
	v_mad_i64_i32 v[28:29], s[56:57], s38, 48, v[4:5]
	global_load_ushort v28, v[28:29], off
	s_waitcnt vmcnt(0)
	v_lshlrev_b32_e32 v35, 16, v28
.LBB540_80:
	s_cmp_gt_i32 s15, 25
	s_cselect_b64 s[56:57], -1, 0
	s_cmp_lt_i32 s15, 26
	s_cbranch_scc1 .LBB540_82
; %bb.81:
	v_mad_i64_i32 v[28:29], s[58:59], s38, 50, v[4:5]
	global_load_ushort v26, v[28:29], off
	s_waitcnt vmcnt(0)
	v_lshlrev_b32_e32 v26, 16, v26
.LBB540_82:
	s_cmp_gt_i32 s15, 26
	s_cselect_b64 s[58:59], -1, 0
	s_cmp_lt_i32 s15, 27
	v_mov_b32_e32 v28, 0
	v_mov_b32_e32 v36, 0
	s_cbranch_scc1 .LBB540_84
; %bb.83:
	v_mad_i64_i32 v[36:37], s[60:61], s38, 52, v[4:5]
	global_load_ushort v29, v[36:37], off
	s_waitcnt vmcnt(0)
	v_lshlrev_b32_e32 v36, 16, v29
.LBB540_84:
	s_cmp_gt_i32 s15, 27
	s_cselect_b64 s[60:61], -1, 0
	s_cmp_lt_i32 s15, 28
	s_cbranch_scc1 .LBB540_86
; %bb.85:
	v_mad_i64_i32 v[28:29], s[62:63], s38, 54, v[4:5]
	global_load_ushort v28, v[28:29], off
	s_waitcnt vmcnt(0)
	v_lshlrev_b32_e32 v28, 16, v28
.LBB540_86:
	s_cmp_gt_i32 s15, 28
	s_cselect_b64 s[62:63], -1, 0
	s_cmp_lt_i32 s15, 29
	v_mov_b32_e32 v29, 0
	v_mov_b32_e32 v37, 0
	s_cbranch_scc1 .LBB540_88
; %bb.87:
	v_mad_i64_i32 v[38:39], s[64:65], s38, 56, v[4:5]
	global_load_ushort v31, v[38:39], off
	s_waitcnt vmcnt(0)
	v_lshlrev_b32_e32 v37, 16, v31
.LBB540_88:
	s_cmp_gt_i32 s15, 29
	s_cselect_b64 s[64:65], -1, 0
	s_cmp_lt_i32 s15, 30
	s_cbranch_scc1 .LBB540_90
; %bb.89:
	v_mad_i64_i32 v[38:39], s[66:67], s38, 58, v[4:5]
	global_load_ushort v29, v[38:39], off
	s_waitcnt vmcnt(0)
	v_lshlrev_b32_e32 v29, 16, v29
.LBB540_90:
	s_cmp_gt_i32 s15, 30
	s_cselect_b64 s[66:67], -1, 0
	s_cmp_lt_i32 s15, 31
	v_mov_b32_e32 v31, 0
	v_mov_b32_e32 v38, 0
	s_cbranch_scc0 .LBB540_132
; %bb.91:
	s_cmp_gt_i32 s15, 31
	s_cselect_b64 s[68:69], -1, 0
	s_cmp_lt_i32 s15, 32
	s_cbranch_scc0 .LBB540_133
.LBB540_92:
	s_and_b64 vcc, exec, s[2:3]
	v_mov_b32_e32 v4, 0
	v_mov_b32_e32 v5, 0
	s_cbranch_vccz .LBB540_94
.LBB540_93:
	ds_read_b32 v5, v7
	s_waitcnt lgkmcnt(0)
	v_mul_f32_e32 v5, v12, v5
.LBB540_94:
	s_andn2_b64 vcc, exec, s[0:1]
	s_cbranch_vccz .LBB540_134
; %bb.95:
	s_andn2_b64 vcc, exec, s[4:5]
	v_mov_b32_e32 v1, 0
	v_mov_b32_e32 v12, 0
	s_cbranch_vccz .LBB540_135
.LBB540_96:
	s_andn2_b64 vcc, exec, s[6:7]
	s_cbranch_vccz .LBB540_136
.LBB540_97:
	s_andn2_b64 vcc, exec, s[8:9]
	v_mov_b32_e32 v0, 0
	v_mov_b32_e32 v16, 0
	s_cbranch_vccz .LBB540_137
.LBB540_98:
	s_andn2_b64 vcc, exec, s[10:11]
	s_cbranch_vccz .LBB540_138
.LBB540_99:
	s_andn2_b64 vcc, exec, s[12:13]
	v_mov_b32_e32 v9, 0
	v_mov_b32_e32 v18, 0
	s_cbranch_vccz .LBB540_139
.LBB540_100:
	s_andn2_b64 vcc, exec, s[16:17]
	s_cbranch_vccz .LBB540_140
.LBB540_101:
	s_andn2_b64 vcc, exec, s[18:19]
	v_mov_b32_e32 v10, 0
	v_mov_b32_e32 v19, 0
	s_cbranch_vccz .LBB540_141
.LBB540_102:
	s_andn2_b64 vcc, exec, s[20:21]
	s_cbranch_vccz .LBB540_142
.LBB540_103:
	s_andn2_b64 vcc, exec, s[22:23]
	v_mov_b32_e32 v11, 0
	v_mov_b32_e32 v21, 0
	s_cbranch_vccz .LBB540_143
.LBB540_104:
	s_andn2_b64 vcc, exec, s[24:25]
	s_cbranch_vccz .LBB540_144
.LBB540_105:
	s_andn2_b64 vcc, exec, s[26:27]
	v_mov_b32_e32 v13, 0
	v_mov_b32_e32 v23, 0
	s_cbranch_vccz .LBB540_145
.LBB540_106:
	s_andn2_b64 vcc, exec, s[28:29]
	s_cbranch_vccz .LBB540_146
.LBB540_107:
	s_andn2_b64 vcc, exec, s[30:31]
	v_mov_b32_e32 v14, 0
	v_mov_b32_e32 v25, 0
	s_cbranch_vccz .LBB540_147
.LBB540_108:
	s_andn2_b64 vcc, exec, s[34:35]
	s_cbranch_vccz .LBB540_148
.LBB540_109:
	s_andn2_b64 vcc, exec, s[36:37]
	v_mov_b32_e32 v15, 0
	v_mov_b32_e32 v27, 0
	s_cbranch_vccz .LBB540_149
.LBB540_110:
	s_andn2_b64 vcc, exec, s[40:41]
	s_cbranch_vccz .LBB540_150
.LBB540_111:
	s_andn2_b64 vcc, exec, s[42:43]
	v_mov_b32_e32 v17, 0
	v_mov_b32_e32 v30, 0
	s_cbranch_vccz .LBB540_151
.LBB540_112:
	s_andn2_b64 vcc, exec, s[44:45]
	s_cbranch_vccz .LBB540_152
.LBB540_113:
	s_andn2_b64 vcc, exec, s[46:47]
	v_mov_b32_e32 v20, 0
	v_mov_b32_e32 v32, 0
	s_cbranch_vccz .LBB540_153
.LBB540_114:
	s_andn2_b64 vcc, exec, s[48:49]
	s_cbranch_vccz .LBB540_154
.LBB540_115:
	s_andn2_b64 vcc, exec, s[50:51]
	v_mov_b32_e32 v22, 0
	v_mov_b32_e32 v33, 0
	s_cbranch_vccz .LBB540_155
.LBB540_116:
	s_andn2_b64 vcc, exec, s[52:53]
	s_cbranch_vccz .LBB540_156
.LBB540_117:
	s_andn2_b64 vcc, exec, s[54:55]
	v_mov_b32_e32 v24, 0
	v_mov_b32_e32 v34, 0
	s_cbranch_vccz .LBB540_157
.LBB540_118:
	s_andn2_b64 vcc, exec, s[56:57]
	s_cbranch_vccz .LBB540_158
.LBB540_119:
	s_andn2_b64 vcc, exec, s[58:59]
	v_mov_b32_e32 v26, 0
	v_mov_b32_e32 v35, 0
	s_cbranch_vccz .LBB540_159
.LBB540_120:
	s_andn2_b64 vcc, exec, s[60:61]
	s_cbranch_vccz .LBB540_160
.LBB540_121:
	s_andn2_b64 vcc, exec, s[62:63]
	v_mov_b32_e32 v28, 0
	v_mov_b32_e32 v36, 0
	s_cbranch_vccz .LBB540_161
.LBB540_122:
	s_andn2_b64 vcc, exec, s[64:65]
	s_cbranch_vccz .LBB540_162
.LBB540_123:
	s_andn2_b64 vcc, exec, s[66:67]
	v_mov_b32_e32 v29, 0
	v_mov_b32_e32 v37, 0
	s_cbranch_vccz .LBB540_163
.LBB540_124:
	s_andn2_b64 vcc, exec, s[68:69]
	s_cbranch_vccnz .LBB540_126
.LBB540_125:
	ds_read_b32 v7, v7 offset:124
	s_waitcnt lgkmcnt(0)
	v_mul_f32_e32 v29, v31, v7
.LBB540_126:
	v_add_f32_e32 v5, v8, v5
	v_add_f32_e32 v4, v5, v4
	;; [unrolled: 1-line block ×32, first 2 shown]
	s_mov_b32 s0, 0x7f800000
	v_and_b32_e32 v1, 0x7f800000, v0
	v_cmp_ne_u32_e32 vcc, s0, v1
                                        ; implicit-def: $vgpr1
	s_and_saveexec_b64 s[0:1], vcc
	s_xor_b64 s[0:1], exec, s[0:1]
; %bb.127:
	v_bfe_u32 v1, v0, 16, 1
	s_movk_i32 s2, 0x7fff
	v_add3_u32 v1, v0, v1, s2
                                        ; implicit-def: $vgpr0
; %bb.128:
	s_andn2_saveexec_b64 s[0:1], s[0:1]
; %bb.129:
	v_mov_b32_e32 v1, 0
	v_or_b32_e32 v4, 0x10000, v0
	v_cmp_eq_u32_sdwa vcc, v0, v1 src0_sel:WORD_0 src1_sel:DWORD
	s_nop 1
	v_cndmask_b32_e32 v1, v4, v0, vcc
; %bb.130:
	s_or_b64 exec, exec, s[0:1]
	v_mad_i64_i32 v[4:5], s[0:1], s33, v6, 0
	v_lshl_add_u64 v[2:3], v[4:5], 1, v[2:3]
	global_store_short_d16_hi v[2:3], v1, off
.LBB540_131:
	s_endpgm
.LBB540_132:
	v_mad_i64_i32 v[38:39], s[68:69], s38, 60, v[4:5]
	global_load_ushort v38, v[38:39], off
	s_waitcnt vmcnt(0)
	v_lshlrev_b32_e32 v38, 16, v38
	s_cmp_gt_i32 s15, 31
	s_cselect_b64 s[68:69], -1, 0
	s_cmp_lt_i32 s15, 32
	s_cbranch_scc1 .LBB540_92
.LBB540_133:
	v_mad_i64_i32 v[4:5], s[14:15], s38, 62, v[4:5]
	global_load_ushort v4, v[4:5], off
	s_waitcnt vmcnt(0)
	v_lshlrev_b32_e32 v31, 16, v4
	s_and_b64 vcc, exec, s[2:3]
	v_mov_b32_e32 v4, 0
	v_mov_b32_e32 v5, 0
	s_cbranch_vccnz .LBB540_93
	s_branch .LBB540_94
.LBB540_134:
	ds_read_b32 v4, v7 offset:4
	s_waitcnt lgkmcnt(0)
	v_mul_f32_e32 v4, v1, v4
	s_andn2_b64 vcc, exec, s[4:5]
	v_mov_b32_e32 v1, 0
	v_mov_b32_e32 v12, 0
	s_cbranch_vccnz .LBB540_96
.LBB540_135:
	ds_read_b32 v12, v7 offset:8
	s_waitcnt lgkmcnt(0)
	v_mul_f32_e32 v12, v16, v12
	s_andn2_b64 vcc, exec, s[6:7]
	s_cbranch_vccnz .LBB540_97
.LBB540_136:
	ds_read_b32 v1, v7 offset:12
	s_waitcnt lgkmcnt(0)
	v_mul_f32_e32 v1, v0, v1
	s_andn2_b64 vcc, exec, s[8:9]
	v_mov_b32_e32 v0, 0
	v_mov_b32_e32 v16, 0
	s_cbranch_vccnz .LBB540_98
.LBB540_137:
	ds_read_b32 v16, v7 offset:16
	s_waitcnt lgkmcnt(0)
	v_mul_f32_e32 v16, v18, v16
	s_andn2_b64 vcc, exec, s[10:11]
	s_cbranch_vccnz .LBB540_99
.LBB540_138:
	ds_read_b32 v0, v7 offset:20
	s_waitcnt lgkmcnt(0)
	v_mul_f32_e32 v0, v9, v0
	s_andn2_b64 vcc, exec, s[12:13]
	v_mov_b32_e32 v9, 0
	v_mov_b32_e32 v18, 0
	s_cbranch_vccnz .LBB540_100
.LBB540_139:
	ds_read_b32 v18, v7 offset:24
	s_waitcnt lgkmcnt(0)
	v_mul_f32_e32 v18, v19, v18
	s_andn2_b64 vcc, exec, s[16:17]
	s_cbranch_vccnz .LBB540_101
.LBB540_140:
	ds_read_b32 v9, v7 offset:28
	s_waitcnt lgkmcnt(0)
	v_mul_f32_e32 v9, v10, v9
	s_andn2_b64 vcc, exec, s[18:19]
	v_mov_b32_e32 v10, 0
	v_mov_b32_e32 v19, 0
	s_cbranch_vccnz .LBB540_102
.LBB540_141:
	ds_read_b32 v19, v7 offset:32
	s_waitcnt lgkmcnt(0)
	v_mul_f32_e32 v19, v21, v19
	s_andn2_b64 vcc, exec, s[20:21]
	s_cbranch_vccnz .LBB540_103
.LBB540_142:
	ds_read_b32 v10, v7 offset:36
	s_waitcnt lgkmcnt(0)
	v_mul_f32_e32 v10, v11, v10
	s_andn2_b64 vcc, exec, s[22:23]
	v_mov_b32_e32 v11, 0
	v_mov_b32_e32 v21, 0
	s_cbranch_vccnz .LBB540_104
.LBB540_143:
	ds_read_b32 v21, v7 offset:40
	s_waitcnt lgkmcnt(0)
	v_mul_f32_e32 v21, v23, v21
	s_andn2_b64 vcc, exec, s[24:25]
	s_cbranch_vccnz .LBB540_105
.LBB540_144:
	ds_read_b32 v11, v7 offset:44
	s_waitcnt lgkmcnt(0)
	v_mul_f32_e32 v11, v13, v11
	s_andn2_b64 vcc, exec, s[26:27]
	v_mov_b32_e32 v13, 0
	v_mov_b32_e32 v23, 0
	s_cbranch_vccnz .LBB540_106
.LBB540_145:
	ds_read_b32 v23, v7 offset:48
	s_waitcnt lgkmcnt(0)
	v_mul_f32_e32 v23, v25, v23
	s_andn2_b64 vcc, exec, s[28:29]
	s_cbranch_vccnz .LBB540_107
.LBB540_146:
	ds_read_b32 v13, v7 offset:52
	s_waitcnt lgkmcnt(0)
	v_mul_f32_e32 v13, v14, v13
	s_andn2_b64 vcc, exec, s[30:31]
	v_mov_b32_e32 v14, 0
	v_mov_b32_e32 v25, 0
	s_cbranch_vccnz .LBB540_108
.LBB540_147:
	ds_read_b32 v25, v7 offset:56
	s_waitcnt lgkmcnt(0)
	v_mul_f32_e32 v25, v27, v25
	s_andn2_b64 vcc, exec, s[34:35]
	s_cbranch_vccnz .LBB540_109
.LBB540_148:
	ds_read_b32 v14, v7 offset:60
	s_waitcnt lgkmcnt(0)
	v_mul_f32_e32 v14, v15, v14
	s_andn2_b64 vcc, exec, s[36:37]
	v_mov_b32_e32 v15, 0
	v_mov_b32_e32 v27, 0
	s_cbranch_vccnz .LBB540_110
.LBB540_149:
	ds_read_b32 v27, v7 offset:64
	s_waitcnt lgkmcnt(0)
	v_mul_f32_e32 v27, v30, v27
	s_andn2_b64 vcc, exec, s[40:41]
	s_cbranch_vccnz .LBB540_111
.LBB540_150:
	ds_read_b32 v15, v7 offset:68
	s_waitcnt lgkmcnt(0)
	v_mul_f32_e32 v15, v17, v15
	s_andn2_b64 vcc, exec, s[42:43]
	v_mov_b32_e32 v17, 0
	v_mov_b32_e32 v30, 0
	s_cbranch_vccnz .LBB540_112
.LBB540_151:
	ds_read_b32 v30, v7 offset:72
	s_waitcnt lgkmcnt(0)
	v_mul_f32_e32 v30, v32, v30
	s_andn2_b64 vcc, exec, s[44:45]
	s_cbranch_vccnz .LBB540_113
.LBB540_152:
	ds_read_b32 v17, v7 offset:76
	s_waitcnt lgkmcnt(0)
	v_mul_f32_e32 v17, v20, v17
	s_andn2_b64 vcc, exec, s[46:47]
	v_mov_b32_e32 v20, 0
	v_mov_b32_e32 v32, 0
	s_cbranch_vccnz .LBB540_114
.LBB540_153:
	ds_read_b32 v32, v7 offset:80
	s_waitcnt lgkmcnt(0)
	v_mul_f32_e32 v32, v33, v32
	s_andn2_b64 vcc, exec, s[48:49]
	s_cbranch_vccnz .LBB540_115
.LBB540_154:
	ds_read_b32 v20, v7 offset:84
	s_waitcnt lgkmcnt(0)
	v_mul_f32_e32 v20, v22, v20
	s_andn2_b64 vcc, exec, s[50:51]
	v_mov_b32_e32 v22, 0
	v_mov_b32_e32 v33, 0
	s_cbranch_vccnz .LBB540_116
.LBB540_155:
	ds_read_b32 v33, v7 offset:88
	s_waitcnt lgkmcnt(0)
	v_mul_f32_e32 v33, v34, v33
	s_andn2_b64 vcc, exec, s[52:53]
	s_cbranch_vccnz .LBB540_117
.LBB540_156:
	ds_read_b32 v22, v7 offset:92
	s_waitcnt lgkmcnt(0)
	v_mul_f32_e32 v22, v24, v22
	s_andn2_b64 vcc, exec, s[54:55]
	v_mov_b32_e32 v24, 0
	v_mov_b32_e32 v34, 0
	s_cbranch_vccnz .LBB540_118
.LBB540_157:
	ds_read_b32 v34, v7 offset:96
	s_waitcnt lgkmcnt(0)
	v_mul_f32_e32 v34, v35, v34
	s_andn2_b64 vcc, exec, s[56:57]
	s_cbranch_vccnz .LBB540_119
.LBB540_158:
	ds_read_b32 v24, v7 offset:100
	s_waitcnt lgkmcnt(0)
	v_mul_f32_e32 v24, v26, v24
	s_andn2_b64 vcc, exec, s[58:59]
	v_mov_b32_e32 v26, 0
	v_mov_b32_e32 v35, 0
	s_cbranch_vccnz .LBB540_120
.LBB540_159:
	ds_read_b32 v35, v7 offset:104
	s_waitcnt lgkmcnt(0)
	v_mul_f32_e32 v35, v36, v35
	s_andn2_b64 vcc, exec, s[60:61]
	s_cbranch_vccnz .LBB540_121
.LBB540_160:
	ds_read_b32 v26, v7 offset:108
	s_waitcnt lgkmcnt(0)
	v_mul_f32_e32 v26, v28, v26
	s_andn2_b64 vcc, exec, s[62:63]
	v_mov_b32_e32 v28, 0
	v_mov_b32_e32 v36, 0
	s_cbranch_vccnz .LBB540_122
.LBB540_161:
	ds_read_b32 v36, v7 offset:112
	s_waitcnt lgkmcnt(0)
	v_mul_f32_e32 v36, v37, v36
	s_andn2_b64 vcc, exec, s[64:65]
	s_cbranch_vccnz .LBB540_123
.LBB540_162:
	ds_read_b32 v28, v7 offset:116
	s_waitcnt lgkmcnt(0)
	v_mul_f32_e32 v28, v29, v28
	s_andn2_b64 vcc, exec, s[66:67]
	v_mov_b32_e32 v29, 0
	v_mov_b32_e32 v37, 0
	s_cbranch_vccnz .LBB540_124
.LBB540_163:
	ds_read_b32 v37, v7 offset:120
	s_waitcnt lgkmcnt(0)
	v_mul_f32_e32 v37, v38, v37
	s_andn2_b64 vcc, exec, s[68:69]
	s_cbranch_vccz .LBB540_125
	s_branch .LBB540_126
	.section	.rodata,"a",@progbits
	.p2align	6, 0x0
	.amdhsa_kernel _ZL34rocblas_gemvn_sm_mn_batched_kernelILi32ELi24E16rocblas_bfloat16PKfS0_EviiT2_lPKT1_lilS6_lilS3_lPT3_lili
		.amdhsa_group_segment_fixed_size 3072
		.amdhsa_private_segment_fixed_size 0
		.amdhsa_kernarg_size 400
		.amdhsa_user_sgpr_count 2
		.amdhsa_user_sgpr_dispatch_ptr 0
		.amdhsa_user_sgpr_queue_ptr 0
		.amdhsa_user_sgpr_kernarg_segment_ptr 1
		.amdhsa_user_sgpr_dispatch_id 0
		.amdhsa_user_sgpr_kernarg_preload_length 0
		.amdhsa_user_sgpr_kernarg_preload_offset 0
		.amdhsa_user_sgpr_private_segment_size 0
		.amdhsa_uses_dynamic_stack 0
		.amdhsa_enable_private_segment 0
		.amdhsa_system_sgpr_workgroup_id_x 1
		.amdhsa_system_sgpr_workgroup_id_y 0
		.amdhsa_system_sgpr_workgroup_id_z 0
		.amdhsa_system_sgpr_workgroup_info 0
		.amdhsa_system_vgpr_workitem_id 1
		.amdhsa_next_free_vgpr 40
		.amdhsa_next_free_sgpr 70
		.amdhsa_accum_offset 40
		.amdhsa_reserve_vcc 1
		.amdhsa_float_round_mode_32 0
		.amdhsa_float_round_mode_16_64 0
		.amdhsa_float_denorm_mode_32 3
		.amdhsa_float_denorm_mode_16_64 3
		.amdhsa_dx10_clamp 1
		.amdhsa_ieee_mode 1
		.amdhsa_fp16_overflow 0
		.amdhsa_tg_split 0
		.amdhsa_exception_fp_ieee_invalid_op 0
		.amdhsa_exception_fp_denorm_src 0
		.amdhsa_exception_fp_ieee_div_zero 0
		.amdhsa_exception_fp_ieee_overflow 0
		.amdhsa_exception_fp_ieee_underflow 0
		.amdhsa_exception_fp_ieee_inexact 0
		.amdhsa_exception_int_div_zero 0
	.end_amdhsa_kernel
	.section	.text._ZL34rocblas_gemvn_sm_mn_batched_kernelILi32ELi24E16rocblas_bfloat16PKfS0_EviiT2_lPKT1_lilS6_lilS3_lPT3_lili,"axG",@progbits,_ZL34rocblas_gemvn_sm_mn_batched_kernelILi32ELi24E16rocblas_bfloat16PKfS0_EviiT2_lPKT1_lilS6_lilS3_lPT3_lili,comdat
.Lfunc_end540:
	.size	_ZL34rocblas_gemvn_sm_mn_batched_kernelILi32ELi24E16rocblas_bfloat16PKfS0_EviiT2_lPKT1_lilS6_lilS3_lPT3_lili, .Lfunc_end540-_ZL34rocblas_gemvn_sm_mn_batched_kernelILi32ELi24E16rocblas_bfloat16PKfS0_EviiT2_lPKT1_lilS6_lilS3_lPT3_lili
                                        ; -- End function
	.section	.AMDGPU.csdata,"",@progbits
; Kernel info:
; codeLenInByte = 3948
; NumSgprs: 76
; NumVgprs: 40
; NumAgprs: 0
; TotalNumVgprs: 40
; ScratchSize: 0
; MemoryBound: 0
; FloatMode: 240
; IeeeMode: 1
; LDSByteSize: 3072 bytes/workgroup (compile time only)
; SGPRBlocks: 9
; VGPRBlocks: 4
; NumSGPRsForWavesPerEU: 76
; NumVGPRsForWavesPerEU: 40
; AccumOffset: 40
; Occupancy: 6
; WaveLimiterHint : 1
; COMPUTE_PGM_RSRC2:SCRATCH_EN: 0
; COMPUTE_PGM_RSRC2:USER_SGPR: 2
; COMPUTE_PGM_RSRC2:TRAP_HANDLER: 0
; COMPUTE_PGM_RSRC2:TGID_X_EN: 1
; COMPUTE_PGM_RSRC2:TGID_Y_EN: 0
; COMPUTE_PGM_RSRC2:TGID_Z_EN: 0
; COMPUTE_PGM_RSRC2:TIDIG_COMP_CNT: 1
; COMPUTE_PGM_RSRC3_GFX90A:ACCUM_OFFSET: 9
; COMPUTE_PGM_RSRC3_GFX90A:TG_SPLIT: 0
	.section	.text._ZL34rocblas_gemvn_sm_mn_batched_kernelILi32ELi24E16rocblas_bfloat16fS0_EviiT2_lPKT1_lilS4_lilS1_lPT3_lili,"axG",@progbits,_ZL34rocblas_gemvn_sm_mn_batched_kernelILi32ELi24E16rocblas_bfloat16fS0_EviiT2_lPKT1_lilS4_lilS1_lPT3_lili,comdat
	.globl	_ZL34rocblas_gemvn_sm_mn_batched_kernelILi32ELi24E16rocblas_bfloat16fS0_EviiT2_lPKT1_lilS4_lilS1_lPT3_lili ; -- Begin function _ZL34rocblas_gemvn_sm_mn_batched_kernelILi32ELi24E16rocblas_bfloat16fS0_EviiT2_lPKT1_lilS4_lilS1_lPT3_lili
	.p2align	8
	.type	_ZL34rocblas_gemvn_sm_mn_batched_kernelILi32ELi24E16rocblas_bfloat16fS0_EviiT2_lPKT1_lilS4_lilS1_lPT3_lili,@function
_ZL34rocblas_gemvn_sm_mn_batched_kernelILi32ELi24E16rocblas_bfloat16fS0_EviiT2_lPKT1_lilS4_lilS1_lPT3_lili: ; @_ZL34rocblas_gemvn_sm_mn_batched_kernelILi32ELi24E16rocblas_bfloat16fS0_EviiT2_lPKT1_lilS4_lilS1_lPT3_lili
; %bb.0:
	s_load_dword s3, s[0:1], 0x9c
	s_load_dword s4, s[0:1], 0x88
	v_bfe_u32 v5, v0, 10, 10
	s_waitcnt lgkmcnt(0)
	s_lshr_b32 s3, s3, 16
	s_mul_i32 s2, s2, s3
	v_add_u32_e32 v4, s2, v5
	v_cmp_gt_i32_e32 vcc, s4, v4
	s_and_saveexec_b64 s[2:3], vcc
	s_cbranch_execz .LBB541_8
; %bb.1:
	s_load_dwordx4 s[4:7], s[0:1], 0x0
	s_load_dword s14, s[0:1], 0x58
	s_waitcnt lgkmcnt(0)
	v_cmp_eq_f32_e64 s[2:3], s6, 0
	v_cmp_eq_f32_e64 s[8:9], s14, 1.0
	s_and_b64 s[2:3], s[2:3], s[8:9]
	s_and_b64 vcc, exec, s[2:3]
	s_cbranch_vccnz .LBB541_8
; %bb.2:
	s_load_dwordx2 s[2:3], s[0:1], 0x80
	s_load_dwordx4 s[8:11], s[0:1], 0x68
	s_load_dword s33, s[0:1], 0x78
	s_waitcnt lgkmcnt(0)
	v_mad_u64_u32 v[2:3], s[12:13], v4, s2, 0
	v_mov_b32_e32 v6, v3
	v_mad_u64_u32 v[6:7], s[2:3], v4, s3, v[6:7]
	s_lshl_b64 s[2:3], s[10:11], 1
	s_add_u32 s2, s2, s8
	v_mov_b32_e32 v3, v6
	s_addc_u32 s3, s3, s9
	v_lshl_add_u64 v[2:3], v[2:3], 1, s[2:3]
	v_and_b32_e32 v6, 0x3ff, v0
	v_cmp_neq_f32_e64 s[2:3], s6, 0
	s_and_b64 vcc, exec, s[2:3]
	v_cmp_gt_i32_e64 s[2:3], s4, v6
	s_cbranch_vccnz .LBB541_7
; %bb.3:
	v_cmp_eq_f32_e64 s[8:9], s14, 0
	s_and_b64 vcc, exec, s[8:9]
	s_cbranch_vccz .LBB541_9
; %bb.4:
	s_and_saveexec_b64 s[8:9], s[2:3]
	s_cbranch_execz .LBB541_6
; %bb.5:
	v_mad_i64_i32 v[0:1], s[10:11], s33, v6, 0
	v_lshl_add_u64 v[0:1], v[0:1], 1, v[2:3]
	v_mov_b32_e32 v7, 0
	global_store_short v[0:1], v7, off
.LBB541_6:
	s_or_b64 exec, exec, s[8:9]
	s_cbranch_execz .LBB541_10
	s_branch .LBB541_17
.LBB541_7:
	s_branch .LBB541_18
.LBB541_8:
	s_endpgm
.LBB541_9:
.LBB541_10:
	s_and_saveexec_b64 s[8:9], s[2:3]
	s_cbranch_execz .LBB541_16
; %bb.11:
	v_mad_i64_i32 v[0:1], s[2:3], s33, v6, 0
	v_lshl_add_u64 v[0:1], v[0:1], 1, v[2:3]
	global_load_ushort v7, v[0:1], off
	s_mov_b32 s2, 0x7f800000
	s_waitcnt vmcnt(0)
	v_lshlrev_b32_e32 v7, 16, v7
	v_mul_f32_e32 v7, s14, v7
	v_and_b32_e32 v8, 0x7f800000, v7
	v_cmp_ne_u32_e32 vcc, s2, v8
                                        ; implicit-def: $vgpr8
	s_and_saveexec_b64 s[2:3], vcc
	s_xor_b64 s[2:3], exec, s[2:3]
; %bb.12:
	v_bfe_u32 v8, v7, 16, 1
	s_movk_i32 s7, 0x7fff
	v_add3_u32 v8, v7, v8, s7
                                        ; implicit-def: $vgpr7
; %bb.13:
	s_andn2_saveexec_b64 s[2:3], s[2:3]
; %bb.14:
	v_mov_b32_e32 v8, 0
	v_or_b32_e32 v9, 0x10000, v7
	v_cmp_eq_u32_sdwa vcc, v7, v8 src0_sel:WORD_0 src1_sel:DWORD
	s_nop 1
	v_cndmask_b32_e32 v8, v9, v7, vcc
; %bb.15:
	s_or_b64 exec, exec, s[2:3]
	global_store_short_d16_hi v[0:1], v8, off
.LBB541_16:
	s_or_b64 exec, exec, s[8:9]
.LBB541_17:
	s_cbranch_execnz .LBB541_8
.LBB541_18:
	s_load_dwordx4 s[8:11], s[0:1], 0x30
	s_load_dwordx2 s[12:13], s[0:1], 0x40
	v_lshlrev_b32_e32 v7, 7, v5
	v_cmp_gt_i32_e32 vcc, s5, v6
	s_and_saveexec_b64 s[2:3], vcc
	s_cbranch_execz .LBB541_24
; %bb.19:
	s_load_dwordx2 s[16:17], s[0:1], 0x50
	s_load_dword s7, s[0:1], 0x48
	s_waitcnt lgkmcnt(0)
	s_lshl_b64 s[12:13], s[12:13], 1
	s_add_u32 s10, s12, s10
	s_addc_u32 s11, s13, s11
	v_mad_u64_u32 v[0:1], s[18:19], v4, s16, 0
	v_mov_b32_e32 v8, v1
	v_mad_u64_u32 v[8:9], s[16:17], v4, s17, v[8:9]
	v_mov_b32_e32 v1, v8
	v_lshl_add_u64 v[0:1], v[0:1], 1, s[10:11]
	v_mad_i64_i32 v[8:9], s[10:11], s7, v6, 0
	v_lshl_add_u64 v[0:1], v[8:9], 1, v[0:1]
	global_load_ushort v0, v[0:1], off
	s_waitcnt vmcnt(0)
	v_lshlrev_b32_e32 v0, 16, v0
	v_mul_f32_e32 v0, s6, v0
	s_mov_b32 s6, 0x7f800000
	v_and_b32_e32 v1, 0x7f800000, v0
	v_cmp_ne_u32_e32 vcc, s6, v1
                                        ; implicit-def: $vgpr1
	s_and_saveexec_b64 s[6:7], vcc
	s_xor_b64 s[6:7], exec, s[6:7]
; %bb.20:
	v_bfe_u32 v1, v0, 16, 1
	s_movk_i32 s10, 0x7fff
	v_add3_u32 v1, v0, v1, s10
                                        ; implicit-def: $vgpr0
; %bb.21:
	s_andn2_saveexec_b64 s[6:7], s[6:7]
; %bb.22:
	v_mov_b32_e32 v1, 0
	v_or_b32_e32 v5, 0x10000, v0
	v_cmp_eq_u32_sdwa vcc, v0, v1 src0_sel:WORD_0 src1_sel:DWORD
	s_nop 1
	v_cndmask_b32_e32 v1, v5, v0, vcc
; %bb.23:
	s_or_b64 exec, exec, s[6:7]
	v_and_b32_e32 v0, 0xffff0000, v1
	v_lshl_add_u32 v1, v6, 2, v7
	ds_write_b32 v1, v0
.LBB541_24:
	s_or_b64 exec, exec, s[2:3]
	v_cmp_gt_i32_e32 vcc, s4, v6
	s_waitcnt lgkmcnt(0)
	s_barrier
	s_and_b64 exec, exec, vcc
	s_cbranch_execz .LBB541_8
; %bb.25:
	v_cmp_eq_f32_e64 s[2:3], s14, 0
	v_mov_b32_e32 v8, 0
	s_and_b64 vcc, exec, s[2:3]
	s_cbranch_vccnz .LBB541_31
; %bb.26:
	v_mad_i64_i32 v[0:1], s[2:3], s33, v6, 0
	v_lshl_add_u64 v[0:1], v[0:1], 1, v[2:3]
	global_load_ushort v0, v[0:1], off
	s_mov_b32 s2, 0x7f800000
	s_waitcnt vmcnt(0)
	v_lshlrev_b32_e32 v0, 16, v0
	v_mul_f32_e32 v0, s14, v0
	v_and_b32_e32 v1, 0x7f800000, v0
	v_cmp_ne_u32_e32 vcc, s2, v1
                                        ; implicit-def: $vgpr1
	s_and_saveexec_b64 s[2:3], vcc
	s_xor_b64 s[2:3], exec, s[2:3]
; %bb.27:
	v_bfe_u32 v1, v0, 16, 1
	s_movk_i32 s4, 0x7fff
	v_add3_u32 v1, v0, v1, s4
                                        ; implicit-def: $vgpr0
; %bb.28:
	s_andn2_saveexec_b64 s[2:3], s[2:3]
; %bb.29:
	v_mov_b32_e32 v1, 0
	v_or_b32_e32 v5, 0x10000, v0
	v_cmp_eq_u32_sdwa vcc, v0, v1 src0_sel:WORD_0 src1_sel:DWORD
	s_nop 1
	v_cndmask_b32_e32 v1, v5, v0, vcc
; %bb.30:
	s_or_b64 exec, exec, s[2:3]
	v_and_b32_e32 v8, 0xffff0000, v1
.LBB541_31:
	s_load_dwordx4 s[12:15], s[0:1], 0x18
	v_mad_u64_u32 v[0:1], s[2:3], v4, s8, 0
	v_mov_b32_e32 v10, v1
	v_mad_u64_u32 v[4:5], s[2:3], v4, s9, v[10:11]
	s_waitcnt lgkmcnt(0)
	s_lshl_b64 s[2:3], s[14:15], 1
	s_add_u32 s2, s2, s12
	v_mov_b32_e32 v1, v4
	s_addc_u32 s3, s3, s13
	v_lshl_add_u64 v[4:5], v[0:1], 1, s[2:3]
	v_lshlrev_b32_e32 v0, 1, v6
	v_mov_b32_e32 v1, 0
	s_cmp_gt_i32 s5, 0
	v_lshl_add_u64 v[4:5], v[4:5], 0, v[0:1]
	s_cselect_b64 s[2:3], -1, 0
	s_cmp_lt_i32 s5, 1
	v_mov_b32_e32 v12, 0
	s_cbranch_scc1 .LBB541_33
; %bb.32:
	global_load_ushort v0, v[4:5], off
	s_waitcnt vmcnt(0)
	v_lshlrev_b32_e32 v12, 16, v0
.LBB541_33:
	s_load_dword s38, s[0:1], 0x28
	s_waitcnt lgkmcnt(0)
	s_ashr_i32 s39, s38, 31
	s_cmp_gt_i32 s5, 1
	s_cselect_b64 s[0:1], -1, 0
	s_cmp_lt_i32 s5, 2
	s_cbranch_scc1 .LBB541_35
; %bb.34:
	v_lshl_add_u64 v[0:1], s[38:39], 1, v[4:5]
	global_load_ushort v0, v[0:1], off
	s_waitcnt vmcnt(0)
	v_lshlrev_b32_e32 v1, 16, v0
.LBB541_35:
	s_cmp_gt_i32 s5, 2
	s_cselect_b64 s[6:7], -1, 0
	s_cmp_lt_i32 s5, 3
	v_mov_b32_e32 v0, 0
	v_mov_b32_e32 v16, 0
	s_cbranch_scc1 .LBB541_37
; %bb.36:
	v_lshl_add_u64 v[10:11], s[38:39], 2, v[4:5]
	global_load_ushort v9, v[10:11], off
	s_waitcnt vmcnt(0)
	v_lshlrev_b32_e32 v16, 16, v9
.LBB541_37:
	s_cmp_gt_i32 s5, 3
	s_cselect_b64 s[8:9], -1, 0
	s_cmp_lt_i32 s5, 4
	s_cbranch_scc1 .LBB541_39
; %bb.38:
	v_mad_i64_i32 v[10:11], s[10:11], s38, 6, v[4:5]
	global_load_ushort v0, v[10:11], off
	s_waitcnt vmcnt(0)
	v_lshlrev_b32_e32 v0, 16, v0
.LBB541_39:
	s_cmp_gt_i32 s5, 4
	s_cselect_b64 s[10:11], -1, 0
	s_cmp_lt_i32 s5, 5
	v_mov_b32_e32 v9, 0
	v_mov_b32_e32 v18, 0
	s_cbranch_scc1 .LBB541_41
; %bb.40:
	v_lshl_add_u64 v[10:11], s[38:39], 3, v[4:5]
	global_load_ushort v10, v[10:11], off
	s_waitcnt vmcnt(0)
	v_lshlrev_b32_e32 v18, 16, v10
.LBB541_41:
	s_cmp_gt_i32 s5, 5
	s_cselect_b64 s[12:13], -1, 0
	s_cmp_lt_i32 s5, 6
	s_cbranch_scc1 .LBB541_43
; %bb.42:
	v_mad_i64_i32 v[10:11], s[14:15], s38, 10, v[4:5]
	global_load_ushort v9, v[10:11], off
	s_waitcnt vmcnt(0)
	v_lshlrev_b32_e32 v9, 16, v9
.LBB541_43:
	s_cmp_gt_i32 s5, 6
	s_cselect_b64 s[14:15], -1, 0
	s_cmp_lt_i32 s5, 7
	v_mov_b32_e32 v10, 0
	v_mov_b32_e32 v19, 0
	s_cbranch_scc1 .LBB541_45
; %bb.44:
	v_mad_i64_i32 v[14:15], s[16:17], s38, 12, v[4:5]
	global_load_ushort v11, v[14:15], off
	s_waitcnt vmcnt(0)
	v_lshlrev_b32_e32 v19, 16, v11
.LBB541_45:
	s_cmp_gt_i32 s5, 7
	s_cselect_b64 s[16:17], -1, 0
	s_cmp_lt_i32 s5, 8
	s_cbranch_scc1 .LBB541_47
; %bb.46:
	v_mad_i64_i32 v[10:11], s[18:19], s38, 14, v[4:5]
	global_load_ushort v10, v[10:11], off
	s_waitcnt vmcnt(0)
	v_lshlrev_b32_e32 v10, 16, v10
.LBB541_47:
	s_cmp_gt_i32 s5, 8
	s_cselect_b64 s[18:19], -1, 0
	s_cmp_lt_i32 s5, 9
	v_mov_b32_e32 v11, 0
	v_mov_b32_e32 v21, 0
	s_cbranch_scc1 .LBB541_49
; %bb.48:
	v_lshl_add_u64 v[14:15], s[38:39], 4, v[4:5]
	global_load_ushort v13, v[14:15], off
	s_waitcnt vmcnt(0)
	v_lshlrev_b32_e32 v21, 16, v13
.LBB541_49:
	s_cmp_gt_i32 s5, 9
	s_cselect_b64 s[20:21], -1, 0
	s_cmp_lt_i32 s5, 10
	s_cbranch_scc1 .LBB541_51
; %bb.50:
	v_mad_i64_i32 v[14:15], s[22:23], s38, 18, v[4:5]
	global_load_ushort v11, v[14:15], off
	s_waitcnt vmcnt(0)
	v_lshlrev_b32_e32 v11, 16, v11
.LBB541_51:
	s_cmp_gt_i32 s5, 10
	s_cselect_b64 s[22:23], -1, 0
	s_cmp_lt_i32 s5, 11
	v_mov_b32_e32 v13, 0
	v_mov_b32_e32 v23, 0
	s_cbranch_scc1 .LBB541_53
; %bb.52:
	v_mad_i64_i32 v[14:15], s[24:25], s38, 20, v[4:5]
	global_load_ushort v14, v[14:15], off
	s_waitcnt vmcnt(0)
	v_lshlrev_b32_e32 v23, 16, v14
.LBB541_53:
	s_cmp_gt_i32 s5, 11
	s_cselect_b64 s[24:25], -1, 0
	s_cmp_lt_i32 s5, 12
	s_cbranch_scc1 .LBB541_55
; %bb.54:
	v_mad_i64_i32 v[14:15], s[26:27], s38, 22, v[4:5]
	global_load_ushort v13, v[14:15], off
	s_waitcnt vmcnt(0)
	v_lshlrev_b32_e32 v13, 16, v13
.LBB541_55:
	s_cmp_gt_i32 s5, 12
	s_cselect_b64 s[26:27], -1, 0
	s_cmp_lt_i32 s5, 13
	v_mov_b32_e32 v14, 0
	v_mov_b32_e32 v25, 0
	s_cbranch_scc1 .LBB541_57
; %bb.56:
	v_mad_i64_i32 v[24:25], s[28:29], s38, 24, v[4:5]
	global_load_ushort v15, v[24:25], off
	s_waitcnt vmcnt(0)
	v_lshlrev_b32_e32 v25, 16, v15
.LBB541_57:
	;; [unrolled: 22-line block ×3, first 2 shown]
	s_cmp_gt_i32 s5, 15
	s_cselect_b64 s[34:35], -1, 0
	s_cmp_lt_i32 s5, 16
	s_cbranch_scc1 .LBB541_63
; %bb.62:
	v_mad_i64_i32 v[28:29], s[36:37], s38, 30, v[4:5]
	global_load_ushort v15, v[28:29], off
	s_waitcnt vmcnt(0)
	v_lshlrev_b32_e32 v15, 16, v15
.LBB541_63:
	s_cmp_gt_i32 s5, 16
	s_cselect_b64 s[36:37], -1, 0
	s_cmp_lt_i32 s5, 17
	v_mov_b32_e32 v17, 0
	v_mov_b32_e32 v30, 0
	s_cbranch_scc1 .LBB541_65
; %bb.64:
	s_lshl_b64 s[40:41], s[38:39], 5
	v_lshl_add_u64 v[28:29], v[4:5], 0, s[40:41]
	global_load_ushort v20, v[28:29], off
	s_waitcnt vmcnt(0)
	v_lshlrev_b32_e32 v30, 16, v20
.LBB541_65:
	s_cmp_gt_i32 s5, 17
	s_cselect_b64 s[40:41], -1, 0
	s_cmp_lt_i32 s5, 18
	s_cbranch_scc1 .LBB541_67
; %bb.66:
	v_mad_i64_i32 v[28:29], s[42:43], s38, 34, v[4:5]
	global_load_ushort v17, v[28:29], off
	s_waitcnt vmcnt(0)
	v_lshlrev_b32_e32 v17, 16, v17
.LBB541_67:
	s_cmp_gt_i32 s5, 18
	s_cselect_b64 s[42:43], -1, 0
	s_cmp_lt_i32 s5, 19
	v_mov_b32_e32 v20, 0
	v_mov_b32_e32 v32, 0
	s_cbranch_scc1 .LBB541_69
; %bb.68:
	v_mad_i64_i32 v[28:29], s[44:45], s38, 36, v[4:5]
	global_load_ushort v22, v[28:29], off
	s_waitcnt vmcnt(0)
	v_lshlrev_b32_e32 v32, 16, v22
.LBB541_69:
	s_cmp_gt_i32 s5, 19
	s_cselect_b64 s[44:45], -1, 0
	s_cmp_lt_i32 s5, 20
	s_cbranch_scc1 .LBB541_71
; %bb.70:
	v_mad_i64_i32 v[28:29], s[46:47], s38, 38, v[4:5]
	global_load_ushort v20, v[28:29], off
	s_waitcnt vmcnt(0)
	v_lshlrev_b32_e32 v20, 16, v20
.LBB541_71:
	s_cmp_gt_i32 s5, 20
	s_cselect_b64 s[46:47], -1, 0
	s_cmp_lt_i32 s5, 21
	v_mov_b32_e32 v22, 0
	v_mov_b32_e32 v33, 0
	s_cbranch_scc1 .LBB541_73
; %bb.72:
	v_mad_i64_i32 v[28:29], s[48:49], s38, 40, v[4:5]
	global_load_ushort v24, v[28:29], off
	s_waitcnt vmcnt(0)
	v_lshlrev_b32_e32 v33, 16, v24
.LBB541_73:
	;; [unrolled: 22-line block ×6, first 2 shown]
	s_cmp_gt_i32 s5, 29
	s_cselect_b64 s[64:65], -1, 0
	s_cmp_lt_i32 s5, 30
	s_cbranch_scc1 .LBB541_91
; %bb.90:
	v_mad_i64_i32 v[38:39], s[66:67], s38, 58, v[4:5]
	global_load_ushort v29, v[38:39], off
	s_waitcnt vmcnt(0)
	v_lshlrev_b32_e32 v29, 16, v29
.LBB541_91:
	s_cmp_gt_i32 s5, 30
	s_cselect_b64 s[66:67], -1, 0
	s_cmp_lt_i32 s5, 31
	v_mov_b32_e32 v31, 0
	v_mov_b32_e32 v38, 0
	s_cbranch_scc0 .LBB541_132
; %bb.92:
	s_cmp_gt_i32 s5, 31
	s_cselect_b64 s[68:69], -1, 0
	s_cmp_lt_i32 s5, 32
	s_cbranch_scc0 .LBB541_133
.LBB541_93:
	s_and_b64 vcc, exec, s[2:3]
	v_mov_b32_e32 v4, 0
	v_mov_b32_e32 v5, 0
	s_cbranch_vccz .LBB541_95
.LBB541_94:
	ds_read_b32 v5, v7
	s_waitcnt lgkmcnt(0)
	v_mul_f32_e32 v5, v12, v5
.LBB541_95:
	s_andn2_b64 vcc, exec, s[0:1]
	s_cbranch_vccz .LBB541_134
; %bb.96:
	s_andn2_b64 vcc, exec, s[6:7]
	v_mov_b32_e32 v1, 0
	v_mov_b32_e32 v12, 0
	s_cbranch_vccz .LBB541_135
.LBB541_97:
	s_andn2_b64 vcc, exec, s[8:9]
	s_cbranch_vccz .LBB541_136
.LBB541_98:
	s_andn2_b64 vcc, exec, s[10:11]
	v_mov_b32_e32 v0, 0
	v_mov_b32_e32 v16, 0
	s_cbranch_vccz .LBB541_137
.LBB541_99:
	s_andn2_b64 vcc, exec, s[12:13]
	s_cbranch_vccz .LBB541_138
.LBB541_100:
	s_andn2_b64 vcc, exec, s[14:15]
	v_mov_b32_e32 v9, 0
	v_mov_b32_e32 v18, 0
	s_cbranch_vccz .LBB541_139
.LBB541_101:
	s_andn2_b64 vcc, exec, s[16:17]
	s_cbranch_vccz .LBB541_140
.LBB541_102:
	s_andn2_b64 vcc, exec, s[18:19]
	v_mov_b32_e32 v10, 0
	v_mov_b32_e32 v19, 0
	s_cbranch_vccz .LBB541_141
.LBB541_103:
	s_andn2_b64 vcc, exec, s[20:21]
	s_cbranch_vccz .LBB541_142
.LBB541_104:
	s_andn2_b64 vcc, exec, s[22:23]
	v_mov_b32_e32 v11, 0
	v_mov_b32_e32 v21, 0
	s_cbranch_vccz .LBB541_143
.LBB541_105:
	s_andn2_b64 vcc, exec, s[24:25]
	s_cbranch_vccz .LBB541_144
.LBB541_106:
	s_andn2_b64 vcc, exec, s[26:27]
	v_mov_b32_e32 v13, 0
	v_mov_b32_e32 v23, 0
	s_cbranch_vccz .LBB541_145
.LBB541_107:
	s_andn2_b64 vcc, exec, s[28:29]
	s_cbranch_vccz .LBB541_146
.LBB541_108:
	s_andn2_b64 vcc, exec, s[30:31]
	v_mov_b32_e32 v14, 0
	v_mov_b32_e32 v25, 0
	s_cbranch_vccz .LBB541_147
.LBB541_109:
	s_andn2_b64 vcc, exec, s[34:35]
	s_cbranch_vccz .LBB541_148
.LBB541_110:
	s_andn2_b64 vcc, exec, s[36:37]
	v_mov_b32_e32 v15, 0
	v_mov_b32_e32 v27, 0
	s_cbranch_vccz .LBB541_149
.LBB541_111:
	s_andn2_b64 vcc, exec, s[40:41]
	s_cbranch_vccz .LBB541_150
.LBB541_112:
	s_andn2_b64 vcc, exec, s[42:43]
	v_mov_b32_e32 v17, 0
	v_mov_b32_e32 v30, 0
	s_cbranch_vccz .LBB541_151
.LBB541_113:
	s_andn2_b64 vcc, exec, s[44:45]
	s_cbranch_vccz .LBB541_152
.LBB541_114:
	s_andn2_b64 vcc, exec, s[46:47]
	v_mov_b32_e32 v20, 0
	v_mov_b32_e32 v32, 0
	s_cbranch_vccz .LBB541_153
.LBB541_115:
	s_andn2_b64 vcc, exec, s[48:49]
	s_cbranch_vccz .LBB541_154
.LBB541_116:
	s_andn2_b64 vcc, exec, s[50:51]
	v_mov_b32_e32 v22, 0
	v_mov_b32_e32 v33, 0
	s_cbranch_vccz .LBB541_155
.LBB541_117:
	s_andn2_b64 vcc, exec, s[52:53]
	s_cbranch_vccz .LBB541_156
.LBB541_118:
	s_andn2_b64 vcc, exec, s[54:55]
	v_mov_b32_e32 v24, 0
	v_mov_b32_e32 v34, 0
	s_cbranch_vccz .LBB541_157
.LBB541_119:
	s_andn2_b64 vcc, exec, s[56:57]
	s_cbranch_vccz .LBB541_158
.LBB541_120:
	s_andn2_b64 vcc, exec, s[58:59]
	v_mov_b32_e32 v26, 0
	v_mov_b32_e32 v35, 0
	s_cbranch_vccz .LBB541_159
.LBB541_121:
	s_andn2_b64 vcc, exec, s[60:61]
	s_cbranch_vccz .LBB541_160
.LBB541_122:
	s_andn2_b64 vcc, exec, s[62:63]
	v_mov_b32_e32 v28, 0
	v_mov_b32_e32 v36, 0
	s_cbranch_vccz .LBB541_161
.LBB541_123:
	s_andn2_b64 vcc, exec, s[64:65]
	s_cbranch_vccz .LBB541_162
.LBB541_124:
	s_andn2_b64 vcc, exec, s[66:67]
	v_mov_b32_e32 v29, 0
	v_mov_b32_e32 v37, 0
	s_cbranch_vccz .LBB541_163
.LBB541_125:
	s_andn2_b64 vcc, exec, s[68:69]
	s_cbranch_vccnz .LBB541_127
.LBB541_126:
	ds_read_b32 v7, v7 offset:124
	s_waitcnt lgkmcnt(0)
	v_mul_f32_e32 v29, v31, v7
.LBB541_127:
	v_add_f32_e32 v5, v8, v5
	v_add_f32_e32 v4, v5, v4
	;; [unrolled: 1-line block ×32, first 2 shown]
	s_mov_b32 s0, 0x7f800000
	v_and_b32_e32 v1, 0x7f800000, v0
	v_cmp_ne_u32_e32 vcc, s0, v1
                                        ; implicit-def: $vgpr1
	s_and_saveexec_b64 s[0:1], vcc
	s_xor_b64 s[0:1], exec, s[0:1]
; %bb.128:
	v_bfe_u32 v1, v0, 16, 1
	s_movk_i32 s2, 0x7fff
	v_add3_u32 v1, v0, v1, s2
                                        ; implicit-def: $vgpr0
; %bb.129:
	s_andn2_saveexec_b64 s[0:1], s[0:1]
; %bb.130:
	v_mov_b32_e32 v1, 0
	v_or_b32_e32 v4, 0x10000, v0
	v_cmp_eq_u32_sdwa vcc, v0, v1 src0_sel:WORD_0 src1_sel:DWORD
	s_nop 1
	v_cndmask_b32_e32 v1, v4, v0, vcc
; %bb.131:
	s_or_b64 exec, exec, s[0:1]
	v_mad_i64_i32 v[4:5], s[0:1], s33, v6, 0
	v_lshl_add_u64 v[2:3], v[4:5], 1, v[2:3]
	global_store_short_d16_hi v[2:3], v1, off
	s_endpgm
.LBB541_132:
	v_mad_i64_i32 v[38:39], s[68:69], s38, 60, v[4:5]
	global_load_ushort v38, v[38:39], off
	s_waitcnt vmcnt(0)
	v_lshlrev_b32_e32 v38, 16, v38
	s_cmp_gt_i32 s5, 31
	s_cselect_b64 s[68:69], -1, 0
	s_cmp_lt_i32 s5, 32
	s_cbranch_scc1 .LBB541_93
.LBB541_133:
	v_mad_i64_i32 v[4:5], s[4:5], s38, 62, v[4:5]
	global_load_ushort v4, v[4:5], off
	s_waitcnt vmcnt(0)
	v_lshlrev_b32_e32 v31, 16, v4
	s_and_b64 vcc, exec, s[2:3]
	v_mov_b32_e32 v4, 0
	v_mov_b32_e32 v5, 0
	s_cbranch_vccnz .LBB541_94
	s_branch .LBB541_95
.LBB541_134:
	ds_read_b32 v4, v7 offset:4
	s_waitcnt lgkmcnt(0)
	v_mul_f32_e32 v4, v1, v4
	s_andn2_b64 vcc, exec, s[6:7]
	v_mov_b32_e32 v1, 0
	v_mov_b32_e32 v12, 0
	s_cbranch_vccnz .LBB541_97
.LBB541_135:
	ds_read_b32 v12, v7 offset:8
	s_waitcnt lgkmcnt(0)
	v_mul_f32_e32 v12, v16, v12
	s_andn2_b64 vcc, exec, s[8:9]
	s_cbranch_vccnz .LBB541_98
.LBB541_136:
	ds_read_b32 v1, v7 offset:12
	s_waitcnt lgkmcnt(0)
	v_mul_f32_e32 v1, v0, v1
	s_andn2_b64 vcc, exec, s[10:11]
	v_mov_b32_e32 v0, 0
	v_mov_b32_e32 v16, 0
	s_cbranch_vccnz .LBB541_99
.LBB541_137:
	ds_read_b32 v16, v7 offset:16
	s_waitcnt lgkmcnt(0)
	v_mul_f32_e32 v16, v18, v16
	s_andn2_b64 vcc, exec, s[12:13]
	s_cbranch_vccnz .LBB541_100
.LBB541_138:
	ds_read_b32 v0, v7 offset:20
	s_waitcnt lgkmcnt(0)
	v_mul_f32_e32 v0, v9, v0
	s_andn2_b64 vcc, exec, s[14:15]
	v_mov_b32_e32 v9, 0
	v_mov_b32_e32 v18, 0
	s_cbranch_vccnz .LBB541_101
.LBB541_139:
	ds_read_b32 v18, v7 offset:24
	s_waitcnt lgkmcnt(0)
	v_mul_f32_e32 v18, v19, v18
	s_andn2_b64 vcc, exec, s[16:17]
	s_cbranch_vccnz .LBB541_102
.LBB541_140:
	ds_read_b32 v9, v7 offset:28
	s_waitcnt lgkmcnt(0)
	v_mul_f32_e32 v9, v10, v9
	s_andn2_b64 vcc, exec, s[18:19]
	v_mov_b32_e32 v10, 0
	v_mov_b32_e32 v19, 0
	s_cbranch_vccnz .LBB541_103
.LBB541_141:
	ds_read_b32 v19, v7 offset:32
	s_waitcnt lgkmcnt(0)
	v_mul_f32_e32 v19, v21, v19
	s_andn2_b64 vcc, exec, s[20:21]
	s_cbranch_vccnz .LBB541_104
.LBB541_142:
	ds_read_b32 v10, v7 offset:36
	s_waitcnt lgkmcnt(0)
	v_mul_f32_e32 v10, v11, v10
	s_andn2_b64 vcc, exec, s[22:23]
	v_mov_b32_e32 v11, 0
	v_mov_b32_e32 v21, 0
	s_cbranch_vccnz .LBB541_105
.LBB541_143:
	ds_read_b32 v21, v7 offset:40
	s_waitcnt lgkmcnt(0)
	v_mul_f32_e32 v21, v23, v21
	s_andn2_b64 vcc, exec, s[24:25]
	s_cbranch_vccnz .LBB541_106
.LBB541_144:
	ds_read_b32 v11, v7 offset:44
	s_waitcnt lgkmcnt(0)
	v_mul_f32_e32 v11, v13, v11
	s_andn2_b64 vcc, exec, s[26:27]
	v_mov_b32_e32 v13, 0
	v_mov_b32_e32 v23, 0
	s_cbranch_vccnz .LBB541_107
.LBB541_145:
	ds_read_b32 v23, v7 offset:48
	s_waitcnt lgkmcnt(0)
	v_mul_f32_e32 v23, v25, v23
	s_andn2_b64 vcc, exec, s[28:29]
	s_cbranch_vccnz .LBB541_108
.LBB541_146:
	ds_read_b32 v13, v7 offset:52
	s_waitcnt lgkmcnt(0)
	v_mul_f32_e32 v13, v14, v13
	s_andn2_b64 vcc, exec, s[30:31]
	v_mov_b32_e32 v14, 0
	v_mov_b32_e32 v25, 0
	s_cbranch_vccnz .LBB541_109
.LBB541_147:
	ds_read_b32 v25, v7 offset:56
	s_waitcnt lgkmcnt(0)
	v_mul_f32_e32 v25, v27, v25
	s_andn2_b64 vcc, exec, s[34:35]
	s_cbranch_vccnz .LBB541_110
.LBB541_148:
	ds_read_b32 v14, v7 offset:60
	s_waitcnt lgkmcnt(0)
	v_mul_f32_e32 v14, v15, v14
	s_andn2_b64 vcc, exec, s[36:37]
	v_mov_b32_e32 v15, 0
	v_mov_b32_e32 v27, 0
	s_cbranch_vccnz .LBB541_111
.LBB541_149:
	ds_read_b32 v27, v7 offset:64
	s_waitcnt lgkmcnt(0)
	v_mul_f32_e32 v27, v30, v27
	s_andn2_b64 vcc, exec, s[40:41]
	s_cbranch_vccnz .LBB541_112
.LBB541_150:
	ds_read_b32 v15, v7 offset:68
	s_waitcnt lgkmcnt(0)
	v_mul_f32_e32 v15, v17, v15
	s_andn2_b64 vcc, exec, s[42:43]
	v_mov_b32_e32 v17, 0
	v_mov_b32_e32 v30, 0
	s_cbranch_vccnz .LBB541_113
.LBB541_151:
	ds_read_b32 v30, v7 offset:72
	s_waitcnt lgkmcnt(0)
	v_mul_f32_e32 v30, v32, v30
	s_andn2_b64 vcc, exec, s[44:45]
	s_cbranch_vccnz .LBB541_114
.LBB541_152:
	ds_read_b32 v17, v7 offset:76
	s_waitcnt lgkmcnt(0)
	v_mul_f32_e32 v17, v20, v17
	s_andn2_b64 vcc, exec, s[46:47]
	v_mov_b32_e32 v20, 0
	v_mov_b32_e32 v32, 0
	s_cbranch_vccnz .LBB541_115
.LBB541_153:
	ds_read_b32 v32, v7 offset:80
	s_waitcnt lgkmcnt(0)
	v_mul_f32_e32 v32, v33, v32
	s_andn2_b64 vcc, exec, s[48:49]
	s_cbranch_vccnz .LBB541_116
.LBB541_154:
	ds_read_b32 v20, v7 offset:84
	s_waitcnt lgkmcnt(0)
	v_mul_f32_e32 v20, v22, v20
	s_andn2_b64 vcc, exec, s[50:51]
	v_mov_b32_e32 v22, 0
	v_mov_b32_e32 v33, 0
	s_cbranch_vccnz .LBB541_117
.LBB541_155:
	ds_read_b32 v33, v7 offset:88
	s_waitcnt lgkmcnt(0)
	v_mul_f32_e32 v33, v34, v33
	s_andn2_b64 vcc, exec, s[52:53]
	s_cbranch_vccnz .LBB541_118
.LBB541_156:
	ds_read_b32 v22, v7 offset:92
	s_waitcnt lgkmcnt(0)
	v_mul_f32_e32 v22, v24, v22
	s_andn2_b64 vcc, exec, s[54:55]
	v_mov_b32_e32 v24, 0
	v_mov_b32_e32 v34, 0
	s_cbranch_vccnz .LBB541_119
.LBB541_157:
	ds_read_b32 v34, v7 offset:96
	s_waitcnt lgkmcnt(0)
	v_mul_f32_e32 v34, v35, v34
	s_andn2_b64 vcc, exec, s[56:57]
	s_cbranch_vccnz .LBB541_120
.LBB541_158:
	ds_read_b32 v24, v7 offset:100
	s_waitcnt lgkmcnt(0)
	v_mul_f32_e32 v24, v26, v24
	s_andn2_b64 vcc, exec, s[58:59]
	v_mov_b32_e32 v26, 0
	v_mov_b32_e32 v35, 0
	s_cbranch_vccnz .LBB541_121
.LBB541_159:
	ds_read_b32 v35, v7 offset:104
	s_waitcnt lgkmcnt(0)
	v_mul_f32_e32 v35, v36, v35
	s_andn2_b64 vcc, exec, s[60:61]
	s_cbranch_vccnz .LBB541_122
.LBB541_160:
	ds_read_b32 v26, v7 offset:108
	s_waitcnt lgkmcnt(0)
	v_mul_f32_e32 v26, v28, v26
	s_andn2_b64 vcc, exec, s[62:63]
	v_mov_b32_e32 v28, 0
	v_mov_b32_e32 v36, 0
	s_cbranch_vccnz .LBB541_123
.LBB541_161:
	ds_read_b32 v36, v7 offset:112
	s_waitcnt lgkmcnt(0)
	v_mul_f32_e32 v36, v37, v36
	s_andn2_b64 vcc, exec, s[64:65]
	s_cbranch_vccnz .LBB541_124
.LBB541_162:
	ds_read_b32 v28, v7 offset:116
	s_waitcnt lgkmcnt(0)
	v_mul_f32_e32 v28, v29, v28
	s_andn2_b64 vcc, exec, s[66:67]
	v_mov_b32_e32 v29, 0
	v_mov_b32_e32 v37, 0
	s_cbranch_vccnz .LBB541_125
.LBB541_163:
	ds_read_b32 v37, v7 offset:120
	s_waitcnt lgkmcnt(0)
	v_mul_f32_e32 v37, v38, v37
	s_andn2_b64 vcc, exec, s[68:69]
	s_cbranch_vccz .LBB541_126
	s_branch .LBB541_127
	.section	.rodata,"a",@progbits
	.p2align	6, 0x0
	.amdhsa_kernel _ZL34rocblas_gemvn_sm_mn_batched_kernelILi32ELi24E16rocblas_bfloat16fS0_EviiT2_lPKT1_lilS4_lilS1_lPT3_lili
		.amdhsa_group_segment_fixed_size 3072
		.amdhsa_private_segment_fixed_size 0
		.amdhsa_kernarg_size 400
		.amdhsa_user_sgpr_count 2
		.amdhsa_user_sgpr_dispatch_ptr 0
		.amdhsa_user_sgpr_queue_ptr 0
		.amdhsa_user_sgpr_kernarg_segment_ptr 1
		.amdhsa_user_sgpr_dispatch_id 0
		.amdhsa_user_sgpr_kernarg_preload_length 0
		.amdhsa_user_sgpr_kernarg_preload_offset 0
		.amdhsa_user_sgpr_private_segment_size 0
		.amdhsa_uses_dynamic_stack 0
		.amdhsa_enable_private_segment 0
		.amdhsa_system_sgpr_workgroup_id_x 1
		.amdhsa_system_sgpr_workgroup_id_y 0
		.amdhsa_system_sgpr_workgroup_id_z 0
		.amdhsa_system_sgpr_workgroup_info 0
		.amdhsa_system_vgpr_workitem_id 1
		.amdhsa_next_free_vgpr 40
		.amdhsa_next_free_sgpr 70
		.amdhsa_accum_offset 40
		.amdhsa_reserve_vcc 1
		.amdhsa_float_round_mode_32 0
		.amdhsa_float_round_mode_16_64 0
		.amdhsa_float_denorm_mode_32 3
		.amdhsa_float_denorm_mode_16_64 3
		.amdhsa_dx10_clamp 1
		.amdhsa_ieee_mode 1
		.amdhsa_fp16_overflow 0
		.amdhsa_tg_split 0
		.amdhsa_exception_fp_ieee_invalid_op 0
		.amdhsa_exception_fp_denorm_src 0
		.amdhsa_exception_fp_ieee_div_zero 0
		.amdhsa_exception_fp_ieee_overflow 0
		.amdhsa_exception_fp_ieee_underflow 0
		.amdhsa_exception_fp_ieee_inexact 0
		.amdhsa_exception_int_div_zero 0
	.end_amdhsa_kernel
	.section	.text._ZL34rocblas_gemvn_sm_mn_batched_kernelILi32ELi24E16rocblas_bfloat16fS0_EviiT2_lPKT1_lilS4_lilS1_lPT3_lili,"axG",@progbits,_ZL34rocblas_gemvn_sm_mn_batched_kernelILi32ELi24E16rocblas_bfloat16fS0_EviiT2_lPKT1_lilS4_lilS1_lPT3_lili,comdat
.Lfunc_end541:
	.size	_ZL34rocblas_gemvn_sm_mn_batched_kernelILi32ELi24E16rocblas_bfloat16fS0_EviiT2_lPKT1_lilS4_lilS1_lPT3_lili, .Lfunc_end541-_ZL34rocblas_gemvn_sm_mn_batched_kernelILi32ELi24E16rocblas_bfloat16fS0_EviiT2_lPKT1_lilS4_lilS1_lPT3_lili
                                        ; -- End function
	.section	.AMDGPU.csdata,"",@progbits
; Kernel info:
; codeLenInByte = 3856
; NumSgprs: 76
; NumVgprs: 40
; NumAgprs: 0
; TotalNumVgprs: 40
; ScratchSize: 0
; MemoryBound: 0
; FloatMode: 240
; IeeeMode: 1
; LDSByteSize: 3072 bytes/workgroup (compile time only)
; SGPRBlocks: 9
; VGPRBlocks: 4
; NumSGPRsForWavesPerEU: 76
; NumVGPRsForWavesPerEU: 40
; AccumOffset: 40
; Occupancy: 6
; WaveLimiterHint : 1
; COMPUTE_PGM_RSRC2:SCRATCH_EN: 0
; COMPUTE_PGM_RSRC2:USER_SGPR: 2
; COMPUTE_PGM_RSRC2:TRAP_HANDLER: 0
; COMPUTE_PGM_RSRC2:TGID_X_EN: 1
; COMPUTE_PGM_RSRC2:TGID_Y_EN: 0
; COMPUTE_PGM_RSRC2:TGID_Z_EN: 0
; COMPUTE_PGM_RSRC2:TIDIG_COMP_CNT: 1
; COMPUTE_PGM_RSRC3_GFX90A:ACCUM_OFFSET: 9
; COMPUTE_PGM_RSRC3_GFX90A:TG_SPLIT: 0
	.section	.text._ZL20rocblas_gemvn_kernelILi64ELi4Ei16rocblas_bfloat16PKfS0_EviiT3_lPKT2_lT1_lS6_lS7_lS3_lPT4_lS7_li,"axG",@progbits,_ZL20rocblas_gemvn_kernelILi64ELi4Ei16rocblas_bfloat16PKfS0_EviiT3_lPKT2_lT1_lS6_lS7_lS3_lPT4_lS7_li,comdat
	.globl	_ZL20rocblas_gemvn_kernelILi64ELi4Ei16rocblas_bfloat16PKfS0_EviiT3_lPKT2_lT1_lS6_lS7_lS3_lPT4_lS7_li ; -- Begin function _ZL20rocblas_gemvn_kernelILi64ELi4Ei16rocblas_bfloat16PKfS0_EviiT3_lPKT2_lT1_lS6_lS7_lS3_lPT4_lS7_li
	.p2align	8
	.type	_ZL20rocblas_gemvn_kernelILi64ELi4Ei16rocblas_bfloat16PKfS0_EviiT3_lPKT2_lT1_lS6_lS7_lS3_lPT4_lS7_li,@function
_ZL20rocblas_gemvn_kernelILi64ELi4Ei16rocblas_bfloat16PKfS0_EviiT3_lPKT2_lT1_lS6_lS7_lS3_lPT4_lS7_li: ; @_ZL20rocblas_gemvn_kernelILi64ELi4Ei16rocblas_bfloat16PKfS0_EviiT3_lPKT2_lT1_lS6_lS7_lS3_lPT4_lS7_li
; %bb.0:
	s_load_dwordx2 s[4:5], s[0:1], 0x9c
	s_waitcnt lgkmcnt(0)
	s_lshr_b32 s6, s4, 16
	s_and_b32 s4, s4, 0xffff
	s_and_b32 s5, s5, 0xffff
	s_mul_i32 s4, s6, s4
	s_mul_i32 s4, s4, s5
	s_cmpk_lg_i32 s4, 0x100
	s_cbranch_scc1 .LBB542_69
; %bb.1:
	s_load_dwordx8 s[12:19], s[0:1], 0x8
	s_load_dwordx8 s[4:11], s[0:1], 0x50
	s_waitcnt lgkmcnt(0)
	s_mul_i32 s15, s3, s15
	s_mul_hi_u32 s20, s3, s14
	s_mul_i32 s14, s3, s14
	s_add_i32 s15, s20, s15
	s_lshl_b64 s[14:15], s[14:15], 2
	s_add_u32 s12, s12, s14
	s_addc_u32 s13, s13, s15
	s_mul_i32 s9, s3, s9
	s_load_dword s30, s[12:13], 0x0
	s_mul_hi_u32 s12, s3, s8
	s_add_i32 s9, s12, s9
	s_mul_i32 s8, s3, s8
	s_lshl_b64 s[8:9], s[8:9], 2
	s_add_u32 s6, s6, s8
	s_addc_u32 s7, s7, s9
	s_load_dword s28, s[6:7], 0x0
	s_waitcnt lgkmcnt(0)
	v_cmp_eq_f32_e64 s[6:7], s30, 0
	v_cmp_eq_f32_e64 s[8:9], s28, 1.0
	s_and_b64 s[6:7], s[6:7], s[8:9]
	s_and_b64 vcc, exec, s[6:7]
	s_cbranch_vccnz .LBB542_69
; %bb.2:
	s_load_dwordx2 s[6:7], s[0:1], 0x80
	s_load_dword s29, s[0:1], 0x78
	s_load_dwordx2 s[8:9], s[0:1], 0x70
	s_load_dwordx2 s[12:13], s[0:1], 0x0
	v_and_b32_e32 v2, 0x3ff, v0
	s_waitcnt lgkmcnt(0)
	s_mul_i32 s7, s3, s7
	s_mul_hi_u32 s14, s3, s6
	s_add_i32 s7, s14, s7
	s_mul_i32 s6, s3, s6
	s_lshl_b64 s[6:7], s[6:7], 1
	s_add_u32 s10, s10, s6
	s_addc_u32 s11, s11, s7
	s_lshl_b64 s[6:7], s[8:9], 1
	s_add_u32 s8, s10, s6
	s_addc_u32 s9, s11, s7
	v_bfe_u32 v18, v0, 10, 10
	v_cmp_neq_f32_e64 s[6:7], s30, 0
	v_lshl_add_u32 v3, v18, 6, v2
	s_and_b64 vcc, exec, s[6:7]
	s_cbranch_vccnz .LBB542_13
; %bb.3:
	s_movk_i32 s6, 0x100
	v_cmp_gt_u32_e32 vcc, s6, v3
	s_mov_b64 s[6:7], 0
	s_mov_b64 s[10:11], 0
                                        ; implicit-def: $vgpr5
                                        ; implicit-def: $vgpr0_vgpr1
	s_and_saveexec_b64 s[14:15], vcc
	s_cbranch_execz .LBB542_14
; %bb.4:
	v_lshl_or_b32 v4, s2, 8, v3
	v_mov_b32_e32 v5, 0
	s_ashr_i32 s11, s12, 31
	s_mov_b32 s10, s12
	v_cmp_gt_i64_e32 vcc, s[10:11], v[4:5]
	s_mov_b64 s[20:21], 0
                                        ; implicit-def: $vgpr0_vgpr1
	s_and_saveexec_b64 s[10:11], vcc
	s_cbranch_execz .LBB542_12
; %bb.5:
	v_mad_u64_u32 v[0:1], s[22:23], s29, v4, 0
	s_ashr_i32 s24, s29, 31
	v_mov_b32_e32 v6, v1
	v_cmp_eq_f32_e64 s[20:21], s28, 0
	v_mad_u64_u32 v[6:7], s[22:23], s24, v4, v[6:7]
	v_mov_b32_e32 v1, v6
	s_and_b64 vcc, exec, s[20:21]
	s_cbranch_vccnz .LBB542_11
; %bb.6:
	v_lshl_add_u64 v[4:5], v[0:1], 1, s[8:9]
	global_load_ushort v4, v[4:5], off
	s_mov_b32 s20, 0x7f800000
	s_waitcnt vmcnt(0)
	v_lshlrev_b32_e32 v4, 16, v4
	v_mul_f32_e32 v4, s28, v4
	v_and_b32_e32 v5, 0x7f800000, v4
	v_cmp_ne_u32_e32 vcc, s20, v5
                                        ; implicit-def: $vgpr5
	s_and_saveexec_b64 s[20:21], vcc
	s_xor_b64 s[20:21], exec, s[20:21]
; %bb.7:
	v_bfe_u32 v5, v4, 16, 1
	s_movk_i32 s22, 0x7fff
	v_add3_u32 v5, v4, v5, s22
                                        ; implicit-def: $vgpr4
; %bb.8:
	s_andn2_saveexec_b64 s[20:21], s[20:21]
; %bb.9:
	v_mov_b32_e32 v5, 0
	v_or_b32_e32 v6, 0x10000, v4
	v_cmp_eq_u32_sdwa vcc, v4, v5 src0_sel:WORD_0 src1_sel:DWORD
	s_nop 1
	v_cndmask_b32_e32 v5, v6, v4, vcc
; %bb.10:
	s_or_b64 exec, exec, s[20:21]
	v_lshrrev_b32_e32 v5, 16, v5
.LBB542_11:
	s_mov_b64 s[20:21], exec
.LBB542_12:
	s_or_b64 exec, exec, s[10:11]
	s_and_b64 s[10:11], s[20:21], exec
	s_or_b64 exec, exec, s[14:15]
	s_and_b64 vcc, exec, s[6:7]
	s_cbranch_vccnz .LBB542_15
	s_branch .LBB542_67
.LBB542_13:
	s_mov_b64 s[10:11], 0
                                        ; implicit-def: $vgpr5
                                        ; implicit-def: $vgpr0_vgpr1
	s_cbranch_execnz .LBB542_15
	s_branch .LBB542_67
.LBB542_14:
	s_or_b64 exec, exec, s[14:15]
	s_and_b64 vcc, exec, s[6:7]
	s_cbranch_vccz .LBB542_67
.LBB542_15:
	s_load_dwordx4 s[20:23], s[0:1], 0x30
	s_load_dword s33, s[0:1], 0x28
	s_load_dwordx2 s[6:7], s[0:1], 0x40
	s_load_dword s34, s[0:1], 0x48
	v_lshlrev_b32_e32 v24, 2, v18
	s_waitcnt lgkmcnt(0)
	s_mul_i32 s0, s3, s21
	s_mul_hi_u32 s1, s3, s20
	s_add_i32 s1, s1, s0
	s_mul_i32 s0, s3, s20
	s_lshl_b64 s[0:1], s[0:1], 1
	s_add_u32 s14, s16, s0
	s_addc_u32 s15, s17, s1
	s_lshl_b64 s[0:1], s[18:19], 1
	s_add_u32 s14, s14, s0
	s_addc_u32 s15, s15, s1
	s_mul_i32 s0, s3, s5
	s_mul_hi_u32 s1, s3, s4
	s_add_i32 s1, s1, s0
	s_mul_i32 s0, s3, s4
	s_lshl_b64 s[0:1], s[0:1], 1
	s_add_u32 s3, s22, s0
	s_addc_u32 s4, s23, s1
	s_lshl_b64 s[0:1], s[6:7], 1
	s_add_u32 s16, s3, s0
	s_addc_u32 s17, s4, s1
	s_ashr_i32 s0, s13, 31
	s_lshr_b32 s0, s0, 28
	s_add_i32 s0, s13, s0
	s_lshl_b32 s31, s2, 8
	s_and_b32 s35, s0, -16
	v_add_u32_e32 v23, s31, v2
	v_cmp_gt_i32_e32 vcc, s35, v24
	v_mov_b32_e32 v19, 0
	v_mov_b32_e32 v20, 0
	;; [unrolled: 1-line block ×4, first 2 shown]
	s_and_saveexec_b64 s[18:19], vcc
	s_cbranch_execz .LBB542_27
; %bb.16:
	v_add_u32_e32 v0, 64, v23
	v_cmp_gt_i32_e64 s[0:1], s12, v0
	v_add_u32_e32 v0, 0x80, v23
	v_cmp_gt_i32_e64 s[2:3], s12, v0
	;; [unrolled: 2-line block ×3, first 2 shown]
	v_mul_lo_u32 v0, s33, v24
	v_add_u32_e32 v6, 2, v24
	v_add_u32_e32 v7, 3, v24
	v_add3_u32 v25, v0, s33, v2
	v_mad_u64_u32 v[0:1], s[6:7], s33, v6, v[2:3]
	v_mad_u64_u32 v[4:5], s[6:7], s33, v7, v[2:3]
	v_mul_lo_u32 v1, v18, s33
	v_mul_lo_u32 v5, s34, v24
	;; [unrolled: 1-line block ×4, first 2 shown]
	v_cmp_gt_i32_e32 vcc, s12, v23
	s_lshl_b32 s36, s33, 4
	v_lshl_add_u32 v1, v1, 2, v2
	v_add_u32_e32 v5, s34, v5
	s_lshl_b32 s37, s34, 4
	v_mul_lo_u32 v27, s34, v7
	v_lshlrev_b32_e32 v28, 2, v6
	s_mov_b32 s38, 0
	s_mov_b64 s[20:21], 0
	v_mov_b32_e32 v19, 0
	v_mov_b32_e32 v20, 0
	;; [unrolled: 1-line block ×4, first 2 shown]
	s_branch .LBB542_21
.LBB542_17:                             ;   in Loop: Header=BB542_21 Depth=1
	s_or_b64 exec, exec, s[26:27]
	s_waitcnt vmcnt(3)
	v_lshlrev_b32_e32 v10, 16, v40
	v_fmac_f32_e32 v21, v8, v10
	s_waitcnt vmcnt(2)
	v_lshlrev_b32_e32 v10, 16, v39
	v_fmac_f32_e32 v21, v9, v10
	;; [unrolled: 3-line block ×4, first 2 shown]
.LBB542_18:                             ;   in Loop: Header=BB542_21 Depth=1
	s_or_b64 exec, exec, s[24:25]
	s_waitcnt vmcnt(3)
	v_lshlrev_b32_e32 v10, 16, v36
	v_fmac_f32_e32 v20, v8, v10
	s_waitcnt vmcnt(2)
	v_lshlrev_b32_e32 v10, 16, v35
	v_fmac_f32_e32 v20, v9, v10
	s_waitcnt vmcnt(1)
	v_lshlrev_b32_e32 v10, 16, v34
	v_fmac_f32_e32 v20, v6, v10
	s_waitcnt vmcnt(0)
	v_lshlrev_b32_e32 v10, 16, v33
	v_fmac_f32_e32 v20, v7, v10
.LBB542_19:                             ;   in Loop: Header=BB542_21 Depth=1
	s_or_b64 exec, exec, s[22:23]
	s_waitcnt vmcnt(3)
	v_lshlrev_b32_e32 v10, 16, v32
	v_fmac_f32_e32 v19, v8, v10
	s_waitcnt vmcnt(2)
	v_lshlrev_b32_e32 v8, 16, v31
	v_fmac_f32_e32 v19, v9, v8
	;; [unrolled: 3-line block ×4, first 2 shown]
.LBB542_20:                             ;   in Loop: Header=BB542_21 Depth=1
	s_or_b64 exec, exec, s[6:7]
	v_add_u32_e32 v24, 16, v24
	s_add_i32 s38, s38, s37
	v_cmp_le_i32_e64 s[6:7], s35, v24
	v_add_u32_e32 v25, s36, v25
	v_add_u32_e32 v0, s36, v0
	;; [unrolled: 1-line block ×3, first 2 shown]
	s_or_b64 s[20:21], s[6:7], s[20:21]
	v_add_u32_e32 v1, s36, v1
	s_andn2_b64 exec, exec, s[20:21]
	s_cbranch_execz .LBB542_26
.LBB542_21:                             ; =>This Inner Loop Header: Depth=1
	s_and_saveexec_b64 s[6:7], vcc
	s_cbranch_execz .LBB542_20
; %bb.22:                               ;   in Loop: Header=BB542_21 Depth=1
	v_add_u32_e32 v6, s38, v28
	v_ashrrev_i32_e32 v7, 31, v6
	v_add_u32_e32 v8, s38, v5
	v_add_u32_e32 v10, s38, v26
	;; [unrolled: 1-line block ×3, first 2 shown]
	v_lshl_add_u64 v[6:7], v[6:7], 1, s[16:17]
	v_ashrrev_i32_e32 v9, 31, v8
	v_ashrrev_i32_e32 v11, 31, v10
	;; [unrolled: 1-line block ×3, first 2 shown]
	v_lshl_add_u64 v[8:9], v[8:9], 1, s[16:17]
	v_lshl_add_u64 v[10:11], v[10:11], 1, s[16:17]
	;; [unrolled: 1-line block ×3, first 2 shown]
	global_load_ushort v33, v[6:7], off
	global_load_ushort v34, v[8:9], off
	;; [unrolled: 1-line block ×4, first 2 shown]
	v_add_u32_e32 v6, s31, v1
	v_ashrrev_i32_e32 v7, 31, v6
	v_lshl_add_u64 v[10:11], v[6:7], 1, s[14:15]
	v_add_u32_e32 v6, s31, v25
	v_ashrrev_i32_e32 v7, 31, v6
	v_lshl_add_u64 v[12:13], v[6:7], 1, s[14:15]
	;; [unrolled: 3-line block ×4, first 2 shown]
	global_load_ushort v32, v[10:11], off
	global_load_ushort v31, v[12:13], off
	global_load_ushort v30, v[14:15], off
	global_load_ushort v29, v[16:17], off
	s_waitcnt vmcnt(7)
	v_lshlrev_b32_e32 v8, 16, v33
	s_waitcnt vmcnt(6)
	v_lshlrev_b32_e32 v9, 16, v34
	;; [unrolled: 2-line block ×4, first 2 shown]
	s_and_saveexec_b64 s[22:23], s[0:1]
	s_cbranch_execz .LBB542_19
; %bb.23:                               ;   in Loop: Header=BB542_21 Depth=1
	global_load_ushort v36, v[10:11], off offset:128
	global_load_ushort v35, v[12:13], off offset:128
	global_load_ushort v34, v[14:15], off offset:128
	global_load_ushort v33, v[16:17], off offset:128
	s_and_saveexec_b64 s[24:25], s[2:3]
	s_cbranch_execz .LBB542_18
; %bb.24:                               ;   in Loop: Header=BB542_21 Depth=1
	global_load_ushort v40, v[10:11], off offset:256
	global_load_ushort v39, v[12:13], off offset:256
	global_load_ushort v38, v[14:15], off offset:256
	global_load_ushort v37, v[16:17], off offset:256
	;; [unrolled: 7-line block ×3, first 2 shown]
	s_waitcnt vmcnt(3)
	v_lshlrev_b32_e32 v11, 16, v41
	s_waitcnt vmcnt(2)
	v_lshlrev_b32_e32 v10, 16, v42
	v_pk_mul_f32 v[10:11], v[8:9], v[10:11]
	s_waitcnt vmcnt(1)
	v_lshlrev_b32_e32 v13, 16, v43
	s_waitcnt vmcnt(0)
	v_lshlrev_b32_e32 v12, 16, v44
	v_add_f32_e32 v10, v22, v10
	v_add_f32_e32 v14, v10, v11
	v_pk_mul_f32 v[10:11], v[6:7], v[12:13]
	s_nop 0
	v_add_f32_e32 v10, v14, v10
	v_add_f32_e32 v22, v10, v11
	s_branch .LBB542_17
.LBB542_26:
	s_or_b64 exec, exec, s[20:21]
.LBB542_27:
	s_or_b64 exec, exec, s[18:19]
	s_sub_i32 s0, s13, s35
	s_cmp_lt_i32 s0, 1
	s_cbranch_scc1 .LBB542_45
; %bb.28:
	v_cmp_gt_i32_e32 vcc, s13, v24
	v_mov_b32_e32 v10, 0
	v_or_b32_e32 v4, 1, v24
	v_mov_b32_e32 v11, 0
	v_mov_b32_e32 v12, 0
	;; [unrolled: 1-line block ×3, first 2 shown]
	s_and_saveexec_b64 s[2:3], vcc
	s_cbranch_execz .LBB542_36
; %bb.29:
	v_mul_lo_u32 v0, v24, s34
	v_ashrrev_i32_e32 v1, 31, v0
	v_lshl_add_u64 v[0:1], v[0:1], 1, s[16:17]
	global_load_ushort v0, v[0:1], off
	v_cmp_gt_i32_e64 s[0:1], s13, v4
	v_mov_b32_e32 v12, 0
	v_mov_b32_e32 v11, 0
	;; [unrolled: 1-line block ×3, first 2 shown]
	s_and_saveexec_b64 s[4:5], s[0:1]
	s_cbranch_execz .LBB542_35
; %bb.30:
	v_mul_lo_u32 v6, v4, s34
	v_ashrrev_i32_e32 v7, 31, v6
	v_lshl_add_u64 v[6:7], v[6:7], 1, s[16:17]
	global_load_ushort v1, v[6:7], off
	v_or_b32_e32 v5, 2, v24
	v_cmp_gt_i32_e64 s[0:1], s13, v5
	v_mov_b32_e32 v11, 0
	v_mov_b32_e32 v10, 0
	s_and_saveexec_b64 s[6:7], s[0:1]
	s_cbranch_execz .LBB542_34
; %bb.31:
	v_mul_lo_u32 v6, v5, s34
	v_ashrrev_i32_e32 v7, 31, v6
	v_lshl_add_u64 v[6:7], v[6:7], 1, s[16:17]
	global_load_ushort v5, v[6:7], off
	v_or_b32_e32 v6, 3, v24
	v_cmp_gt_i32_e64 s[0:1], s13, v6
	v_mov_b32_e32 v10, 0
	s_and_saveexec_b64 s[18:19], s[0:1]
	s_cbranch_execz .LBB542_33
; %bb.32:
	v_mul_lo_u32 v6, v6, s34
	v_ashrrev_i32_e32 v7, 31, v6
	v_lshl_add_u64 v[6:7], v[6:7], 1, s[16:17]
	global_load_ushort v6, v[6:7], off
	s_waitcnt vmcnt(0)
	v_lshlrev_b32_e32 v10, 16, v6
.LBB542_33:
	s_or_b64 exec, exec, s[18:19]
	s_waitcnt vmcnt(0)
	v_lshlrev_b32_e32 v11, 16, v5
.LBB542_34:
	s_or_b64 exec, exec, s[6:7]
	s_waitcnt vmcnt(0)
	v_lshlrev_b32_e32 v12, 16, v1
.LBB542_35:
	s_or_b64 exec, exec, s[4:5]
	s_waitcnt vmcnt(0)
	v_lshlrev_b32_e32 v13, 16, v0
.LBB542_36:
	s_or_b64 exec, exec, s[2:3]
	v_cmp_gt_i32_e64 s[0:1], s12, v23
	s_and_saveexec_b64 s[2:3], s[0:1]
	s_cbranch_execz .LBB542_44
; %bb.37:
	v_mul_lo_u32 v0, v24, s33
	v_cndmask_b32_e32 v0, 0, v0, vcc
	v_mul_lo_u32 v5, v4, s33
	v_cmp_gt_i32_e32 vcc, s13, v4
	v_or_b32_e32 v6, 2, v24
	v_add_u32_e32 v0, v0, v23
	v_cndmask_b32_e32 v4, 0, v5, vcc
	v_mul_lo_u32 v7, v6, s33
	v_cmp_gt_i32_e32 vcc, s13, v6
	v_or_b32_e32 v8, 3, v24
	v_ashrrev_i32_e32 v1, 31, v0
	v_add_u32_e32 v4, v4, v23
	v_cndmask_b32_e32 v6, 0, v7, vcc
	v_mul_lo_u32 v9, v8, s33
	v_cmp_gt_i32_e32 vcc, s13, v8
	v_lshl_add_u64 v[0:1], v[0:1], 1, s[14:15]
	v_ashrrev_i32_e32 v5, 31, v4
	v_add_u32_e32 v6, v6, v23
	v_cndmask_b32_e32 v8, 0, v9, vcc
	v_lshl_add_u64 v[4:5], v[4:5], 1, s[14:15]
	v_ashrrev_i32_e32 v7, 31, v6
	v_add_u32_e32 v8, v8, v23
	global_load_ushort v14, v[0:1], off
	global_load_ushort v15, v[4:5], off
	v_lshl_add_u64 v[6:7], v[6:7], 1, s[14:15]
	v_ashrrev_i32_e32 v9, 31, v8
	v_lshl_add_u64 v[8:9], v[8:9], 1, s[14:15]
	global_load_ushort v16, v[6:7], off
	global_load_ushort v17, v[8:9], off
	v_add_u32_e32 v24, 64, v23
	v_cmp_gt_i32_e32 vcc, s12, v24
	s_waitcnt vmcnt(3)
	v_lshlrev_b32_e32 v14, 16, v14
	s_waitcnt vmcnt(2)
	v_lshlrev_b32_e32 v15, 16, v15
	v_fmac_f32_e32 v19, v13, v14
	v_fmac_f32_e32 v19, v12, v15
	s_waitcnt vmcnt(1)
	v_lshlrev_b32_e32 v16, 16, v16
	s_waitcnt vmcnt(0)
	v_lshlrev_b32_e32 v14, 16, v17
	v_fmac_f32_e32 v19, v11, v16
	s_and_saveexec_b64 s[0:1], vcc
	s_cbranch_execz .LBB542_43
; %bb.38:
	global_load_ushort v15, v[0:1], off offset:128
	global_load_ushort v16, v[4:5], off offset:128
	;; [unrolled: 1-line block ×4, first 2 shown]
	v_add_u32_e32 v25, 0x80, v23
	v_cmp_gt_i32_e32 vcc, s12, v25
	s_waitcnt vmcnt(3)
	v_lshlrev_b32_e32 v26, 16, v15
	s_waitcnt vmcnt(2)
	v_lshlrev_b32_e32 v16, 16, v16
	v_fmac_f32_e32 v20, v13, v26
	s_waitcnt vmcnt(1)
	v_lshlrev_b32_e32 v17, 16, v17
	v_fmac_f32_e32 v20, v12, v16
	;; [unrolled: 3-line block ×3, first 2 shown]
	s_and_saveexec_b64 s[4:5], vcc
	s_cbranch_execz .LBB542_42
; %bb.39:
	global_load_ushort v16, v[0:1], off offset:256
	global_load_ushort v17, v[4:5], off offset:256
	;; [unrolled: 1-line block ×4, first 2 shown]
	v_add_u32_e32 v23, 0xc0, v23
	v_cmp_gt_i32_e32 vcc, s12, v23
	s_waitcnt vmcnt(3)
	v_lshlrev_b32_e32 v26, 16, v16
	s_waitcnt vmcnt(2)
	v_lshlrev_b32_e32 v17, 16, v17
	v_fmac_f32_e32 v21, v13, v26
	s_waitcnt vmcnt(1)
	v_lshlrev_b32_e32 v24, 16, v24
	v_fmac_f32_e32 v21, v12, v17
	;; [unrolled: 3-line block ×3, first 2 shown]
	s_and_saveexec_b64 s[6:7], vcc
	s_cbranch_execz .LBB542_41
; %bb.40:
	global_load_ushort v17, v[0:1], off offset:384
	global_load_ushort v23, v[4:5], off offset:384
	;; [unrolled: 1-line block ×4, first 2 shown]
	s_waitcnt vmcnt(3)
	v_lshlrev_b32_e32 v0, 16, v17
	s_waitcnt vmcnt(2)
	v_lshlrev_b32_e32 v1, 16, v23
	v_fmac_f32_e32 v22, v13, v0
	s_waitcnt vmcnt(1)
	v_lshlrev_b32_e32 v4, 16, v24
	v_fmac_f32_e32 v22, v12, v1
	v_fmac_f32_e32 v22, v11, v4
	s_waitcnt vmcnt(0)
	v_lshlrev_b32_e32 v0, 16, v25
	v_fmac_f32_e32 v22, v10, v0
.LBB542_41:
	s_or_b64 exec, exec, s[6:7]
	v_fmac_f32_e32 v21, v10, v16
.LBB542_42:
	s_or_b64 exec, exec, s[4:5]
	v_fmac_f32_e32 v20, v10, v15
.LBB542_43:
	s_or_b64 exec, exec, s[0:1]
	v_fmac_f32_e32 v19, v10, v14
.LBB542_44:
	s_or_b64 exec, exec, s[2:3]
.LBB542_45:
	v_lshlrev_b32_e32 v0, 8, v18
	s_movk_i32 s0, 0x100
	v_add_lshl_u32 v0, v0, v2, 2
	v_cmp_gt_u32_e32 vcc, s0, v3
	ds_write2st64_b32 v0, v19, v20 offset1:1
	ds_write2st64_b32 v0, v21, v22 offset0:2 offset1:3
	s_waitcnt lgkmcnt(0)
	s_barrier
	s_waitcnt lgkmcnt(0)
                                        ; implicit-def: $vgpr5
                                        ; implicit-def: $vgpr0_vgpr1
	s_and_saveexec_b64 s[0:1], vcc
	s_cbranch_execz .LBB542_66
; %bb.46:
	v_lshlrev_b32_e32 v5, 2, v3
	ds_read2st64_b32 v[0:1], v5 offset1:4
	ds_read2st64_b32 v[6:7], v5 offset0:8 offset1:12
	v_or_b32_e32 v4, s31, v3
	v_cmp_gt_i32_e32 vcc, s12, v4
	s_mov_b64 s[4:5], s[10:11]
	s_waitcnt lgkmcnt(1)
	v_add_f32_e32 v0, v0, v1
	s_waitcnt lgkmcnt(0)
	v_add_f32_e32 v0, v6, v0
	v_add_f32_e32 v2, v7, v0
	ds_write_b32 v5, v2
                                        ; implicit-def: $vgpr5
                                        ; implicit-def: $vgpr0_vgpr1
	s_and_saveexec_b64 s[2:3], vcc
	s_cbranch_execz .LBB542_65
; %bb.47:
	v_cmp_eq_f32_e64 s[4:5], s28, 0
	v_mul_f32_e32 v2, s30, v2
	s_and_b64 vcc, exec, s[4:5]
	s_cbranch_vccz .LBB542_53
; %bb.48:
	s_mov_b32 s4, 0x7f800000
	v_and_b32_e32 v0, 0x7f800000, v2
	v_cmp_ne_u32_e32 vcc, s4, v0
                                        ; implicit-def: $vgpr3
	s_and_saveexec_b64 s[4:5], vcc
	s_xor_b64 s[4:5], exec, s[4:5]
; %bb.49:
	v_bfe_u32 v0, v2, 16, 1
	s_movk_i32 s6, 0x7fff
	v_add3_u32 v3, v2, v0, s6
; %bb.50:
	s_andn2_saveexec_b64 s[4:5], s[4:5]
; %bb.51:
	v_mov_b32_e32 v0, 0
	v_or_b32_e32 v1, 0x10000, v2
	v_cmp_eq_u32_sdwa vcc, v2, v0 src0_sel:WORD_0 src1_sel:DWORD
	s_nop 1
	v_cndmask_b32_e32 v3, v1, v2, vcc
; %bb.52:
	s_or_b64 exec, exec, s[4:5]
	s_mov_b64 s[4:5], 0
	s_branch .LBB542_54
.LBB542_53:
	s_mov_b64 s[4:5], -1
                                        ; implicit-def: $vgpr3
.LBB542_54:
	v_mul_lo_u32 v0, v4, s29
	s_andn2_b64 vcc, exec, s[4:5]
	v_ashrrev_i32_e32 v1, 31, v0
	s_cbranch_vccnz .LBB542_64
; %bb.55:
	v_lshl_add_u64 v[4:5], v[0:1], 1, s[8:9]
	global_load_ushort v3, v[4:5], off
	s_mov_b32 s4, 0x7f800000
	s_waitcnt vmcnt(0)
	v_lshlrev_b32_e32 v3, 16, v3
	v_mul_f32_e32 v3, s28, v3
	v_and_b32_e32 v4, 0x7f800000, v3
	v_cmp_ne_u32_e32 vcc, s4, v4
                                        ; implicit-def: $vgpr4
	s_and_saveexec_b64 s[4:5], vcc
	s_xor_b64 s[4:5], exec, s[4:5]
; %bb.56:
	v_bfe_u32 v4, v3, 16, 1
	s_movk_i32 s6, 0x7fff
	v_add3_u32 v4, v3, v4, s6
                                        ; implicit-def: $vgpr3
; %bb.57:
	s_andn2_saveexec_b64 s[4:5], s[4:5]
; %bb.58:
	v_mov_b32_e32 v4, 0
	v_or_b32_e32 v5, 0x10000, v3
	v_cmp_eq_u32_sdwa vcc, v3, v4 src0_sel:WORD_0 src1_sel:DWORD
	s_nop 1
	v_cndmask_b32_e32 v4, v5, v3, vcc
; %bb.59:
	s_or_b64 exec, exec, s[4:5]
	v_and_b32_e32 v3, 0xffff0000, v4
	v_add_f32_e32 v2, v2, v3
	s_mov_b32 s4, 0x7f800000
	v_and_b32_e32 v3, 0x7f800000, v2
	v_cmp_ne_u32_e32 vcc, s4, v3
                                        ; implicit-def: $vgpr3
	s_and_saveexec_b64 s[4:5], vcc
	s_xor_b64 s[4:5], exec, s[4:5]
; %bb.60:
	v_bfe_u32 v3, v2, 16, 1
	s_movk_i32 s6, 0x7fff
	v_add3_u32 v3, v2, v3, s6
                                        ; implicit-def: $vgpr2
; %bb.61:
	s_andn2_saveexec_b64 s[4:5], s[4:5]
; %bb.62:
	v_mov_b32_e32 v3, 0
	v_or_b32_e32 v4, 0x10000, v2
	v_cmp_eq_u32_sdwa vcc, v2, v3 src0_sel:WORD_0 src1_sel:DWORD
	s_nop 1
	v_cndmask_b32_e32 v3, v4, v2, vcc
; %bb.63:
	s_or_b64 exec, exec, s[4:5]
.LBB542_64:
	v_lshrrev_b32_e32 v5, 16, v3
	s_or_b64 s[4:5], s[10:11], exec
.LBB542_65:
	s_or_b64 exec, exec, s[2:3]
	s_andn2_b64 s[2:3], s[10:11], exec
	s_and_b64 s[4:5], s[4:5], exec
	s_or_b64 s[10:11], s[2:3], s[4:5]
.LBB542_66:
	s_or_b64 exec, exec, s[0:1]
.LBB542_67:
	s_and_saveexec_b64 s[0:1], s[10:11]
	s_cbranch_execz .LBB542_69
; %bb.68:
	v_lshl_add_u64 v[0:1], v[0:1], 1, s[8:9]
	global_store_short v[0:1], v5, off
.LBB542_69:
	s_endpgm
	.section	.rodata,"a",@progbits
	.p2align	6, 0x0
	.amdhsa_kernel _ZL20rocblas_gemvn_kernelILi64ELi4Ei16rocblas_bfloat16PKfS0_EviiT3_lPKT2_lT1_lS6_lS7_lS3_lPT4_lS7_li
		.amdhsa_group_segment_fixed_size 4096
		.amdhsa_private_segment_fixed_size 0
		.amdhsa_kernarg_size 400
		.amdhsa_user_sgpr_count 2
		.amdhsa_user_sgpr_dispatch_ptr 0
		.amdhsa_user_sgpr_queue_ptr 0
		.amdhsa_user_sgpr_kernarg_segment_ptr 1
		.amdhsa_user_sgpr_dispatch_id 0
		.amdhsa_user_sgpr_kernarg_preload_length 0
		.amdhsa_user_sgpr_kernarg_preload_offset 0
		.amdhsa_user_sgpr_private_segment_size 0
		.amdhsa_uses_dynamic_stack 0
		.amdhsa_enable_private_segment 0
		.amdhsa_system_sgpr_workgroup_id_x 1
		.amdhsa_system_sgpr_workgroup_id_y 0
		.amdhsa_system_sgpr_workgroup_id_z 1
		.amdhsa_system_sgpr_workgroup_info 0
		.amdhsa_system_vgpr_workitem_id 1
		.amdhsa_next_free_vgpr 45
		.amdhsa_next_free_sgpr 39
		.amdhsa_accum_offset 48
		.amdhsa_reserve_vcc 1
		.amdhsa_float_round_mode_32 0
		.amdhsa_float_round_mode_16_64 0
		.amdhsa_float_denorm_mode_32 3
		.amdhsa_float_denorm_mode_16_64 3
		.amdhsa_dx10_clamp 1
		.amdhsa_ieee_mode 1
		.amdhsa_fp16_overflow 0
		.amdhsa_tg_split 0
		.amdhsa_exception_fp_ieee_invalid_op 0
		.amdhsa_exception_fp_denorm_src 0
		.amdhsa_exception_fp_ieee_div_zero 0
		.amdhsa_exception_fp_ieee_overflow 0
		.amdhsa_exception_fp_ieee_underflow 0
		.amdhsa_exception_fp_ieee_inexact 0
		.amdhsa_exception_int_div_zero 0
	.end_amdhsa_kernel
	.section	.text._ZL20rocblas_gemvn_kernelILi64ELi4Ei16rocblas_bfloat16PKfS0_EviiT3_lPKT2_lT1_lS6_lS7_lS3_lPT4_lS7_li,"axG",@progbits,_ZL20rocblas_gemvn_kernelILi64ELi4Ei16rocblas_bfloat16PKfS0_EviiT3_lPKT2_lT1_lS6_lS7_lS3_lPT4_lS7_li,comdat
.Lfunc_end542:
	.size	_ZL20rocblas_gemvn_kernelILi64ELi4Ei16rocblas_bfloat16PKfS0_EviiT3_lPKT2_lT1_lS6_lS7_lS3_lPT4_lS7_li, .Lfunc_end542-_ZL20rocblas_gemvn_kernelILi64ELi4Ei16rocblas_bfloat16PKfS0_EviiT3_lPKT2_lT1_lS6_lS7_lS3_lPT4_lS7_li
                                        ; -- End function
	.section	.AMDGPU.csdata,"",@progbits
; Kernel info:
; codeLenInByte = 2896
; NumSgprs: 45
; NumVgprs: 45
; NumAgprs: 0
; TotalNumVgprs: 45
; ScratchSize: 0
; MemoryBound: 0
; FloatMode: 240
; IeeeMode: 1
; LDSByteSize: 4096 bytes/workgroup (compile time only)
; SGPRBlocks: 5
; VGPRBlocks: 5
; NumSGPRsForWavesPerEU: 45
; NumVGPRsForWavesPerEU: 45
; AccumOffset: 48
; Occupancy: 8
; WaveLimiterHint : 1
; COMPUTE_PGM_RSRC2:SCRATCH_EN: 0
; COMPUTE_PGM_RSRC2:USER_SGPR: 2
; COMPUTE_PGM_RSRC2:TRAP_HANDLER: 0
; COMPUTE_PGM_RSRC2:TGID_X_EN: 1
; COMPUTE_PGM_RSRC2:TGID_Y_EN: 0
; COMPUTE_PGM_RSRC2:TGID_Z_EN: 1
; COMPUTE_PGM_RSRC2:TIDIG_COMP_CNT: 1
; COMPUTE_PGM_RSRC3_GFX90A:ACCUM_OFFSET: 11
; COMPUTE_PGM_RSRC3_GFX90A:TG_SPLIT: 0
	.section	.text._ZL20rocblas_gemvn_kernelILi64ELi4El16rocblas_bfloat16PKfS0_EviiT3_lPKT2_lT1_lS6_lS7_lS3_lPT4_lS7_li,"axG",@progbits,_ZL20rocblas_gemvn_kernelILi64ELi4El16rocblas_bfloat16PKfS0_EviiT3_lPKT2_lT1_lS6_lS7_lS3_lPT4_lS7_li,comdat
	.globl	_ZL20rocblas_gemvn_kernelILi64ELi4El16rocblas_bfloat16PKfS0_EviiT3_lPKT2_lT1_lS6_lS7_lS3_lPT4_lS7_li ; -- Begin function _ZL20rocblas_gemvn_kernelILi64ELi4El16rocblas_bfloat16PKfS0_EviiT3_lPKT2_lT1_lS6_lS7_lS3_lPT4_lS7_li
	.p2align	8
	.type	_ZL20rocblas_gemvn_kernelILi64ELi4El16rocblas_bfloat16PKfS0_EviiT3_lPKT2_lT1_lS6_lS7_lS3_lPT4_lS7_li,@function
_ZL20rocblas_gemvn_kernelILi64ELi4El16rocblas_bfloat16PKfS0_EviiT3_lPKT2_lT1_lS6_lS7_lS3_lPT4_lS7_li: ; @_ZL20rocblas_gemvn_kernelILi64ELi4El16rocblas_bfloat16PKfS0_EviiT3_lPKT2_lT1_lS6_lS7_lS3_lPT4_lS7_li
; %bb.0:
	s_load_dwordx2 s[4:5], s[0:1], 0x9c
	s_waitcnt lgkmcnt(0)
	s_lshr_b32 s6, s4, 16
	s_and_b32 s4, s4, 0xffff
	s_and_b32 s5, s5, 0xffff
	s_mul_i32 s4, s6, s4
	s_mul_i32 s4, s4, s5
	s_cmpk_lg_i32 s4, 0x100
	s_cbranch_scc1 .LBB543_69
; %bb.1:
	s_load_dwordx16 s[36:51], s[0:1], 0x8
	s_load_dwordx16 s[8:23], s[0:1], 0x48
	s_waitcnt lgkmcnt(0)
	s_mul_i32 s5, s3, s39
	s_mul_hi_u32 s6, s3, s38
	s_mul_i32 s4, s3, s38
	s_add_i32 s5, s6, s5
	s_lshl_b64 s[4:5], s[4:5], 2
	s_add_u32 s4, s36, s4
	s_addc_u32 s5, s37, s5
	s_mul_i32 s7, s3, s15
	s_load_dword s52, s[4:5], 0x0
	s_mul_hi_u32 s4, s3, s14
	s_add_i32 s5, s4, s7
	s_mul_i32 s4, s3, s14
	s_lshl_b64 s[4:5], s[4:5], 2
	s_add_u32 s4, s12, s4
	s_addc_u32 s5, s13, s5
	s_load_dword s33, s[4:5], 0x0
	s_waitcnt lgkmcnt(0)
	v_cmp_eq_f32_e64 s[4:5], s52, 0
	v_cmp_eq_f32_e64 s[6:7], s33, 1.0
	s_and_b64 s[4:5], s[4:5], s[6:7]
	s_and_b64 vcc, exec, s[4:5]
	s_cbranch_vccnz .LBB543_69
; %bb.2:
	s_load_dwordx2 s[24:25], s[0:1], 0x0
	s_mul_i32 s0, s3, s23
	s_mul_hi_u32 s1, s3, s22
	s_add_i32 s1, s1, s0
	s_mul_i32 s0, s3, s22
	s_lshl_b64 s[0:1], s[0:1], 1
	s_add_u32 s4, s16, s0
	s_addc_u32 s5, s17, s1
	s_lshl_b64 s[0:1], s[18:19], 1
	s_add_u32 s12, s4, s0
	s_addc_u32 s13, s5, s1
	v_and_b32_e32 v33, 0x3ff, v0
	v_bfe_u32 v34, v0, 10, 10
	v_cmp_neq_f32_e64 s[0:1], s52, 0
	v_lshl_add_u32 v32, v34, 6, v33
	s_and_b64 vcc, exec, s[0:1]
	s_cbranch_vccnz .LBB543_13
; %bb.3:
	s_movk_i32 s0, 0x100
	v_cmp_gt_u32_e32 vcc, s0, v32
	s_mov_b64 s[0:1], 0
	s_mov_b64 s[14:15], 0
                                        ; implicit-def: $vgpr3
                                        ; implicit-def: $vgpr0_vgpr1
	s_and_saveexec_b64 s[4:5], vcc
	s_cbranch_execz .LBB543_14
; %bb.4:
	v_lshl_or_b32 v2, s2, 8, v32
	v_mov_b32_e32 v3, 0
	s_waitcnt lgkmcnt(0)
	s_ashr_i32 s7, s24, 31
	s_mov_b32 s6, s24
	v_cmp_gt_i64_e32 vcc, s[6:7], v[2:3]
                                        ; implicit-def: $vgpr0_vgpr1
	s_and_saveexec_b64 s[6:7], vcc
	s_cbranch_execz .LBB543_12
; %bb.5:
	v_mad_u64_u32 v[0:1], s[16:17], v2, s20, 0
	v_mov_b32_e32 v4, v1
	v_cmp_eq_f32_e64 s[14:15], s33, 0
	v_mad_u64_u32 v[4:5], s[16:17], v2, s21, v[4:5]
	v_mov_b32_e32 v1, v4
	s_and_b64 vcc, exec, s[14:15]
	s_cbranch_vccnz .LBB543_11
; %bb.6:
	v_lshl_add_u64 v[2:3], v[0:1], 1, s[12:13]
	global_load_ushort v2, v[2:3], off
	s_mov_b32 s14, 0x7f800000
	s_waitcnt vmcnt(0)
	v_lshlrev_b32_e32 v2, 16, v2
	v_mul_f32_e32 v2, s33, v2
	v_and_b32_e32 v3, 0x7f800000, v2
	v_cmp_ne_u32_e32 vcc, s14, v3
                                        ; implicit-def: $vgpr3
	s_and_saveexec_b64 s[14:15], vcc
	s_xor_b64 s[14:15], exec, s[14:15]
; %bb.7:
	v_bfe_u32 v3, v2, 16, 1
	s_movk_i32 s16, 0x7fff
	v_add3_u32 v3, v2, v3, s16
                                        ; implicit-def: $vgpr2
; %bb.8:
	s_andn2_saveexec_b64 s[14:15], s[14:15]
; %bb.9:
	v_mov_b32_e32 v3, 0
	v_or_b32_e32 v4, 0x10000, v2
	v_cmp_eq_u32_sdwa vcc, v2, v3 src0_sel:WORD_0 src1_sel:DWORD
	s_nop 1
	v_cndmask_b32_e32 v3, v4, v2, vcc
; %bb.10:
	s_or_b64 exec, exec, s[14:15]
	v_lshrrev_b32_e32 v3, 16, v3
.LBB543_11:
	s_mov_b64 s[14:15], exec
.LBB543_12:
	s_or_b64 exec, exec, s[6:7]
	s_and_b64 s[14:15], s[14:15], exec
	s_or_b64 exec, exec, s[4:5]
	s_and_b64 vcc, exec, s[0:1]
	s_cbranch_vccnz .LBB543_15
	s_branch .LBB543_67
.LBB543_13:
	s_mov_b64 s[14:15], 0
                                        ; implicit-def: $vgpr3
                                        ; implicit-def: $vgpr0_vgpr1
	s_cbranch_execnz .LBB543_15
	s_branch .LBB543_67
.LBB543_14:
	s_or_b64 exec, exec, s[4:5]
	s_and_b64 vcc, exec, s[0:1]
	s_cbranch_vccz .LBB543_67
.LBB543_15:
	s_mul_i32 s0, s3, s47
	s_mul_hi_u32 s1, s3, s46
	s_add_i32 s17, s1, s0
	s_mul_i32 s0, s3, s11
	s_mul_hi_u32 s1, s3, s10
	s_add_i32 s11, s1, s0
	s_waitcnt lgkmcnt(0)
	s_ashr_i32 s0, s25, 31
	s_lshr_b32 s0, s0, 28
	s_add_i32 s0, s25, s0
	s_mul_i32 s16, s3, s46
	s_lshl_b32 s46, s2, 8
	s_and_b32 s47, s0, -16
	v_lshlrev_b32_e32 v39, 2, v34
	s_mul_i32 s10, s3, s10
	v_add_u32_e32 v0, s46, v33
	v_cmp_gt_i32_e32 vcc, s47, v39
	v_mov_b32_e32 v35, 0
	v_mov_b32_e32 v36, 0
	;; [unrolled: 1-line block ×4, first 2 shown]
	s_and_saveexec_b64 s[18:19], vcc
	s_cbranch_execz .LBB543_27
; %bb.16:
	v_add_u32_e32 v2, 64, v0
	v_cmp_gt_i32_e64 s[0:1], s24, v2
	v_add_u32_e32 v2, 0x80, v0
	v_cmp_gt_i32_e64 s[2:3], s24, v2
	;; [unrolled: 2-line block ×3, first 2 shown]
	v_mad_u64_u32 v[2:3], s[6:7], s8, v34, 0
	v_mov_b32_e32 v4, v3
	v_ashrrev_i32_e32 v1, 31, v0
	v_mad_u64_u32 v[4:5], s[6:7], s9, v34, v[4:5]
	v_mov_b32_e32 v3, v4
	v_lshlrev_b64 v[4:5], 1, v[0:1]
	v_lshlrev_b32_e32 v1, 2, v34
	v_or_b32_e32 v11, 3, v1
	v_mad_u64_u32 v[6:7], s[28:29], s44, v11, 0
	v_mov_b32_e32 v8, v7
	v_mad_u64_u32 v[8:9], s[28:29], s45, v11, v[8:9]
	v_mov_b32_e32 v7, v8
	;; [unrolled: 2-line block ×5, first 2 shown]
	v_mad_u64_u32 v[12:13], s[34:35], s45, v34, v[12:13]
	v_or_b32_e32 v17, 2, v1
	v_mov_b32_e32 v11, v12
	v_mad_u64_u32 v[12:13], s[34:35], s44, v17, 0
	v_mov_b32_e32 v14, v13
	v_mad_u64_u32 v[14:15], s[34:35], s45, v17, v[14:15]
	;; [unrolled: 2-line block ×4, first 2 shown]
	v_mov_b32_e32 v15, v16
	v_mov_b64_e32 v[16:17], s[8:9]
	v_mad_u64_u32 v[16:17], s[34:35], s8, v1, v[16:17]
	s_lshl_b64 s[22:23], s[50:51], 1
	s_lshl_b64 s[6:7], s[10:11], 1
	v_mov_b32_e32 v18, v17
	s_add_u32 s6, s48, s6
	v_mad_u64_u32 v[18:19], s[34:35], s9, v1, v[18:19]
	s_addc_u32 s7, s49, s7
	s_lshl_b64 s[26:27], s[8:9], 5
	s_lshl_b64 s[28:29], s[16:17], 1
	;; [unrolled: 1-line block ×3, first 2 shown]
	v_mov_b32_e32 v17, v18
	v_mov_b64_e32 v[18:19], s[44:45]
	v_lshl_add_u64 v[2:3], v[2:3], 3, s[6:7]
	s_add_u32 s30, s40, s30
	v_lshl_add_u64 v[8:9], v[8:9], 1, s[6:7]
	v_lshl_add_u64 v[14:15], v[14:15], 1, s[6:7]
	;; [unrolled: 1-line block ×3, first 2 shown]
	v_mad_u64_u32 v[18:19], s[6:7], s44, v1, v[18:19]
	s_addc_u32 s31, s41, s31
	v_mov_b32_e32 v20, v19
	s_add_u32 s30, s30, s28
	v_mad_u64_u32 v[20:21], s[6:7], s45, v1, v[20:21]
	s_addc_u32 s31, s31, s29
	v_mov_b32_e32 v19, v20
	v_cmp_gt_i32_e32 vcc, s24, v0
	v_lshl_add_u64 v[6:7], v[6:7], 1, s[30:31]
	s_lshl_b64 s[28:29], s[44:45], 5
	v_lshl_add_u64 v[10:11], v[10:11], 3, s[30:31]
	v_lshl_add_u64 v[12:13], v[12:13], 1, s[30:31]
	;; [unrolled: 1-line block ×3, first 2 shown]
	s_mov_b64 s[30:31], 0
	v_mov_b32_e32 v35, 0
	v_mov_b32_e32 v36, 0
	;; [unrolled: 1-line block ×4, first 2 shown]
	s_branch .LBB543_21
.LBB543_17:                             ;   in Loop: Header=BB543_21 Depth=1
	s_or_b64 exec, exec, s[38:39]
	s_waitcnt vmcnt(3)
	v_lshlrev_b32_e32 v24, 16, v50
	v_fmac_f32_e32 v37, v22, v24
	s_waitcnt vmcnt(2)
	v_lshlrev_b32_e32 v24, 16, v49
	v_fmac_f32_e32 v37, v23, v24
	s_waitcnt vmcnt(1)
	v_lshlrev_b32_e32 v24, 16, v48
	v_fmac_f32_e32 v37, v20, v24
	s_waitcnt vmcnt(0)
	v_lshlrev_b32_e32 v24, 16, v47
	v_fmac_f32_e32 v37, v21, v24
.LBB543_18:                             ;   in Loop: Header=BB543_21 Depth=1
	s_or_b64 exec, exec, s[36:37]
	s_waitcnt vmcnt(3)
	v_lshlrev_b32_e32 v24, 16, v46
	v_fmac_f32_e32 v36, v22, v24
	s_waitcnt vmcnt(2)
	v_lshlrev_b32_e32 v24, 16, v45
	v_fmac_f32_e32 v36, v23, v24
	;; [unrolled: 3-line block ×4, first 2 shown]
.LBB543_19:                             ;   in Loop: Header=BB543_21 Depth=1
	s_or_b64 exec, exec, s[34:35]
	s_waitcnt vmcnt(3)
	v_lshlrev_b32_e32 v24, 16, v42
	v_fmac_f32_e32 v35, v22, v24
	s_waitcnt vmcnt(2)
	v_lshlrev_b32_e32 v22, 16, v41
	v_fmac_f32_e32 v35, v23, v22
	;; [unrolled: 3-line block ×4, first 2 shown]
.LBB543_20:                             ;   in Loop: Header=BB543_21 Depth=1
	s_or_b64 exec, exec, s[6:7]
	v_add_u32_e32 v39, 16, v39
	v_cmp_le_i32_e64 s[6:7], s47, v39
	v_lshl_add_u64 v[2:3], v[2:3], 0, s[26:27]
	v_lshl_add_u64 v[6:7], v[6:7], 0, s[28:29]
	v_lshl_add_u64 v[8:9], v[8:9], 0, s[26:27]
	v_lshl_add_u64 v[10:11], v[10:11], 0, s[28:29]
	v_lshl_add_u64 v[12:13], v[12:13], 0, s[28:29]
	v_lshl_add_u64 v[14:15], v[14:15], 0, s[26:27]
	v_lshl_add_u64 v[16:17], v[16:17], 0, s[26:27]
	s_or_b64 s[30:31], s[6:7], s[30:31]
	v_lshl_add_u64 v[18:19], v[18:19], 0, s[28:29]
	s_andn2_b64 exec, exec, s[30:31]
	s_cbranch_execz .LBB543_26
.LBB543_21:                             ; =>This Inner Loop Header: Depth=1
	s_and_saveexec_b64 s[6:7], vcc
	s_cbranch_execz .LBB543_20
; %bb.22:                               ;   in Loop: Header=BB543_21 Depth=1
	v_lshl_add_u64 v[20:21], v[2:3], 0, s[22:23]
	v_lshl_add_u64 v[22:23], v[16:17], 0, s[22:23]
	global_load_ushort v43, v[20:21], off
	global_load_ushort v44, v[22:23], off
	v_lshl_add_u64 v[20:21], v[14:15], 0, s[22:23]
	v_lshl_add_u64 v[22:23], v[8:9], 0, s[22:23]
	global_load_ushort v45, v[20:21], off
	global_load_ushort v46, v[22:23], off
	v_lshl_add_u64 v[28:29], v[10:11], 0, v[4:5]
	v_lshl_add_u64 v[30:31], v[18:19], 0, v[4:5]
	;; [unrolled: 1-line block ×4, first 2 shown]
	global_load_ushort v42, v[28:29], off
	global_load_ushort v41, v[30:31], off
	;; [unrolled: 1-line block ×4, first 2 shown]
	s_waitcnt vmcnt(7)
	v_lshlrev_b32_e32 v22, 16, v43
	s_waitcnt vmcnt(6)
	v_lshlrev_b32_e32 v23, 16, v44
	;; [unrolled: 2-line block ×4, first 2 shown]
	s_and_saveexec_b64 s[34:35], s[0:1]
	s_cbranch_execz .LBB543_19
; %bb.23:                               ;   in Loop: Header=BB543_21 Depth=1
	global_load_ushort v46, v[28:29], off offset:128
	global_load_ushort v45, v[30:31], off offset:128
	;; [unrolled: 1-line block ×4, first 2 shown]
	s_and_saveexec_b64 s[36:37], s[2:3]
	s_cbranch_execz .LBB543_18
; %bb.24:                               ;   in Loop: Header=BB543_21 Depth=1
	global_load_ushort v50, v[28:29], off offset:256
	global_load_ushort v49, v[30:31], off offset:256
	;; [unrolled: 1-line block ×4, first 2 shown]
	s_and_saveexec_b64 s[38:39], s[4:5]
	s_cbranch_execz .LBB543_17
; %bb.25:                               ;   in Loop: Header=BB543_21 Depth=1
	global_load_ushort v30, v[30:31], off offset:384
	s_nop 0
	global_load_ushort v28, v[28:29], off offset:384
	s_nop 0
	;; [unrolled: 2-line block ×3, first 2 shown]
	global_load_ushort v29, v[24:25], off offset:384
	s_waitcnt vmcnt(3)
	v_lshlrev_b32_e32 v25, 16, v30
	s_waitcnt vmcnt(2)
	v_lshlrev_b32_e32 v24, 16, v28
	v_pk_mul_f32 v[24:25], v[22:23], v[24:25]
	s_waitcnt vmcnt(1)
	v_lshlrev_b32_e32 v27, 16, v26
	s_waitcnt vmcnt(0)
	v_lshlrev_b32_e32 v26, 16, v29
	v_add_f32_e32 v24, v38, v24
	v_add_f32_e32 v28, v24, v25
	v_pk_mul_f32 v[24:25], v[20:21], v[26:27]
	s_nop 0
	v_add_f32_e32 v24, v28, v24
	v_add_f32_e32 v38, v24, v25
	s_branch .LBB543_17
.LBB543_26:
	s_or_b64 exec, exec, s[30:31]
.LBB543_27:
	s_or_b64 exec, exec, s[18:19]
	s_sub_i32 s0, s25, s47
	s_cmp_lt_i32 s0, 1
	s_cbranch_scc1 .LBB543_45
; %bb.28:
	v_cmp_gt_i32_e32 vcc, s25, v39
	v_mov_b32_e32 v10, 0
	v_or_b32_e32 v4, 1, v39
	v_mov_b32_e32 v11, 0
	v_mov_b32_e32 v12, 0
	;; [unrolled: 1-line block ×3, first 2 shown]
	s_and_saveexec_b64 s[2:3], vcc
	s_cbranch_execz .LBB543_36
; %bb.29:
	s_lshl_b64 s[0:1], s[10:11], 1
	s_add_u32 s4, s48, s0
	s_addc_u32 s5, s49, s1
	s_lshl_b64 s[0:1], s[50:51], 1
	s_add_u32 s6, s4, s0
	s_addc_u32 s7, s5, s1
	v_mad_u64_u32 v[2:3], s[0:1], v39, s8, 0
	v_mov_b32_e32 v6, v3
	v_mad_u64_u32 v[6:7], s[0:1], v39, s9, v[6:7]
	v_mov_b32_e32 v3, v6
	v_lshl_add_u64 v[2:3], v[2:3], 1, s[6:7]
	global_load_ushort v1, v[2:3], off
	v_cmp_gt_i32_e64 s[0:1], s25, v4
	v_mov_b32_e32 v12, 0
	v_mov_b32_e32 v11, 0
	;; [unrolled: 1-line block ×3, first 2 shown]
	s_and_saveexec_b64 s[4:5], s[0:1]
	s_cbranch_execz .LBB543_35
; %bb.30:
	v_mad_u64_u32 v[2:3], s[0:1], v4, s8, 0
	v_mov_b32_e32 v6, v3
	v_mad_u64_u32 v[6:7], s[0:1], v4, s9, v[6:7]
	v_mov_b32_e32 v3, v6
	v_lshl_add_u64 v[2:3], v[2:3], 1, s[6:7]
	global_load_ushort v2, v[2:3], off
	v_or_b32_e32 v3, 2, v39
	v_cmp_gt_i32_e64 s[0:1], s25, v3
	v_mov_b32_e32 v11, 0
	v_mov_b32_e32 v10, 0
	s_and_saveexec_b64 s[10:11], s[0:1]
	s_cbranch_execz .LBB543_34
; %bb.31:
	v_mad_u64_u32 v[6:7], s[0:1], v3, s8, 0
	v_mov_b32_e32 v8, v7
	v_mad_u64_u32 v[8:9], s[0:1], v3, s9, v[8:9]
	v_mov_b32_e32 v7, v8
	v_lshl_add_u64 v[6:7], v[6:7], 1, s[6:7]
	global_load_ushort v3, v[6:7], off
	v_or_b32_e32 v5, 3, v39
	v_cmp_gt_i32_e64 s[0:1], s25, v5
	v_mov_b32_e32 v10, 0
	s_and_saveexec_b64 s[18:19], s[0:1]
	s_cbranch_execz .LBB543_33
; %bb.32:
	v_mad_u64_u32 v[6:7], s[0:1], v5, s8, 0
	v_mov_b32_e32 v8, v7
	v_mad_u64_u32 v[8:9], s[0:1], v5, s9, v[8:9]
	v_mov_b32_e32 v7, v8
	v_lshl_add_u64 v[6:7], v[6:7], 1, s[6:7]
	global_load_ushort v5, v[6:7], off
	s_waitcnt vmcnt(0)
	v_lshlrev_b32_e32 v10, 16, v5
.LBB543_33:
	s_or_b64 exec, exec, s[18:19]
	s_waitcnt vmcnt(0)
	v_lshlrev_b32_e32 v11, 16, v3
.LBB543_34:
	s_or_b64 exec, exec, s[10:11]
	s_waitcnt vmcnt(0)
	v_lshlrev_b32_e32 v12, 16, v2
.LBB543_35:
	s_or_b64 exec, exec, s[4:5]
	s_waitcnt vmcnt(0)
	v_lshlrev_b32_e32 v13, 16, v1
.LBB543_36:
	s_or_b64 exec, exec, s[2:3]
	v_cmp_gt_i32_e64 s[0:1], s24, v0
	s_and_saveexec_b64 s[2:3], s[0:1]
	s_cbranch_execz .LBB543_44
; %bb.37:
	s_lshl_b64 s[0:1], s[16:17], 1
	s_add_u32 s4, s40, s0
	s_addc_u32 s5, s41, s1
	s_lshl_b64 s[0:1], s[42:43], 1
	s_add_u32 s0, s4, s0
	s_addc_u32 s1, s5, s1
	v_mad_u64_u32 v[2:3], s[4:5], v39, s44, 0
	v_mov_b32_e32 v6, v3
	v_mad_u64_u32 v[6:7], s[4:5], v39, s45, v[6:7]
	v_ashrrev_i32_e32 v1, 31, v0
	v_cndmask_b32_e32 v3, 0, v6, vcc
	v_mad_u64_u32 v[6:7], s[4:5], v4, s44, 0
	v_cndmask_b32_e32 v2, 0, v2, vcc
	v_lshlrev_b64 v[8:9], 1, v[0:1]
	v_mov_b32_e32 v14, v7
	v_cmp_gt_i32_e32 vcc, s25, v4
	v_or_b32_e32 v1, 2, v39
	v_mad_u64_u32 v[14:15], s[4:5], v4, s45, v[14:15]
	v_cndmask_b32_e32 v4, 0, v6, vcc
	v_mad_u64_u32 v[6:7], s[4:5], v1, s44, 0
	v_cndmask_b32_e32 v5, 0, v14, vcc
	v_mov_b32_e32 v14, v7
	v_mad_u64_u32 v[14:15], s[4:5], v1, s45, v[14:15]
	v_cmp_gt_i32_e32 vcc, s25, v1
	v_or_b32_e32 v1, 3, v39
	v_lshl_add_u64 v[2:3], v[2:3], 1, s[0:1]
	v_cndmask_b32_e32 v7, 0, v14, vcc
	v_mad_u64_u32 v[14:15], s[4:5], v1, s44, 0
	v_mov_b32_e32 v16, v15
	v_cndmask_b32_e32 v6, 0, v6, vcc
	v_mad_u64_u32 v[16:17], s[4:5], v1, s45, v[16:17]
	v_cmp_gt_i32_e32 vcc, s25, v1
	v_lshl_add_u64 v[2:3], v[2:3], 0, v[8:9]
	v_lshl_add_u64 v[4:5], v[4:5], 1, s[0:1]
	v_cndmask_b32_e32 v14, 0, v14, vcc
	v_cndmask_b32_e32 v15, 0, v16, vcc
	v_lshl_add_u64 v[6:7], v[6:7], 1, s[0:1]
	v_lshl_add_u64 v[14:15], v[14:15], 1, s[0:1]
	;; [unrolled: 1-line block ×5, first 2 shown]
	global_load_ushort v1, v[2:3], off
	global_load_ushort v14, v[4:5], off
	;; [unrolled: 1-line block ×4, first 2 shown]
	v_add_u32_e32 v17, 64, v0
	v_cmp_gt_i32_e32 vcc, s24, v17
	s_waitcnt vmcnt(3)
	v_lshlrev_b32_e32 v18, 16, v1
	s_waitcnt vmcnt(2)
	v_lshlrev_b32_e32 v14, 16, v14
	v_fmac_f32_e32 v35, v13, v18
	s_waitcnt vmcnt(1)
	v_lshlrev_b32_e32 v15, 16, v15
	v_fmac_f32_e32 v35, v12, v14
	s_waitcnt vmcnt(0)
	v_lshlrev_b32_e32 v1, 16, v16
	v_fmac_f32_e32 v35, v11, v15
	s_and_saveexec_b64 s[0:1], vcc
	s_cbranch_execz .LBB543_43
; %bb.38:
	global_load_ushort v14, v[2:3], off offset:128
	global_load_ushort v15, v[4:5], off offset:128
	global_load_ushort v16, v[6:7], off offset:128
	global_load_ushort v17, v[8:9], off offset:128
	v_add_u32_e32 v18, 0x80, v0
	v_cmp_gt_i32_e32 vcc, s24, v18
	s_waitcnt vmcnt(3)
	v_lshlrev_b32_e32 v19, 16, v14
	s_waitcnt vmcnt(2)
	v_lshlrev_b32_e32 v15, 16, v15
	v_fmac_f32_e32 v36, v13, v19
	s_waitcnt vmcnt(1)
	v_lshlrev_b32_e32 v16, 16, v16
	v_fmac_f32_e32 v36, v12, v15
	s_waitcnt vmcnt(0)
	v_lshlrev_b32_e32 v14, 16, v17
	v_fmac_f32_e32 v36, v11, v16
	s_and_saveexec_b64 s[4:5], vcc
	s_cbranch_execz .LBB543_42
; %bb.39:
	global_load_ushort v15, v[2:3], off offset:256
	global_load_ushort v16, v[4:5], off offset:256
	global_load_ushort v17, v[6:7], off offset:256
	global_load_ushort v18, v[8:9], off offset:256
	;; [unrolled: 20-line block ×3, first 2 shown]
	s_waitcnt vmcnt(3)
	v_lshlrev_b32_e32 v2, 16, v15
	s_waitcnt vmcnt(2)
	v_lshlrev_b32_e32 v3, 16, v16
	v_fmac_f32_e32 v38, v13, v2
	s_waitcnt vmcnt(1)
	v_lshlrev_b32_e32 v4, 16, v17
	v_fmac_f32_e32 v38, v12, v3
	v_fmac_f32_e32 v38, v11, v4
	s_waitcnt vmcnt(0)
	v_lshlrev_b32_e32 v2, 16, v18
	v_fmac_f32_e32 v38, v10, v2
.LBB543_41:
	s_or_b64 exec, exec, s[6:7]
	v_fmac_f32_e32 v37, v10, v0
.LBB543_42:
	s_or_b64 exec, exec, s[4:5]
	v_fmac_f32_e32 v36, v10, v14
.LBB543_43:
	s_or_b64 exec, exec, s[0:1]
	v_fmac_f32_e32 v35, v10, v1
.LBB543_44:
	s_or_b64 exec, exec, s[2:3]
.LBB543_45:
	v_lshlrev_b32_e32 v0, 8, v34
	s_movk_i32 s0, 0x100
	v_add_lshl_u32 v0, v0, v33, 2
	v_cmp_gt_u32_e32 vcc, s0, v32
	ds_write2st64_b32 v0, v35, v36 offset1:1
	ds_write2st64_b32 v0, v37, v38 offset0:2 offset1:3
	s_waitcnt lgkmcnt(0)
	s_barrier
	s_waitcnt lgkmcnt(0)
                                        ; implicit-def: $vgpr3
                                        ; implicit-def: $vgpr0_vgpr1
	s_and_saveexec_b64 s[0:1], vcc
	s_cbranch_execz .LBB543_66
; %bb.46:
	v_lshlrev_b32_e32 v3, 2, v32
	ds_read2st64_b32 v[0:1], v3 offset1:4
	ds_read2st64_b32 v[4:5], v3 offset0:8 offset1:12
	v_or_b32_e32 v2, s46, v32
	v_cmp_gt_i32_e32 vcc, s24, v2
	s_mov_b64 s[4:5], s[14:15]
	s_waitcnt lgkmcnt(1)
	v_add_f32_e32 v0, v0, v1
	s_waitcnt lgkmcnt(0)
	v_add_f32_e32 v0, v4, v0
	v_add_f32_e32 v4, v5, v0
	ds_write_b32 v3, v4
                                        ; implicit-def: $vgpr3
                                        ; implicit-def: $vgpr0_vgpr1
	s_and_saveexec_b64 s[2:3], vcc
	s_cbranch_execz .LBB543_65
; %bb.47:
	v_cmp_eq_f32_e64 s[4:5], s33, 0
	v_mul_f32_e32 v0, s52, v4
	s_and_b64 vcc, exec, s[4:5]
	s_cbranch_vccz .LBB543_53
; %bb.48:
	s_mov_b32 s4, 0x7f800000
	v_and_b32_e32 v1, 0x7f800000, v0
	v_cmp_ne_u32_e32 vcc, s4, v1
                                        ; implicit-def: $vgpr1
	s_and_saveexec_b64 s[4:5], vcc
	s_xor_b64 s[4:5], exec, s[4:5]
; %bb.49:
	v_bfe_u32 v1, v0, 16, 1
	s_movk_i32 s6, 0x7fff
	v_add3_u32 v1, v0, v1, s6
; %bb.50:
	s_andn2_saveexec_b64 s[4:5], s[4:5]
; %bb.51:
	v_mov_b32_e32 v1, 0
	v_or_b32_e32 v3, 0x10000, v0
	v_cmp_eq_u32_sdwa vcc, v0, v1 src0_sel:WORD_0 src1_sel:DWORD
	s_nop 1
	v_cndmask_b32_e32 v1, v3, v0, vcc
; %bb.52:
	s_or_b64 exec, exec, s[4:5]
	s_mov_b64 s[4:5], 0
	s_branch .LBB543_54
.LBB543_53:
	s_mov_b64 s[4:5], -1
                                        ; implicit-def: $vgpr1
.LBB543_54:
	v_ashrrev_i32_e32 v3, 31, v2
	s_andn2_b64 vcc, exec, s[4:5]
	v_mul_lo_u32 v4, v2, s21
	v_mul_lo_u32 v5, v3, s20
	s_cbranch_vccnz .LBB543_64
; %bb.55:
	v_mad_u64_u32 v[6:7], s[4:5], v2, s20, 0
	v_add3_u32 v7, v7, v4, v5
	v_lshl_add_u64 v[6:7], v[6:7], 1, s[12:13]
	global_load_ushort v1, v[6:7], off
	s_mov_b32 s4, 0x7f800000
	s_waitcnt vmcnt(0)
	v_lshlrev_b32_e32 v1, 16, v1
	v_mul_f32_e32 v1, s33, v1
	v_and_b32_e32 v3, 0x7f800000, v1
	v_cmp_ne_u32_e32 vcc, s4, v3
                                        ; implicit-def: $vgpr3
	s_and_saveexec_b64 s[4:5], vcc
	s_xor_b64 s[4:5], exec, s[4:5]
; %bb.56:
	v_bfe_u32 v3, v1, 16, 1
	s_movk_i32 s6, 0x7fff
	v_add3_u32 v3, v1, v3, s6
                                        ; implicit-def: $vgpr1
; %bb.57:
	s_andn2_saveexec_b64 s[4:5], s[4:5]
; %bb.58:
	v_mov_b32_e32 v3, 0
	v_or_b32_e32 v6, 0x10000, v1
	v_cmp_eq_u32_sdwa vcc, v1, v3 src0_sel:WORD_0 src1_sel:DWORD
	s_nop 1
	v_cndmask_b32_e32 v3, v6, v1, vcc
; %bb.59:
	s_or_b64 exec, exec, s[4:5]
	v_and_b32_e32 v1, 0xffff0000, v3
	v_add_f32_e32 v0, v0, v1
	s_mov_b32 s4, 0x7f800000
	v_and_b32_e32 v1, 0x7f800000, v0
	v_cmp_ne_u32_e32 vcc, s4, v1
                                        ; implicit-def: $vgpr1
	s_and_saveexec_b64 s[4:5], vcc
	s_xor_b64 s[4:5], exec, s[4:5]
; %bb.60:
	v_bfe_u32 v1, v0, 16, 1
	s_movk_i32 s6, 0x7fff
	v_add3_u32 v1, v0, v1, s6
                                        ; implicit-def: $vgpr0
; %bb.61:
	s_andn2_saveexec_b64 s[4:5], s[4:5]
; %bb.62:
	v_mov_b32_e32 v1, 0
	v_or_b32_e32 v3, 0x10000, v0
	v_cmp_eq_u32_sdwa vcc, v0, v1 src0_sel:WORD_0 src1_sel:DWORD
	s_nop 1
	v_cndmask_b32_e32 v1, v3, v0, vcc
; %bb.63:
	s_or_b64 exec, exec, s[4:5]
.LBB543_64:
	v_lshrrev_b32_e32 v3, 16, v1
	v_mad_u64_u32 v[0:1], s[4:5], v2, s20, 0
	v_add3_u32 v1, v1, v4, v5
	s_or_b64 s[4:5], s[14:15], exec
.LBB543_65:
	s_or_b64 exec, exec, s[2:3]
	s_andn2_b64 s[2:3], s[14:15], exec
	s_and_b64 s[4:5], s[4:5], exec
	s_or_b64 s[14:15], s[2:3], s[4:5]
.LBB543_66:
	s_or_b64 exec, exec, s[0:1]
.LBB543_67:
	s_and_saveexec_b64 s[0:1], s[14:15]
	s_cbranch_execz .LBB543_69
; %bb.68:
	v_lshl_add_u64 v[0:1], v[0:1], 1, s[12:13]
	global_store_short v[0:1], v3, off
.LBB543_69:
	s_endpgm
	.section	.rodata,"a",@progbits
	.p2align	6, 0x0
	.amdhsa_kernel _ZL20rocblas_gemvn_kernelILi64ELi4El16rocblas_bfloat16PKfS0_EviiT3_lPKT2_lT1_lS6_lS7_lS3_lPT4_lS7_li
		.amdhsa_group_segment_fixed_size 4096
		.amdhsa_private_segment_fixed_size 0
		.amdhsa_kernarg_size 400
		.amdhsa_user_sgpr_count 2
		.amdhsa_user_sgpr_dispatch_ptr 0
		.amdhsa_user_sgpr_queue_ptr 0
		.amdhsa_user_sgpr_kernarg_segment_ptr 1
		.amdhsa_user_sgpr_dispatch_id 0
		.amdhsa_user_sgpr_kernarg_preload_length 0
		.amdhsa_user_sgpr_kernarg_preload_offset 0
		.amdhsa_user_sgpr_private_segment_size 0
		.amdhsa_uses_dynamic_stack 0
		.amdhsa_enable_private_segment 0
		.amdhsa_system_sgpr_workgroup_id_x 1
		.amdhsa_system_sgpr_workgroup_id_y 0
		.amdhsa_system_sgpr_workgroup_id_z 1
		.amdhsa_system_sgpr_workgroup_info 0
		.amdhsa_system_vgpr_workitem_id 1
		.amdhsa_next_free_vgpr 51
		.amdhsa_next_free_sgpr 53
		.amdhsa_accum_offset 52
		.amdhsa_reserve_vcc 1
		.amdhsa_float_round_mode_32 0
		.amdhsa_float_round_mode_16_64 0
		.amdhsa_float_denorm_mode_32 3
		.amdhsa_float_denorm_mode_16_64 3
		.amdhsa_dx10_clamp 1
		.amdhsa_ieee_mode 1
		.amdhsa_fp16_overflow 0
		.amdhsa_tg_split 0
		.amdhsa_exception_fp_ieee_invalid_op 0
		.amdhsa_exception_fp_denorm_src 0
		.amdhsa_exception_fp_ieee_div_zero 0
		.amdhsa_exception_fp_ieee_overflow 0
		.amdhsa_exception_fp_ieee_underflow 0
		.amdhsa_exception_fp_ieee_inexact 0
		.amdhsa_exception_int_div_zero 0
	.end_amdhsa_kernel
	.section	.text._ZL20rocblas_gemvn_kernelILi64ELi4El16rocblas_bfloat16PKfS0_EviiT3_lPKT2_lT1_lS6_lS7_lS3_lPT4_lS7_li,"axG",@progbits,_ZL20rocblas_gemvn_kernelILi64ELi4El16rocblas_bfloat16PKfS0_EviiT3_lPKT2_lT1_lS6_lS7_lS3_lPT4_lS7_li,comdat
.Lfunc_end543:
	.size	_ZL20rocblas_gemvn_kernelILi64ELi4El16rocblas_bfloat16PKfS0_EviiT3_lPKT2_lT1_lS6_lS7_lS3_lPT4_lS7_li, .Lfunc_end543-_ZL20rocblas_gemvn_kernelILi64ELi4El16rocblas_bfloat16PKfS0_EviiT3_lPKT2_lT1_lS6_lS7_lS3_lPT4_lS7_li
                                        ; -- End function
	.section	.AMDGPU.csdata,"",@progbits
; Kernel info:
; codeLenInByte = 3216
; NumSgprs: 59
; NumVgprs: 51
; NumAgprs: 0
; TotalNumVgprs: 51
; ScratchSize: 0
; MemoryBound: 0
; FloatMode: 240
; IeeeMode: 1
; LDSByteSize: 4096 bytes/workgroup (compile time only)
; SGPRBlocks: 7
; VGPRBlocks: 6
; NumSGPRsForWavesPerEU: 59
; NumVGPRsForWavesPerEU: 51
; AccumOffset: 52
; Occupancy: 8
; WaveLimiterHint : 0
; COMPUTE_PGM_RSRC2:SCRATCH_EN: 0
; COMPUTE_PGM_RSRC2:USER_SGPR: 2
; COMPUTE_PGM_RSRC2:TRAP_HANDLER: 0
; COMPUTE_PGM_RSRC2:TGID_X_EN: 1
; COMPUTE_PGM_RSRC2:TGID_Y_EN: 0
; COMPUTE_PGM_RSRC2:TGID_Z_EN: 1
; COMPUTE_PGM_RSRC2:TIDIG_COMP_CNT: 1
; COMPUTE_PGM_RSRC3_GFX90A:ACCUM_OFFSET: 12
; COMPUTE_PGM_RSRC3_GFX90A:TG_SPLIT: 0
	.section	.text._ZL20rocblas_gemvn_kernelILi64ELi4Ei16rocblas_bfloat16fS0_EviiT3_lPKT2_lT1_lS4_lS5_lS1_lPT4_lS5_li,"axG",@progbits,_ZL20rocblas_gemvn_kernelILi64ELi4Ei16rocblas_bfloat16fS0_EviiT3_lPKT2_lT1_lS4_lS5_lS1_lPT4_lS5_li,comdat
	.globl	_ZL20rocblas_gemvn_kernelILi64ELi4Ei16rocblas_bfloat16fS0_EviiT3_lPKT2_lT1_lS4_lS5_lS1_lPT4_lS5_li ; -- Begin function _ZL20rocblas_gemvn_kernelILi64ELi4Ei16rocblas_bfloat16fS0_EviiT3_lPKT2_lT1_lS4_lS5_lS1_lPT4_lS5_li
	.p2align	8
	.type	_ZL20rocblas_gemvn_kernelILi64ELi4Ei16rocblas_bfloat16fS0_EviiT3_lPKT2_lT1_lS4_lS5_lS1_lPT4_lS5_li,@function
_ZL20rocblas_gemvn_kernelILi64ELi4Ei16rocblas_bfloat16fS0_EviiT3_lPKT2_lT1_lS4_lS5_lS1_lPT4_lS5_li: ; @_ZL20rocblas_gemvn_kernelILi64ELi4Ei16rocblas_bfloat16fS0_EviiT3_lPKT2_lT1_lS4_lS5_lS1_lPT4_lS5_li
; %bb.0:
	s_load_dwordx2 s[4:5], s[0:1], 0x9c
	s_waitcnt lgkmcnt(0)
	s_lshr_b32 s6, s4, 16
	s_and_b32 s4, s4, 0xffff
	s_and_b32 s5, s5, 0xffff
	s_mul_i32 s4, s6, s4
	s_mul_i32 s4, s4, s5
	s_cmpk_lg_i32 s4, 0x100
	s_cbranch_scc1 .LBB544_69
; %bb.1:
	s_load_dwordx4 s[8:11], s[0:1], 0x0
	s_waitcnt lgkmcnt(0)
	s_load_dword s11, s[0:1], 0x58
	v_cmp_eq_f32_e64 s[4:5], s10, 0
	s_waitcnt lgkmcnt(0)
	v_cmp_eq_f32_e64 s[6:7], s11, 1.0
	s_and_b64 s[4:5], s[4:5], s[6:7]
	s_and_b64 vcc, exec, s[4:5]
	s_cbranch_vccnz .LBB544_69
; %bb.2:
	s_load_dwordx2 s[12:13], s[0:1], 0x80
	s_load_dwordx4 s[4:7], s[0:1], 0x68
	s_load_dword s30, s[0:1], 0x78
	v_and_b32_e32 v2, 0x3ff, v0
	v_bfe_u32 v18, v0, 10, 10
	s_waitcnt lgkmcnt(0)
	s_mul_i32 s13, s3, s13
	s_mul_hi_u32 s14, s3, s12
	s_mul_i32 s12, s3, s12
	s_add_i32 s13, s14, s13
	s_lshl_b64 s[12:13], s[12:13], 1
	s_add_u32 s12, s4, s12
	s_addc_u32 s13, s5, s13
	s_lshl_b64 s[4:5], s[6:7], 1
	s_add_u32 s12, s12, s4
	s_addc_u32 s13, s13, s5
	v_cmp_neq_f32_e64 s[4:5], s10, 0
	v_lshl_add_u32 v3, v18, 6, v2
	s_and_b64 vcc, exec, s[4:5]
	s_cbranch_vccnz .LBB544_13
; %bb.3:
	s_movk_i32 s4, 0x100
	v_cmp_gt_u32_e32 vcc, s4, v3
	s_mov_b64 s[4:5], 0
	s_mov_b64 s[14:15], 0
                                        ; implicit-def: $vgpr5
                                        ; implicit-def: $vgpr0_vgpr1
	s_and_saveexec_b64 s[6:7], vcc
	s_cbranch_execz .LBB544_14
; %bb.4:
	v_lshl_or_b32 v4, s2, 8, v3
	v_mov_b32_e32 v5, 0
	s_ashr_i32 s15, s8, 31
	s_mov_b32 s14, s8
	v_cmp_gt_i64_e32 vcc, s[14:15], v[4:5]
	s_mov_b64 s[16:17], 0
                                        ; implicit-def: $vgpr0_vgpr1
	s_and_saveexec_b64 s[14:15], vcc
	s_cbranch_execz .LBB544_12
; %bb.5:
	v_mad_u64_u32 v[0:1], s[18:19], s30, v4, 0
	s_ashr_i32 s20, s30, 31
	v_mov_b32_e32 v6, v1
	v_cmp_eq_f32_e64 s[16:17], s11, 0
	v_mad_u64_u32 v[6:7], s[18:19], s20, v4, v[6:7]
	v_mov_b32_e32 v1, v6
	s_and_b64 vcc, exec, s[16:17]
	s_cbranch_vccnz .LBB544_11
; %bb.6:
	v_lshl_add_u64 v[4:5], v[0:1], 1, s[12:13]
	global_load_ushort v4, v[4:5], off
	s_mov_b32 s16, 0x7f800000
	s_waitcnt vmcnt(0)
	v_lshlrev_b32_e32 v4, 16, v4
	v_mul_f32_e32 v4, s11, v4
	v_and_b32_e32 v5, 0x7f800000, v4
	v_cmp_ne_u32_e32 vcc, s16, v5
                                        ; implicit-def: $vgpr5
	s_and_saveexec_b64 s[16:17], vcc
	s_xor_b64 s[16:17], exec, s[16:17]
; %bb.7:
	v_bfe_u32 v5, v4, 16, 1
	s_movk_i32 s18, 0x7fff
	v_add3_u32 v5, v4, v5, s18
                                        ; implicit-def: $vgpr4
; %bb.8:
	s_andn2_saveexec_b64 s[16:17], s[16:17]
; %bb.9:
	v_mov_b32_e32 v5, 0
	v_or_b32_e32 v6, 0x10000, v4
	v_cmp_eq_u32_sdwa vcc, v4, v5 src0_sel:WORD_0 src1_sel:DWORD
	s_nop 1
	v_cndmask_b32_e32 v5, v6, v4, vcc
; %bb.10:
	s_or_b64 exec, exec, s[16:17]
	v_lshrrev_b32_e32 v5, 16, v5
.LBB544_11:
	s_mov_b64 s[16:17], exec
.LBB544_12:
	s_or_b64 exec, exec, s[14:15]
	s_and_b64 s[14:15], s[16:17], exec
	s_or_b64 exec, exec, s[6:7]
	s_and_b64 vcc, exec, s[4:5]
	s_cbranch_vccnz .LBB544_15
	s_branch .LBB544_67
.LBB544_13:
	s_mov_b64 s[14:15], 0
                                        ; implicit-def: $vgpr5
                                        ; implicit-def: $vgpr0_vgpr1
	s_cbranch_execnz .LBB544_15
	s_branch .LBB544_67
.LBB544_14:
	s_or_b64 exec, exec, s[6:7]
	s_and_b64 vcc, exec, s[4:5]
	s_cbranch_vccz .LBB544_67
.LBB544_15:
	s_load_dwordx4 s[4:7], s[0:1], 0x30
	s_load_dwordx4 s[16:19], s[0:1], 0x18
	s_load_dword s33, s[0:1], 0x28
	s_load_dwordx2 s[20:21], s[0:1], 0x40
	s_load_dword s34, s[0:1], 0x48
	s_load_dwordx2 s[22:23], s[0:1], 0x50
	s_waitcnt lgkmcnt(0)
	s_mul_i32 s0, s3, s5
	s_mul_hi_u32 s1, s3, s4
	s_add_i32 s1, s1, s0
	s_mul_i32 s0, s3, s4
	s_lshl_b64 s[0:1], s[0:1], 1
	s_add_u32 s4, s16, s0
	s_addc_u32 s5, s17, s1
	s_lshl_b64 s[0:1], s[18:19], 1
	s_add_u32 s16, s4, s0
	s_addc_u32 s17, s5, s1
	s_mul_i32 s0, s3, s23
	s_mul_hi_u32 s1, s3, s22
	s_add_i32 s1, s1, s0
	s_mul_i32 s0, s3, s22
	s_lshl_b64 s[0:1], s[0:1], 1
	s_add_u32 s3, s6, s0
	s_addc_u32 s4, s7, s1
	s_lshl_b64 s[0:1], s[20:21], 1
	s_add_u32 s18, s3, s0
	s_addc_u32 s19, s4, s1
	s_ashr_i32 s0, s9, 31
	s_lshr_b32 s0, s0, 28
	s_add_i32 s0, s9, s0
	s_lshl_b32 s31, s2, 8
	s_and_b32 s35, s0, -16
	v_lshlrev_b32_e32 v24, 2, v18
	v_add_u32_e32 v23, s31, v2
	v_cmp_gt_i32_e32 vcc, s35, v24
	v_mov_b32_e32 v19, 0
	v_mov_b32_e32 v20, 0
	;; [unrolled: 1-line block ×4, first 2 shown]
	s_and_saveexec_b64 s[20:21], vcc
	s_cbranch_execz .LBB544_27
; %bb.16:
	v_add_u32_e32 v0, 64, v23
	v_cmp_gt_i32_e64 s[0:1], s8, v0
	v_add_u32_e32 v0, 0x80, v23
	v_cmp_gt_i32_e64 s[2:3], s8, v0
	;; [unrolled: 2-line block ×3, first 2 shown]
	v_mul_lo_u32 v0, s33, v24
	v_add_u32_e32 v6, 2, v24
	v_add_u32_e32 v7, 3, v24
	v_add3_u32 v25, v0, s33, v2
	v_mad_u64_u32 v[0:1], s[6:7], s33, v6, v[2:3]
	v_mad_u64_u32 v[4:5], s[6:7], s33, v7, v[2:3]
	v_mul_lo_u32 v1, v18, s33
	v_mul_lo_u32 v5, s34, v24
	;; [unrolled: 1-line block ×4, first 2 shown]
	v_cmp_gt_i32_e32 vcc, s8, v23
	s_lshl_b32 s36, s33, 4
	v_lshl_add_u32 v1, v1, 2, v2
	v_add_u32_e32 v5, s34, v5
	s_lshl_b32 s37, s34, 4
	v_mul_lo_u32 v27, s34, v7
	v_lshlrev_b32_e32 v28, 2, v6
	s_mov_b32 s38, 0
	s_mov_b64 s[22:23], 0
	v_mov_b32_e32 v19, 0
	v_mov_b32_e32 v20, 0
	;; [unrolled: 1-line block ×4, first 2 shown]
	s_branch .LBB544_21
.LBB544_17:                             ;   in Loop: Header=BB544_21 Depth=1
	s_or_b64 exec, exec, s[28:29]
	s_waitcnt vmcnt(3)
	v_lshlrev_b32_e32 v10, 16, v40
	v_fmac_f32_e32 v21, v8, v10
	s_waitcnt vmcnt(2)
	v_lshlrev_b32_e32 v10, 16, v39
	v_fmac_f32_e32 v21, v9, v10
	;; [unrolled: 3-line block ×4, first 2 shown]
.LBB544_18:                             ;   in Loop: Header=BB544_21 Depth=1
	s_or_b64 exec, exec, s[26:27]
	s_waitcnt vmcnt(3)
	v_lshlrev_b32_e32 v10, 16, v36
	v_fmac_f32_e32 v20, v8, v10
	s_waitcnt vmcnt(2)
	v_lshlrev_b32_e32 v10, 16, v35
	v_fmac_f32_e32 v20, v9, v10
	;; [unrolled: 3-line block ×4, first 2 shown]
.LBB544_19:                             ;   in Loop: Header=BB544_21 Depth=1
	s_or_b64 exec, exec, s[24:25]
	s_waitcnt vmcnt(3)
	v_lshlrev_b32_e32 v10, 16, v32
	v_fmac_f32_e32 v19, v8, v10
	s_waitcnt vmcnt(2)
	v_lshlrev_b32_e32 v8, 16, v31
	v_fmac_f32_e32 v19, v9, v8
	;; [unrolled: 3-line block ×4, first 2 shown]
.LBB544_20:                             ;   in Loop: Header=BB544_21 Depth=1
	s_or_b64 exec, exec, s[6:7]
	v_add_u32_e32 v24, 16, v24
	s_add_i32 s38, s38, s37
	v_cmp_le_i32_e64 s[6:7], s35, v24
	v_add_u32_e32 v25, s36, v25
	v_add_u32_e32 v0, s36, v0
	;; [unrolled: 1-line block ×3, first 2 shown]
	s_or_b64 s[22:23], s[6:7], s[22:23]
	v_add_u32_e32 v1, s36, v1
	s_andn2_b64 exec, exec, s[22:23]
	s_cbranch_execz .LBB544_26
.LBB544_21:                             ; =>This Inner Loop Header: Depth=1
	s_and_saveexec_b64 s[6:7], vcc
	s_cbranch_execz .LBB544_20
; %bb.22:                               ;   in Loop: Header=BB544_21 Depth=1
	v_add_u32_e32 v6, s38, v28
	v_ashrrev_i32_e32 v7, 31, v6
	v_add_u32_e32 v8, s38, v5
	v_add_u32_e32 v10, s38, v26
	;; [unrolled: 1-line block ×3, first 2 shown]
	v_lshl_add_u64 v[6:7], v[6:7], 1, s[18:19]
	v_ashrrev_i32_e32 v9, 31, v8
	v_ashrrev_i32_e32 v11, 31, v10
	;; [unrolled: 1-line block ×3, first 2 shown]
	v_lshl_add_u64 v[8:9], v[8:9], 1, s[18:19]
	v_lshl_add_u64 v[10:11], v[10:11], 1, s[18:19]
	;; [unrolled: 1-line block ×3, first 2 shown]
	global_load_ushort v33, v[6:7], off
	global_load_ushort v34, v[8:9], off
	;; [unrolled: 1-line block ×4, first 2 shown]
	v_add_u32_e32 v6, s31, v1
	v_ashrrev_i32_e32 v7, 31, v6
	v_lshl_add_u64 v[10:11], v[6:7], 1, s[16:17]
	v_add_u32_e32 v6, s31, v25
	v_ashrrev_i32_e32 v7, 31, v6
	v_lshl_add_u64 v[12:13], v[6:7], 1, s[16:17]
	;; [unrolled: 3-line block ×4, first 2 shown]
	global_load_ushort v32, v[10:11], off
	global_load_ushort v31, v[12:13], off
	;; [unrolled: 1-line block ×4, first 2 shown]
	s_waitcnt vmcnt(7)
	v_lshlrev_b32_e32 v8, 16, v33
	s_waitcnt vmcnt(6)
	v_lshlrev_b32_e32 v9, 16, v34
	;; [unrolled: 2-line block ×4, first 2 shown]
	s_and_saveexec_b64 s[24:25], s[0:1]
	s_cbranch_execz .LBB544_19
; %bb.23:                               ;   in Loop: Header=BB544_21 Depth=1
	global_load_ushort v36, v[10:11], off offset:128
	global_load_ushort v35, v[12:13], off offset:128
	global_load_ushort v34, v[14:15], off offset:128
	global_load_ushort v33, v[16:17], off offset:128
	s_and_saveexec_b64 s[26:27], s[2:3]
	s_cbranch_execz .LBB544_18
; %bb.24:                               ;   in Loop: Header=BB544_21 Depth=1
	global_load_ushort v40, v[10:11], off offset:256
	global_load_ushort v39, v[12:13], off offset:256
	global_load_ushort v38, v[14:15], off offset:256
	global_load_ushort v37, v[16:17], off offset:256
	;; [unrolled: 7-line block ×3, first 2 shown]
	s_waitcnt vmcnt(3)
	v_lshlrev_b32_e32 v11, 16, v41
	s_waitcnt vmcnt(2)
	v_lshlrev_b32_e32 v10, 16, v42
	v_pk_mul_f32 v[10:11], v[8:9], v[10:11]
	s_waitcnt vmcnt(1)
	v_lshlrev_b32_e32 v13, 16, v43
	s_waitcnt vmcnt(0)
	v_lshlrev_b32_e32 v12, 16, v44
	v_add_f32_e32 v10, v22, v10
	v_add_f32_e32 v14, v10, v11
	v_pk_mul_f32 v[10:11], v[6:7], v[12:13]
	s_nop 0
	v_add_f32_e32 v10, v14, v10
	v_add_f32_e32 v22, v10, v11
	s_branch .LBB544_17
.LBB544_26:
	s_or_b64 exec, exec, s[22:23]
.LBB544_27:
	s_or_b64 exec, exec, s[20:21]
	s_sub_i32 s0, s9, s35
	s_cmp_lt_i32 s0, 1
	s_cbranch_scc1 .LBB544_45
; %bb.28:
	v_cmp_gt_i32_e32 vcc, s9, v24
	v_mov_b32_e32 v10, 0
	v_or_b32_e32 v4, 1, v24
	v_mov_b32_e32 v11, 0
	v_mov_b32_e32 v12, 0
	;; [unrolled: 1-line block ×3, first 2 shown]
	s_and_saveexec_b64 s[2:3], vcc
	s_cbranch_execz .LBB544_36
; %bb.29:
	v_mul_lo_u32 v0, v24, s34
	v_ashrrev_i32_e32 v1, 31, v0
	v_lshl_add_u64 v[0:1], v[0:1], 1, s[18:19]
	global_load_ushort v0, v[0:1], off
	v_cmp_gt_i32_e64 s[0:1], s9, v4
	v_mov_b32_e32 v12, 0
	v_mov_b32_e32 v11, 0
	;; [unrolled: 1-line block ×3, first 2 shown]
	s_and_saveexec_b64 s[4:5], s[0:1]
	s_cbranch_execz .LBB544_35
; %bb.30:
	v_mul_lo_u32 v6, v4, s34
	v_ashrrev_i32_e32 v7, 31, v6
	v_lshl_add_u64 v[6:7], v[6:7], 1, s[18:19]
	global_load_ushort v1, v[6:7], off
	v_or_b32_e32 v5, 2, v24
	v_cmp_gt_i32_e64 s[0:1], s9, v5
	v_mov_b32_e32 v11, 0
	v_mov_b32_e32 v10, 0
	s_and_saveexec_b64 s[6:7], s[0:1]
	s_cbranch_execz .LBB544_34
; %bb.31:
	v_mul_lo_u32 v6, v5, s34
	v_ashrrev_i32_e32 v7, 31, v6
	v_lshl_add_u64 v[6:7], v[6:7], 1, s[18:19]
	global_load_ushort v5, v[6:7], off
	v_or_b32_e32 v6, 3, v24
	v_cmp_gt_i32_e64 s[0:1], s9, v6
	v_mov_b32_e32 v10, 0
	s_and_saveexec_b64 s[20:21], s[0:1]
	s_cbranch_execz .LBB544_33
; %bb.32:
	v_mul_lo_u32 v6, v6, s34
	v_ashrrev_i32_e32 v7, 31, v6
	v_lshl_add_u64 v[6:7], v[6:7], 1, s[18:19]
	global_load_ushort v6, v[6:7], off
	s_waitcnt vmcnt(0)
	v_lshlrev_b32_e32 v10, 16, v6
.LBB544_33:
	s_or_b64 exec, exec, s[20:21]
	s_waitcnt vmcnt(0)
	v_lshlrev_b32_e32 v11, 16, v5
.LBB544_34:
	s_or_b64 exec, exec, s[6:7]
	s_waitcnt vmcnt(0)
	v_lshlrev_b32_e32 v12, 16, v1
.LBB544_35:
	s_or_b64 exec, exec, s[4:5]
	s_waitcnt vmcnt(0)
	v_lshlrev_b32_e32 v13, 16, v0
.LBB544_36:
	s_or_b64 exec, exec, s[2:3]
	v_cmp_gt_i32_e64 s[0:1], s8, v23
	s_and_saveexec_b64 s[2:3], s[0:1]
	s_cbranch_execz .LBB544_44
; %bb.37:
	v_mul_lo_u32 v0, v24, s33
	v_cndmask_b32_e32 v0, 0, v0, vcc
	v_mul_lo_u32 v5, v4, s33
	v_cmp_gt_i32_e32 vcc, s9, v4
	v_or_b32_e32 v6, 2, v24
	v_add_u32_e32 v0, v0, v23
	v_cndmask_b32_e32 v4, 0, v5, vcc
	v_mul_lo_u32 v7, v6, s33
	v_cmp_gt_i32_e32 vcc, s9, v6
	v_or_b32_e32 v8, 3, v24
	v_ashrrev_i32_e32 v1, 31, v0
	v_add_u32_e32 v4, v4, v23
	v_cndmask_b32_e32 v6, 0, v7, vcc
	v_mul_lo_u32 v9, v8, s33
	v_cmp_gt_i32_e32 vcc, s9, v8
	v_lshl_add_u64 v[0:1], v[0:1], 1, s[16:17]
	v_ashrrev_i32_e32 v5, 31, v4
	v_add_u32_e32 v6, v6, v23
	v_cndmask_b32_e32 v8, 0, v9, vcc
	v_lshl_add_u64 v[4:5], v[4:5], 1, s[16:17]
	v_ashrrev_i32_e32 v7, 31, v6
	v_add_u32_e32 v8, v8, v23
	global_load_ushort v14, v[0:1], off
	global_load_ushort v15, v[4:5], off
	v_lshl_add_u64 v[6:7], v[6:7], 1, s[16:17]
	v_ashrrev_i32_e32 v9, 31, v8
	v_lshl_add_u64 v[8:9], v[8:9], 1, s[16:17]
	global_load_ushort v16, v[6:7], off
	global_load_ushort v17, v[8:9], off
	v_add_u32_e32 v24, 64, v23
	v_cmp_gt_i32_e32 vcc, s8, v24
	s_waitcnt vmcnt(3)
	v_lshlrev_b32_e32 v14, 16, v14
	s_waitcnt vmcnt(2)
	v_lshlrev_b32_e32 v15, 16, v15
	v_fmac_f32_e32 v19, v13, v14
	v_fmac_f32_e32 v19, v12, v15
	s_waitcnt vmcnt(1)
	v_lshlrev_b32_e32 v16, 16, v16
	s_waitcnt vmcnt(0)
	v_lshlrev_b32_e32 v14, 16, v17
	v_fmac_f32_e32 v19, v11, v16
	s_and_saveexec_b64 s[0:1], vcc
	s_cbranch_execz .LBB544_43
; %bb.38:
	global_load_ushort v15, v[0:1], off offset:128
	global_load_ushort v16, v[4:5], off offset:128
	;; [unrolled: 1-line block ×4, first 2 shown]
	v_add_u32_e32 v25, 0x80, v23
	v_cmp_gt_i32_e32 vcc, s8, v25
	s_waitcnt vmcnt(3)
	v_lshlrev_b32_e32 v26, 16, v15
	s_waitcnt vmcnt(2)
	v_lshlrev_b32_e32 v16, 16, v16
	v_fmac_f32_e32 v20, v13, v26
	s_waitcnt vmcnt(1)
	v_lshlrev_b32_e32 v17, 16, v17
	v_fmac_f32_e32 v20, v12, v16
	;; [unrolled: 3-line block ×3, first 2 shown]
	s_and_saveexec_b64 s[4:5], vcc
	s_cbranch_execz .LBB544_42
; %bb.39:
	global_load_ushort v16, v[0:1], off offset:256
	global_load_ushort v17, v[4:5], off offset:256
	global_load_ushort v24, v[6:7], off offset:256
	global_load_ushort v25, v[8:9], off offset:256
	v_add_u32_e32 v23, 0xc0, v23
	v_cmp_gt_i32_e32 vcc, s8, v23
	s_waitcnt vmcnt(3)
	v_lshlrev_b32_e32 v26, 16, v16
	s_waitcnt vmcnt(2)
	v_lshlrev_b32_e32 v17, 16, v17
	v_fmac_f32_e32 v21, v13, v26
	s_waitcnt vmcnt(1)
	v_lshlrev_b32_e32 v24, 16, v24
	v_fmac_f32_e32 v21, v12, v17
	;; [unrolled: 3-line block ×3, first 2 shown]
	s_and_saveexec_b64 s[6:7], vcc
	s_cbranch_execz .LBB544_41
; %bb.40:
	global_load_ushort v17, v[0:1], off offset:384
	global_load_ushort v23, v[4:5], off offset:384
	;; [unrolled: 1-line block ×4, first 2 shown]
	s_waitcnt vmcnt(3)
	v_lshlrev_b32_e32 v0, 16, v17
	s_waitcnt vmcnt(2)
	v_lshlrev_b32_e32 v1, 16, v23
	v_fmac_f32_e32 v22, v13, v0
	s_waitcnt vmcnt(1)
	v_lshlrev_b32_e32 v4, 16, v24
	v_fmac_f32_e32 v22, v12, v1
	v_fmac_f32_e32 v22, v11, v4
	s_waitcnt vmcnt(0)
	v_lshlrev_b32_e32 v0, 16, v25
	v_fmac_f32_e32 v22, v10, v0
.LBB544_41:
	s_or_b64 exec, exec, s[6:7]
	v_fmac_f32_e32 v21, v10, v16
.LBB544_42:
	s_or_b64 exec, exec, s[4:5]
	v_fmac_f32_e32 v20, v10, v15
.LBB544_43:
	s_or_b64 exec, exec, s[0:1]
	v_fmac_f32_e32 v19, v10, v14
.LBB544_44:
	s_or_b64 exec, exec, s[2:3]
.LBB544_45:
	v_lshlrev_b32_e32 v0, 8, v18
	s_movk_i32 s0, 0x100
	v_add_lshl_u32 v0, v0, v2, 2
	v_cmp_gt_u32_e32 vcc, s0, v3
	ds_write2st64_b32 v0, v19, v20 offset1:1
	ds_write2st64_b32 v0, v21, v22 offset0:2 offset1:3
	s_waitcnt lgkmcnt(0)
	s_barrier
	s_waitcnt lgkmcnt(0)
                                        ; implicit-def: $vgpr5
                                        ; implicit-def: $vgpr0_vgpr1
	s_and_saveexec_b64 s[0:1], vcc
	s_cbranch_execz .LBB544_66
; %bb.46:
	v_lshlrev_b32_e32 v5, 2, v3
	ds_read2st64_b32 v[0:1], v5 offset1:4
	ds_read2st64_b32 v[6:7], v5 offset0:8 offset1:12
	v_or_b32_e32 v4, s31, v3
	v_cmp_gt_i32_e32 vcc, s8, v4
	s_mov_b64 s[4:5], s[14:15]
	s_waitcnt lgkmcnt(1)
	v_add_f32_e32 v0, v0, v1
	s_waitcnt lgkmcnt(0)
	v_add_f32_e32 v0, v6, v0
	v_add_f32_e32 v2, v7, v0
	ds_write_b32 v5, v2
                                        ; implicit-def: $vgpr5
                                        ; implicit-def: $vgpr0_vgpr1
	s_and_saveexec_b64 s[2:3], vcc
	s_cbranch_execz .LBB544_65
; %bb.47:
	v_cmp_eq_f32_e64 s[4:5], s11, 0
	v_mul_f32_e32 v2, s10, v2
	s_and_b64 vcc, exec, s[4:5]
	s_cbranch_vccz .LBB544_53
; %bb.48:
	s_mov_b32 s4, 0x7f800000
	v_and_b32_e32 v0, 0x7f800000, v2
	v_cmp_ne_u32_e32 vcc, s4, v0
                                        ; implicit-def: $vgpr3
	s_and_saveexec_b64 s[4:5], vcc
	s_xor_b64 s[4:5], exec, s[4:5]
; %bb.49:
	v_bfe_u32 v0, v2, 16, 1
	s_movk_i32 s6, 0x7fff
	v_add3_u32 v3, v2, v0, s6
; %bb.50:
	s_andn2_saveexec_b64 s[4:5], s[4:5]
; %bb.51:
	v_mov_b32_e32 v0, 0
	v_or_b32_e32 v1, 0x10000, v2
	v_cmp_eq_u32_sdwa vcc, v2, v0 src0_sel:WORD_0 src1_sel:DWORD
	s_nop 1
	v_cndmask_b32_e32 v3, v1, v2, vcc
; %bb.52:
	s_or_b64 exec, exec, s[4:5]
	s_mov_b64 s[4:5], 0
	s_branch .LBB544_54
.LBB544_53:
	s_mov_b64 s[4:5], -1
                                        ; implicit-def: $vgpr3
.LBB544_54:
	v_mul_lo_u32 v0, v4, s30
	s_andn2_b64 vcc, exec, s[4:5]
	v_ashrrev_i32_e32 v1, 31, v0
	s_cbranch_vccnz .LBB544_64
; %bb.55:
	v_lshl_add_u64 v[4:5], v[0:1], 1, s[12:13]
	global_load_ushort v3, v[4:5], off
	s_mov_b32 s4, 0x7f800000
	s_waitcnt vmcnt(0)
	v_lshlrev_b32_e32 v3, 16, v3
	v_mul_f32_e32 v3, s11, v3
	v_and_b32_e32 v4, 0x7f800000, v3
	v_cmp_ne_u32_e32 vcc, s4, v4
                                        ; implicit-def: $vgpr4
	s_and_saveexec_b64 s[4:5], vcc
	s_xor_b64 s[4:5], exec, s[4:5]
; %bb.56:
	v_bfe_u32 v4, v3, 16, 1
	s_movk_i32 s6, 0x7fff
	v_add3_u32 v4, v3, v4, s6
                                        ; implicit-def: $vgpr3
; %bb.57:
	s_andn2_saveexec_b64 s[4:5], s[4:5]
; %bb.58:
	v_mov_b32_e32 v4, 0
	v_or_b32_e32 v5, 0x10000, v3
	v_cmp_eq_u32_sdwa vcc, v3, v4 src0_sel:WORD_0 src1_sel:DWORD
	s_nop 1
	v_cndmask_b32_e32 v4, v5, v3, vcc
; %bb.59:
	s_or_b64 exec, exec, s[4:5]
	v_and_b32_e32 v3, 0xffff0000, v4
	v_add_f32_e32 v2, v2, v3
	s_mov_b32 s4, 0x7f800000
	v_and_b32_e32 v3, 0x7f800000, v2
	v_cmp_ne_u32_e32 vcc, s4, v3
                                        ; implicit-def: $vgpr3
	s_and_saveexec_b64 s[4:5], vcc
	s_xor_b64 s[4:5], exec, s[4:5]
; %bb.60:
	v_bfe_u32 v3, v2, 16, 1
	s_movk_i32 s6, 0x7fff
	v_add3_u32 v3, v2, v3, s6
                                        ; implicit-def: $vgpr2
; %bb.61:
	s_andn2_saveexec_b64 s[4:5], s[4:5]
; %bb.62:
	v_mov_b32_e32 v3, 0
	v_or_b32_e32 v4, 0x10000, v2
	v_cmp_eq_u32_sdwa vcc, v2, v3 src0_sel:WORD_0 src1_sel:DWORD
	s_nop 1
	v_cndmask_b32_e32 v3, v4, v2, vcc
; %bb.63:
	s_or_b64 exec, exec, s[4:5]
.LBB544_64:
	v_lshrrev_b32_e32 v5, 16, v3
	s_or_b64 s[4:5], s[14:15], exec
.LBB544_65:
	s_or_b64 exec, exec, s[2:3]
	s_andn2_b64 s[2:3], s[14:15], exec
	s_and_b64 s[4:5], s[4:5], exec
	s_or_b64 s[14:15], s[2:3], s[4:5]
.LBB544_66:
	s_or_b64 exec, exec, s[0:1]
.LBB544_67:
	s_and_saveexec_b64 s[0:1], s[14:15]
	s_cbranch_execz .LBB544_69
; %bb.68:
	v_lshl_add_u64 v[0:1], v[0:1], 1, s[12:13]
	global_store_short v[0:1], v5, off
.LBB544_69:
	s_endpgm
	.section	.rodata,"a",@progbits
	.p2align	6, 0x0
	.amdhsa_kernel _ZL20rocblas_gemvn_kernelILi64ELi4Ei16rocblas_bfloat16fS0_EviiT3_lPKT2_lT1_lS4_lS5_lS1_lPT4_lS5_li
		.amdhsa_group_segment_fixed_size 4096
		.amdhsa_private_segment_fixed_size 0
		.amdhsa_kernarg_size 400
		.amdhsa_user_sgpr_count 2
		.amdhsa_user_sgpr_dispatch_ptr 0
		.amdhsa_user_sgpr_queue_ptr 0
		.amdhsa_user_sgpr_kernarg_segment_ptr 1
		.amdhsa_user_sgpr_dispatch_id 0
		.amdhsa_user_sgpr_kernarg_preload_length 0
		.amdhsa_user_sgpr_kernarg_preload_offset 0
		.amdhsa_user_sgpr_private_segment_size 0
		.amdhsa_uses_dynamic_stack 0
		.amdhsa_enable_private_segment 0
		.amdhsa_system_sgpr_workgroup_id_x 1
		.amdhsa_system_sgpr_workgroup_id_y 0
		.amdhsa_system_sgpr_workgroup_id_z 1
		.amdhsa_system_sgpr_workgroup_info 0
		.amdhsa_system_vgpr_workitem_id 1
		.amdhsa_next_free_vgpr 45
		.amdhsa_next_free_sgpr 39
		.amdhsa_accum_offset 48
		.amdhsa_reserve_vcc 1
		.amdhsa_float_round_mode_32 0
		.amdhsa_float_round_mode_16_64 0
		.amdhsa_float_denorm_mode_32 3
		.amdhsa_float_denorm_mode_16_64 3
		.amdhsa_dx10_clamp 1
		.amdhsa_ieee_mode 1
		.amdhsa_fp16_overflow 0
		.amdhsa_tg_split 0
		.amdhsa_exception_fp_ieee_invalid_op 0
		.amdhsa_exception_fp_denorm_src 0
		.amdhsa_exception_fp_ieee_div_zero 0
		.amdhsa_exception_fp_ieee_overflow 0
		.amdhsa_exception_fp_ieee_underflow 0
		.amdhsa_exception_fp_ieee_inexact 0
		.amdhsa_exception_int_div_zero 0
	.end_amdhsa_kernel
	.section	.text._ZL20rocblas_gemvn_kernelILi64ELi4Ei16rocblas_bfloat16fS0_EviiT3_lPKT2_lT1_lS4_lS5_lS1_lPT4_lS5_li,"axG",@progbits,_ZL20rocblas_gemvn_kernelILi64ELi4Ei16rocblas_bfloat16fS0_EviiT3_lPKT2_lT1_lS4_lS5_lS1_lPT4_lS5_li,comdat
.Lfunc_end544:
	.size	_ZL20rocblas_gemvn_kernelILi64ELi4Ei16rocblas_bfloat16fS0_EviiT3_lPKT2_lT1_lS4_lS5_lS1_lPT4_lS5_li, .Lfunc_end544-_ZL20rocblas_gemvn_kernelILi64ELi4Ei16rocblas_bfloat16fS0_EviiT3_lPKT2_lT1_lS4_lS5_lS1_lPT4_lS5_li
                                        ; -- End function
	.section	.AMDGPU.csdata,"",@progbits
; Kernel info:
; codeLenInByte = 2832
; NumSgprs: 45
; NumVgprs: 45
; NumAgprs: 0
; TotalNumVgprs: 45
; ScratchSize: 0
; MemoryBound: 0
; FloatMode: 240
; IeeeMode: 1
; LDSByteSize: 4096 bytes/workgroup (compile time only)
; SGPRBlocks: 5
; VGPRBlocks: 5
; NumSGPRsForWavesPerEU: 45
; NumVGPRsForWavesPerEU: 45
; AccumOffset: 48
; Occupancy: 8
; WaveLimiterHint : 1
; COMPUTE_PGM_RSRC2:SCRATCH_EN: 0
; COMPUTE_PGM_RSRC2:USER_SGPR: 2
; COMPUTE_PGM_RSRC2:TRAP_HANDLER: 0
; COMPUTE_PGM_RSRC2:TGID_X_EN: 1
; COMPUTE_PGM_RSRC2:TGID_Y_EN: 0
; COMPUTE_PGM_RSRC2:TGID_Z_EN: 1
; COMPUTE_PGM_RSRC2:TIDIG_COMP_CNT: 1
; COMPUTE_PGM_RSRC3_GFX90A:ACCUM_OFFSET: 11
; COMPUTE_PGM_RSRC3_GFX90A:TG_SPLIT: 0
	.section	.text._ZL20rocblas_gemvn_kernelILi64ELi4El16rocblas_bfloat16fS0_EviiT3_lPKT2_lT1_lS4_lS5_lS1_lPT4_lS5_li,"axG",@progbits,_ZL20rocblas_gemvn_kernelILi64ELi4El16rocblas_bfloat16fS0_EviiT3_lPKT2_lT1_lS4_lS5_lS1_lPT4_lS5_li,comdat
	.globl	_ZL20rocblas_gemvn_kernelILi64ELi4El16rocblas_bfloat16fS0_EviiT3_lPKT2_lT1_lS4_lS5_lS1_lPT4_lS5_li ; -- Begin function _ZL20rocblas_gemvn_kernelILi64ELi4El16rocblas_bfloat16fS0_EviiT3_lPKT2_lT1_lS4_lS5_lS1_lPT4_lS5_li
	.p2align	8
	.type	_ZL20rocblas_gemvn_kernelILi64ELi4El16rocblas_bfloat16fS0_EviiT3_lPKT2_lT1_lS4_lS5_lS1_lPT4_lS5_li,@function
_ZL20rocblas_gemvn_kernelILi64ELi4El16rocblas_bfloat16fS0_EviiT3_lPKT2_lT1_lS4_lS5_lS1_lPT4_lS5_li: ; @_ZL20rocblas_gemvn_kernelILi64ELi4El16rocblas_bfloat16fS0_EviiT3_lPKT2_lT1_lS4_lS5_lS1_lPT4_lS5_li
; %bb.0:
	s_load_dwordx2 s[4:5], s[0:1], 0x9c
	s_waitcnt lgkmcnt(0)
	s_lshr_b32 s6, s4, 16
	s_and_b32 s4, s4, 0xffff
	s_and_b32 s5, s5, 0xffff
	s_mul_i32 s4, s6, s4
	s_mul_i32 s4, s4, s5
	s_cmpk_lg_i32 s4, 0x100
	s_cbranch_scc1 .LBB545_69
; %bb.1:
	s_load_dwordx4 s[28:31], s[0:1], 0x0
	s_waitcnt lgkmcnt(0)
	s_load_dword s31, s[0:1], 0x58
	v_cmp_eq_f32_e64 s[4:5], s30, 0
	s_waitcnt lgkmcnt(0)
	v_cmp_eq_f32_e64 s[6:7], s31, 1.0
	s_and_b64 s[4:5], s[4:5], s[6:7]
	s_and_b64 vcc, exec, s[4:5]
	s_cbranch_vccnz .LBB545_69
; %bb.2:
	s_load_dwordx8 s[20:27], s[0:1], 0x68
	v_and_b32_e32 v33, 0x3ff, v0
	v_bfe_u32 v34, v0, 10, 10
	v_lshl_add_u32 v32, v34, 6, v33
	s_waitcnt lgkmcnt(0)
	s_mul_i32 s5, s3, s27
	s_mul_hi_u32 s6, s3, s26
	s_mul_i32 s4, s3, s26
	s_add_i32 s5, s6, s5
	s_lshl_b64 s[4:5], s[4:5], 1
	s_add_u32 s6, s20, s4
	s_addc_u32 s7, s21, s5
	s_lshl_b64 s[4:5], s[22:23], 1
	s_add_u32 s26, s6, s4
	s_addc_u32 s27, s7, s5
	v_cmp_neq_f32_e64 s[4:5], s30, 0
	s_and_b64 vcc, exec, s[4:5]
	s_cbranch_vccnz .LBB545_13
; %bb.3:
	s_movk_i32 s4, 0x100
	v_cmp_gt_u32_e32 vcc, s4, v32
	s_mov_b64 s[4:5], 0
	s_mov_b64 s[34:35], 0
                                        ; implicit-def: $vgpr3
                                        ; implicit-def: $vgpr0_vgpr1
	s_and_saveexec_b64 s[6:7], vcc
	s_cbranch_execz .LBB545_14
; %bb.4:
	v_lshl_or_b32 v2, s2, 8, v32
	v_mov_b32_e32 v3, 0
	s_ashr_i32 s9, s28, 31
	s_mov_b32 s8, s28
	v_cmp_gt_i64_e32 vcc, s[8:9], v[2:3]
	s_mov_b64 s[10:11], 0
                                        ; implicit-def: $vgpr0_vgpr1
	s_and_saveexec_b64 s[8:9], vcc
	s_cbranch_execz .LBB545_12
; %bb.5:
	v_mad_u64_u32 v[0:1], s[12:13], v2, s24, 0
	v_mov_b32_e32 v4, v1
	v_cmp_eq_f32_e64 s[10:11], s31, 0
	v_mad_u64_u32 v[4:5], s[12:13], v2, s25, v[4:5]
	v_mov_b32_e32 v1, v4
	s_and_b64 vcc, exec, s[10:11]
	s_cbranch_vccnz .LBB545_11
; %bb.6:
	v_lshl_add_u64 v[2:3], v[0:1], 1, s[26:27]
	global_load_ushort v2, v[2:3], off
	s_mov_b32 s10, 0x7f800000
	s_waitcnt vmcnt(0)
	v_lshlrev_b32_e32 v2, 16, v2
	v_mul_f32_e32 v2, s31, v2
	v_and_b32_e32 v3, 0x7f800000, v2
	v_cmp_ne_u32_e32 vcc, s10, v3
                                        ; implicit-def: $vgpr3
	s_and_saveexec_b64 s[10:11], vcc
	s_xor_b64 s[10:11], exec, s[10:11]
; %bb.7:
	v_bfe_u32 v3, v2, 16, 1
	s_movk_i32 s12, 0x7fff
	v_add3_u32 v3, v2, v3, s12
                                        ; implicit-def: $vgpr2
; %bb.8:
	s_andn2_saveexec_b64 s[10:11], s[10:11]
; %bb.9:
	v_mov_b32_e32 v3, 0
	v_or_b32_e32 v4, 0x10000, v2
	v_cmp_eq_u32_sdwa vcc, v2, v3 src0_sel:WORD_0 src1_sel:DWORD
	s_nop 1
	v_cndmask_b32_e32 v3, v4, v2, vcc
; %bb.10:
	s_or_b64 exec, exec, s[10:11]
	v_lshrrev_b32_e32 v3, 16, v3
.LBB545_11:
	s_mov_b64 s[10:11], exec
.LBB545_12:
	s_or_b64 exec, exec, s[8:9]
	s_and_b64 s[34:35], s[10:11], exec
	s_or_b64 exec, exec, s[6:7]
	s_and_b64 vcc, exec, s[4:5]
	s_cbranch_vccnz .LBB545_15
	s_branch .LBB545_67
.LBB545_13:
	s_mov_b64 s[34:35], 0
                                        ; implicit-def: $vgpr3
                                        ; implicit-def: $vgpr0_vgpr1
	s_cbranch_execnz .LBB545_15
	s_branch .LBB545_67
.LBB545_14:
	s_or_b64 exec, exec, s[6:7]
	s_and_b64 vcc, exec, s[4:5]
	s_cbranch_vccz .LBB545_67
.LBB545_15:
	s_load_dwordx16 s[8:23], s[0:1], 0x18
	s_lshl_b32 s33, s2, 8
	v_lshlrev_b32_e32 v39, 2, v34
	v_add_u32_e32 v0, s33, v33
	v_mov_b32_e32 v35, 0
	s_waitcnt lgkmcnt(0)
	s_mul_i32 s0, s3, s15
	s_mul_hi_u32 s1, s3, s14
	s_add_i32 s15, s1, s0
	s_ashr_i32 s0, s29, 31
	s_lshr_b32 s0, s0, 28
	s_add_i32 s0, s29, s0
	s_mul_i32 s4, s3, s23
	s_mul_hi_u32 s5, s3, s22
	s_and_b32 s52, s0, -16
	s_mul_i32 s14, s3, s14
	s_add_i32 s23, s5, s4
	s_mul_i32 s22, s3, s22
	v_cmp_gt_i32_e32 vcc, s52, v39
	v_mov_b32_e32 v36, 0
	v_mov_b32_e32 v37, 0
	;; [unrolled: 1-line block ×3, first 2 shown]
	s_and_saveexec_b64 s[36:37], vcc
	s_cbranch_execz .LBB545_27
; %bb.16:
	v_add_u32_e32 v2, 64, v0
	v_cmp_gt_i32_e64 s[0:1], s28, v2
	v_add_u32_e32 v2, 0x80, v0
	v_cmp_gt_i32_e64 s[2:3], s28, v2
	;; [unrolled: 2-line block ×3, first 2 shown]
	v_mad_u64_u32 v[2:3], s[6:7], s20, v34, 0
	v_mov_b32_e32 v4, v3
	v_ashrrev_i32_e32 v1, 31, v0
	v_mad_u64_u32 v[4:5], s[6:7], s21, v34, v[4:5]
	v_mov_b32_e32 v3, v4
	v_lshlrev_b64 v[4:5], 1, v[0:1]
	v_lshlrev_b32_e32 v1, 2, v34
	v_or_b32_e32 v11, 3, v1
	v_mad_u64_u32 v[6:7], s[42:43], s12, v11, 0
	v_mov_b32_e32 v8, v7
	v_mad_u64_u32 v[8:9], s[42:43], s13, v11, v[8:9]
	v_mov_b32_e32 v7, v8
	;; [unrolled: 2-line block ×5, first 2 shown]
	v_mad_u64_u32 v[12:13], s[46:47], s13, v34, v[12:13]
	v_or_b32_e32 v17, 2, v1
	v_mov_b32_e32 v11, v12
	v_mad_u64_u32 v[12:13], s[46:47], s12, v17, 0
	v_mov_b32_e32 v14, v13
	v_mad_u64_u32 v[14:15], s[46:47], s13, v17, v[14:15]
	;; [unrolled: 2-line block ×4, first 2 shown]
	v_mov_b32_e32 v15, v16
	v_mov_b64_e32 v[16:17], s[20:21]
	v_mad_u64_u32 v[16:17], s[46:47], s20, v1, v[16:17]
	s_lshl_b64 s[38:39], s[18:19], 1
	s_lshl_b64 s[6:7], s[22:23], 1
	v_mov_b32_e32 v18, v17
	s_add_u32 s6, s16, s6
	v_mad_u64_u32 v[18:19], s[46:47], s21, v1, v[18:19]
	s_addc_u32 s7, s17, s7
	s_lshl_b64 s[40:41], s[20:21], 5
	s_lshl_b64 s[42:43], s[14:15], 1
	;; [unrolled: 1-line block ×3, first 2 shown]
	v_mov_b32_e32 v17, v18
	v_mov_b64_e32 v[18:19], s[12:13]
	v_lshl_add_u64 v[2:3], v[2:3], 3, s[6:7]
	s_add_u32 s44, s8, s44
	v_lshl_add_u64 v[8:9], v[8:9], 1, s[6:7]
	v_lshl_add_u64 v[14:15], v[14:15], 1, s[6:7]
	;; [unrolled: 1-line block ×3, first 2 shown]
	v_mad_u64_u32 v[18:19], s[6:7], s12, v1, v[18:19]
	s_addc_u32 s45, s9, s45
	v_mov_b32_e32 v20, v19
	s_add_u32 s44, s44, s42
	v_mad_u64_u32 v[20:21], s[6:7], s13, v1, v[20:21]
	s_addc_u32 s45, s45, s43
	v_mov_b32_e32 v19, v20
	v_cmp_gt_i32_e32 vcc, s28, v0
	v_lshl_add_u64 v[6:7], v[6:7], 1, s[44:45]
	s_lshl_b64 s[42:43], s[12:13], 5
	v_lshl_add_u64 v[10:11], v[10:11], 3, s[44:45]
	v_lshl_add_u64 v[12:13], v[12:13], 1, s[44:45]
	;; [unrolled: 1-line block ×3, first 2 shown]
	s_mov_b64 s[44:45], 0
	v_mov_b32_e32 v35, 0
	v_mov_b32_e32 v36, 0
	;; [unrolled: 1-line block ×4, first 2 shown]
	s_branch .LBB545_21
.LBB545_17:                             ;   in Loop: Header=BB545_21 Depth=1
	s_or_b64 exec, exec, s[50:51]
	s_waitcnt vmcnt(3)
	v_lshlrev_b32_e32 v24, 16, v50
	v_fmac_f32_e32 v37, v22, v24
	s_waitcnt vmcnt(2)
	v_lshlrev_b32_e32 v24, 16, v49
	v_fmac_f32_e32 v37, v23, v24
	;; [unrolled: 3-line block ×4, first 2 shown]
.LBB545_18:                             ;   in Loop: Header=BB545_21 Depth=1
	s_or_b64 exec, exec, s[48:49]
	s_waitcnt vmcnt(3)
	v_lshlrev_b32_e32 v24, 16, v46
	v_fmac_f32_e32 v36, v22, v24
	s_waitcnt vmcnt(2)
	v_lshlrev_b32_e32 v24, 16, v45
	v_fmac_f32_e32 v36, v23, v24
	;; [unrolled: 3-line block ×4, first 2 shown]
.LBB545_19:                             ;   in Loop: Header=BB545_21 Depth=1
	s_or_b64 exec, exec, s[46:47]
	s_waitcnt vmcnt(3)
	v_lshlrev_b32_e32 v24, 16, v42
	v_fmac_f32_e32 v35, v22, v24
	s_waitcnt vmcnt(2)
	v_lshlrev_b32_e32 v22, 16, v41
	v_fmac_f32_e32 v35, v23, v22
	;; [unrolled: 3-line block ×4, first 2 shown]
.LBB545_20:                             ;   in Loop: Header=BB545_21 Depth=1
	s_or_b64 exec, exec, s[6:7]
	v_add_u32_e32 v39, 16, v39
	v_cmp_le_i32_e64 s[6:7], s52, v39
	v_lshl_add_u64 v[2:3], v[2:3], 0, s[40:41]
	v_lshl_add_u64 v[6:7], v[6:7], 0, s[42:43]
	;; [unrolled: 1-line block ×7, first 2 shown]
	s_or_b64 s[44:45], s[6:7], s[44:45]
	v_lshl_add_u64 v[18:19], v[18:19], 0, s[42:43]
	s_andn2_b64 exec, exec, s[44:45]
	s_cbranch_execz .LBB545_26
.LBB545_21:                             ; =>This Inner Loop Header: Depth=1
	s_and_saveexec_b64 s[6:7], vcc
	s_cbranch_execz .LBB545_20
; %bb.22:                               ;   in Loop: Header=BB545_21 Depth=1
	v_lshl_add_u64 v[20:21], v[2:3], 0, s[38:39]
	v_lshl_add_u64 v[22:23], v[16:17], 0, s[38:39]
	global_load_ushort v43, v[20:21], off
	global_load_ushort v44, v[22:23], off
	v_lshl_add_u64 v[20:21], v[14:15], 0, s[38:39]
	v_lshl_add_u64 v[22:23], v[8:9], 0, s[38:39]
	global_load_ushort v45, v[20:21], off
	global_load_ushort v46, v[22:23], off
	v_lshl_add_u64 v[28:29], v[10:11], 0, v[4:5]
	v_lshl_add_u64 v[30:31], v[18:19], 0, v[4:5]
	;; [unrolled: 1-line block ×4, first 2 shown]
	global_load_ushort v42, v[28:29], off
	global_load_ushort v41, v[30:31], off
	;; [unrolled: 1-line block ×4, first 2 shown]
	s_waitcnt vmcnt(7)
	v_lshlrev_b32_e32 v22, 16, v43
	s_waitcnt vmcnt(6)
	v_lshlrev_b32_e32 v23, 16, v44
	;; [unrolled: 2-line block ×4, first 2 shown]
	s_and_saveexec_b64 s[46:47], s[0:1]
	s_cbranch_execz .LBB545_19
; %bb.23:                               ;   in Loop: Header=BB545_21 Depth=1
	global_load_ushort v46, v[28:29], off offset:128
	global_load_ushort v45, v[30:31], off offset:128
	;; [unrolled: 1-line block ×4, first 2 shown]
	s_and_saveexec_b64 s[48:49], s[2:3]
	s_cbranch_execz .LBB545_18
; %bb.24:                               ;   in Loop: Header=BB545_21 Depth=1
	global_load_ushort v50, v[28:29], off offset:256
	global_load_ushort v49, v[30:31], off offset:256
	;; [unrolled: 1-line block ×4, first 2 shown]
	s_and_saveexec_b64 s[50:51], s[4:5]
	s_cbranch_execz .LBB545_17
; %bb.25:                               ;   in Loop: Header=BB545_21 Depth=1
	global_load_ushort v30, v[30:31], off offset:384
	s_nop 0
	global_load_ushort v28, v[28:29], off offset:384
	s_nop 0
	;; [unrolled: 2-line block ×3, first 2 shown]
	global_load_ushort v29, v[24:25], off offset:384
	s_waitcnt vmcnt(3)
	v_lshlrev_b32_e32 v25, 16, v30
	s_waitcnt vmcnt(2)
	v_lshlrev_b32_e32 v24, 16, v28
	v_pk_mul_f32 v[24:25], v[22:23], v[24:25]
	s_waitcnt vmcnt(1)
	v_lshlrev_b32_e32 v27, 16, v26
	s_waitcnt vmcnt(0)
	v_lshlrev_b32_e32 v26, 16, v29
	v_add_f32_e32 v24, v38, v24
	v_add_f32_e32 v28, v24, v25
	v_pk_mul_f32 v[24:25], v[20:21], v[26:27]
	s_nop 0
	v_add_f32_e32 v24, v28, v24
	v_add_f32_e32 v38, v24, v25
	s_branch .LBB545_17
.LBB545_26:
	s_or_b64 exec, exec, s[44:45]
.LBB545_27:
	s_or_b64 exec, exec, s[36:37]
	s_sub_i32 s0, s29, s52
	s_cmp_lt_i32 s0, 1
	s_cbranch_scc1 .LBB545_45
; %bb.28:
	v_cmp_gt_i32_e32 vcc, s29, v39
	v_mov_b32_e32 v10, 0
	v_or_b32_e32 v4, 1, v39
	v_mov_b32_e32 v11, 0
	v_mov_b32_e32 v12, 0
	;; [unrolled: 1-line block ×3, first 2 shown]
	s_and_saveexec_b64 s[2:3], vcc
	s_cbranch_execz .LBB545_36
; %bb.29:
	s_lshl_b64 s[0:1], s[22:23], 1
	s_add_u32 s4, s16, s0
	s_addc_u32 s5, s17, s1
	s_lshl_b64 s[0:1], s[18:19], 1
	s_add_u32 s6, s4, s0
	s_addc_u32 s7, s5, s1
	v_mad_u64_u32 v[2:3], s[0:1], v39, s20, 0
	v_mov_b32_e32 v6, v3
	v_mad_u64_u32 v[6:7], s[0:1], v39, s21, v[6:7]
	v_mov_b32_e32 v3, v6
	v_lshl_add_u64 v[2:3], v[2:3], 1, s[6:7]
	global_load_ushort v1, v[2:3], off
	v_cmp_gt_i32_e64 s[0:1], s29, v4
	v_mov_b32_e32 v12, 0
	v_mov_b32_e32 v11, 0
	;; [unrolled: 1-line block ×3, first 2 shown]
	s_and_saveexec_b64 s[4:5], s[0:1]
	s_cbranch_execz .LBB545_35
; %bb.30:
	v_mad_u64_u32 v[2:3], s[0:1], v4, s20, 0
	v_mov_b32_e32 v6, v3
	v_mad_u64_u32 v[6:7], s[0:1], v4, s21, v[6:7]
	v_mov_b32_e32 v3, v6
	v_lshl_add_u64 v[2:3], v[2:3], 1, s[6:7]
	global_load_ushort v2, v[2:3], off
	v_or_b32_e32 v3, 2, v39
	v_cmp_gt_i32_e64 s[0:1], s29, v3
	v_mov_b32_e32 v11, 0
	v_mov_b32_e32 v10, 0
	s_and_saveexec_b64 s[16:17], s[0:1]
	s_cbranch_execz .LBB545_34
; %bb.31:
	v_mad_u64_u32 v[6:7], s[0:1], v3, s20, 0
	v_mov_b32_e32 v8, v7
	v_mad_u64_u32 v[8:9], s[0:1], v3, s21, v[8:9]
	v_mov_b32_e32 v7, v8
	v_lshl_add_u64 v[6:7], v[6:7], 1, s[6:7]
	global_load_ushort v3, v[6:7], off
	v_or_b32_e32 v5, 3, v39
	v_cmp_gt_i32_e64 s[0:1], s29, v5
	v_mov_b32_e32 v10, 0
	s_and_saveexec_b64 s[18:19], s[0:1]
	s_cbranch_execz .LBB545_33
; %bb.32:
	v_mad_u64_u32 v[6:7], s[0:1], v5, s20, 0
	v_mov_b32_e32 v8, v7
	v_mad_u64_u32 v[8:9], s[0:1], v5, s21, v[8:9]
	v_mov_b32_e32 v7, v8
	v_lshl_add_u64 v[6:7], v[6:7], 1, s[6:7]
	global_load_ushort v5, v[6:7], off
	s_waitcnt vmcnt(0)
	v_lshlrev_b32_e32 v10, 16, v5
.LBB545_33:
	s_or_b64 exec, exec, s[18:19]
	s_waitcnt vmcnt(0)
	v_lshlrev_b32_e32 v11, 16, v3
.LBB545_34:
	s_or_b64 exec, exec, s[16:17]
	s_waitcnt vmcnt(0)
	v_lshlrev_b32_e32 v12, 16, v2
.LBB545_35:
	s_or_b64 exec, exec, s[4:5]
	s_waitcnt vmcnt(0)
	v_lshlrev_b32_e32 v13, 16, v1
.LBB545_36:
	s_or_b64 exec, exec, s[2:3]
	v_cmp_gt_i32_e64 s[0:1], s28, v0
	s_and_saveexec_b64 s[2:3], s[0:1]
	s_cbranch_execz .LBB545_44
; %bb.37:
	s_lshl_b64 s[0:1], s[14:15], 1
	s_add_u32 s4, s8, s0
	s_addc_u32 s5, s9, s1
	s_lshl_b64 s[0:1], s[10:11], 1
	s_add_u32 s0, s4, s0
	s_addc_u32 s1, s5, s1
	v_mad_u64_u32 v[2:3], s[4:5], v39, s12, 0
	v_mov_b32_e32 v6, v3
	v_mad_u64_u32 v[6:7], s[4:5], v39, s13, v[6:7]
	v_ashrrev_i32_e32 v1, 31, v0
	v_cndmask_b32_e32 v3, 0, v6, vcc
	v_mad_u64_u32 v[6:7], s[4:5], v4, s12, 0
	v_cndmask_b32_e32 v2, 0, v2, vcc
	v_lshlrev_b64 v[8:9], 1, v[0:1]
	v_mov_b32_e32 v14, v7
	v_cmp_gt_i32_e32 vcc, s29, v4
	v_or_b32_e32 v1, 2, v39
	v_mad_u64_u32 v[14:15], s[4:5], v4, s13, v[14:15]
	v_cndmask_b32_e32 v4, 0, v6, vcc
	v_mad_u64_u32 v[6:7], s[4:5], v1, s12, 0
	v_cndmask_b32_e32 v5, 0, v14, vcc
	v_mov_b32_e32 v14, v7
	v_mad_u64_u32 v[14:15], s[4:5], v1, s13, v[14:15]
	v_cmp_gt_i32_e32 vcc, s29, v1
	v_or_b32_e32 v1, 3, v39
	v_lshl_add_u64 v[2:3], v[2:3], 1, s[0:1]
	v_cndmask_b32_e32 v7, 0, v14, vcc
	v_mad_u64_u32 v[14:15], s[4:5], v1, s12, 0
	v_mov_b32_e32 v16, v15
	v_cndmask_b32_e32 v6, 0, v6, vcc
	v_mad_u64_u32 v[16:17], s[4:5], v1, s13, v[16:17]
	v_cmp_gt_i32_e32 vcc, s29, v1
	v_lshl_add_u64 v[2:3], v[2:3], 0, v[8:9]
	v_lshl_add_u64 v[4:5], v[4:5], 1, s[0:1]
	v_cndmask_b32_e32 v14, 0, v14, vcc
	v_cndmask_b32_e32 v15, 0, v16, vcc
	v_lshl_add_u64 v[6:7], v[6:7], 1, s[0:1]
	v_lshl_add_u64 v[14:15], v[14:15], 1, s[0:1]
	v_lshl_add_u64 v[4:5], v[4:5], 0, v[8:9]
	v_lshl_add_u64 v[6:7], v[6:7], 0, v[8:9]
	v_lshl_add_u64 v[8:9], v[14:15], 0, v[8:9]
	global_load_ushort v1, v[2:3], off
	global_load_ushort v14, v[4:5], off
	;; [unrolled: 1-line block ×4, first 2 shown]
	v_add_u32_e32 v17, 64, v0
	v_cmp_gt_i32_e32 vcc, s28, v17
	s_waitcnt vmcnt(3)
	v_lshlrev_b32_e32 v18, 16, v1
	s_waitcnt vmcnt(2)
	v_lshlrev_b32_e32 v14, 16, v14
	v_fmac_f32_e32 v35, v13, v18
	s_waitcnt vmcnt(1)
	v_lshlrev_b32_e32 v15, 16, v15
	v_fmac_f32_e32 v35, v12, v14
	s_waitcnt vmcnt(0)
	v_lshlrev_b32_e32 v1, 16, v16
	v_fmac_f32_e32 v35, v11, v15
	s_and_saveexec_b64 s[0:1], vcc
	s_cbranch_execz .LBB545_43
; %bb.38:
	global_load_ushort v14, v[2:3], off offset:128
	global_load_ushort v15, v[4:5], off offset:128
	global_load_ushort v16, v[6:7], off offset:128
	global_load_ushort v17, v[8:9], off offset:128
	v_add_u32_e32 v18, 0x80, v0
	v_cmp_gt_i32_e32 vcc, s28, v18
	s_waitcnt vmcnt(3)
	v_lshlrev_b32_e32 v19, 16, v14
	s_waitcnt vmcnt(2)
	v_lshlrev_b32_e32 v15, 16, v15
	v_fmac_f32_e32 v36, v13, v19
	s_waitcnt vmcnt(1)
	v_lshlrev_b32_e32 v16, 16, v16
	v_fmac_f32_e32 v36, v12, v15
	s_waitcnt vmcnt(0)
	v_lshlrev_b32_e32 v14, 16, v17
	v_fmac_f32_e32 v36, v11, v16
	s_and_saveexec_b64 s[4:5], vcc
	s_cbranch_execz .LBB545_42
; %bb.39:
	global_load_ushort v15, v[2:3], off offset:256
	global_load_ushort v16, v[4:5], off offset:256
	global_load_ushort v17, v[6:7], off offset:256
	global_load_ushort v18, v[8:9], off offset:256
	;; [unrolled: 20-line block ×3, first 2 shown]
	s_waitcnt vmcnt(3)
	v_lshlrev_b32_e32 v2, 16, v15
	s_waitcnt vmcnt(2)
	v_lshlrev_b32_e32 v3, 16, v16
	v_fmac_f32_e32 v38, v13, v2
	s_waitcnt vmcnt(1)
	v_lshlrev_b32_e32 v4, 16, v17
	v_fmac_f32_e32 v38, v12, v3
	v_fmac_f32_e32 v38, v11, v4
	s_waitcnt vmcnt(0)
	v_lshlrev_b32_e32 v2, 16, v18
	v_fmac_f32_e32 v38, v10, v2
.LBB545_41:
	s_or_b64 exec, exec, s[6:7]
	v_fmac_f32_e32 v37, v10, v0
.LBB545_42:
	s_or_b64 exec, exec, s[4:5]
	v_fmac_f32_e32 v36, v10, v14
.LBB545_43:
	s_or_b64 exec, exec, s[0:1]
	v_fmac_f32_e32 v35, v10, v1
.LBB545_44:
	s_or_b64 exec, exec, s[2:3]
.LBB545_45:
	v_lshlrev_b32_e32 v0, 8, v34
	s_movk_i32 s0, 0x100
	v_add_lshl_u32 v0, v0, v33, 2
	v_cmp_gt_u32_e32 vcc, s0, v32
	ds_write2st64_b32 v0, v35, v36 offset1:1
	ds_write2st64_b32 v0, v37, v38 offset0:2 offset1:3
	s_waitcnt lgkmcnt(0)
	s_barrier
	s_waitcnt lgkmcnt(0)
                                        ; implicit-def: $vgpr3
                                        ; implicit-def: $vgpr0_vgpr1
	s_and_saveexec_b64 s[0:1], vcc
	s_cbranch_execz .LBB545_66
; %bb.46:
	v_lshlrev_b32_e32 v3, 2, v32
	ds_read2st64_b32 v[0:1], v3 offset1:4
	ds_read2st64_b32 v[4:5], v3 offset0:8 offset1:12
	v_or_b32_e32 v2, s33, v32
	v_cmp_gt_i32_e32 vcc, s28, v2
	s_mov_b64 s[4:5], s[34:35]
	s_waitcnt lgkmcnt(1)
	v_add_f32_e32 v0, v0, v1
	s_waitcnt lgkmcnt(0)
	v_add_f32_e32 v0, v4, v0
	v_add_f32_e32 v4, v5, v0
	ds_write_b32 v3, v4
                                        ; implicit-def: $vgpr3
                                        ; implicit-def: $vgpr0_vgpr1
	s_and_saveexec_b64 s[2:3], vcc
	s_cbranch_execz .LBB545_65
; %bb.47:
	v_cmp_eq_f32_e64 s[4:5], s31, 0
	v_mul_f32_e32 v0, s30, v4
	s_and_b64 vcc, exec, s[4:5]
	s_cbranch_vccz .LBB545_53
; %bb.48:
	s_mov_b32 s4, 0x7f800000
	v_and_b32_e32 v1, 0x7f800000, v0
	v_cmp_ne_u32_e32 vcc, s4, v1
                                        ; implicit-def: $vgpr1
	s_and_saveexec_b64 s[4:5], vcc
	s_xor_b64 s[4:5], exec, s[4:5]
; %bb.49:
	v_bfe_u32 v1, v0, 16, 1
	s_movk_i32 s6, 0x7fff
	v_add3_u32 v1, v0, v1, s6
; %bb.50:
	s_andn2_saveexec_b64 s[4:5], s[4:5]
; %bb.51:
	v_mov_b32_e32 v1, 0
	v_or_b32_e32 v3, 0x10000, v0
	v_cmp_eq_u32_sdwa vcc, v0, v1 src0_sel:WORD_0 src1_sel:DWORD
	s_nop 1
	v_cndmask_b32_e32 v1, v3, v0, vcc
; %bb.52:
	s_or_b64 exec, exec, s[4:5]
	s_mov_b64 s[4:5], 0
	s_branch .LBB545_54
.LBB545_53:
	s_mov_b64 s[4:5], -1
                                        ; implicit-def: $vgpr1
.LBB545_54:
	v_ashrrev_i32_e32 v3, 31, v2
	s_andn2_b64 vcc, exec, s[4:5]
	v_mul_lo_u32 v4, v2, s25
	v_mul_lo_u32 v5, v3, s24
	s_cbranch_vccnz .LBB545_64
; %bb.55:
	v_mad_u64_u32 v[6:7], s[4:5], v2, s24, 0
	v_add3_u32 v7, v7, v4, v5
	v_lshl_add_u64 v[6:7], v[6:7], 1, s[26:27]
	global_load_ushort v1, v[6:7], off
	s_mov_b32 s4, 0x7f800000
	s_waitcnt vmcnt(0)
	v_lshlrev_b32_e32 v1, 16, v1
	v_mul_f32_e32 v1, s31, v1
	v_and_b32_e32 v3, 0x7f800000, v1
	v_cmp_ne_u32_e32 vcc, s4, v3
                                        ; implicit-def: $vgpr3
	s_and_saveexec_b64 s[4:5], vcc
	s_xor_b64 s[4:5], exec, s[4:5]
; %bb.56:
	v_bfe_u32 v3, v1, 16, 1
	s_movk_i32 s6, 0x7fff
	v_add3_u32 v3, v1, v3, s6
                                        ; implicit-def: $vgpr1
; %bb.57:
	s_andn2_saveexec_b64 s[4:5], s[4:5]
; %bb.58:
	v_mov_b32_e32 v3, 0
	v_or_b32_e32 v6, 0x10000, v1
	v_cmp_eq_u32_sdwa vcc, v1, v3 src0_sel:WORD_0 src1_sel:DWORD
	s_nop 1
	v_cndmask_b32_e32 v3, v6, v1, vcc
; %bb.59:
	s_or_b64 exec, exec, s[4:5]
	v_and_b32_e32 v1, 0xffff0000, v3
	v_add_f32_e32 v0, v0, v1
	s_mov_b32 s4, 0x7f800000
	v_and_b32_e32 v1, 0x7f800000, v0
	v_cmp_ne_u32_e32 vcc, s4, v1
                                        ; implicit-def: $vgpr1
	s_and_saveexec_b64 s[4:5], vcc
	s_xor_b64 s[4:5], exec, s[4:5]
; %bb.60:
	v_bfe_u32 v1, v0, 16, 1
	s_movk_i32 s6, 0x7fff
	v_add3_u32 v1, v0, v1, s6
                                        ; implicit-def: $vgpr0
; %bb.61:
	s_andn2_saveexec_b64 s[4:5], s[4:5]
; %bb.62:
	v_mov_b32_e32 v1, 0
	v_or_b32_e32 v3, 0x10000, v0
	v_cmp_eq_u32_sdwa vcc, v0, v1 src0_sel:WORD_0 src1_sel:DWORD
	s_nop 1
	v_cndmask_b32_e32 v1, v3, v0, vcc
; %bb.63:
	s_or_b64 exec, exec, s[4:5]
.LBB545_64:
	v_lshrrev_b32_e32 v3, 16, v1
	v_mad_u64_u32 v[0:1], s[4:5], v2, s24, 0
	v_add3_u32 v1, v1, v4, v5
	s_or_b64 s[4:5], s[34:35], exec
.LBB545_65:
	s_or_b64 exec, exec, s[2:3]
	s_andn2_b64 s[2:3], s[34:35], exec
	s_and_b64 s[4:5], s[4:5], exec
	s_or_b64 s[34:35], s[2:3], s[4:5]
.LBB545_66:
	s_or_b64 exec, exec, s[0:1]
.LBB545_67:
	s_and_saveexec_b64 s[0:1], s[34:35]
	s_cbranch_execz .LBB545_69
; %bb.68:
	v_lshl_add_u64 v[0:1], v[0:1], 1, s[26:27]
	global_store_short v[0:1], v3, off
.LBB545_69:
	s_endpgm
	.section	.rodata,"a",@progbits
	.p2align	6, 0x0
	.amdhsa_kernel _ZL20rocblas_gemvn_kernelILi64ELi4El16rocblas_bfloat16fS0_EviiT3_lPKT2_lT1_lS4_lS5_lS1_lPT4_lS5_li
		.amdhsa_group_segment_fixed_size 4096
		.amdhsa_private_segment_fixed_size 0
		.amdhsa_kernarg_size 400
		.amdhsa_user_sgpr_count 2
		.amdhsa_user_sgpr_dispatch_ptr 0
		.amdhsa_user_sgpr_queue_ptr 0
		.amdhsa_user_sgpr_kernarg_segment_ptr 1
		.amdhsa_user_sgpr_dispatch_id 0
		.amdhsa_user_sgpr_kernarg_preload_length 0
		.amdhsa_user_sgpr_kernarg_preload_offset 0
		.amdhsa_user_sgpr_private_segment_size 0
		.amdhsa_uses_dynamic_stack 0
		.amdhsa_enable_private_segment 0
		.amdhsa_system_sgpr_workgroup_id_x 1
		.amdhsa_system_sgpr_workgroup_id_y 0
		.amdhsa_system_sgpr_workgroup_id_z 1
		.amdhsa_system_sgpr_workgroup_info 0
		.amdhsa_system_vgpr_workitem_id 1
		.amdhsa_next_free_vgpr 51
		.amdhsa_next_free_sgpr 53
		.amdhsa_accum_offset 52
		.amdhsa_reserve_vcc 1
		.amdhsa_float_round_mode_32 0
		.amdhsa_float_round_mode_16_64 0
		.amdhsa_float_denorm_mode_32 3
		.amdhsa_float_denorm_mode_16_64 3
		.amdhsa_dx10_clamp 1
		.amdhsa_ieee_mode 1
		.amdhsa_fp16_overflow 0
		.amdhsa_tg_split 0
		.amdhsa_exception_fp_ieee_invalid_op 0
		.amdhsa_exception_fp_denorm_src 0
		.amdhsa_exception_fp_ieee_div_zero 0
		.amdhsa_exception_fp_ieee_overflow 0
		.amdhsa_exception_fp_ieee_underflow 0
		.amdhsa_exception_fp_ieee_inexact 0
		.amdhsa_exception_int_div_zero 0
	.end_amdhsa_kernel
	.section	.text._ZL20rocblas_gemvn_kernelILi64ELi4El16rocblas_bfloat16fS0_EviiT3_lPKT2_lT1_lS4_lS5_lS1_lPT4_lS5_li,"axG",@progbits,_ZL20rocblas_gemvn_kernelILi64ELi4El16rocblas_bfloat16fS0_EviiT3_lPKT2_lT1_lS4_lS5_lS1_lPT4_lS5_li,comdat
.Lfunc_end545:
	.size	_ZL20rocblas_gemvn_kernelILi64ELi4El16rocblas_bfloat16fS0_EviiT3_lPKT2_lT1_lS4_lS5_lS1_lPT4_lS5_li, .Lfunc_end545-_ZL20rocblas_gemvn_kernelILi64ELi4El16rocblas_bfloat16fS0_EviiT3_lPKT2_lT1_lS4_lS5_lS1_lPT4_lS5_li
                                        ; -- End function
	.section	.AMDGPU.csdata,"",@progbits
; Kernel info:
; codeLenInByte = 3156
; NumSgprs: 59
; NumVgprs: 51
; NumAgprs: 0
; TotalNumVgprs: 51
; ScratchSize: 0
; MemoryBound: 0
; FloatMode: 240
; IeeeMode: 1
; LDSByteSize: 4096 bytes/workgroup (compile time only)
; SGPRBlocks: 7
; VGPRBlocks: 6
; NumSGPRsForWavesPerEU: 59
; NumVGPRsForWavesPerEU: 51
; AccumOffset: 52
; Occupancy: 8
; WaveLimiterHint : 1
; COMPUTE_PGM_RSRC2:SCRATCH_EN: 0
; COMPUTE_PGM_RSRC2:USER_SGPR: 2
; COMPUTE_PGM_RSRC2:TRAP_HANDLER: 0
; COMPUTE_PGM_RSRC2:TGID_X_EN: 1
; COMPUTE_PGM_RSRC2:TGID_Y_EN: 0
; COMPUTE_PGM_RSRC2:TGID_Z_EN: 1
; COMPUTE_PGM_RSRC2:TIDIG_COMP_CNT: 1
; COMPUTE_PGM_RSRC3_GFX90A:ACCUM_OFFSET: 12
; COMPUTE_PGM_RSRC3_GFX90A:TG_SPLIT: 0
	.section	.text._ZL20rocblas_gemvn_kernelILi32ELi16Ei16rocblas_bfloat16PKfS0_EviiT3_lPKT2_lT1_lS6_lS7_lS3_lPT4_lS7_li,"axG",@progbits,_ZL20rocblas_gemvn_kernelILi32ELi16Ei16rocblas_bfloat16PKfS0_EviiT3_lPKT2_lT1_lS6_lS7_lS3_lPT4_lS7_li,comdat
	.globl	_ZL20rocblas_gemvn_kernelILi32ELi16Ei16rocblas_bfloat16PKfS0_EviiT3_lPKT2_lT1_lS6_lS7_lS3_lPT4_lS7_li ; -- Begin function _ZL20rocblas_gemvn_kernelILi32ELi16Ei16rocblas_bfloat16PKfS0_EviiT3_lPKT2_lT1_lS6_lS7_lS3_lPT4_lS7_li
	.p2align	8
	.type	_ZL20rocblas_gemvn_kernelILi32ELi16Ei16rocblas_bfloat16PKfS0_EviiT3_lPKT2_lT1_lS6_lS7_lS3_lPT4_lS7_li,@function
_ZL20rocblas_gemvn_kernelILi32ELi16Ei16rocblas_bfloat16PKfS0_EviiT3_lPKT2_lT1_lS6_lS7_lS3_lPT4_lS7_li: ; @_ZL20rocblas_gemvn_kernelILi32ELi16Ei16rocblas_bfloat16PKfS0_EviiT3_lPKT2_lT1_lS6_lS7_lS3_lPT4_lS7_li
; %bb.0:
	s_load_dwordx2 s[4:5], s[0:1], 0x9c
	s_waitcnt lgkmcnt(0)
	s_lshr_b32 s6, s4, 16
	s_and_b32 s4, s4, 0xffff
	s_and_b32 s5, s5, 0xffff
	s_mul_i32 s4, s6, s4
	s_mul_i32 s4, s4, s5
	s_cmpk_lg_i32 s4, 0x200
	s_cbranch_scc1 .LBB546_69
; %bb.1:
	s_load_dwordx8 s[12:19], s[0:1], 0x8
	s_load_dwordx8 s[4:11], s[0:1], 0x50
	s_waitcnt lgkmcnt(0)
	s_mul_i32 s15, s3, s15
	s_mul_hi_u32 s20, s3, s14
	s_mul_i32 s14, s3, s14
	s_add_i32 s15, s20, s15
	s_lshl_b64 s[14:15], s[14:15], 2
	s_add_u32 s12, s12, s14
	s_addc_u32 s13, s13, s15
	s_mul_i32 s9, s3, s9
	s_load_dword s30, s[12:13], 0x0
	s_mul_hi_u32 s12, s3, s8
	s_add_i32 s9, s12, s9
	s_mul_i32 s8, s3, s8
	s_lshl_b64 s[8:9], s[8:9], 2
	s_add_u32 s6, s6, s8
	s_addc_u32 s7, s7, s9
	s_load_dword s28, s[6:7], 0x0
	s_waitcnt lgkmcnt(0)
	v_cmp_eq_f32_e64 s[6:7], s30, 0
	v_cmp_eq_f32_e64 s[8:9], s28, 1.0
	s_and_b64 s[6:7], s[6:7], s[8:9]
	s_and_b64 vcc, exec, s[6:7]
	s_cbranch_vccnz .LBB546_69
; %bb.2:
	s_load_dwordx2 s[6:7], s[0:1], 0x80
	s_load_dword s29, s[0:1], 0x78
	s_load_dwordx2 s[8:9], s[0:1], 0x70
	s_load_dwordx2 s[12:13], s[0:1], 0x0
	v_and_b32_e32 v2, 0x3ff, v0
	s_waitcnt lgkmcnt(0)
	s_mul_i32 s7, s3, s7
	s_mul_hi_u32 s14, s3, s6
	s_add_i32 s7, s14, s7
	s_mul_i32 s6, s3, s6
	s_lshl_b64 s[6:7], s[6:7], 1
	s_add_u32 s10, s10, s6
	s_addc_u32 s11, s11, s7
	s_lshl_b64 s[6:7], s[8:9], 1
	s_add_u32 s8, s10, s6
	s_addc_u32 s9, s11, s7
	v_bfe_u32 v18, v0, 10, 10
	v_cmp_neq_f32_e64 s[6:7], s30, 0
	v_lshl_add_u32 v3, v18, 5, v2
	s_and_b64 vcc, exec, s[6:7]
	s_cbranch_vccnz .LBB546_13
; %bb.3:
	s_movk_i32 s6, 0x80
	v_cmp_gt_u32_e32 vcc, s6, v3
	s_mov_b64 s[6:7], 0
	s_mov_b64 s[10:11], 0
                                        ; implicit-def: $vgpr5
                                        ; implicit-def: $vgpr0_vgpr1
	s_and_saveexec_b64 s[14:15], vcc
	s_cbranch_execz .LBB546_14
; %bb.4:
	v_lshl_or_b32 v4, s2, 7, v3
	v_mov_b32_e32 v5, 0
	s_ashr_i32 s11, s12, 31
	s_mov_b32 s10, s12
	v_cmp_gt_i64_e32 vcc, s[10:11], v[4:5]
	s_mov_b64 s[20:21], 0
                                        ; implicit-def: $vgpr0_vgpr1
	s_and_saveexec_b64 s[10:11], vcc
	s_cbranch_execz .LBB546_12
; %bb.5:
	v_mad_u64_u32 v[0:1], s[22:23], s29, v4, 0
	s_ashr_i32 s24, s29, 31
	v_mov_b32_e32 v6, v1
	v_cmp_eq_f32_e64 s[20:21], s28, 0
	v_mad_u64_u32 v[6:7], s[22:23], s24, v4, v[6:7]
	v_mov_b32_e32 v1, v6
	s_and_b64 vcc, exec, s[20:21]
	s_cbranch_vccnz .LBB546_11
; %bb.6:
	v_lshl_add_u64 v[4:5], v[0:1], 1, s[8:9]
	global_load_ushort v4, v[4:5], off
	s_mov_b32 s20, 0x7f800000
	s_waitcnt vmcnt(0)
	v_lshlrev_b32_e32 v4, 16, v4
	v_mul_f32_e32 v4, s28, v4
	v_and_b32_e32 v5, 0x7f800000, v4
	v_cmp_ne_u32_e32 vcc, s20, v5
                                        ; implicit-def: $vgpr5
	s_and_saveexec_b64 s[20:21], vcc
	s_xor_b64 s[20:21], exec, s[20:21]
; %bb.7:
	v_bfe_u32 v5, v4, 16, 1
	s_movk_i32 s22, 0x7fff
	v_add3_u32 v5, v4, v5, s22
                                        ; implicit-def: $vgpr4
; %bb.8:
	s_andn2_saveexec_b64 s[20:21], s[20:21]
; %bb.9:
	v_mov_b32_e32 v5, 0
	v_or_b32_e32 v6, 0x10000, v4
	v_cmp_eq_u32_sdwa vcc, v4, v5 src0_sel:WORD_0 src1_sel:DWORD
	s_nop 1
	v_cndmask_b32_e32 v5, v6, v4, vcc
; %bb.10:
	s_or_b64 exec, exec, s[20:21]
	v_lshrrev_b32_e32 v5, 16, v5
.LBB546_11:
	s_mov_b64 s[20:21], exec
.LBB546_12:
	s_or_b64 exec, exec, s[10:11]
	s_and_b64 s[10:11], s[20:21], exec
	s_or_b64 exec, exec, s[14:15]
	s_and_b64 vcc, exec, s[6:7]
	s_cbranch_vccnz .LBB546_15
	s_branch .LBB546_67
.LBB546_13:
	s_mov_b64 s[10:11], 0
                                        ; implicit-def: $vgpr5
                                        ; implicit-def: $vgpr0_vgpr1
	s_cbranch_execnz .LBB546_15
	s_branch .LBB546_67
.LBB546_14:
	s_or_b64 exec, exec, s[14:15]
	s_and_b64 vcc, exec, s[6:7]
	s_cbranch_vccz .LBB546_67
.LBB546_15:
	s_load_dwordx4 s[20:23], s[0:1], 0x30
	s_load_dword s33, s[0:1], 0x28
	s_load_dwordx2 s[6:7], s[0:1], 0x40
	s_load_dword s34, s[0:1], 0x48
	v_lshlrev_b32_e32 v24, 2, v18
	s_waitcnt lgkmcnt(0)
	s_mul_i32 s0, s3, s21
	s_mul_hi_u32 s1, s3, s20
	s_add_i32 s1, s1, s0
	s_mul_i32 s0, s3, s20
	s_lshl_b64 s[0:1], s[0:1], 1
	s_add_u32 s14, s16, s0
	s_addc_u32 s15, s17, s1
	s_lshl_b64 s[0:1], s[18:19], 1
	s_add_u32 s14, s14, s0
	s_addc_u32 s15, s15, s1
	s_mul_i32 s0, s3, s5
	s_mul_hi_u32 s1, s3, s4
	s_add_i32 s1, s1, s0
	s_mul_i32 s0, s3, s4
	s_lshl_b64 s[0:1], s[0:1], 1
	s_add_u32 s3, s22, s0
	s_addc_u32 s4, s23, s1
	s_lshl_b64 s[0:1], s[6:7], 1
	s_add_u32 s16, s3, s0
	s_addc_u32 s17, s4, s1
	s_ashr_i32 s0, s13, 31
	s_lshr_b32 s0, s0, 26
	s_add_i32 s35, s13, s0
	s_lshl_b32 s31, s2, 7
	s_andn2_b32 s35, s35, 63
	v_add_u32_e32 v23, s31, v2
	v_cmp_gt_i32_e32 vcc, s35, v24
	v_mov_b32_e32 v19, 0
	v_mov_b32_e32 v20, 0
	;; [unrolled: 1-line block ×4, first 2 shown]
	s_and_saveexec_b64 s[18:19], vcc
	s_cbranch_execz .LBB546_27
; %bb.16:
	v_add_u32_e32 v0, 32, v23
	v_cmp_gt_i32_e64 s[0:1], s12, v0
	v_add_u32_e32 v0, 64, v23
	v_cmp_gt_i32_e64 s[2:3], s12, v0
	;; [unrolled: 2-line block ×3, first 2 shown]
	v_mul_lo_u32 v0, s33, v24
	v_add_u32_e32 v6, 2, v24
	v_add_u32_e32 v7, 3, v24
	v_add3_u32 v25, v0, s33, v2
	v_mad_u64_u32 v[0:1], s[6:7], s33, v6, v[2:3]
	v_mad_u64_u32 v[4:5], s[6:7], s33, v7, v[2:3]
	v_mul_lo_u32 v1, v18, s33
	v_mul_lo_u32 v5, s34, v24
	;; [unrolled: 1-line block ×4, first 2 shown]
	v_cmp_gt_i32_e32 vcc, s12, v23
	s_lshl_b32 s36, s33, 6
	v_lshl_add_u32 v1, v1, 2, v2
	v_add_u32_e32 v5, s34, v5
	s_lshl_b32 s37, s34, 6
	v_mul_lo_u32 v27, s34, v7
	v_lshlrev_b32_e32 v28, 2, v6
	s_mov_b32 s38, 0
	s_mov_b64 s[20:21], 0
	v_mov_b32_e32 v19, 0
	v_mov_b32_e32 v20, 0
	;; [unrolled: 1-line block ×4, first 2 shown]
	s_branch .LBB546_21
.LBB546_17:                             ;   in Loop: Header=BB546_21 Depth=1
	s_or_b64 exec, exec, s[26:27]
	s_waitcnt vmcnt(3)
	v_lshlrev_b32_e32 v10, 16, v40
	v_fmac_f32_e32 v21, v8, v10
	s_waitcnt vmcnt(2)
	v_lshlrev_b32_e32 v10, 16, v39
	v_fmac_f32_e32 v21, v9, v10
	;; [unrolled: 3-line block ×4, first 2 shown]
.LBB546_18:                             ;   in Loop: Header=BB546_21 Depth=1
	s_or_b64 exec, exec, s[24:25]
	s_waitcnt vmcnt(3)
	v_lshlrev_b32_e32 v10, 16, v36
	v_fmac_f32_e32 v20, v8, v10
	s_waitcnt vmcnt(2)
	v_lshlrev_b32_e32 v10, 16, v35
	v_fmac_f32_e32 v20, v9, v10
	;; [unrolled: 3-line block ×4, first 2 shown]
.LBB546_19:                             ;   in Loop: Header=BB546_21 Depth=1
	s_or_b64 exec, exec, s[22:23]
	s_waitcnt vmcnt(3)
	v_lshlrev_b32_e32 v10, 16, v32
	v_fmac_f32_e32 v19, v8, v10
	s_waitcnt vmcnt(2)
	v_lshlrev_b32_e32 v8, 16, v31
	v_fmac_f32_e32 v19, v9, v8
	;; [unrolled: 3-line block ×4, first 2 shown]
.LBB546_20:                             ;   in Loop: Header=BB546_21 Depth=1
	s_or_b64 exec, exec, s[6:7]
	v_add_u32_e32 v24, 64, v24
	s_add_i32 s38, s38, s37
	v_cmp_le_i32_e64 s[6:7], s35, v24
	v_add_u32_e32 v25, s36, v25
	v_add_u32_e32 v0, s36, v0
	;; [unrolled: 1-line block ×3, first 2 shown]
	s_or_b64 s[20:21], s[6:7], s[20:21]
	v_add_u32_e32 v1, s36, v1
	s_andn2_b64 exec, exec, s[20:21]
	s_cbranch_execz .LBB546_26
.LBB546_21:                             ; =>This Inner Loop Header: Depth=1
	s_and_saveexec_b64 s[6:7], vcc
	s_cbranch_execz .LBB546_20
; %bb.22:                               ;   in Loop: Header=BB546_21 Depth=1
	v_add_u32_e32 v6, s38, v28
	v_ashrrev_i32_e32 v7, 31, v6
	v_add_u32_e32 v8, s38, v5
	v_add_u32_e32 v10, s38, v26
	;; [unrolled: 1-line block ×3, first 2 shown]
	v_lshl_add_u64 v[6:7], v[6:7], 1, s[16:17]
	v_ashrrev_i32_e32 v9, 31, v8
	v_ashrrev_i32_e32 v11, 31, v10
	;; [unrolled: 1-line block ×3, first 2 shown]
	v_lshl_add_u64 v[8:9], v[8:9], 1, s[16:17]
	v_lshl_add_u64 v[10:11], v[10:11], 1, s[16:17]
	;; [unrolled: 1-line block ×3, first 2 shown]
	global_load_ushort v33, v[6:7], off
	global_load_ushort v34, v[8:9], off
	;; [unrolled: 1-line block ×4, first 2 shown]
	v_add_u32_e32 v6, s31, v1
	v_ashrrev_i32_e32 v7, 31, v6
	v_lshl_add_u64 v[10:11], v[6:7], 1, s[14:15]
	v_add_u32_e32 v6, s31, v25
	v_ashrrev_i32_e32 v7, 31, v6
	v_lshl_add_u64 v[12:13], v[6:7], 1, s[14:15]
	;; [unrolled: 3-line block ×4, first 2 shown]
	global_load_ushort v32, v[10:11], off
	global_load_ushort v31, v[12:13], off
	;; [unrolled: 1-line block ×4, first 2 shown]
	s_waitcnt vmcnt(7)
	v_lshlrev_b32_e32 v8, 16, v33
	s_waitcnt vmcnt(6)
	v_lshlrev_b32_e32 v9, 16, v34
	;; [unrolled: 2-line block ×4, first 2 shown]
	s_and_saveexec_b64 s[22:23], s[0:1]
	s_cbranch_execz .LBB546_19
; %bb.23:                               ;   in Loop: Header=BB546_21 Depth=1
	global_load_ushort v36, v[10:11], off offset:64
	global_load_ushort v35, v[12:13], off offset:64
	global_load_ushort v34, v[14:15], off offset:64
	global_load_ushort v33, v[16:17], off offset:64
	s_and_saveexec_b64 s[24:25], s[2:3]
	s_cbranch_execz .LBB546_18
; %bb.24:                               ;   in Loop: Header=BB546_21 Depth=1
	global_load_ushort v40, v[10:11], off offset:128
	global_load_ushort v39, v[12:13], off offset:128
	global_load_ushort v38, v[14:15], off offset:128
	global_load_ushort v37, v[16:17], off offset:128
	;; [unrolled: 7-line block ×3, first 2 shown]
	s_waitcnt vmcnt(3)
	v_lshlrev_b32_e32 v11, 16, v41
	s_waitcnt vmcnt(2)
	v_lshlrev_b32_e32 v10, 16, v42
	v_pk_mul_f32 v[10:11], v[8:9], v[10:11]
	s_waitcnt vmcnt(1)
	v_lshlrev_b32_e32 v13, 16, v43
	s_waitcnt vmcnt(0)
	v_lshlrev_b32_e32 v12, 16, v44
	v_add_f32_e32 v10, v22, v10
	v_add_f32_e32 v14, v10, v11
	v_pk_mul_f32 v[10:11], v[6:7], v[12:13]
	s_nop 0
	v_add_f32_e32 v10, v14, v10
	v_add_f32_e32 v22, v10, v11
	s_branch .LBB546_17
.LBB546_26:
	s_or_b64 exec, exec, s[20:21]
.LBB546_27:
	s_or_b64 exec, exec, s[18:19]
	s_sub_i32 s0, s13, s35
	s_cmp_lt_i32 s0, 1
	s_cbranch_scc1 .LBB546_45
; %bb.28:
	v_cmp_gt_i32_e32 vcc, s13, v24
	v_mov_b32_e32 v10, 0
	v_or_b32_e32 v4, 1, v24
	v_mov_b32_e32 v11, 0
	v_mov_b32_e32 v12, 0
	;; [unrolled: 1-line block ×3, first 2 shown]
	s_and_saveexec_b64 s[2:3], vcc
	s_cbranch_execz .LBB546_36
; %bb.29:
	v_mul_lo_u32 v0, v24, s34
	v_ashrrev_i32_e32 v1, 31, v0
	v_lshl_add_u64 v[0:1], v[0:1], 1, s[16:17]
	global_load_ushort v0, v[0:1], off
	v_cmp_gt_i32_e64 s[0:1], s13, v4
	v_mov_b32_e32 v12, 0
	v_mov_b32_e32 v11, 0
	;; [unrolled: 1-line block ×3, first 2 shown]
	s_and_saveexec_b64 s[4:5], s[0:1]
	s_cbranch_execz .LBB546_35
; %bb.30:
	v_mul_lo_u32 v6, v4, s34
	v_ashrrev_i32_e32 v7, 31, v6
	v_lshl_add_u64 v[6:7], v[6:7], 1, s[16:17]
	global_load_ushort v1, v[6:7], off
	v_or_b32_e32 v5, 2, v24
	v_cmp_gt_i32_e64 s[0:1], s13, v5
	v_mov_b32_e32 v11, 0
	v_mov_b32_e32 v10, 0
	s_and_saveexec_b64 s[6:7], s[0:1]
	s_cbranch_execz .LBB546_34
; %bb.31:
	v_mul_lo_u32 v6, v5, s34
	v_ashrrev_i32_e32 v7, 31, v6
	v_lshl_add_u64 v[6:7], v[6:7], 1, s[16:17]
	global_load_ushort v5, v[6:7], off
	v_or_b32_e32 v6, 3, v24
	v_cmp_gt_i32_e64 s[0:1], s13, v6
	v_mov_b32_e32 v10, 0
	s_and_saveexec_b64 s[18:19], s[0:1]
	s_cbranch_execz .LBB546_33
; %bb.32:
	v_mul_lo_u32 v6, v6, s34
	v_ashrrev_i32_e32 v7, 31, v6
	v_lshl_add_u64 v[6:7], v[6:7], 1, s[16:17]
	global_load_ushort v6, v[6:7], off
	s_waitcnt vmcnt(0)
	v_lshlrev_b32_e32 v10, 16, v6
.LBB546_33:
	s_or_b64 exec, exec, s[18:19]
	s_waitcnt vmcnt(0)
	v_lshlrev_b32_e32 v11, 16, v5
.LBB546_34:
	s_or_b64 exec, exec, s[6:7]
	s_waitcnt vmcnt(0)
	v_lshlrev_b32_e32 v12, 16, v1
.LBB546_35:
	s_or_b64 exec, exec, s[4:5]
	s_waitcnt vmcnt(0)
	v_lshlrev_b32_e32 v13, 16, v0
.LBB546_36:
	s_or_b64 exec, exec, s[2:3]
	v_cmp_gt_i32_e64 s[0:1], s12, v23
	s_and_saveexec_b64 s[2:3], s[0:1]
	s_cbranch_execz .LBB546_44
; %bb.37:
	v_mul_lo_u32 v0, v24, s33
	v_cndmask_b32_e32 v0, 0, v0, vcc
	v_mul_lo_u32 v5, v4, s33
	v_cmp_gt_i32_e32 vcc, s13, v4
	v_or_b32_e32 v6, 2, v24
	v_add_u32_e32 v0, v0, v23
	v_cndmask_b32_e32 v4, 0, v5, vcc
	v_mul_lo_u32 v7, v6, s33
	v_cmp_gt_i32_e32 vcc, s13, v6
	v_or_b32_e32 v8, 3, v24
	v_ashrrev_i32_e32 v1, 31, v0
	v_add_u32_e32 v4, v4, v23
	v_cndmask_b32_e32 v6, 0, v7, vcc
	v_mul_lo_u32 v9, v8, s33
	v_cmp_gt_i32_e32 vcc, s13, v8
	v_lshl_add_u64 v[0:1], v[0:1], 1, s[14:15]
	v_ashrrev_i32_e32 v5, 31, v4
	v_add_u32_e32 v6, v6, v23
	v_cndmask_b32_e32 v8, 0, v9, vcc
	v_lshl_add_u64 v[4:5], v[4:5], 1, s[14:15]
	v_ashrrev_i32_e32 v7, 31, v6
	v_add_u32_e32 v8, v8, v23
	global_load_ushort v14, v[0:1], off
	global_load_ushort v15, v[4:5], off
	v_lshl_add_u64 v[6:7], v[6:7], 1, s[14:15]
	v_ashrrev_i32_e32 v9, 31, v8
	v_lshl_add_u64 v[8:9], v[8:9], 1, s[14:15]
	global_load_ushort v16, v[6:7], off
	global_load_ushort v17, v[8:9], off
	v_add_u32_e32 v24, 32, v23
	v_cmp_gt_i32_e32 vcc, s12, v24
	s_waitcnt vmcnt(3)
	v_lshlrev_b32_e32 v14, 16, v14
	s_waitcnt vmcnt(2)
	v_lshlrev_b32_e32 v15, 16, v15
	v_fmac_f32_e32 v19, v13, v14
	v_fmac_f32_e32 v19, v12, v15
	s_waitcnt vmcnt(1)
	v_lshlrev_b32_e32 v16, 16, v16
	s_waitcnt vmcnt(0)
	v_lshlrev_b32_e32 v14, 16, v17
	v_fmac_f32_e32 v19, v11, v16
	s_and_saveexec_b64 s[0:1], vcc
	s_cbranch_execz .LBB546_43
; %bb.38:
	global_load_ushort v15, v[0:1], off offset:64
	global_load_ushort v16, v[4:5], off offset:64
	;; [unrolled: 1-line block ×4, first 2 shown]
	v_add_u32_e32 v25, 64, v23
	v_cmp_gt_i32_e32 vcc, s12, v25
	s_waitcnt vmcnt(3)
	v_lshlrev_b32_e32 v26, 16, v15
	s_waitcnt vmcnt(2)
	v_lshlrev_b32_e32 v16, 16, v16
	v_fmac_f32_e32 v20, v13, v26
	s_waitcnt vmcnt(1)
	v_lshlrev_b32_e32 v17, 16, v17
	v_fmac_f32_e32 v20, v12, v16
	;; [unrolled: 3-line block ×3, first 2 shown]
	s_and_saveexec_b64 s[4:5], vcc
	s_cbranch_execz .LBB546_42
; %bb.39:
	global_load_ushort v16, v[0:1], off offset:128
	global_load_ushort v17, v[4:5], off offset:128
	;; [unrolled: 1-line block ×4, first 2 shown]
	v_add_u32_e32 v23, 0x60, v23
	v_cmp_gt_i32_e32 vcc, s12, v23
	s_waitcnt vmcnt(3)
	v_lshlrev_b32_e32 v26, 16, v16
	s_waitcnt vmcnt(2)
	v_lshlrev_b32_e32 v17, 16, v17
	v_fmac_f32_e32 v21, v13, v26
	s_waitcnt vmcnt(1)
	v_lshlrev_b32_e32 v24, 16, v24
	v_fmac_f32_e32 v21, v12, v17
	;; [unrolled: 3-line block ×3, first 2 shown]
	s_and_saveexec_b64 s[6:7], vcc
	s_cbranch_execz .LBB546_41
; %bb.40:
	global_load_ushort v17, v[0:1], off offset:192
	global_load_ushort v23, v[4:5], off offset:192
	;; [unrolled: 1-line block ×4, first 2 shown]
	s_waitcnt vmcnt(3)
	v_lshlrev_b32_e32 v0, 16, v17
	s_waitcnt vmcnt(2)
	v_lshlrev_b32_e32 v1, 16, v23
	v_fmac_f32_e32 v22, v13, v0
	s_waitcnt vmcnt(1)
	v_lshlrev_b32_e32 v4, 16, v24
	v_fmac_f32_e32 v22, v12, v1
	v_fmac_f32_e32 v22, v11, v4
	s_waitcnt vmcnt(0)
	v_lshlrev_b32_e32 v0, 16, v25
	v_fmac_f32_e32 v22, v10, v0
.LBB546_41:
	s_or_b64 exec, exec, s[6:7]
	v_fmac_f32_e32 v21, v10, v16
.LBB546_42:
	s_or_b64 exec, exec, s[4:5]
	v_fmac_f32_e32 v20, v10, v15
.LBB546_43:
	s_or_b64 exec, exec, s[0:1]
	v_fmac_f32_e32 v19, v10, v14
.LBB546_44:
	s_or_b64 exec, exec, s[2:3]
.LBB546_45:
	v_lshlrev_b32_e32 v0, 7, v18
	s_movk_i32 s0, 0x80
	v_add_lshl_u32 v0, v0, v2, 2
	v_cmp_gt_u32_e32 vcc, s0, v3
	ds_write2_b32 v0, v19, v20 offset1:32
	ds_write2_b32 v0, v21, v22 offset0:64 offset1:96
	s_waitcnt lgkmcnt(0)
	s_barrier
	s_waitcnt lgkmcnt(0)
                                        ; implicit-def: $vgpr5
                                        ; implicit-def: $vgpr0_vgpr1
	s_and_saveexec_b64 s[0:1], vcc
	s_cbranch_execz .LBB546_66
; %bb.46:
	v_lshlrev_b32_e32 v12, 2, v3
	ds_read2st64_b32 v[0:1], v12 offset1:2
	ds_read2st64_b32 v[4:5], v12 offset0:4 offset1:6
	ds_read2st64_b32 v[6:7], v12 offset0:8 offset1:10
	;; [unrolled: 1-line block ×4, first 2 shown]
	s_waitcnt lgkmcnt(4)
	v_add_f32_e32 v0, v0, v1
	s_waitcnt lgkmcnt(3)
	v_add_f32_e32 v0, v4, v0
	v_add_f32_e32 v0, v5, v0
	s_waitcnt lgkmcnt(2)
	v_add_f32_e32 v0, v6, v0
	;; [unrolled: 3-line block ×3, first 2 shown]
	v_add_f32_e32 v2, v9, v0
	ds_read2st64_b32 v[0:1], v12 offset0:20 offset1:22
	ds_read2st64_b32 v[4:5], v12 offset0:24 offset1:26
	s_waitcnt lgkmcnt(2)
	v_add_f32_e32 v2, v10, v2
	v_add_f32_e32 v2, v11, v2
	ds_read2st64_b32 v[6:7], v12 offset0:28 offset1:30
	s_waitcnt lgkmcnt(2)
	v_add_f32_e32 v0, v0, v2
	v_add_f32_e32 v0, v1, v0
	s_waitcnt lgkmcnt(1)
	v_add_f32_e32 v0, v4, v0
	v_add_f32_e32 v0, v5, v0
	s_waitcnt lgkmcnt(0)
	v_add_f32_e32 v0, v6, v0
	v_or_b32_e32 v4, s31, v3
	v_add_f32_e32 v2, v7, v0
	v_cmp_gt_i32_e32 vcc, s12, v4
	s_mov_b64 s[4:5], s[10:11]
	ds_write_b32 v12, v2
                                        ; implicit-def: $vgpr5
                                        ; implicit-def: $vgpr0_vgpr1
	s_and_saveexec_b64 s[2:3], vcc
	s_cbranch_execz .LBB546_65
; %bb.47:
	v_cmp_eq_f32_e64 s[4:5], s28, 0
	v_mul_f32_e32 v2, s30, v2
	s_and_b64 vcc, exec, s[4:5]
	s_cbranch_vccz .LBB546_53
; %bb.48:
	s_mov_b32 s4, 0x7f800000
	v_and_b32_e32 v0, 0x7f800000, v2
	v_cmp_ne_u32_e32 vcc, s4, v0
                                        ; implicit-def: $vgpr3
	s_and_saveexec_b64 s[4:5], vcc
	s_xor_b64 s[4:5], exec, s[4:5]
; %bb.49:
	v_bfe_u32 v0, v2, 16, 1
	s_movk_i32 s6, 0x7fff
	v_add3_u32 v3, v2, v0, s6
; %bb.50:
	s_andn2_saveexec_b64 s[4:5], s[4:5]
; %bb.51:
	v_mov_b32_e32 v0, 0
	v_or_b32_e32 v1, 0x10000, v2
	v_cmp_eq_u32_sdwa vcc, v2, v0 src0_sel:WORD_0 src1_sel:DWORD
	s_nop 1
	v_cndmask_b32_e32 v3, v1, v2, vcc
; %bb.52:
	s_or_b64 exec, exec, s[4:5]
	s_mov_b64 s[4:5], 0
	s_branch .LBB546_54
.LBB546_53:
	s_mov_b64 s[4:5], -1
                                        ; implicit-def: $vgpr3
.LBB546_54:
	v_mul_lo_u32 v0, v4, s29
	s_andn2_b64 vcc, exec, s[4:5]
	v_ashrrev_i32_e32 v1, 31, v0
	s_cbranch_vccnz .LBB546_64
; %bb.55:
	v_lshl_add_u64 v[4:5], v[0:1], 1, s[8:9]
	global_load_ushort v3, v[4:5], off
	s_mov_b32 s4, 0x7f800000
	s_waitcnt vmcnt(0)
	v_lshlrev_b32_e32 v3, 16, v3
	v_mul_f32_e32 v3, s28, v3
	v_and_b32_e32 v4, 0x7f800000, v3
	v_cmp_ne_u32_e32 vcc, s4, v4
                                        ; implicit-def: $vgpr4
	s_and_saveexec_b64 s[4:5], vcc
	s_xor_b64 s[4:5], exec, s[4:5]
; %bb.56:
	v_bfe_u32 v4, v3, 16, 1
	s_movk_i32 s6, 0x7fff
	v_add3_u32 v4, v3, v4, s6
                                        ; implicit-def: $vgpr3
; %bb.57:
	s_andn2_saveexec_b64 s[4:5], s[4:5]
; %bb.58:
	v_mov_b32_e32 v4, 0
	v_or_b32_e32 v5, 0x10000, v3
	v_cmp_eq_u32_sdwa vcc, v3, v4 src0_sel:WORD_0 src1_sel:DWORD
	s_nop 1
	v_cndmask_b32_e32 v4, v5, v3, vcc
; %bb.59:
	s_or_b64 exec, exec, s[4:5]
	v_and_b32_e32 v3, 0xffff0000, v4
	v_add_f32_e32 v2, v2, v3
	s_mov_b32 s4, 0x7f800000
	v_and_b32_e32 v3, 0x7f800000, v2
	v_cmp_ne_u32_e32 vcc, s4, v3
                                        ; implicit-def: $vgpr3
	s_and_saveexec_b64 s[4:5], vcc
	s_xor_b64 s[4:5], exec, s[4:5]
; %bb.60:
	v_bfe_u32 v3, v2, 16, 1
	s_movk_i32 s6, 0x7fff
	v_add3_u32 v3, v2, v3, s6
                                        ; implicit-def: $vgpr2
; %bb.61:
	s_andn2_saveexec_b64 s[4:5], s[4:5]
; %bb.62:
	v_mov_b32_e32 v3, 0
	v_or_b32_e32 v4, 0x10000, v2
	v_cmp_eq_u32_sdwa vcc, v2, v3 src0_sel:WORD_0 src1_sel:DWORD
	s_nop 1
	v_cndmask_b32_e32 v3, v4, v2, vcc
; %bb.63:
	s_or_b64 exec, exec, s[4:5]
.LBB546_64:
	v_lshrrev_b32_e32 v5, 16, v3
	s_or_b64 s[4:5], s[10:11], exec
.LBB546_65:
	s_or_b64 exec, exec, s[2:3]
	s_andn2_b64 s[2:3], s[10:11], exec
	s_and_b64 s[4:5], s[4:5], exec
	s_or_b64 s[10:11], s[2:3], s[4:5]
.LBB546_66:
	s_or_b64 exec, exec, s[0:1]
.LBB546_67:
	s_and_saveexec_b64 s[0:1], s[10:11]
	s_cbranch_execz .LBB546_69
; %bb.68:
	v_lshl_add_u64 v[0:1], v[0:1], 1, s[8:9]
	global_store_short v[0:1], v5, off
.LBB546_69:
	s_endpgm
	.section	.rodata,"a",@progbits
	.p2align	6, 0x0
	.amdhsa_kernel _ZL20rocblas_gemvn_kernelILi32ELi16Ei16rocblas_bfloat16PKfS0_EviiT3_lPKT2_lT1_lS6_lS7_lS3_lPT4_lS7_li
		.amdhsa_group_segment_fixed_size 8192
		.amdhsa_private_segment_fixed_size 0
		.amdhsa_kernarg_size 400
		.amdhsa_user_sgpr_count 2
		.amdhsa_user_sgpr_dispatch_ptr 0
		.amdhsa_user_sgpr_queue_ptr 0
		.amdhsa_user_sgpr_kernarg_segment_ptr 1
		.amdhsa_user_sgpr_dispatch_id 0
		.amdhsa_user_sgpr_kernarg_preload_length 0
		.amdhsa_user_sgpr_kernarg_preload_offset 0
		.amdhsa_user_sgpr_private_segment_size 0
		.amdhsa_uses_dynamic_stack 0
		.amdhsa_enable_private_segment 0
		.amdhsa_system_sgpr_workgroup_id_x 1
		.amdhsa_system_sgpr_workgroup_id_y 0
		.amdhsa_system_sgpr_workgroup_id_z 1
		.amdhsa_system_sgpr_workgroup_info 0
		.amdhsa_system_vgpr_workitem_id 1
		.amdhsa_next_free_vgpr 45
		.amdhsa_next_free_sgpr 39
		.amdhsa_accum_offset 48
		.amdhsa_reserve_vcc 1
		.amdhsa_float_round_mode_32 0
		.amdhsa_float_round_mode_16_64 0
		.amdhsa_float_denorm_mode_32 3
		.amdhsa_float_denorm_mode_16_64 3
		.amdhsa_dx10_clamp 1
		.amdhsa_ieee_mode 1
		.amdhsa_fp16_overflow 0
		.amdhsa_tg_split 0
		.amdhsa_exception_fp_ieee_invalid_op 0
		.amdhsa_exception_fp_denorm_src 0
		.amdhsa_exception_fp_ieee_div_zero 0
		.amdhsa_exception_fp_ieee_overflow 0
		.amdhsa_exception_fp_ieee_underflow 0
		.amdhsa_exception_fp_ieee_inexact 0
		.amdhsa_exception_int_div_zero 0
	.end_amdhsa_kernel
	.section	.text._ZL20rocblas_gemvn_kernelILi32ELi16Ei16rocblas_bfloat16PKfS0_EviiT3_lPKT2_lT1_lS6_lS7_lS3_lPT4_lS7_li,"axG",@progbits,_ZL20rocblas_gemvn_kernelILi32ELi16Ei16rocblas_bfloat16PKfS0_EviiT3_lPKT2_lT1_lS6_lS7_lS3_lPT4_lS7_li,comdat
.Lfunc_end546:
	.size	_ZL20rocblas_gemvn_kernelILi32ELi16Ei16rocblas_bfloat16PKfS0_EviiT3_lPKT2_lT1_lS6_lS7_lS3_lPT4_lS7_li, .Lfunc_end546-_ZL20rocblas_gemvn_kernelILi32ELi16Ei16rocblas_bfloat16PKfS0_EviiT3_lPKT2_lT1_lS6_lS7_lS3_lPT4_lS7_li
                                        ; -- End function
	.section	.AMDGPU.csdata,"",@progbits
; Kernel info:
; codeLenInByte = 3008
; NumSgprs: 45
; NumVgprs: 45
; NumAgprs: 0
; TotalNumVgprs: 45
; ScratchSize: 0
; MemoryBound: 0
; FloatMode: 240
; IeeeMode: 1
; LDSByteSize: 8192 bytes/workgroup (compile time only)
; SGPRBlocks: 5
; VGPRBlocks: 5
; NumSGPRsForWavesPerEU: 45
; NumVGPRsForWavesPerEU: 45
; AccumOffset: 48
; Occupancy: 8
; WaveLimiterHint : 1
; COMPUTE_PGM_RSRC2:SCRATCH_EN: 0
; COMPUTE_PGM_RSRC2:USER_SGPR: 2
; COMPUTE_PGM_RSRC2:TRAP_HANDLER: 0
; COMPUTE_PGM_RSRC2:TGID_X_EN: 1
; COMPUTE_PGM_RSRC2:TGID_Y_EN: 0
; COMPUTE_PGM_RSRC2:TGID_Z_EN: 1
; COMPUTE_PGM_RSRC2:TIDIG_COMP_CNT: 1
; COMPUTE_PGM_RSRC3_GFX90A:ACCUM_OFFSET: 11
; COMPUTE_PGM_RSRC3_GFX90A:TG_SPLIT: 0
	.section	.text._ZL20rocblas_gemvn_kernelILi32ELi16El16rocblas_bfloat16PKfS0_EviiT3_lPKT2_lT1_lS6_lS7_lS3_lPT4_lS7_li,"axG",@progbits,_ZL20rocblas_gemvn_kernelILi32ELi16El16rocblas_bfloat16PKfS0_EviiT3_lPKT2_lT1_lS6_lS7_lS3_lPT4_lS7_li,comdat
	.globl	_ZL20rocblas_gemvn_kernelILi32ELi16El16rocblas_bfloat16PKfS0_EviiT3_lPKT2_lT1_lS6_lS7_lS3_lPT4_lS7_li ; -- Begin function _ZL20rocblas_gemvn_kernelILi32ELi16El16rocblas_bfloat16PKfS0_EviiT3_lPKT2_lT1_lS6_lS7_lS3_lPT4_lS7_li
	.p2align	8
	.type	_ZL20rocblas_gemvn_kernelILi32ELi16El16rocblas_bfloat16PKfS0_EviiT3_lPKT2_lT1_lS6_lS7_lS3_lPT4_lS7_li,@function
_ZL20rocblas_gemvn_kernelILi32ELi16El16rocblas_bfloat16PKfS0_EviiT3_lPKT2_lT1_lS6_lS7_lS3_lPT4_lS7_li: ; @_ZL20rocblas_gemvn_kernelILi32ELi16El16rocblas_bfloat16PKfS0_EviiT3_lPKT2_lT1_lS6_lS7_lS3_lPT4_lS7_li
; %bb.0:
	s_load_dwordx2 s[4:5], s[0:1], 0x9c
	s_waitcnt lgkmcnt(0)
	s_lshr_b32 s6, s4, 16
	s_and_b32 s4, s4, 0xffff
	s_and_b32 s5, s5, 0xffff
	s_mul_i32 s4, s6, s4
	s_mul_i32 s4, s4, s5
	s_cmpk_lg_i32 s4, 0x200
	s_cbranch_scc1 .LBB547_69
; %bb.1:
	s_load_dwordx16 s[36:51], s[0:1], 0x8
	s_load_dwordx16 s[8:23], s[0:1], 0x48
	s_waitcnt lgkmcnt(0)
	s_mul_i32 s5, s3, s39
	s_mul_hi_u32 s6, s3, s38
	s_mul_i32 s4, s3, s38
	s_add_i32 s5, s6, s5
	s_lshl_b64 s[4:5], s[4:5], 2
	s_add_u32 s4, s36, s4
	s_addc_u32 s5, s37, s5
	s_mul_i32 s7, s3, s15
	s_load_dword s52, s[4:5], 0x0
	s_mul_hi_u32 s4, s3, s14
	s_add_i32 s5, s4, s7
	s_mul_i32 s4, s3, s14
	s_lshl_b64 s[4:5], s[4:5], 2
	s_add_u32 s4, s12, s4
	s_addc_u32 s5, s13, s5
	s_load_dword s33, s[4:5], 0x0
	s_waitcnt lgkmcnt(0)
	v_cmp_eq_f32_e64 s[4:5], s52, 0
	v_cmp_eq_f32_e64 s[6:7], s33, 1.0
	s_and_b64 s[4:5], s[4:5], s[6:7]
	s_and_b64 vcc, exec, s[4:5]
	s_cbranch_vccnz .LBB547_69
; %bb.2:
	s_load_dwordx2 s[24:25], s[0:1], 0x0
	s_mul_i32 s0, s3, s23
	s_mul_hi_u32 s1, s3, s22
	s_add_i32 s1, s1, s0
	s_mul_i32 s0, s3, s22
	s_lshl_b64 s[0:1], s[0:1], 1
	s_add_u32 s4, s16, s0
	s_addc_u32 s5, s17, s1
	s_lshl_b64 s[0:1], s[18:19], 1
	s_add_u32 s12, s4, s0
	s_addc_u32 s13, s5, s1
	v_and_b32_e32 v33, 0x3ff, v0
	v_bfe_u32 v34, v0, 10, 10
	v_cmp_neq_f32_e64 s[0:1], s52, 0
	v_lshl_add_u32 v32, v34, 5, v33
	s_and_b64 vcc, exec, s[0:1]
	s_cbranch_vccnz .LBB547_13
; %bb.3:
	s_movk_i32 s0, 0x80
	v_cmp_gt_u32_e32 vcc, s0, v32
	s_mov_b64 s[0:1], 0
	s_mov_b64 s[14:15], 0
                                        ; implicit-def: $vgpr3
                                        ; implicit-def: $vgpr0_vgpr1
	s_and_saveexec_b64 s[4:5], vcc
	s_cbranch_execz .LBB547_14
; %bb.4:
	v_lshl_or_b32 v2, s2, 7, v32
	v_mov_b32_e32 v3, 0
	s_waitcnt lgkmcnt(0)
	s_ashr_i32 s7, s24, 31
	s_mov_b32 s6, s24
	v_cmp_gt_i64_e32 vcc, s[6:7], v[2:3]
                                        ; implicit-def: $vgpr0_vgpr1
	s_and_saveexec_b64 s[6:7], vcc
	s_cbranch_execz .LBB547_12
; %bb.5:
	v_mad_u64_u32 v[0:1], s[16:17], v2, s20, 0
	v_mov_b32_e32 v4, v1
	v_cmp_eq_f32_e64 s[14:15], s33, 0
	v_mad_u64_u32 v[4:5], s[16:17], v2, s21, v[4:5]
	v_mov_b32_e32 v1, v4
	s_and_b64 vcc, exec, s[14:15]
	s_cbranch_vccnz .LBB547_11
; %bb.6:
	v_lshl_add_u64 v[2:3], v[0:1], 1, s[12:13]
	global_load_ushort v2, v[2:3], off
	s_mov_b32 s14, 0x7f800000
	s_waitcnt vmcnt(0)
	v_lshlrev_b32_e32 v2, 16, v2
	v_mul_f32_e32 v2, s33, v2
	v_and_b32_e32 v3, 0x7f800000, v2
	v_cmp_ne_u32_e32 vcc, s14, v3
                                        ; implicit-def: $vgpr3
	s_and_saveexec_b64 s[14:15], vcc
	s_xor_b64 s[14:15], exec, s[14:15]
; %bb.7:
	v_bfe_u32 v3, v2, 16, 1
	s_movk_i32 s16, 0x7fff
	v_add3_u32 v3, v2, v3, s16
                                        ; implicit-def: $vgpr2
; %bb.8:
	s_andn2_saveexec_b64 s[14:15], s[14:15]
; %bb.9:
	v_mov_b32_e32 v3, 0
	v_or_b32_e32 v4, 0x10000, v2
	v_cmp_eq_u32_sdwa vcc, v2, v3 src0_sel:WORD_0 src1_sel:DWORD
	s_nop 1
	v_cndmask_b32_e32 v3, v4, v2, vcc
; %bb.10:
	s_or_b64 exec, exec, s[14:15]
	v_lshrrev_b32_e32 v3, 16, v3
.LBB547_11:
	s_mov_b64 s[14:15], exec
.LBB547_12:
	s_or_b64 exec, exec, s[6:7]
	s_and_b64 s[14:15], s[14:15], exec
	s_or_b64 exec, exec, s[4:5]
	s_and_b64 vcc, exec, s[0:1]
	s_cbranch_vccnz .LBB547_15
	s_branch .LBB547_67
.LBB547_13:
	s_mov_b64 s[14:15], 0
                                        ; implicit-def: $vgpr3
                                        ; implicit-def: $vgpr0_vgpr1
	s_cbranch_execnz .LBB547_15
	s_branch .LBB547_67
.LBB547_14:
	s_or_b64 exec, exec, s[4:5]
	s_and_b64 vcc, exec, s[0:1]
	s_cbranch_vccz .LBB547_67
.LBB547_15:
	s_mul_i32 s0, s3, s47
	s_mul_hi_u32 s1, s3, s46
	s_add_i32 s17, s1, s0
	s_mul_i32 s0, s3, s11
	s_mul_hi_u32 s1, s3, s10
	s_add_i32 s11, s1, s0
	s_waitcnt lgkmcnt(0)
	s_ashr_i32 s0, s25, 31
	s_lshr_b32 s0, s0, 26
	s_add_i32 s47, s25, s0
	s_mul_i32 s16, s3, s46
	s_lshl_b32 s46, s2, 7
	s_andn2_b32 s47, s47, 63
	v_lshlrev_b32_e32 v39, 2, v34
	s_mul_i32 s10, s3, s10
	v_add_u32_e32 v0, s46, v33
	v_cmp_gt_i32_e32 vcc, s47, v39
	v_mov_b32_e32 v35, 0
	v_mov_b32_e32 v36, 0
	;; [unrolled: 1-line block ×4, first 2 shown]
	s_and_saveexec_b64 s[18:19], vcc
	s_cbranch_execz .LBB547_27
; %bb.16:
	v_add_u32_e32 v2, 32, v0
	v_cmp_gt_i32_e64 s[0:1], s24, v2
	v_add_u32_e32 v2, 64, v0
	v_cmp_gt_i32_e64 s[2:3], s24, v2
	;; [unrolled: 2-line block ×3, first 2 shown]
	v_mad_u64_u32 v[2:3], s[6:7], s8, v34, 0
	v_mov_b32_e32 v4, v3
	v_ashrrev_i32_e32 v1, 31, v0
	v_mad_u64_u32 v[4:5], s[6:7], s9, v34, v[4:5]
	v_mov_b32_e32 v3, v4
	v_lshlrev_b64 v[4:5], 1, v[0:1]
	v_lshlrev_b32_e32 v1, 2, v34
	v_or_b32_e32 v11, 3, v1
	v_mad_u64_u32 v[6:7], s[28:29], s44, v11, 0
	v_mov_b32_e32 v8, v7
	v_mad_u64_u32 v[8:9], s[28:29], s45, v11, v[8:9]
	v_mov_b32_e32 v7, v8
	;; [unrolled: 2-line block ×5, first 2 shown]
	v_mad_u64_u32 v[12:13], s[34:35], s45, v34, v[12:13]
	v_or_b32_e32 v17, 2, v1
	v_mov_b32_e32 v11, v12
	v_mad_u64_u32 v[12:13], s[34:35], s44, v17, 0
	v_mov_b32_e32 v14, v13
	v_mad_u64_u32 v[14:15], s[34:35], s45, v17, v[14:15]
	;; [unrolled: 2-line block ×4, first 2 shown]
	v_mov_b32_e32 v15, v16
	v_mov_b64_e32 v[16:17], s[8:9]
	v_mad_u64_u32 v[16:17], s[34:35], s8, v1, v[16:17]
	s_lshl_b64 s[22:23], s[50:51], 1
	s_lshl_b64 s[6:7], s[10:11], 1
	v_mov_b32_e32 v18, v17
	s_add_u32 s6, s48, s6
	v_mad_u64_u32 v[18:19], s[34:35], s9, v1, v[18:19]
	s_addc_u32 s7, s49, s7
	s_lshl_b64 s[26:27], s[8:9], 7
	s_lshl_b64 s[28:29], s[16:17], 1
	s_lshl_b64 s[30:31], s[42:43], 1
	v_mov_b32_e32 v17, v18
	v_mov_b64_e32 v[18:19], s[44:45]
	v_lshl_add_u64 v[2:3], v[2:3], 3, s[6:7]
	s_add_u32 s30, s40, s30
	v_lshl_add_u64 v[8:9], v[8:9], 1, s[6:7]
	v_lshl_add_u64 v[14:15], v[14:15], 1, s[6:7]
	v_lshl_add_u64 v[16:17], v[16:17], 1, s[6:7]
	v_mad_u64_u32 v[18:19], s[6:7], s44, v1, v[18:19]
	s_addc_u32 s31, s41, s31
	v_mov_b32_e32 v20, v19
	s_add_u32 s30, s30, s28
	v_mad_u64_u32 v[20:21], s[6:7], s45, v1, v[20:21]
	s_addc_u32 s31, s31, s29
	v_mov_b32_e32 v19, v20
	v_cmp_gt_i32_e32 vcc, s24, v0
	v_lshl_add_u64 v[6:7], v[6:7], 1, s[30:31]
	s_lshl_b64 s[28:29], s[44:45], 7
	v_lshl_add_u64 v[10:11], v[10:11], 3, s[30:31]
	v_lshl_add_u64 v[12:13], v[12:13], 1, s[30:31]
	v_lshl_add_u64 v[18:19], v[18:19], 1, s[30:31]
	s_mov_b64 s[30:31], 0
	v_mov_b32_e32 v35, 0
	v_mov_b32_e32 v36, 0
	;; [unrolled: 1-line block ×4, first 2 shown]
	s_branch .LBB547_21
.LBB547_17:                             ;   in Loop: Header=BB547_21 Depth=1
	s_or_b64 exec, exec, s[38:39]
	s_waitcnt vmcnt(3)
	v_lshlrev_b32_e32 v24, 16, v50
	v_fmac_f32_e32 v37, v22, v24
	s_waitcnt vmcnt(2)
	v_lshlrev_b32_e32 v24, 16, v49
	v_fmac_f32_e32 v37, v23, v24
	;; [unrolled: 3-line block ×4, first 2 shown]
.LBB547_18:                             ;   in Loop: Header=BB547_21 Depth=1
	s_or_b64 exec, exec, s[36:37]
	s_waitcnt vmcnt(3)
	v_lshlrev_b32_e32 v24, 16, v46
	v_fmac_f32_e32 v36, v22, v24
	s_waitcnt vmcnt(2)
	v_lshlrev_b32_e32 v24, 16, v45
	v_fmac_f32_e32 v36, v23, v24
	s_waitcnt vmcnt(1)
	v_lshlrev_b32_e32 v24, 16, v44
	v_fmac_f32_e32 v36, v20, v24
	s_waitcnt vmcnt(0)
	v_lshlrev_b32_e32 v24, 16, v43
	v_fmac_f32_e32 v36, v21, v24
.LBB547_19:                             ;   in Loop: Header=BB547_21 Depth=1
	s_or_b64 exec, exec, s[34:35]
	s_waitcnt vmcnt(3)
	v_lshlrev_b32_e32 v24, 16, v42
	v_fmac_f32_e32 v35, v22, v24
	s_waitcnt vmcnt(2)
	v_lshlrev_b32_e32 v22, 16, v41
	v_fmac_f32_e32 v35, v23, v22
	;; [unrolled: 3-line block ×4, first 2 shown]
.LBB547_20:                             ;   in Loop: Header=BB547_21 Depth=1
	s_or_b64 exec, exec, s[6:7]
	v_add_u32_e32 v39, 64, v39
	v_cmp_le_i32_e64 s[6:7], s47, v39
	v_lshl_add_u64 v[2:3], v[2:3], 0, s[26:27]
	v_lshl_add_u64 v[6:7], v[6:7], 0, s[28:29]
	;; [unrolled: 1-line block ×7, first 2 shown]
	s_or_b64 s[30:31], s[6:7], s[30:31]
	v_lshl_add_u64 v[18:19], v[18:19], 0, s[28:29]
	s_andn2_b64 exec, exec, s[30:31]
	s_cbranch_execz .LBB547_26
.LBB547_21:                             ; =>This Inner Loop Header: Depth=1
	s_and_saveexec_b64 s[6:7], vcc
	s_cbranch_execz .LBB547_20
; %bb.22:                               ;   in Loop: Header=BB547_21 Depth=1
	v_lshl_add_u64 v[20:21], v[2:3], 0, s[22:23]
	v_lshl_add_u64 v[22:23], v[16:17], 0, s[22:23]
	global_load_ushort v43, v[20:21], off
	global_load_ushort v44, v[22:23], off
	v_lshl_add_u64 v[20:21], v[14:15], 0, s[22:23]
	v_lshl_add_u64 v[22:23], v[8:9], 0, s[22:23]
	global_load_ushort v45, v[20:21], off
	global_load_ushort v46, v[22:23], off
	v_lshl_add_u64 v[28:29], v[10:11], 0, v[4:5]
	v_lshl_add_u64 v[30:31], v[18:19], 0, v[4:5]
	;; [unrolled: 1-line block ×4, first 2 shown]
	global_load_ushort v42, v[28:29], off
	global_load_ushort v41, v[30:31], off
	;; [unrolled: 1-line block ×4, first 2 shown]
	s_waitcnt vmcnt(7)
	v_lshlrev_b32_e32 v22, 16, v43
	s_waitcnt vmcnt(6)
	v_lshlrev_b32_e32 v23, 16, v44
	;; [unrolled: 2-line block ×4, first 2 shown]
	s_and_saveexec_b64 s[34:35], s[0:1]
	s_cbranch_execz .LBB547_19
; %bb.23:                               ;   in Loop: Header=BB547_21 Depth=1
	global_load_ushort v46, v[28:29], off offset:64
	global_load_ushort v45, v[30:31], off offset:64
	;; [unrolled: 1-line block ×4, first 2 shown]
	s_and_saveexec_b64 s[36:37], s[2:3]
	s_cbranch_execz .LBB547_18
; %bb.24:                               ;   in Loop: Header=BB547_21 Depth=1
	global_load_ushort v50, v[28:29], off offset:128
	global_load_ushort v49, v[30:31], off offset:128
	;; [unrolled: 1-line block ×4, first 2 shown]
	s_and_saveexec_b64 s[38:39], s[4:5]
	s_cbranch_execz .LBB547_17
; %bb.25:                               ;   in Loop: Header=BB547_21 Depth=1
	global_load_ushort v30, v[30:31], off offset:192
	s_nop 0
	global_load_ushort v28, v[28:29], off offset:192
	s_nop 0
	;; [unrolled: 2-line block ×3, first 2 shown]
	global_load_ushort v29, v[24:25], off offset:192
	s_waitcnt vmcnt(3)
	v_lshlrev_b32_e32 v25, 16, v30
	s_waitcnt vmcnt(2)
	v_lshlrev_b32_e32 v24, 16, v28
	v_pk_mul_f32 v[24:25], v[22:23], v[24:25]
	s_waitcnt vmcnt(1)
	v_lshlrev_b32_e32 v27, 16, v26
	s_waitcnt vmcnt(0)
	v_lshlrev_b32_e32 v26, 16, v29
	v_add_f32_e32 v24, v38, v24
	v_add_f32_e32 v28, v24, v25
	v_pk_mul_f32 v[24:25], v[20:21], v[26:27]
	s_nop 0
	v_add_f32_e32 v24, v28, v24
	v_add_f32_e32 v38, v24, v25
	s_branch .LBB547_17
.LBB547_26:
	s_or_b64 exec, exec, s[30:31]
.LBB547_27:
	s_or_b64 exec, exec, s[18:19]
	s_sub_i32 s0, s25, s47
	s_cmp_lt_i32 s0, 1
	s_cbranch_scc1 .LBB547_45
; %bb.28:
	v_cmp_gt_i32_e32 vcc, s25, v39
	v_mov_b32_e32 v10, 0
	v_or_b32_e32 v4, 1, v39
	v_mov_b32_e32 v11, 0
	v_mov_b32_e32 v12, 0
	v_mov_b32_e32 v13, 0
	s_and_saveexec_b64 s[2:3], vcc
	s_cbranch_execz .LBB547_36
; %bb.29:
	s_lshl_b64 s[0:1], s[10:11], 1
	s_add_u32 s4, s48, s0
	s_addc_u32 s5, s49, s1
	s_lshl_b64 s[0:1], s[50:51], 1
	s_add_u32 s6, s4, s0
	s_addc_u32 s7, s5, s1
	v_mad_u64_u32 v[2:3], s[0:1], v39, s8, 0
	v_mov_b32_e32 v6, v3
	v_mad_u64_u32 v[6:7], s[0:1], v39, s9, v[6:7]
	v_mov_b32_e32 v3, v6
	v_lshl_add_u64 v[2:3], v[2:3], 1, s[6:7]
	global_load_ushort v1, v[2:3], off
	v_cmp_gt_i32_e64 s[0:1], s25, v4
	v_mov_b32_e32 v12, 0
	v_mov_b32_e32 v11, 0
	;; [unrolled: 1-line block ×3, first 2 shown]
	s_and_saveexec_b64 s[4:5], s[0:1]
	s_cbranch_execz .LBB547_35
; %bb.30:
	v_mad_u64_u32 v[2:3], s[0:1], v4, s8, 0
	v_mov_b32_e32 v6, v3
	v_mad_u64_u32 v[6:7], s[0:1], v4, s9, v[6:7]
	v_mov_b32_e32 v3, v6
	v_lshl_add_u64 v[2:3], v[2:3], 1, s[6:7]
	global_load_ushort v2, v[2:3], off
	v_or_b32_e32 v3, 2, v39
	v_cmp_gt_i32_e64 s[0:1], s25, v3
	v_mov_b32_e32 v11, 0
	v_mov_b32_e32 v10, 0
	s_and_saveexec_b64 s[10:11], s[0:1]
	s_cbranch_execz .LBB547_34
; %bb.31:
	v_mad_u64_u32 v[6:7], s[0:1], v3, s8, 0
	v_mov_b32_e32 v8, v7
	v_mad_u64_u32 v[8:9], s[0:1], v3, s9, v[8:9]
	v_mov_b32_e32 v7, v8
	v_lshl_add_u64 v[6:7], v[6:7], 1, s[6:7]
	global_load_ushort v3, v[6:7], off
	v_or_b32_e32 v5, 3, v39
	v_cmp_gt_i32_e64 s[0:1], s25, v5
	v_mov_b32_e32 v10, 0
	s_and_saveexec_b64 s[18:19], s[0:1]
	s_cbranch_execz .LBB547_33
; %bb.32:
	v_mad_u64_u32 v[6:7], s[0:1], v5, s8, 0
	v_mov_b32_e32 v8, v7
	v_mad_u64_u32 v[8:9], s[0:1], v5, s9, v[8:9]
	v_mov_b32_e32 v7, v8
	v_lshl_add_u64 v[6:7], v[6:7], 1, s[6:7]
	global_load_ushort v5, v[6:7], off
	s_waitcnt vmcnt(0)
	v_lshlrev_b32_e32 v10, 16, v5
.LBB547_33:
	s_or_b64 exec, exec, s[18:19]
	s_waitcnt vmcnt(0)
	v_lshlrev_b32_e32 v11, 16, v3
.LBB547_34:
	s_or_b64 exec, exec, s[10:11]
	s_waitcnt vmcnt(0)
	v_lshlrev_b32_e32 v12, 16, v2
.LBB547_35:
	s_or_b64 exec, exec, s[4:5]
	s_waitcnt vmcnt(0)
	v_lshlrev_b32_e32 v13, 16, v1
.LBB547_36:
	s_or_b64 exec, exec, s[2:3]
	v_cmp_gt_i32_e64 s[0:1], s24, v0
	s_and_saveexec_b64 s[2:3], s[0:1]
	s_cbranch_execz .LBB547_44
; %bb.37:
	s_lshl_b64 s[0:1], s[16:17], 1
	s_add_u32 s4, s40, s0
	s_addc_u32 s5, s41, s1
	s_lshl_b64 s[0:1], s[42:43], 1
	s_add_u32 s0, s4, s0
	s_addc_u32 s1, s5, s1
	v_mad_u64_u32 v[2:3], s[4:5], v39, s44, 0
	v_mov_b32_e32 v6, v3
	v_mad_u64_u32 v[6:7], s[4:5], v39, s45, v[6:7]
	v_ashrrev_i32_e32 v1, 31, v0
	v_cndmask_b32_e32 v3, 0, v6, vcc
	v_mad_u64_u32 v[6:7], s[4:5], v4, s44, 0
	v_cndmask_b32_e32 v2, 0, v2, vcc
	v_lshlrev_b64 v[8:9], 1, v[0:1]
	v_mov_b32_e32 v14, v7
	v_cmp_gt_i32_e32 vcc, s25, v4
	v_or_b32_e32 v1, 2, v39
	v_mad_u64_u32 v[14:15], s[4:5], v4, s45, v[14:15]
	v_cndmask_b32_e32 v4, 0, v6, vcc
	v_mad_u64_u32 v[6:7], s[4:5], v1, s44, 0
	v_cndmask_b32_e32 v5, 0, v14, vcc
	v_mov_b32_e32 v14, v7
	v_mad_u64_u32 v[14:15], s[4:5], v1, s45, v[14:15]
	v_cmp_gt_i32_e32 vcc, s25, v1
	v_or_b32_e32 v1, 3, v39
	v_lshl_add_u64 v[2:3], v[2:3], 1, s[0:1]
	v_cndmask_b32_e32 v7, 0, v14, vcc
	v_mad_u64_u32 v[14:15], s[4:5], v1, s44, 0
	v_mov_b32_e32 v16, v15
	v_cndmask_b32_e32 v6, 0, v6, vcc
	v_mad_u64_u32 v[16:17], s[4:5], v1, s45, v[16:17]
	v_cmp_gt_i32_e32 vcc, s25, v1
	v_lshl_add_u64 v[2:3], v[2:3], 0, v[8:9]
	v_lshl_add_u64 v[4:5], v[4:5], 1, s[0:1]
	v_cndmask_b32_e32 v14, 0, v14, vcc
	v_cndmask_b32_e32 v15, 0, v16, vcc
	v_lshl_add_u64 v[6:7], v[6:7], 1, s[0:1]
	v_lshl_add_u64 v[14:15], v[14:15], 1, s[0:1]
	;; [unrolled: 1-line block ×5, first 2 shown]
	global_load_ushort v1, v[2:3], off
	global_load_ushort v14, v[4:5], off
	;; [unrolled: 1-line block ×4, first 2 shown]
	v_add_u32_e32 v17, 32, v0
	v_cmp_gt_i32_e32 vcc, s24, v17
	s_waitcnt vmcnt(3)
	v_lshlrev_b32_e32 v18, 16, v1
	s_waitcnt vmcnt(2)
	v_lshlrev_b32_e32 v14, 16, v14
	v_fmac_f32_e32 v35, v13, v18
	s_waitcnt vmcnt(1)
	v_lshlrev_b32_e32 v15, 16, v15
	v_fmac_f32_e32 v35, v12, v14
	s_waitcnt vmcnt(0)
	v_lshlrev_b32_e32 v1, 16, v16
	v_fmac_f32_e32 v35, v11, v15
	s_and_saveexec_b64 s[0:1], vcc
	s_cbranch_execz .LBB547_43
; %bb.38:
	global_load_ushort v14, v[2:3], off offset:64
	global_load_ushort v15, v[4:5], off offset:64
	global_load_ushort v16, v[6:7], off offset:64
	global_load_ushort v17, v[8:9], off offset:64
	v_add_u32_e32 v18, 64, v0
	v_cmp_gt_i32_e32 vcc, s24, v18
	s_waitcnt vmcnt(3)
	v_lshlrev_b32_e32 v19, 16, v14
	s_waitcnt vmcnt(2)
	v_lshlrev_b32_e32 v15, 16, v15
	v_fmac_f32_e32 v36, v13, v19
	s_waitcnt vmcnt(1)
	v_lshlrev_b32_e32 v16, 16, v16
	v_fmac_f32_e32 v36, v12, v15
	s_waitcnt vmcnt(0)
	v_lshlrev_b32_e32 v14, 16, v17
	v_fmac_f32_e32 v36, v11, v16
	s_and_saveexec_b64 s[4:5], vcc
	s_cbranch_execz .LBB547_42
; %bb.39:
	global_load_ushort v15, v[2:3], off offset:128
	global_load_ushort v16, v[4:5], off offset:128
	global_load_ushort v17, v[6:7], off offset:128
	global_load_ushort v18, v[8:9], off offset:128
	;; [unrolled: 20-line block ×3, first 2 shown]
	s_waitcnt vmcnt(3)
	v_lshlrev_b32_e32 v2, 16, v15
	s_waitcnt vmcnt(2)
	v_lshlrev_b32_e32 v3, 16, v16
	v_fmac_f32_e32 v38, v13, v2
	s_waitcnt vmcnt(1)
	v_lshlrev_b32_e32 v4, 16, v17
	v_fmac_f32_e32 v38, v12, v3
	v_fmac_f32_e32 v38, v11, v4
	s_waitcnt vmcnt(0)
	v_lshlrev_b32_e32 v2, 16, v18
	v_fmac_f32_e32 v38, v10, v2
.LBB547_41:
	s_or_b64 exec, exec, s[6:7]
	v_fmac_f32_e32 v37, v10, v0
.LBB547_42:
	s_or_b64 exec, exec, s[4:5]
	v_fmac_f32_e32 v36, v10, v14
.LBB547_43:
	s_or_b64 exec, exec, s[0:1]
	v_fmac_f32_e32 v35, v10, v1
.LBB547_44:
	s_or_b64 exec, exec, s[2:3]
.LBB547_45:
	v_lshlrev_b32_e32 v0, 7, v34
	s_movk_i32 s0, 0x80
	v_add_lshl_u32 v0, v0, v33, 2
	v_cmp_gt_u32_e32 vcc, s0, v32
	ds_write2_b32 v0, v35, v36 offset1:32
	ds_write2_b32 v0, v37, v38 offset0:64 offset1:96
	s_waitcnt lgkmcnt(0)
	s_barrier
	s_waitcnt lgkmcnt(0)
                                        ; implicit-def: $vgpr3
                                        ; implicit-def: $vgpr0_vgpr1
	s_and_saveexec_b64 s[0:1], vcc
	s_cbranch_execz .LBB547_66
; %bb.46:
	v_lshlrev_b32_e32 v10, 2, v32
	ds_read2st64_b32 v[0:1], v10 offset1:2
	ds_read2st64_b32 v[2:3], v10 offset0:4 offset1:6
	ds_read2st64_b32 v[4:5], v10 offset0:8 offset1:10
	;; [unrolled: 1-line block ×4, first 2 shown]
	s_waitcnt lgkmcnt(4)
	v_add_f32_e32 v0, v0, v1
	s_waitcnt lgkmcnt(3)
	v_add_f32_e32 v0, v2, v0
	v_add_f32_e32 v0, v3, v0
	s_waitcnt lgkmcnt(2)
	v_add_f32_e32 v0, v4, v0
	;; [unrolled: 3-line block ×3, first 2 shown]
	v_add_f32_e32 v2, v7, v0
	ds_read2st64_b32 v[0:1], v10 offset0:20 offset1:22
	s_waitcnt lgkmcnt(1)
	v_add_f32_e32 v4, v8, v2
	ds_read2st64_b32 v[2:3], v10 offset0:24 offset1:26
	v_add_f32_e32 v6, v9, v4
	ds_read2st64_b32 v[4:5], v10 offset0:28 offset1:30
	s_waitcnt lgkmcnt(2)
	v_add_f32_e32 v0, v0, v6
	v_add_f32_e32 v0, v1, v0
	s_waitcnt lgkmcnt(1)
	v_add_f32_e32 v0, v2, v0
	v_add_f32_e32 v0, v3, v0
	s_waitcnt lgkmcnt(0)
	v_add_f32_e32 v0, v4, v0
	v_or_b32_e32 v2, s46, v32
	v_add_f32_e32 v4, v5, v0
	v_cmp_gt_i32_e32 vcc, s24, v2
	s_mov_b64 s[4:5], s[14:15]
	ds_write_b32 v10, v4
                                        ; implicit-def: $vgpr3
                                        ; implicit-def: $vgpr0_vgpr1
	s_and_saveexec_b64 s[2:3], vcc
	s_cbranch_execz .LBB547_65
; %bb.47:
	v_cmp_eq_f32_e64 s[4:5], s33, 0
	v_mul_f32_e32 v0, s52, v4
	s_and_b64 vcc, exec, s[4:5]
	s_cbranch_vccz .LBB547_53
; %bb.48:
	s_mov_b32 s4, 0x7f800000
	v_and_b32_e32 v1, 0x7f800000, v0
	v_cmp_ne_u32_e32 vcc, s4, v1
                                        ; implicit-def: $vgpr1
	s_and_saveexec_b64 s[4:5], vcc
	s_xor_b64 s[4:5], exec, s[4:5]
; %bb.49:
	v_bfe_u32 v1, v0, 16, 1
	s_movk_i32 s6, 0x7fff
	v_add3_u32 v1, v0, v1, s6
; %bb.50:
	s_andn2_saveexec_b64 s[4:5], s[4:5]
; %bb.51:
	v_mov_b32_e32 v1, 0
	v_or_b32_e32 v3, 0x10000, v0
	v_cmp_eq_u32_sdwa vcc, v0, v1 src0_sel:WORD_0 src1_sel:DWORD
	s_nop 1
	v_cndmask_b32_e32 v1, v3, v0, vcc
; %bb.52:
	s_or_b64 exec, exec, s[4:5]
	s_mov_b64 s[4:5], 0
	s_branch .LBB547_54
.LBB547_53:
	s_mov_b64 s[4:5], -1
                                        ; implicit-def: $vgpr1
.LBB547_54:
	v_ashrrev_i32_e32 v3, 31, v2
	s_andn2_b64 vcc, exec, s[4:5]
	v_mul_lo_u32 v4, v2, s21
	v_mul_lo_u32 v5, v3, s20
	s_cbranch_vccnz .LBB547_64
; %bb.55:
	v_mad_u64_u32 v[6:7], s[4:5], v2, s20, 0
	v_add3_u32 v7, v7, v4, v5
	v_lshl_add_u64 v[6:7], v[6:7], 1, s[12:13]
	global_load_ushort v1, v[6:7], off
	s_mov_b32 s4, 0x7f800000
	s_waitcnt vmcnt(0)
	v_lshlrev_b32_e32 v1, 16, v1
	v_mul_f32_e32 v1, s33, v1
	v_and_b32_e32 v3, 0x7f800000, v1
	v_cmp_ne_u32_e32 vcc, s4, v3
                                        ; implicit-def: $vgpr3
	s_and_saveexec_b64 s[4:5], vcc
	s_xor_b64 s[4:5], exec, s[4:5]
; %bb.56:
	v_bfe_u32 v3, v1, 16, 1
	s_movk_i32 s6, 0x7fff
	v_add3_u32 v3, v1, v3, s6
                                        ; implicit-def: $vgpr1
; %bb.57:
	s_andn2_saveexec_b64 s[4:5], s[4:5]
; %bb.58:
	v_mov_b32_e32 v3, 0
	v_or_b32_e32 v6, 0x10000, v1
	v_cmp_eq_u32_sdwa vcc, v1, v3 src0_sel:WORD_0 src1_sel:DWORD
	s_nop 1
	v_cndmask_b32_e32 v3, v6, v1, vcc
; %bb.59:
	s_or_b64 exec, exec, s[4:5]
	v_and_b32_e32 v1, 0xffff0000, v3
	v_add_f32_e32 v0, v0, v1
	s_mov_b32 s4, 0x7f800000
	v_and_b32_e32 v1, 0x7f800000, v0
	v_cmp_ne_u32_e32 vcc, s4, v1
                                        ; implicit-def: $vgpr1
	s_and_saveexec_b64 s[4:5], vcc
	s_xor_b64 s[4:5], exec, s[4:5]
; %bb.60:
	v_bfe_u32 v1, v0, 16, 1
	s_movk_i32 s6, 0x7fff
	v_add3_u32 v1, v0, v1, s6
                                        ; implicit-def: $vgpr0
; %bb.61:
	s_andn2_saveexec_b64 s[4:5], s[4:5]
; %bb.62:
	v_mov_b32_e32 v1, 0
	v_or_b32_e32 v3, 0x10000, v0
	v_cmp_eq_u32_sdwa vcc, v0, v1 src0_sel:WORD_0 src1_sel:DWORD
	s_nop 1
	v_cndmask_b32_e32 v1, v3, v0, vcc
; %bb.63:
	s_or_b64 exec, exec, s[4:5]
.LBB547_64:
	v_lshrrev_b32_e32 v3, 16, v1
	v_mad_u64_u32 v[0:1], s[4:5], v2, s20, 0
	v_add3_u32 v1, v1, v4, v5
	s_or_b64 s[4:5], s[14:15], exec
.LBB547_65:
	s_or_b64 exec, exec, s[2:3]
	s_andn2_b64 s[2:3], s[14:15], exec
	s_and_b64 s[4:5], s[4:5], exec
	s_or_b64 s[14:15], s[2:3], s[4:5]
.LBB547_66:
	s_or_b64 exec, exec, s[0:1]
.LBB547_67:
	s_and_saveexec_b64 s[0:1], s[14:15]
	s_cbranch_execz .LBB547_69
; %bb.68:
	v_lshl_add_u64 v[0:1], v[0:1], 1, s[12:13]
	global_store_short v[0:1], v3, off
.LBB547_69:
	s_endpgm
	.section	.rodata,"a",@progbits
	.p2align	6, 0x0
	.amdhsa_kernel _ZL20rocblas_gemvn_kernelILi32ELi16El16rocblas_bfloat16PKfS0_EviiT3_lPKT2_lT1_lS6_lS7_lS3_lPT4_lS7_li
		.amdhsa_group_segment_fixed_size 8192
		.amdhsa_private_segment_fixed_size 0
		.amdhsa_kernarg_size 400
		.amdhsa_user_sgpr_count 2
		.amdhsa_user_sgpr_dispatch_ptr 0
		.amdhsa_user_sgpr_queue_ptr 0
		.amdhsa_user_sgpr_kernarg_segment_ptr 1
		.amdhsa_user_sgpr_dispatch_id 0
		.amdhsa_user_sgpr_kernarg_preload_length 0
		.amdhsa_user_sgpr_kernarg_preload_offset 0
		.amdhsa_user_sgpr_private_segment_size 0
		.amdhsa_uses_dynamic_stack 0
		.amdhsa_enable_private_segment 0
		.amdhsa_system_sgpr_workgroup_id_x 1
		.amdhsa_system_sgpr_workgroup_id_y 0
		.amdhsa_system_sgpr_workgroup_id_z 1
		.amdhsa_system_sgpr_workgroup_info 0
		.amdhsa_system_vgpr_workitem_id 1
		.amdhsa_next_free_vgpr 51
		.amdhsa_next_free_sgpr 53
		.amdhsa_accum_offset 52
		.amdhsa_reserve_vcc 1
		.amdhsa_float_round_mode_32 0
		.amdhsa_float_round_mode_16_64 0
		.amdhsa_float_denorm_mode_32 3
		.amdhsa_float_denorm_mode_16_64 3
		.amdhsa_dx10_clamp 1
		.amdhsa_ieee_mode 1
		.amdhsa_fp16_overflow 0
		.amdhsa_tg_split 0
		.amdhsa_exception_fp_ieee_invalid_op 0
		.amdhsa_exception_fp_denorm_src 0
		.amdhsa_exception_fp_ieee_div_zero 0
		.amdhsa_exception_fp_ieee_overflow 0
		.amdhsa_exception_fp_ieee_underflow 0
		.amdhsa_exception_fp_ieee_inexact 0
		.amdhsa_exception_int_div_zero 0
	.end_amdhsa_kernel
	.section	.text._ZL20rocblas_gemvn_kernelILi32ELi16El16rocblas_bfloat16PKfS0_EviiT3_lPKT2_lT1_lS6_lS7_lS3_lPT4_lS7_li,"axG",@progbits,_ZL20rocblas_gemvn_kernelILi32ELi16El16rocblas_bfloat16PKfS0_EviiT3_lPKT2_lT1_lS6_lS7_lS3_lPT4_lS7_li,comdat
.Lfunc_end547:
	.size	_ZL20rocblas_gemvn_kernelILi32ELi16El16rocblas_bfloat16PKfS0_EviiT3_lPKT2_lT1_lS6_lS7_lS3_lPT4_lS7_li, .Lfunc_end547-_ZL20rocblas_gemvn_kernelILi32ELi16El16rocblas_bfloat16PKfS0_EviiT3_lPKT2_lT1_lS6_lS7_lS3_lPT4_lS7_li
                                        ; -- End function
	.section	.AMDGPU.csdata,"",@progbits
; Kernel info:
; codeLenInByte = 3328
; NumSgprs: 59
; NumVgprs: 51
; NumAgprs: 0
; TotalNumVgprs: 51
; ScratchSize: 0
; MemoryBound: 0
; FloatMode: 240
; IeeeMode: 1
; LDSByteSize: 8192 bytes/workgroup (compile time only)
; SGPRBlocks: 7
; VGPRBlocks: 6
; NumSGPRsForWavesPerEU: 59
; NumVGPRsForWavesPerEU: 51
; AccumOffset: 52
; Occupancy: 8
; WaveLimiterHint : 0
; COMPUTE_PGM_RSRC2:SCRATCH_EN: 0
; COMPUTE_PGM_RSRC2:USER_SGPR: 2
; COMPUTE_PGM_RSRC2:TRAP_HANDLER: 0
; COMPUTE_PGM_RSRC2:TGID_X_EN: 1
; COMPUTE_PGM_RSRC2:TGID_Y_EN: 0
; COMPUTE_PGM_RSRC2:TGID_Z_EN: 1
; COMPUTE_PGM_RSRC2:TIDIG_COMP_CNT: 1
; COMPUTE_PGM_RSRC3_GFX90A:ACCUM_OFFSET: 12
; COMPUTE_PGM_RSRC3_GFX90A:TG_SPLIT: 0
	.section	.text._ZL20rocblas_gemvn_kernelILi32ELi16Ei16rocblas_bfloat16fS0_EviiT3_lPKT2_lT1_lS4_lS5_lS1_lPT4_lS5_li,"axG",@progbits,_ZL20rocblas_gemvn_kernelILi32ELi16Ei16rocblas_bfloat16fS0_EviiT3_lPKT2_lT1_lS4_lS5_lS1_lPT4_lS5_li,comdat
	.globl	_ZL20rocblas_gemvn_kernelILi32ELi16Ei16rocblas_bfloat16fS0_EviiT3_lPKT2_lT1_lS4_lS5_lS1_lPT4_lS5_li ; -- Begin function _ZL20rocblas_gemvn_kernelILi32ELi16Ei16rocblas_bfloat16fS0_EviiT3_lPKT2_lT1_lS4_lS5_lS1_lPT4_lS5_li
	.p2align	8
	.type	_ZL20rocblas_gemvn_kernelILi32ELi16Ei16rocblas_bfloat16fS0_EviiT3_lPKT2_lT1_lS4_lS5_lS1_lPT4_lS5_li,@function
_ZL20rocblas_gemvn_kernelILi32ELi16Ei16rocblas_bfloat16fS0_EviiT3_lPKT2_lT1_lS4_lS5_lS1_lPT4_lS5_li: ; @_ZL20rocblas_gemvn_kernelILi32ELi16Ei16rocblas_bfloat16fS0_EviiT3_lPKT2_lT1_lS4_lS5_lS1_lPT4_lS5_li
; %bb.0:
	s_load_dwordx2 s[4:5], s[0:1], 0x9c
	s_waitcnt lgkmcnt(0)
	s_lshr_b32 s6, s4, 16
	s_and_b32 s4, s4, 0xffff
	s_and_b32 s5, s5, 0xffff
	s_mul_i32 s4, s6, s4
	s_mul_i32 s4, s4, s5
	s_cmpk_lg_i32 s4, 0x200
	s_cbranch_scc1 .LBB548_69
; %bb.1:
	s_load_dwordx4 s[8:11], s[0:1], 0x0
	s_waitcnt lgkmcnt(0)
	s_load_dword s11, s[0:1], 0x58
	v_cmp_eq_f32_e64 s[4:5], s10, 0
	s_waitcnt lgkmcnt(0)
	v_cmp_eq_f32_e64 s[6:7], s11, 1.0
	s_and_b64 s[4:5], s[4:5], s[6:7]
	s_and_b64 vcc, exec, s[4:5]
	s_cbranch_vccnz .LBB548_69
; %bb.2:
	s_load_dwordx2 s[12:13], s[0:1], 0x80
	s_load_dwordx4 s[4:7], s[0:1], 0x68
	s_load_dword s30, s[0:1], 0x78
	v_and_b32_e32 v2, 0x3ff, v0
	v_bfe_u32 v18, v0, 10, 10
	s_waitcnt lgkmcnt(0)
	s_mul_i32 s13, s3, s13
	s_mul_hi_u32 s14, s3, s12
	s_mul_i32 s12, s3, s12
	s_add_i32 s13, s14, s13
	s_lshl_b64 s[12:13], s[12:13], 1
	s_add_u32 s12, s4, s12
	s_addc_u32 s13, s5, s13
	s_lshl_b64 s[4:5], s[6:7], 1
	s_add_u32 s12, s12, s4
	s_addc_u32 s13, s13, s5
	v_cmp_neq_f32_e64 s[4:5], s10, 0
	v_lshl_add_u32 v3, v18, 5, v2
	s_and_b64 vcc, exec, s[4:5]
	s_cbranch_vccnz .LBB548_13
; %bb.3:
	s_movk_i32 s4, 0x80
	v_cmp_gt_u32_e32 vcc, s4, v3
	s_mov_b64 s[4:5], 0
	s_mov_b64 s[14:15], 0
                                        ; implicit-def: $vgpr5
                                        ; implicit-def: $vgpr0_vgpr1
	s_and_saveexec_b64 s[6:7], vcc
	s_cbranch_execz .LBB548_14
; %bb.4:
	v_lshl_or_b32 v4, s2, 7, v3
	v_mov_b32_e32 v5, 0
	s_ashr_i32 s15, s8, 31
	s_mov_b32 s14, s8
	v_cmp_gt_i64_e32 vcc, s[14:15], v[4:5]
	s_mov_b64 s[16:17], 0
                                        ; implicit-def: $vgpr0_vgpr1
	s_and_saveexec_b64 s[14:15], vcc
	s_cbranch_execz .LBB548_12
; %bb.5:
	v_mad_u64_u32 v[0:1], s[18:19], s30, v4, 0
	s_ashr_i32 s20, s30, 31
	v_mov_b32_e32 v6, v1
	v_cmp_eq_f32_e64 s[16:17], s11, 0
	v_mad_u64_u32 v[6:7], s[18:19], s20, v4, v[6:7]
	v_mov_b32_e32 v1, v6
	s_and_b64 vcc, exec, s[16:17]
	s_cbranch_vccnz .LBB548_11
; %bb.6:
	v_lshl_add_u64 v[4:5], v[0:1], 1, s[12:13]
	global_load_ushort v4, v[4:5], off
	s_mov_b32 s16, 0x7f800000
	s_waitcnt vmcnt(0)
	v_lshlrev_b32_e32 v4, 16, v4
	v_mul_f32_e32 v4, s11, v4
	v_and_b32_e32 v5, 0x7f800000, v4
	v_cmp_ne_u32_e32 vcc, s16, v5
                                        ; implicit-def: $vgpr5
	s_and_saveexec_b64 s[16:17], vcc
	s_xor_b64 s[16:17], exec, s[16:17]
; %bb.7:
	v_bfe_u32 v5, v4, 16, 1
	s_movk_i32 s18, 0x7fff
	v_add3_u32 v5, v4, v5, s18
                                        ; implicit-def: $vgpr4
; %bb.8:
	s_andn2_saveexec_b64 s[16:17], s[16:17]
; %bb.9:
	v_mov_b32_e32 v5, 0
	v_or_b32_e32 v6, 0x10000, v4
	v_cmp_eq_u32_sdwa vcc, v4, v5 src0_sel:WORD_0 src1_sel:DWORD
	s_nop 1
	v_cndmask_b32_e32 v5, v6, v4, vcc
; %bb.10:
	s_or_b64 exec, exec, s[16:17]
	v_lshrrev_b32_e32 v5, 16, v5
.LBB548_11:
	s_mov_b64 s[16:17], exec
.LBB548_12:
	s_or_b64 exec, exec, s[14:15]
	s_and_b64 s[14:15], s[16:17], exec
	s_or_b64 exec, exec, s[6:7]
	s_and_b64 vcc, exec, s[4:5]
	s_cbranch_vccnz .LBB548_15
	s_branch .LBB548_67
.LBB548_13:
	s_mov_b64 s[14:15], 0
                                        ; implicit-def: $vgpr5
                                        ; implicit-def: $vgpr0_vgpr1
	s_cbranch_execnz .LBB548_15
	s_branch .LBB548_67
.LBB548_14:
	s_or_b64 exec, exec, s[6:7]
	s_and_b64 vcc, exec, s[4:5]
	s_cbranch_vccz .LBB548_67
.LBB548_15:
	s_load_dwordx4 s[4:7], s[0:1], 0x30
	s_load_dwordx4 s[16:19], s[0:1], 0x18
	s_load_dword s33, s[0:1], 0x28
	s_load_dwordx2 s[20:21], s[0:1], 0x40
	s_load_dword s34, s[0:1], 0x48
	s_load_dwordx2 s[22:23], s[0:1], 0x50
	s_waitcnt lgkmcnt(0)
	s_mul_i32 s0, s3, s5
	s_mul_hi_u32 s1, s3, s4
	s_add_i32 s1, s1, s0
	s_mul_i32 s0, s3, s4
	s_lshl_b64 s[0:1], s[0:1], 1
	s_add_u32 s4, s16, s0
	s_addc_u32 s5, s17, s1
	s_lshl_b64 s[0:1], s[18:19], 1
	s_add_u32 s16, s4, s0
	s_addc_u32 s17, s5, s1
	s_mul_i32 s0, s3, s23
	s_mul_hi_u32 s1, s3, s22
	s_add_i32 s1, s1, s0
	s_mul_i32 s0, s3, s22
	s_lshl_b64 s[0:1], s[0:1], 1
	s_add_u32 s3, s6, s0
	s_addc_u32 s4, s7, s1
	s_lshl_b64 s[0:1], s[20:21], 1
	s_add_u32 s18, s3, s0
	s_addc_u32 s19, s4, s1
	s_ashr_i32 s0, s9, 31
	s_lshr_b32 s0, s0, 26
	s_add_i32 s35, s9, s0
	s_lshl_b32 s31, s2, 7
	s_andn2_b32 s35, s35, 63
	v_lshlrev_b32_e32 v24, 2, v18
	v_add_u32_e32 v23, s31, v2
	v_cmp_gt_i32_e32 vcc, s35, v24
	v_mov_b32_e32 v19, 0
	v_mov_b32_e32 v20, 0
	;; [unrolled: 1-line block ×4, first 2 shown]
	s_and_saveexec_b64 s[20:21], vcc
	s_cbranch_execz .LBB548_27
; %bb.16:
	v_add_u32_e32 v0, 32, v23
	v_cmp_gt_i32_e64 s[0:1], s8, v0
	v_add_u32_e32 v0, 64, v23
	v_cmp_gt_i32_e64 s[2:3], s8, v0
	;; [unrolled: 2-line block ×3, first 2 shown]
	v_mul_lo_u32 v0, s33, v24
	v_add_u32_e32 v6, 2, v24
	v_add_u32_e32 v7, 3, v24
	v_add3_u32 v25, v0, s33, v2
	v_mad_u64_u32 v[0:1], s[6:7], s33, v6, v[2:3]
	v_mad_u64_u32 v[4:5], s[6:7], s33, v7, v[2:3]
	v_mul_lo_u32 v1, v18, s33
	v_mul_lo_u32 v5, s34, v24
	;; [unrolled: 1-line block ×4, first 2 shown]
	v_cmp_gt_i32_e32 vcc, s8, v23
	s_lshl_b32 s36, s33, 6
	v_lshl_add_u32 v1, v1, 2, v2
	v_add_u32_e32 v5, s34, v5
	s_lshl_b32 s37, s34, 6
	v_mul_lo_u32 v27, s34, v7
	v_lshlrev_b32_e32 v28, 2, v6
	s_mov_b32 s38, 0
	s_mov_b64 s[22:23], 0
	v_mov_b32_e32 v19, 0
	v_mov_b32_e32 v20, 0
	;; [unrolled: 1-line block ×4, first 2 shown]
	s_branch .LBB548_21
.LBB548_17:                             ;   in Loop: Header=BB548_21 Depth=1
	s_or_b64 exec, exec, s[28:29]
	s_waitcnt vmcnt(3)
	v_lshlrev_b32_e32 v10, 16, v40
	v_fmac_f32_e32 v21, v8, v10
	s_waitcnt vmcnt(2)
	v_lshlrev_b32_e32 v10, 16, v39
	v_fmac_f32_e32 v21, v9, v10
	;; [unrolled: 3-line block ×4, first 2 shown]
.LBB548_18:                             ;   in Loop: Header=BB548_21 Depth=1
	s_or_b64 exec, exec, s[26:27]
	s_waitcnt vmcnt(3)
	v_lshlrev_b32_e32 v10, 16, v36
	v_fmac_f32_e32 v20, v8, v10
	s_waitcnt vmcnt(2)
	v_lshlrev_b32_e32 v10, 16, v35
	v_fmac_f32_e32 v20, v9, v10
	;; [unrolled: 3-line block ×4, first 2 shown]
.LBB548_19:                             ;   in Loop: Header=BB548_21 Depth=1
	s_or_b64 exec, exec, s[24:25]
	s_waitcnt vmcnt(3)
	v_lshlrev_b32_e32 v10, 16, v32
	v_fmac_f32_e32 v19, v8, v10
	s_waitcnt vmcnt(2)
	v_lshlrev_b32_e32 v8, 16, v31
	v_fmac_f32_e32 v19, v9, v8
	s_waitcnt vmcnt(1)
	v_lshlrev_b32_e32 v8, 16, v30
	v_fmac_f32_e32 v19, v6, v8
	s_waitcnt vmcnt(0)
	v_lshlrev_b32_e32 v6, 16, v29
	v_fmac_f32_e32 v19, v7, v6
.LBB548_20:                             ;   in Loop: Header=BB548_21 Depth=1
	s_or_b64 exec, exec, s[6:7]
	v_add_u32_e32 v24, 64, v24
	s_add_i32 s38, s38, s37
	v_cmp_le_i32_e64 s[6:7], s35, v24
	v_add_u32_e32 v25, s36, v25
	v_add_u32_e32 v0, s36, v0
	;; [unrolled: 1-line block ×3, first 2 shown]
	s_or_b64 s[22:23], s[6:7], s[22:23]
	v_add_u32_e32 v1, s36, v1
	s_andn2_b64 exec, exec, s[22:23]
	s_cbranch_execz .LBB548_26
.LBB548_21:                             ; =>This Inner Loop Header: Depth=1
	s_and_saveexec_b64 s[6:7], vcc
	s_cbranch_execz .LBB548_20
; %bb.22:                               ;   in Loop: Header=BB548_21 Depth=1
	v_add_u32_e32 v6, s38, v28
	v_ashrrev_i32_e32 v7, 31, v6
	v_add_u32_e32 v8, s38, v5
	v_add_u32_e32 v10, s38, v26
	;; [unrolled: 1-line block ×3, first 2 shown]
	v_lshl_add_u64 v[6:7], v[6:7], 1, s[18:19]
	v_ashrrev_i32_e32 v9, 31, v8
	v_ashrrev_i32_e32 v11, 31, v10
	;; [unrolled: 1-line block ×3, first 2 shown]
	v_lshl_add_u64 v[8:9], v[8:9], 1, s[18:19]
	v_lshl_add_u64 v[10:11], v[10:11], 1, s[18:19]
	;; [unrolled: 1-line block ×3, first 2 shown]
	global_load_ushort v33, v[6:7], off
	global_load_ushort v34, v[8:9], off
	;; [unrolled: 1-line block ×4, first 2 shown]
	v_add_u32_e32 v6, s31, v1
	v_ashrrev_i32_e32 v7, 31, v6
	v_lshl_add_u64 v[10:11], v[6:7], 1, s[16:17]
	v_add_u32_e32 v6, s31, v25
	v_ashrrev_i32_e32 v7, 31, v6
	v_lshl_add_u64 v[12:13], v[6:7], 1, s[16:17]
	;; [unrolled: 3-line block ×4, first 2 shown]
	global_load_ushort v32, v[10:11], off
	global_load_ushort v31, v[12:13], off
	;; [unrolled: 1-line block ×4, first 2 shown]
	s_waitcnt vmcnt(7)
	v_lshlrev_b32_e32 v8, 16, v33
	s_waitcnt vmcnt(6)
	v_lshlrev_b32_e32 v9, 16, v34
	;; [unrolled: 2-line block ×4, first 2 shown]
	s_and_saveexec_b64 s[24:25], s[0:1]
	s_cbranch_execz .LBB548_19
; %bb.23:                               ;   in Loop: Header=BB548_21 Depth=1
	global_load_ushort v36, v[10:11], off offset:64
	global_load_ushort v35, v[12:13], off offset:64
	global_load_ushort v34, v[14:15], off offset:64
	global_load_ushort v33, v[16:17], off offset:64
	s_and_saveexec_b64 s[26:27], s[2:3]
	s_cbranch_execz .LBB548_18
; %bb.24:                               ;   in Loop: Header=BB548_21 Depth=1
	global_load_ushort v40, v[10:11], off offset:128
	global_load_ushort v39, v[12:13], off offset:128
	global_load_ushort v38, v[14:15], off offset:128
	global_load_ushort v37, v[16:17], off offset:128
	;; [unrolled: 7-line block ×3, first 2 shown]
	s_waitcnt vmcnt(3)
	v_lshlrev_b32_e32 v11, 16, v41
	s_waitcnt vmcnt(2)
	v_lshlrev_b32_e32 v10, 16, v42
	v_pk_mul_f32 v[10:11], v[8:9], v[10:11]
	s_waitcnt vmcnt(1)
	v_lshlrev_b32_e32 v13, 16, v43
	s_waitcnt vmcnt(0)
	v_lshlrev_b32_e32 v12, 16, v44
	v_add_f32_e32 v10, v22, v10
	v_add_f32_e32 v14, v10, v11
	v_pk_mul_f32 v[10:11], v[6:7], v[12:13]
	s_nop 0
	v_add_f32_e32 v10, v14, v10
	v_add_f32_e32 v22, v10, v11
	s_branch .LBB548_17
.LBB548_26:
	s_or_b64 exec, exec, s[22:23]
.LBB548_27:
	s_or_b64 exec, exec, s[20:21]
	s_sub_i32 s0, s9, s35
	s_cmp_lt_i32 s0, 1
	s_cbranch_scc1 .LBB548_45
; %bb.28:
	v_cmp_gt_i32_e32 vcc, s9, v24
	v_mov_b32_e32 v10, 0
	v_or_b32_e32 v4, 1, v24
	v_mov_b32_e32 v11, 0
	v_mov_b32_e32 v12, 0
	;; [unrolled: 1-line block ×3, first 2 shown]
	s_and_saveexec_b64 s[2:3], vcc
	s_cbranch_execz .LBB548_36
; %bb.29:
	v_mul_lo_u32 v0, v24, s34
	v_ashrrev_i32_e32 v1, 31, v0
	v_lshl_add_u64 v[0:1], v[0:1], 1, s[18:19]
	global_load_ushort v0, v[0:1], off
	v_cmp_gt_i32_e64 s[0:1], s9, v4
	v_mov_b32_e32 v12, 0
	v_mov_b32_e32 v11, 0
	;; [unrolled: 1-line block ×3, first 2 shown]
	s_and_saveexec_b64 s[4:5], s[0:1]
	s_cbranch_execz .LBB548_35
; %bb.30:
	v_mul_lo_u32 v6, v4, s34
	v_ashrrev_i32_e32 v7, 31, v6
	v_lshl_add_u64 v[6:7], v[6:7], 1, s[18:19]
	global_load_ushort v1, v[6:7], off
	v_or_b32_e32 v5, 2, v24
	v_cmp_gt_i32_e64 s[0:1], s9, v5
	v_mov_b32_e32 v11, 0
	v_mov_b32_e32 v10, 0
	s_and_saveexec_b64 s[6:7], s[0:1]
	s_cbranch_execz .LBB548_34
; %bb.31:
	v_mul_lo_u32 v6, v5, s34
	v_ashrrev_i32_e32 v7, 31, v6
	v_lshl_add_u64 v[6:7], v[6:7], 1, s[18:19]
	global_load_ushort v5, v[6:7], off
	v_or_b32_e32 v6, 3, v24
	v_cmp_gt_i32_e64 s[0:1], s9, v6
	v_mov_b32_e32 v10, 0
	s_and_saveexec_b64 s[20:21], s[0:1]
	s_cbranch_execz .LBB548_33
; %bb.32:
	v_mul_lo_u32 v6, v6, s34
	v_ashrrev_i32_e32 v7, 31, v6
	v_lshl_add_u64 v[6:7], v[6:7], 1, s[18:19]
	global_load_ushort v6, v[6:7], off
	s_waitcnt vmcnt(0)
	v_lshlrev_b32_e32 v10, 16, v6
.LBB548_33:
	s_or_b64 exec, exec, s[20:21]
	s_waitcnt vmcnt(0)
	v_lshlrev_b32_e32 v11, 16, v5
.LBB548_34:
	s_or_b64 exec, exec, s[6:7]
	s_waitcnt vmcnt(0)
	v_lshlrev_b32_e32 v12, 16, v1
.LBB548_35:
	s_or_b64 exec, exec, s[4:5]
	s_waitcnt vmcnt(0)
	v_lshlrev_b32_e32 v13, 16, v0
.LBB548_36:
	s_or_b64 exec, exec, s[2:3]
	v_cmp_gt_i32_e64 s[0:1], s8, v23
	s_and_saveexec_b64 s[2:3], s[0:1]
	s_cbranch_execz .LBB548_44
; %bb.37:
	v_mul_lo_u32 v0, v24, s33
	v_cndmask_b32_e32 v0, 0, v0, vcc
	v_mul_lo_u32 v5, v4, s33
	v_cmp_gt_i32_e32 vcc, s9, v4
	v_or_b32_e32 v6, 2, v24
	v_add_u32_e32 v0, v0, v23
	v_cndmask_b32_e32 v4, 0, v5, vcc
	v_mul_lo_u32 v7, v6, s33
	v_cmp_gt_i32_e32 vcc, s9, v6
	v_or_b32_e32 v8, 3, v24
	v_ashrrev_i32_e32 v1, 31, v0
	v_add_u32_e32 v4, v4, v23
	v_cndmask_b32_e32 v6, 0, v7, vcc
	v_mul_lo_u32 v9, v8, s33
	v_cmp_gt_i32_e32 vcc, s9, v8
	v_lshl_add_u64 v[0:1], v[0:1], 1, s[16:17]
	v_ashrrev_i32_e32 v5, 31, v4
	v_add_u32_e32 v6, v6, v23
	v_cndmask_b32_e32 v8, 0, v9, vcc
	v_lshl_add_u64 v[4:5], v[4:5], 1, s[16:17]
	v_ashrrev_i32_e32 v7, 31, v6
	v_add_u32_e32 v8, v8, v23
	global_load_ushort v14, v[0:1], off
	global_load_ushort v15, v[4:5], off
	v_lshl_add_u64 v[6:7], v[6:7], 1, s[16:17]
	v_ashrrev_i32_e32 v9, 31, v8
	v_lshl_add_u64 v[8:9], v[8:9], 1, s[16:17]
	global_load_ushort v16, v[6:7], off
	global_load_ushort v17, v[8:9], off
	v_add_u32_e32 v24, 32, v23
	v_cmp_gt_i32_e32 vcc, s8, v24
	s_waitcnt vmcnt(3)
	v_lshlrev_b32_e32 v14, 16, v14
	s_waitcnt vmcnt(2)
	v_lshlrev_b32_e32 v15, 16, v15
	v_fmac_f32_e32 v19, v13, v14
	v_fmac_f32_e32 v19, v12, v15
	s_waitcnt vmcnt(1)
	v_lshlrev_b32_e32 v16, 16, v16
	s_waitcnt vmcnt(0)
	v_lshlrev_b32_e32 v14, 16, v17
	v_fmac_f32_e32 v19, v11, v16
	s_and_saveexec_b64 s[0:1], vcc
	s_cbranch_execz .LBB548_43
; %bb.38:
	global_load_ushort v15, v[0:1], off offset:64
	global_load_ushort v16, v[4:5], off offset:64
	global_load_ushort v17, v[6:7], off offset:64
	global_load_ushort v24, v[8:9], off offset:64
	v_add_u32_e32 v25, 64, v23
	v_cmp_gt_i32_e32 vcc, s8, v25
	s_waitcnt vmcnt(3)
	v_lshlrev_b32_e32 v26, 16, v15
	s_waitcnt vmcnt(2)
	v_lshlrev_b32_e32 v16, 16, v16
	v_fmac_f32_e32 v20, v13, v26
	s_waitcnt vmcnt(1)
	v_lshlrev_b32_e32 v17, 16, v17
	v_fmac_f32_e32 v20, v12, v16
	;; [unrolled: 3-line block ×3, first 2 shown]
	s_and_saveexec_b64 s[4:5], vcc
	s_cbranch_execz .LBB548_42
; %bb.39:
	global_load_ushort v16, v[0:1], off offset:128
	global_load_ushort v17, v[4:5], off offset:128
	;; [unrolled: 1-line block ×4, first 2 shown]
	v_add_u32_e32 v23, 0x60, v23
	v_cmp_gt_i32_e32 vcc, s8, v23
	s_waitcnt vmcnt(3)
	v_lshlrev_b32_e32 v26, 16, v16
	s_waitcnt vmcnt(2)
	v_lshlrev_b32_e32 v17, 16, v17
	v_fmac_f32_e32 v21, v13, v26
	s_waitcnt vmcnt(1)
	v_lshlrev_b32_e32 v24, 16, v24
	v_fmac_f32_e32 v21, v12, v17
	s_waitcnt vmcnt(0)
	v_lshlrev_b32_e32 v16, 16, v25
	v_fmac_f32_e32 v21, v11, v24
	s_and_saveexec_b64 s[6:7], vcc
	s_cbranch_execz .LBB548_41
; %bb.40:
	global_load_ushort v17, v[0:1], off offset:192
	global_load_ushort v23, v[4:5], off offset:192
	global_load_ushort v24, v[6:7], off offset:192
	global_load_ushort v25, v[8:9], off offset:192
	s_waitcnt vmcnt(3)
	v_lshlrev_b32_e32 v0, 16, v17
	s_waitcnt vmcnt(2)
	v_lshlrev_b32_e32 v1, 16, v23
	v_fmac_f32_e32 v22, v13, v0
	s_waitcnt vmcnt(1)
	v_lshlrev_b32_e32 v4, 16, v24
	v_fmac_f32_e32 v22, v12, v1
	v_fmac_f32_e32 v22, v11, v4
	s_waitcnt vmcnt(0)
	v_lshlrev_b32_e32 v0, 16, v25
	v_fmac_f32_e32 v22, v10, v0
.LBB548_41:
	s_or_b64 exec, exec, s[6:7]
	v_fmac_f32_e32 v21, v10, v16
.LBB548_42:
	s_or_b64 exec, exec, s[4:5]
	v_fmac_f32_e32 v20, v10, v15
.LBB548_43:
	s_or_b64 exec, exec, s[0:1]
	v_fmac_f32_e32 v19, v10, v14
.LBB548_44:
	s_or_b64 exec, exec, s[2:3]
.LBB548_45:
	v_lshlrev_b32_e32 v0, 7, v18
	s_movk_i32 s0, 0x80
	v_add_lshl_u32 v0, v0, v2, 2
	v_cmp_gt_u32_e32 vcc, s0, v3
	ds_write2_b32 v0, v19, v20 offset1:32
	ds_write2_b32 v0, v21, v22 offset0:64 offset1:96
	s_waitcnt lgkmcnt(0)
	s_barrier
	s_waitcnt lgkmcnt(0)
                                        ; implicit-def: $vgpr5
                                        ; implicit-def: $vgpr0_vgpr1
	s_and_saveexec_b64 s[0:1], vcc
	s_cbranch_execz .LBB548_66
; %bb.46:
	v_lshlrev_b32_e32 v12, 2, v3
	ds_read2st64_b32 v[0:1], v12 offset1:2
	ds_read2st64_b32 v[4:5], v12 offset0:4 offset1:6
	ds_read2st64_b32 v[6:7], v12 offset0:8 offset1:10
	;; [unrolled: 1-line block ×4, first 2 shown]
	s_waitcnt lgkmcnt(4)
	v_add_f32_e32 v0, v0, v1
	s_waitcnt lgkmcnt(3)
	v_add_f32_e32 v0, v4, v0
	v_add_f32_e32 v0, v5, v0
	s_waitcnt lgkmcnt(2)
	v_add_f32_e32 v0, v6, v0
	;; [unrolled: 3-line block ×3, first 2 shown]
	v_add_f32_e32 v2, v9, v0
	ds_read2st64_b32 v[0:1], v12 offset0:20 offset1:22
	ds_read2st64_b32 v[4:5], v12 offset0:24 offset1:26
	s_waitcnt lgkmcnt(2)
	v_add_f32_e32 v2, v10, v2
	v_add_f32_e32 v2, v11, v2
	ds_read2st64_b32 v[6:7], v12 offset0:28 offset1:30
	s_waitcnt lgkmcnt(2)
	v_add_f32_e32 v0, v0, v2
	v_add_f32_e32 v0, v1, v0
	s_waitcnt lgkmcnt(1)
	v_add_f32_e32 v0, v4, v0
	v_add_f32_e32 v0, v5, v0
	s_waitcnt lgkmcnt(0)
	v_add_f32_e32 v0, v6, v0
	v_or_b32_e32 v4, s31, v3
	v_add_f32_e32 v2, v7, v0
	v_cmp_gt_i32_e32 vcc, s8, v4
	s_mov_b64 s[4:5], s[14:15]
	ds_write_b32 v12, v2
                                        ; implicit-def: $vgpr5
                                        ; implicit-def: $vgpr0_vgpr1
	s_and_saveexec_b64 s[2:3], vcc
	s_cbranch_execz .LBB548_65
; %bb.47:
	v_cmp_eq_f32_e64 s[4:5], s11, 0
	v_mul_f32_e32 v2, s10, v2
	s_and_b64 vcc, exec, s[4:5]
	s_cbranch_vccz .LBB548_53
; %bb.48:
	s_mov_b32 s4, 0x7f800000
	v_and_b32_e32 v0, 0x7f800000, v2
	v_cmp_ne_u32_e32 vcc, s4, v0
                                        ; implicit-def: $vgpr3
	s_and_saveexec_b64 s[4:5], vcc
	s_xor_b64 s[4:5], exec, s[4:5]
; %bb.49:
	v_bfe_u32 v0, v2, 16, 1
	s_movk_i32 s6, 0x7fff
	v_add3_u32 v3, v2, v0, s6
; %bb.50:
	s_andn2_saveexec_b64 s[4:5], s[4:5]
; %bb.51:
	v_mov_b32_e32 v0, 0
	v_or_b32_e32 v1, 0x10000, v2
	v_cmp_eq_u32_sdwa vcc, v2, v0 src0_sel:WORD_0 src1_sel:DWORD
	s_nop 1
	v_cndmask_b32_e32 v3, v1, v2, vcc
; %bb.52:
	s_or_b64 exec, exec, s[4:5]
	s_mov_b64 s[4:5], 0
	s_branch .LBB548_54
.LBB548_53:
	s_mov_b64 s[4:5], -1
                                        ; implicit-def: $vgpr3
.LBB548_54:
	v_mul_lo_u32 v0, v4, s30
	s_andn2_b64 vcc, exec, s[4:5]
	v_ashrrev_i32_e32 v1, 31, v0
	s_cbranch_vccnz .LBB548_64
; %bb.55:
	v_lshl_add_u64 v[4:5], v[0:1], 1, s[12:13]
	global_load_ushort v3, v[4:5], off
	s_mov_b32 s4, 0x7f800000
	s_waitcnt vmcnt(0)
	v_lshlrev_b32_e32 v3, 16, v3
	v_mul_f32_e32 v3, s11, v3
	v_and_b32_e32 v4, 0x7f800000, v3
	v_cmp_ne_u32_e32 vcc, s4, v4
                                        ; implicit-def: $vgpr4
	s_and_saveexec_b64 s[4:5], vcc
	s_xor_b64 s[4:5], exec, s[4:5]
; %bb.56:
	v_bfe_u32 v4, v3, 16, 1
	s_movk_i32 s6, 0x7fff
	v_add3_u32 v4, v3, v4, s6
                                        ; implicit-def: $vgpr3
; %bb.57:
	s_andn2_saveexec_b64 s[4:5], s[4:5]
; %bb.58:
	v_mov_b32_e32 v4, 0
	v_or_b32_e32 v5, 0x10000, v3
	v_cmp_eq_u32_sdwa vcc, v3, v4 src0_sel:WORD_0 src1_sel:DWORD
	s_nop 1
	v_cndmask_b32_e32 v4, v5, v3, vcc
; %bb.59:
	s_or_b64 exec, exec, s[4:5]
	v_and_b32_e32 v3, 0xffff0000, v4
	v_add_f32_e32 v2, v2, v3
	s_mov_b32 s4, 0x7f800000
	v_and_b32_e32 v3, 0x7f800000, v2
	v_cmp_ne_u32_e32 vcc, s4, v3
                                        ; implicit-def: $vgpr3
	s_and_saveexec_b64 s[4:5], vcc
	s_xor_b64 s[4:5], exec, s[4:5]
; %bb.60:
	v_bfe_u32 v3, v2, 16, 1
	s_movk_i32 s6, 0x7fff
	v_add3_u32 v3, v2, v3, s6
                                        ; implicit-def: $vgpr2
; %bb.61:
	s_andn2_saveexec_b64 s[4:5], s[4:5]
; %bb.62:
	v_mov_b32_e32 v3, 0
	v_or_b32_e32 v4, 0x10000, v2
	v_cmp_eq_u32_sdwa vcc, v2, v3 src0_sel:WORD_0 src1_sel:DWORD
	s_nop 1
	v_cndmask_b32_e32 v3, v4, v2, vcc
; %bb.63:
	s_or_b64 exec, exec, s[4:5]
.LBB548_64:
	v_lshrrev_b32_e32 v5, 16, v3
	s_or_b64 s[4:5], s[14:15], exec
.LBB548_65:
	s_or_b64 exec, exec, s[2:3]
	s_andn2_b64 s[2:3], s[14:15], exec
	s_and_b64 s[4:5], s[4:5], exec
	s_or_b64 s[14:15], s[2:3], s[4:5]
.LBB548_66:
	s_or_b64 exec, exec, s[0:1]
.LBB548_67:
	s_and_saveexec_b64 s[0:1], s[14:15]
	s_cbranch_execz .LBB548_69
; %bb.68:
	v_lshl_add_u64 v[0:1], v[0:1], 1, s[12:13]
	global_store_short v[0:1], v5, off
.LBB548_69:
	s_endpgm
	.section	.rodata,"a",@progbits
	.p2align	6, 0x0
	.amdhsa_kernel _ZL20rocblas_gemvn_kernelILi32ELi16Ei16rocblas_bfloat16fS0_EviiT3_lPKT2_lT1_lS4_lS5_lS1_lPT4_lS5_li
		.amdhsa_group_segment_fixed_size 8192
		.amdhsa_private_segment_fixed_size 0
		.amdhsa_kernarg_size 400
		.amdhsa_user_sgpr_count 2
		.amdhsa_user_sgpr_dispatch_ptr 0
		.amdhsa_user_sgpr_queue_ptr 0
		.amdhsa_user_sgpr_kernarg_segment_ptr 1
		.amdhsa_user_sgpr_dispatch_id 0
		.amdhsa_user_sgpr_kernarg_preload_length 0
		.amdhsa_user_sgpr_kernarg_preload_offset 0
		.amdhsa_user_sgpr_private_segment_size 0
		.amdhsa_uses_dynamic_stack 0
		.amdhsa_enable_private_segment 0
		.amdhsa_system_sgpr_workgroup_id_x 1
		.amdhsa_system_sgpr_workgroup_id_y 0
		.amdhsa_system_sgpr_workgroup_id_z 1
		.amdhsa_system_sgpr_workgroup_info 0
		.amdhsa_system_vgpr_workitem_id 1
		.amdhsa_next_free_vgpr 45
		.amdhsa_next_free_sgpr 39
		.amdhsa_accum_offset 48
		.amdhsa_reserve_vcc 1
		.amdhsa_float_round_mode_32 0
		.amdhsa_float_round_mode_16_64 0
		.amdhsa_float_denorm_mode_32 3
		.amdhsa_float_denorm_mode_16_64 3
		.amdhsa_dx10_clamp 1
		.amdhsa_ieee_mode 1
		.amdhsa_fp16_overflow 0
		.amdhsa_tg_split 0
		.amdhsa_exception_fp_ieee_invalid_op 0
		.amdhsa_exception_fp_denorm_src 0
		.amdhsa_exception_fp_ieee_div_zero 0
		.amdhsa_exception_fp_ieee_overflow 0
		.amdhsa_exception_fp_ieee_underflow 0
		.amdhsa_exception_fp_ieee_inexact 0
		.amdhsa_exception_int_div_zero 0
	.end_amdhsa_kernel
	.section	.text._ZL20rocblas_gemvn_kernelILi32ELi16Ei16rocblas_bfloat16fS0_EviiT3_lPKT2_lT1_lS4_lS5_lS1_lPT4_lS5_li,"axG",@progbits,_ZL20rocblas_gemvn_kernelILi32ELi16Ei16rocblas_bfloat16fS0_EviiT3_lPKT2_lT1_lS4_lS5_lS1_lPT4_lS5_li,comdat
.Lfunc_end548:
	.size	_ZL20rocblas_gemvn_kernelILi32ELi16Ei16rocblas_bfloat16fS0_EviiT3_lPKT2_lT1_lS4_lS5_lS1_lPT4_lS5_li, .Lfunc_end548-_ZL20rocblas_gemvn_kernelILi32ELi16Ei16rocblas_bfloat16fS0_EviiT3_lPKT2_lT1_lS4_lS5_lS1_lPT4_lS5_li
                                        ; -- End function
	.section	.AMDGPU.csdata,"",@progbits
; Kernel info:
; codeLenInByte = 2944
; NumSgprs: 45
; NumVgprs: 45
; NumAgprs: 0
; TotalNumVgprs: 45
; ScratchSize: 0
; MemoryBound: 0
; FloatMode: 240
; IeeeMode: 1
; LDSByteSize: 8192 bytes/workgroup (compile time only)
; SGPRBlocks: 5
; VGPRBlocks: 5
; NumSGPRsForWavesPerEU: 45
; NumVGPRsForWavesPerEU: 45
; AccumOffset: 48
; Occupancy: 8
; WaveLimiterHint : 1
; COMPUTE_PGM_RSRC2:SCRATCH_EN: 0
; COMPUTE_PGM_RSRC2:USER_SGPR: 2
; COMPUTE_PGM_RSRC2:TRAP_HANDLER: 0
; COMPUTE_PGM_RSRC2:TGID_X_EN: 1
; COMPUTE_PGM_RSRC2:TGID_Y_EN: 0
; COMPUTE_PGM_RSRC2:TGID_Z_EN: 1
; COMPUTE_PGM_RSRC2:TIDIG_COMP_CNT: 1
; COMPUTE_PGM_RSRC3_GFX90A:ACCUM_OFFSET: 11
; COMPUTE_PGM_RSRC3_GFX90A:TG_SPLIT: 0
	.section	.text._ZL20rocblas_gemvn_kernelILi32ELi16El16rocblas_bfloat16fS0_EviiT3_lPKT2_lT1_lS4_lS5_lS1_lPT4_lS5_li,"axG",@progbits,_ZL20rocblas_gemvn_kernelILi32ELi16El16rocblas_bfloat16fS0_EviiT3_lPKT2_lT1_lS4_lS5_lS1_lPT4_lS5_li,comdat
	.globl	_ZL20rocblas_gemvn_kernelILi32ELi16El16rocblas_bfloat16fS0_EviiT3_lPKT2_lT1_lS4_lS5_lS1_lPT4_lS5_li ; -- Begin function _ZL20rocblas_gemvn_kernelILi32ELi16El16rocblas_bfloat16fS0_EviiT3_lPKT2_lT1_lS4_lS5_lS1_lPT4_lS5_li
	.p2align	8
	.type	_ZL20rocblas_gemvn_kernelILi32ELi16El16rocblas_bfloat16fS0_EviiT3_lPKT2_lT1_lS4_lS5_lS1_lPT4_lS5_li,@function
_ZL20rocblas_gemvn_kernelILi32ELi16El16rocblas_bfloat16fS0_EviiT3_lPKT2_lT1_lS4_lS5_lS1_lPT4_lS5_li: ; @_ZL20rocblas_gemvn_kernelILi32ELi16El16rocblas_bfloat16fS0_EviiT3_lPKT2_lT1_lS4_lS5_lS1_lPT4_lS5_li
; %bb.0:
	s_load_dwordx2 s[4:5], s[0:1], 0x9c
	s_waitcnt lgkmcnt(0)
	s_lshr_b32 s6, s4, 16
	s_and_b32 s4, s4, 0xffff
	s_and_b32 s5, s5, 0xffff
	s_mul_i32 s4, s6, s4
	s_mul_i32 s4, s4, s5
	s_cmpk_lg_i32 s4, 0x200
	s_cbranch_scc1 .LBB549_69
; %bb.1:
	s_load_dwordx4 s[28:31], s[0:1], 0x0
	s_waitcnt lgkmcnt(0)
	s_load_dword s31, s[0:1], 0x58
	v_cmp_eq_f32_e64 s[4:5], s30, 0
	s_waitcnt lgkmcnt(0)
	v_cmp_eq_f32_e64 s[6:7], s31, 1.0
	s_and_b64 s[4:5], s[4:5], s[6:7]
	s_and_b64 vcc, exec, s[4:5]
	s_cbranch_vccnz .LBB549_69
; %bb.2:
	s_load_dwordx8 s[20:27], s[0:1], 0x68
	v_and_b32_e32 v33, 0x3ff, v0
	v_bfe_u32 v34, v0, 10, 10
	v_lshl_add_u32 v32, v34, 5, v33
	s_waitcnt lgkmcnt(0)
	s_mul_i32 s5, s3, s27
	s_mul_hi_u32 s6, s3, s26
	s_mul_i32 s4, s3, s26
	s_add_i32 s5, s6, s5
	s_lshl_b64 s[4:5], s[4:5], 1
	s_add_u32 s6, s20, s4
	s_addc_u32 s7, s21, s5
	s_lshl_b64 s[4:5], s[22:23], 1
	s_add_u32 s26, s6, s4
	s_addc_u32 s27, s7, s5
	v_cmp_neq_f32_e64 s[4:5], s30, 0
	s_and_b64 vcc, exec, s[4:5]
	s_cbranch_vccnz .LBB549_13
; %bb.3:
	s_movk_i32 s4, 0x80
	v_cmp_gt_u32_e32 vcc, s4, v32
	s_mov_b64 s[4:5], 0
	s_mov_b64 s[34:35], 0
                                        ; implicit-def: $vgpr3
                                        ; implicit-def: $vgpr0_vgpr1
	s_and_saveexec_b64 s[6:7], vcc
	s_cbranch_execz .LBB549_14
; %bb.4:
	v_lshl_or_b32 v2, s2, 7, v32
	v_mov_b32_e32 v3, 0
	s_ashr_i32 s9, s28, 31
	s_mov_b32 s8, s28
	v_cmp_gt_i64_e32 vcc, s[8:9], v[2:3]
	s_mov_b64 s[10:11], 0
                                        ; implicit-def: $vgpr0_vgpr1
	s_and_saveexec_b64 s[8:9], vcc
	s_cbranch_execz .LBB549_12
; %bb.5:
	v_mad_u64_u32 v[0:1], s[12:13], v2, s24, 0
	v_mov_b32_e32 v4, v1
	v_cmp_eq_f32_e64 s[10:11], s31, 0
	v_mad_u64_u32 v[4:5], s[12:13], v2, s25, v[4:5]
	v_mov_b32_e32 v1, v4
	s_and_b64 vcc, exec, s[10:11]
	s_cbranch_vccnz .LBB549_11
; %bb.6:
	v_lshl_add_u64 v[2:3], v[0:1], 1, s[26:27]
	global_load_ushort v2, v[2:3], off
	s_mov_b32 s10, 0x7f800000
	s_waitcnt vmcnt(0)
	v_lshlrev_b32_e32 v2, 16, v2
	v_mul_f32_e32 v2, s31, v2
	v_and_b32_e32 v3, 0x7f800000, v2
	v_cmp_ne_u32_e32 vcc, s10, v3
                                        ; implicit-def: $vgpr3
	s_and_saveexec_b64 s[10:11], vcc
	s_xor_b64 s[10:11], exec, s[10:11]
; %bb.7:
	v_bfe_u32 v3, v2, 16, 1
	s_movk_i32 s12, 0x7fff
	v_add3_u32 v3, v2, v3, s12
                                        ; implicit-def: $vgpr2
; %bb.8:
	s_andn2_saveexec_b64 s[10:11], s[10:11]
; %bb.9:
	v_mov_b32_e32 v3, 0
	v_or_b32_e32 v4, 0x10000, v2
	v_cmp_eq_u32_sdwa vcc, v2, v3 src0_sel:WORD_0 src1_sel:DWORD
	s_nop 1
	v_cndmask_b32_e32 v3, v4, v2, vcc
; %bb.10:
	s_or_b64 exec, exec, s[10:11]
	v_lshrrev_b32_e32 v3, 16, v3
.LBB549_11:
	s_mov_b64 s[10:11], exec
.LBB549_12:
	s_or_b64 exec, exec, s[8:9]
	s_and_b64 s[34:35], s[10:11], exec
	s_or_b64 exec, exec, s[6:7]
	s_and_b64 vcc, exec, s[4:5]
	s_cbranch_vccnz .LBB549_15
	s_branch .LBB549_67
.LBB549_13:
	s_mov_b64 s[34:35], 0
                                        ; implicit-def: $vgpr3
                                        ; implicit-def: $vgpr0_vgpr1
	s_cbranch_execnz .LBB549_15
	s_branch .LBB549_67
.LBB549_14:
	s_or_b64 exec, exec, s[6:7]
	s_and_b64 vcc, exec, s[4:5]
	s_cbranch_vccz .LBB549_67
.LBB549_15:
	s_load_dwordx16 s[8:23], s[0:1], 0x18
	s_lshl_b32 s33, s2, 7
	v_lshlrev_b32_e32 v39, 2, v34
	v_add_u32_e32 v0, s33, v33
	v_mov_b32_e32 v35, 0
	s_waitcnt lgkmcnt(0)
	s_mul_i32 s0, s3, s15
	s_mul_hi_u32 s1, s3, s14
	s_add_i32 s15, s1, s0
	s_ashr_i32 s0, s29, 31
	s_lshr_b32 s0, s0, 26
	s_add_i32 s52, s29, s0
	s_mul_i32 s4, s3, s23
	s_mul_hi_u32 s5, s3, s22
	s_andn2_b32 s52, s52, 63
	s_mul_i32 s14, s3, s14
	s_add_i32 s23, s5, s4
	s_mul_i32 s22, s3, s22
	v_cmp_gt_i32_e32 vcc, s52, v39
	v_mov_b32_e32 v36, 0
	v_mov_b32_e32 v37, 0
	;; [unrolled: 1-line block ×3, first 2 shown]
	s_and_saveexec_b64 s[36:37], vcc
	s_cbranch_execz .LBB549_27
; %bb.16:
	v_add_u32_e32 v2, 32, v0
	v_cmp_gt_i32_e64 s[0:1], s28, v2
	v_add_u32_e32 v2, 64, v0
	v_cmp_gt_i32_e64 s[2:3], s28, v2
	;; [unrolled: 2-line block ×3, first 2 shown]
	v_mad_u64_u32 v[2:3], s[6:7], s20, v34, 0
	v_mov_b32_e32 v4, v3
	v_ashrrev_i32_e32 v1, 31, v0
	v_mad_u64_u32 v[4:5], s[6:7], s21, v34, v[4:5]
	v_mov_b32_e32 v3, v4
	v_lshlrev_b64 v[4:5], 1, v[0:1]
	v_lshlrev_b32_e32 v1, 2, v34
	v_or_b32_e32 v11, 3, v1
	v_mad_u64_u32 v[6:7], s[42:43], s12, v11, 0
	v_mov_b32_e32 v8, v7
	v_mad_u64_u32 v[8:9], s[42:43], s13, v11, v[8:9]
	v_mov_b32_e32 v7, v8
	;; [unrolled: 2-line block ×5, first 2 shown]
	v_mad_u64_u32 v[12:13], s[46:47], s13, v34, v[12:13]
	v_or_b32_e32 v17, 2, v1
	v_mov_b32_e32 v11, v12
	v_mad_u64_u32 v[12:13], s[46:47], s12, v17, 0
	v_mov_b32_e32 v14, v13
	v_mad_u64_u32 v[14:15], s[46:47], s13, v17, v[14:15]
	;; [unrolled: 2-line block ×4, first 2 shown]
	v_mov_b32_e32 v15, v16
	v_mov_b64_e32 v[16:17], s[20:21]
	v_mad_u64_u32 v[16:17], s[46:47], s20, v1, v[16:17]
	s_lshl_b64 s[38:39], s[18:19], 1
	s_lshl_b64 s[6:7], s[22:23], 1
	v_mov_b32_e32 v18, v17
	s_add_u32 s6, s16, s6
	v_mad_u64_u32 v[18:19], s[46:47], s21, v1, v[18:19]
	s_addc_u32 s7, s17, s7
	s_lshl_b64 s[40:41], s[20:21], 7
	s_lshl_b64 s[42:43], s[14:15], 1
	;; [unrolled: 1-line block ×3, first 2 shown]
	v_mov_b32_e32 v17, v18
	v_mov_b64_e32 v[18:19], s[12:13]
	v_lshl_add_u64 v[2:3], v[2:3], 3, s[6:7]
	s_add_u32 s44, s8, s44
	v_lshl_add_u64 v[8:9], v[8:9], 1, s[6:7]
	v_lshl_add_u64 v[14:15], v[14:15], 1, s[6:7]
	;; [unrolled: 1-line block ×3, first 2 shown]
	v_mad_u64_u32 v[18:19], s[6:7], s12, v1, v[18:19]
	s_addc_u32 s45, s9, s45
	v_mov_b32_e32 v20, v19
	s_add_u32 s44, s44, s42
	v_mad_u64_u32 v[20:21], s[6:7], s13, v1, v[20:21]
	s_addc_u32 s45, s45, s43
	v_mov_b32_e32 v19, v20
	v_cmp_gt_i32_e32 vcc, s28, v0
	v_lshl_add_u64 v[6:7], v[6:7], 1, s[44:45]
	s_lshl_b64 s[42:43], s[12:13], 7
	v_lshl_add_u64 v[10:11], v[10:11], 3, s[44:45]
	v_lshl_add_u64 v[12:13], v[12:13], 1, s[44:45]
	;; [unrolled: 1-line block ×3, first 2 shown]
	s_mov_b64 s[44:45], 0
	v_mov_b32_e32 v35, 0
	v_mov_b32_e32 v36, 0
	;; [unrolled: 1-line block ×4, first 2 shown]
	s_branch .LBB549_21
.LBB549_17:                             ;   in Loop: Header=BB549_21 Depth=1
	s_or_b64 exec, exec, s[50:51]
	s_waitcnt vmcnt(3)
	v_lshlrev_b32_e32 v24, 16, v50
	v_fmac_f32_e32 v37, v22, v24
	s_waitcnt vmcnt(2)
	v_lshlrev_b32_e32 v24, 16, v49
	v_fmac_f32_e32 v37, v23, v24
	;; [unrolled: 3-line block ×4, first 2 shown]
.LBB549_18:                             ;   in Loop: Header=BB549_21 Depth=1
	s_or_b64 exec, exec, s[48:49]
	s_waitcnt vmcnt(3)
	v_lshlrev_b32_e32 v24, 16, v46
	v_fmac_f32_e32 v36, v22, v24
	s_waitcnt vmcnt(2)
	v_lshlrev_b32_e32 v24, 16, v45
	v_fmac_f32_e32 v36, v23, v24
	;; [unrolled: 3-line block ×4, first 2 shown]
.LBB549_19:                             ;   in Loop: Header=BB549_21 Depth=1
	s_or_b64 exec, exec, s[46:47]
	s_waitcnt vmcnt(3)
	v_lshlrev_b32_e32 v24, 16, v42
	v_fmac_f32_e32 v35, v22, v24
	s_waitcnt vmcnt(2)
	v_lshlrev_b32_e32 v22, 16, v41
	v_fmac_f32_e32 v35, v23, v22
	;; [unrolled: 3-line block ×4, first 2 shown]
.LBB549_20:                             ;   in Loop: Header=BB549_21 Depth=1
	s_or_b64 exec, exec, s[6:7]
	v_add_u32_e32 v39, 64, v39
	v_cmp_le_i32_e64 s[6:7], s52, v39
	v_lshl_add_u64 v[2:3], v[2:3], 0, s[40:41]
	v_lshl_add_u64 v[6:7], v[6:7], 0, s[42:43]
	;; [unrolled: 1-line block ×7, first 2 shown]
	s_or_b64 s[44:45], s[6:7], s[44:45]
	v_lshl_add_u64 v[18:19], v[18:19], 0, s[42:43]
	s_andn2_b64 exec, exec, s[44:45]
	s_cbranch_execz .LBB549_26
.LBB549_21:                             ; =>This Inner Loop Header: Depth=1
	s_and_saveexec_b64 s[6:7], vcc
	s_cbranch_execz .LBB549_20
; %bb.22:                               ;   in Loop: Header=BB549_21 Depth=1
	v_lshl_add_u64 v[20:21], v[2:3], 0, s[38:39]
	v_lshl_add_u64 v[22:23], v[16:17], 0, s[38:39]
	global_load_ushort v43, v[20:21], off
	global_load_ushort v44, v[22:23], off
	v_lshl_add_u64 v[20:21], v[14:15], 0, s[38:39]
	v_lshl_add_u64 v[22:23], v[8:9], 0, s[38:39]
	global_load_ushort v45, v[20:21], off
	global_load_ushort v46, v[22:23], off
	v_lshl_add_u64 v[28:29], v[10:11], 0, v[4:5]
	v_lshl_add_u64 v[30:31], v[18:19], 0, v[4:5]
	;; [unrolled: 1-line block ×4, first 2 shown]
	global_load_ushort v42, v[28:29], off
	global_load_ushort v41, v[30:31], off
	;; [unrolled: 1-line block ×4, first 2 shown]
	s_waitcnt vmcnt(7)
	v_lshlrev_b32_e32 v22, 16, v43
	s_waitcnt vmcnt(6)
	v_lshlrev_b32_e32 v23, 16, v44
	;; [unrolled: 2-line block ×4, first 2 shown]
	s_and_saveexec_b64 s[46:47], s[0:1]
	s_cbranch_execz .LBB549_19
; %bb.23:                               ;   in Loop: Header=BB549_21 Depth=1
	global_load_ushort v46, v[28:29], off offset:64
	global_load_ushort v45, v[30:31], off offset:64
	;; [unrolled: 1-line block ×4, first 2 shown]
	s_and_saveexec_b64 s[48:49], s[2:3]
	s_cbranch_execz .LBB549_18
; %bb.24:                               ;   in Loop: Header=BB549_21 Depth=1
	global_load_ushort v50, v[28:29], off offset:128
	global_load_ushort v49, v[30:31], off offset:128
	;; [unrolled: 1-line block ×4, first 2 shown]
	s_and_saveexec_b64 s[50:51], s[4:5]
	s_cbranch_execz .LBB549_17
; %bb.25:                               ;   in Loop: Header=BB549_21 Depth=1
	global_load_ushort v30, v[30:31], off offset:192
	s_nop 0
	global_load_ushort v28, v[28:29], off offset:192
	s_nop 0
	;; [unrolled: 2-line block ×3, first 2 shown]
	global_load_ushort v29, v[24:25], off offset:192
	s_waitcnt vmcnt(3)
	v_lshlrev_b32_e32 v25, 16, v30
	s_waitcnt vmcnt(2)
	v_lshlrev_b32_e32 v24, 16, v28
	v_pk_mul_f32 v[24:25], v[22:23], v[24:25]
	s_waitcnt vmcnt(1)
	v_lshlrev_b32_e32 v27, 16, v26
	s_waitcnt vmcnt(0)
	v_lshlrev_b32_e32 v26, 16, v29
	v_add_f32_e32 v24, v38, v24
	v_add_f32_e32 v28, v24, v25
	v_pk_mul_f32 v[24:25], v[20:21], v[26:27]
	s_nop 0
	v_add_f32_e32 v24, v28, v24
	v_add_f32_e32 v38, v24, v25
	s_branch .LBB549_17
.LBB549_26:
	s_or_b64 exec, exec, s[44:45]
.LBB549_27:
	s_or_b64 exec, exec, s[36:37]
	s_sub_i32 s0, s29, s52
	s_cmp_lt_i32 s0, 1
	s_cbranch_scc1 .LBB549_45
; %bb.28:
	v_cmp_gt_i32_e32 vcc, s29, v39
	v_mov_b32_e32 v10, 0
	v_or_b32_e32 v4, 1, v39
	v_mov_b32_e32 v11, 0
	v_mov_b32_e32 v12, 0
	;; [unrolled: 1-line block ×3, first 2 shown]
	s_and_saveexec_b64 s[2:3], vcc
	s_cbranch_execz .LBB549_36
; %bb.29:
	s_lshl_b64 s[0:1], s[22:23], 1
	s_add_u32 s4, s16, s0
	s_addc_u32 s5, s17, s1
	s_lshl_b64 s[0:1], s[18:19], 1
	s_add_u32 s6, s4, s0
	s_addc_u32 s7, s5, s1
	v_mad_u64_u32 v[2:3], s[0:1], v39, s20, 0
	v_mov_b32_e32 v6, v3
	v_mad_u64_u32 v[6:7], s[0:1], v39, s21, v[6:7]
	v_mov_b32_e32 v3, v6
	v_lshl_add_u64 v[2:3], v[2:3], 1, s[6:7]
	global_load_ushort v1, v[2:3], off
	v_cmp_gt_i32_e64 s[0:1], s29, v4
	v_mov_b32_e32 v12, 0
	v_mov_b32_e32 v11, 0
	;; [unrolled: 1-line block ×3, first 2 shown]
	s_and_saveexec_b64 s[4:5], s[0:1]
	s_cbranch_execz .LBB549_35
; %bb.30:
	v_mad_u64_u32 v[2:3], s[0:1], v4, s20, 0
	v_mov_b32_e32 v6, v3
	v_mad_u64_u32 v[6:7], s[0:1], v4, s21, v[6:7]
	v_mov_b32_e32 v3, v6
	v_lshl_add_u64 v[2:3], v[2:3], 1, s[6:7]
	global_load_ushort v2, v[2:3], off
	v_or_b32_e32 v3, 2, v39
	v_cmp_gt_i32_e64 s[0:1], s29, v3
	v_mov_b32_e32 v11, 0
	v_mov_b32_e32 v10, 0
	s_and_saveexec_b64 s[16:17], s[0:1]
	s_cbranch_execz .LBB549_34
; %bb.31:
	v_mad_u64_u32 v[6:7], s[0:1], v3, s20, 0
	v_mov_b32_e32 v8, v7
	v_mad_u64_u32 v[8:9], s[0:1], v3, s21, v[8:9]
	v_mov_b32_e32 v7, v8
	v_lshl_add_u64 v[6:7], v[6:7], 1, s[6:7]
	global_load_ushort v3, v[6:7], off
	v_or_b32_e32 v5, 3, v39
	v_cmp_gt_i32_e64 s[0:1], s29, v5
	v_mov_b32_e32 v10, 0
	s_and_saveexec_b64 s[18:19], s[0:1]
	s_cbranch_execz .LBB549_33
; %bb.32:
	v_mad_u64_u32 v[6:7], s[0:1], v5, s20, 0
	v_mov_b32_e32 v8, v7
	v_mad_u64_u32 v[8:9], s[0:1], v5, s21, v[8:9]
	v_mov_b32_e32 v7, v8
	v_lshl_add_u64 v[6:7], v[6:7], 1, s[6:7]
	global_load_ushort v5, v[6:7], off
	s_waitcnt vmcnt(0)
	v_lshlrev_b32_e32 v10, 16, v5
.LBB549_33:
	s_or_b64 exec, exec, s[18:19]
	s_waitcnt vmcnt(0)
	v_lshlrev_b32_e32 v11, 16, v3
.LBB549_34:
	s_or_b64 exec, exec, s[16:17]
	s_waitcnt vmcnt(0)
	v_lshlrev_b32_e32 v12, 16, v2
.LBB549_35:
	s_or_b64 exec, exec, s[4:5]
	s_waitcnt vmcnt(0)
	v_lshlrev_b32_e32 v13, 16, v1
.LBB549_36:
	s_or_b64 exec, exec, s[2:3]
	v_cmp_gt_i32_e64 s[0:1], s28, v0
	s_and_saveexec_b64 s[2:3], s[0:1]
	s_cbranch_execz .LBB549_44
; %bb.37:
	s_lshl_b64 s[0:1], s[14:15], 1
	s_add_u32 s4, s8, s0
	s_addc_u32 s5, s9, s1
	s_lshl_b64 s[0:1], s[10:11], 1
	s_add_u32 s0, s4, s0
	s_addc_u32 s1, s5, s1
	v_mad_u64_u32 v[2:3], s[4:5], v39, s12, 0
	v_mov_b32_e32 v6, v3
	v_mad_u64_u32 v[6:7], s[4:5], v39, s13, v[6:7]
	v_ashrrev_i32_e32 v1, 31, v0
	v_cndmask_b32_e32 v3, 0, v6, vcc
	v_mad_u64_u32 v[6:7], s[4:5], v4, s12, 0
	v_cndmask_b32_e32 v2, 0, v2, vcc
	v_lshlrev_b64 v[8:9], 1, v[0:1]
	v_mov_b32_e32 v14, v7
	v_cmp_gt_i32_e32 vcc, s29, v4
	v_or_b32_e32 v1, 2, v39
	v_mad_u64_u32 v[14:15], s[4:5], v4, s13, v[14:15]
	v_cndmask_b32_e32 v4, 0, v6, vcc
	v_mad_u64_u32 v[6:7], s[4:5], v1, s12, 0
	v_cndmask_b32_e32 v5, 0, v14, vcc
	v_mov_b32_e32 v14, v7
	v_mad_u64_u32 v[14:15], s[4:5], v1, s13, v[14:15]
	v_cmp_gt_i32_e32 vcc, s29, v1
	v_or_b32_e32 v1, 3, v39
	v_lshl_add_u64 v[2:3], v[2:3], 1, s[0:1]
	v_cndmask_b32_e32 v7, 0, v14, vcc
	v_mad_u64_u32 v[14:15], s[4:5], v1, s12, 0
	v_mov_b32_e32 v16, v15
	v_cndmask_b32_e32 v6, 0, v6, vcc
	v_mad_u64_u32 v[16:17], s[4:5], v1, s13, v[16:17]
	v_cmp_gt_i32_e32 vcc, s29, v1
	v_lshl_add_u64 v[2:3], v[2:3], 0, v[8:9]
	v_lshl_add_u64 v[4:5], v[4:5], 1, s[0:1]
	v_cndmask_b32_e32 v14, 0, v14, vcc
	v_cndmask_b32_e32 v15, 0, v16, vcc
	v_lshl_add_u64 v[6:7], v[6:7], 1, s[0:1]
	v_lshl_add_u64 v[14:15], v[14:15], 1, s[0:1]
	;; [unrolled: 1-line block ×5, first 2 shown]
	global_load_ushort v1, v[2:3], off
	global_load_ushort v14, v[4:5], off
	;; [unrolled: 1-line block ×4, first 2 shown]
	v_add_u32_e32 v17, 32, v0
	v_cmp_gt_i32_e32 vcc, s28, v17
	s_waitcnt vmcnt(3)
	v_lshlrev_b32_e32 v18, 16, v1
	s_waitcnt vmcnt(2)
	v_lshlrev_b32_e32 v14, 16, v14
	v_fmac_f32_e32 v35, v13, v18
	s_waitcnt vmcnt(1)
	v_lshlrev_b32_e32 v15, 16, v15
	v_fmac_f32_e32 v35, v12, v14
	s_waitcnt vmcnt(0)
	v_lshlrev_b32_e32 v1, 16, v16
	v_fmac_f32_e32 v35, v11, v15
	s_and_saveexec_b64 s[0:1], vcc
	s_cbranch_execz .LBB549_43
; %bb.38:
	global_load_ushort v14, v[2:3], off offset:64
	global_load_ushort v15, v[4:5], off offset:64
	global_load_ushort v16, v[6:7], off offset:64
	global_load_ushort v17, v[8:9], off offset:64
	v_add_u32_e32 v18, 64, v0
	v_cmp_gt_i32_e32 vcc, s28, v18
	s_waitcnt vmcnt(3)
	v_lshlrev_b32_e32 v19, 16, v14
	s_waitcnt vmcnt(2)
	v_lshlrev_b32_e32 v15, 16, v15
	v_fmac_f32_e32 v36, v13, v19
	s_waitcnt vmcnt(1)
	v_lshlrev_b32_e32 v16, 16, v16
	v_fmac_f32_e32 v36, v12, v15
	s_waitcnt vmcnt(0)
	v_lshlrev_b32_e32 v14, 16, v17
	v_fmac_f32_e32 v36, v11, v16
	s_and_saveexec_b64 s[4:5], vcc
	s_cbranch_execz .LBB549_42
; %bb.39:
	global_load_ushort v15, v[2:3], off offset:128
	global_load_ushort v16, v[4:5], off offset:128
	global_load_ushort v17, v[6:7], off offset:128
	global_load_ushort v18, v[8:9], off offset:128
	;; [unrolled: 20-line block ×3, first 2 shown]
	s_waitcnt vmcnt(3)
	v_lshlrev_b32_e32 v2, 16, v15
	s_waitcnt vmcnt(2)
	v_lshlrev_b32_e32 v3, 16, v16
	v_fmac_f32_e32 v38, v13, v2
	s_waitcnt vmcnt(1)
	v_lshlrev_b32_e32 v4, 16, v17
	v_fmac_f32_e32 v38, v12, v3
	v_fmac_f32_e32 v38, v11, v4
	s_waitcnt vmcnt(0)
	v_lshlrev_b32_e32 v2, 16, v18
	v_fmac_f32_e32 v38, v10, v2
.LBB549_41:
	s_or_b64 exec, exec, s[6:7]
	v_fmac_f32_e32 v37, v10, v0
.LBB549_42:
	s_or_b64 exec, exec, s[4:5]
	v_fmac_f32_e32 v36, v10, v14
.LBB549_43:
	s_or_b64 exec, exec, s[0:1]
	v_fmac_f32_e32 v35, v10, v1
.LBB549_44:
	s_or_b64 exec, exec, s[2:3]
.LBB549_45:
	v_lshlrev_b32_e32 v0, 7, v34
	s_movk_i32 s0, 0x80
	v_add_lshl_u32 v0, v0, v33, 2
	v_cmp_gt_u32_e32 vcc, s0, v32
	ds_write2_b32 v0, v35, v36 offset1:32
	ds_write2_b32 v0, v37, v38 offset0:64 offset1:96
	s_waitcnt lgkmcnt(0)
	s_barrier
	s_waitcnt lgkmcnt(0)
                                        ; implicit-def: $vgpr3
                                        ; implicit-def: $vgpr0_vgpr1
	s_and_saveexec_b64 s[0:1], vcc
	s_cbranch_execz .LBB549_66
; %bb.46:
	v_lshlrev_b32_e32 v10, 2, v32
	ds_read2st64_b32 v[0:1], v10 offset1:2
	ds_read2st64_b32 v[2:3], v10 offset0:4 offset1:6
	ds_read2st64_b32 v[4:5], v10 offset0:8 offset1:10
	;; [unrolled: 1-line block ×4, first 2 shown]
	s_waitcnt lgkmcnt(4)
	v_add_f32_e32 v0, v0, v1
	s_waitcnt lgkmcnt(3)
	v_add_f32_e32 v0, v2, v0
	v_add_f32_e32 v0, v3, v0
	s_waitcnt lgkmcnt(2)
	v_add_f32_e32 v0, v4, v0
	v_add_f32_e32 v0, v5, v0
	s_waitcnt lgkmcnt(1)
	v_add_f32_e32 v0, v6, v0
	v_add_f32_e32 v2, v7, v0
	ds_read2st64_b32 v[0:1], v10 offset0:20 offset1:22
	s_waitcnt lgkmcnt(1)
	v_add_f32_e32 v4, v8, v2
	ds_read2st64_b32 v[2:3], v10 offset0:24 offset1:26
	v_add_f32_e32 v6, v9, v4
	ds_read2st64_b32 v[4:5], v10 offset0:28 offset1:30
	s_waitcnt lgkmcnt(2)
	v_add_f32_e32 v0, v0, v6
	v_add_f32_e32 v0, v1, v0
	s_waitcnt lgkmcnt(1)
	v_add_f32_e32 v0, v2, v0
	v_add_f32_e32 v0, v3, v0
	s_waitcnt lgkmcnt(0)
	v_add_f32_e32 v0, v4, v0
	v_or_b32_e32 v2, s33, v32
	v_add_f32_e32 v4, v5, v0
	v_cmp_gt_i32_e32 vcc, s28, v2
	s_mov_b64 s[4:5], s[34:35]
	ds_write_b32 v10, v4
                                        ; implicit-def: $vgpr3
                                        ; implicit-def: $vgpr0_vgpr1
	s_and_saveexec_b64 s[2:3], vcc
	s_cbranch_execz .LBB549_65
; %bb.47:
	v_cmp_eq_f32_e64 s[4:5], s31, 0
	v_mul_f32_e32 v0, s30, v4
	s_and_b64 vcc, exec, s[4:5]
	s_cbranch_vccz .LBB549_53
; %bb.48:
	s_mov_b32 s4, 0x7f800000
	v_and_b32_e32 v1, 0x7f800000, v0
	v_cmp_ne_u32_e32 vcc, s4, v1
                                        ; implicit-def: $vgpr1
	s_and_saveexec_b64 s[4:5], vcc
	s_xor_b64 s[4:5], exec, s[4:5]
; %bb.49:
	v_bfe_u32 v1, v0, 16, 1
	s_movk_i32 s6, 0x7fff
	v_add3_u32 v1, v0, v1, s6
; %bb.50:
	s_andn2_saveexec_b64 s[4:5], s[4:5]
; %bb.51:
	v_mov_b32_e32 v1, 0
	v_or_b32_e32 v3, 0x10000, v0
	v_cmp_eq_u32_sdwa vcc, v0, v1 src0_sel:WORD_0 src1_sel:DWORD
	s_nop 1
	v_cndmask_b32_e32 v1, v3, v0, vcc
; %bb.52:
	s_or_b64 exec, exec, s[4:5]
	s_mov_b64 s[4:5], 0
	s_branch .LBB549_54
.LBB549_53:
	s_mov_b64 s[4:5], -1
                                        ; implicit-def: $vgpr1
.LBB549_54:
	v_ashrrev_i32_e32 v3, 31, v2
	s_andn2_b64 vcc, exec, s[4:5]
	v_mul_lo_u32 v4, v2, s25
	v_mul_lo_u32 v5, v3, s24
	s_cbranch_vccnz .LBB549_64
; %bb.55:
	v_mad_u64_u32 v[6:7], s[4:5], v2, s24, 0
	v_add3_u32 v7, v7, v4, v5
	v_lshl_add_u64 v[6:7], v[6:7], 1, s[26:27]
	global_load_ushort v1, v[6:7], off
	s_mov_b32 s4, 0x7f800000
	s_waitcnt vmcnt(0)
	v_lshlrev_b32_e32 v1, 16, v1
	v_mul_f32_e32 v1, s31, v1
	v_and_b32_e32 v3, 0x7f800000, v1
	v_cmp_ne_u32_e32 vcc, s4, v3
                                        ; implicit-def: $vgpr3
	s_and_saveexec_b64 s[4:5], vcc
	s_xor_b64 s[4:5], exec, s[4:5]
; %bb.56:
	v_bfe_u32 v3, v1, 16, 1
	s_movk_i32 s6, 0x7fff
	v_add3_u32 v3, v1, v3, s6
                                        ; implicit-def: $vgpr1
; %bb.57:
	s_andn2_saveexec_b64 s[4:5], s[4:5]
; %bb.58:
	v_mov_b32_e32 v3, 0
	v_or_b32_e32 v6, 0x10000, v1
	v_cmp_eq_u32_sdwa vcc, v1, v3 src0_sel:WORD_0 src1_sel:DWORD
	s_nop 1
	v_cndmask_b32_e32 v3, v6, v1, vcc
; %bb.59:
	s_or_b64 exec, exec, s[4:5]
	v_and_b32_e32 v1, 0xffff0000, v3
	v_add_f32_e32 v0, v0, v1
	s_mov_b32 s4, 0x7f800000
	v_and_b32_e32 v1, 0x7f800000, v0
	v_cmp_ne_u32_e32 vcc, s4, v1
                                        ; implicit-def: $vgpr1
	s_and_saveexec_b64 s[4:5], vcc
	s_xor_b64 s[4:5], exec, s[4:5]
; %bb.60:
	v_bfe_u32 v1, v0, 16, 1
	s_movk_i32 s6, 0x7fff
	v_add3_u32 v1, v0, v1, s6
                                        ; implicit-def: $vgpr0
; %bb.61:
	s_andn2_saveexec_b64 s[4:5], s[4:5]
; %bb.62:
	v_mov_b32_e32 v1, 0
	v_or_b32_e32 v3, 0x10000, v0
	v_cmp_eq_u32_sdwa vcc, v0, v1 src0_sel:WORD_0 src1_sel:DWORD
	s_nop 1
	v_cndmask_b32_e32 v1, v3, v0, vcc
; %bb.63:
	s_or_b64 exec, exec, s[4:5]
.LBB549_64:
	v_lshrrev_b32_e32 v3, 16, v1
	v_mad_u64_u32 v[0:1], s[4:5], v2, s24, 0
	v_add3_u32 v1, v1, v4, v5
	s_or_b64 s[4:5], s[34:35], exec
.LBB549_65:
	s_or_b64 exec, exec, s[2:3]
	s_andn2_b64 s[2:3], s[34:35], exec
	s_and_b64 s[4:5], s[4:5], exec
	s_or_b64 s[34:35], s[2:3], s[4:5]
.LBB549_66:
	s_or_b64 exec, exec, s[0:1]
.LBB549_67:
	s_and_saveexec_b64 s[0:1], s[34:35]
	s_cbranch_execz .LBB549_69
; %bb.68:
	v_lshl_add_u64 v[0:1], v[0:1], 1, s[26:27]
	global_store_short v[0:1], v3, off
.LBB549_69:
	s_endpgm
	.section	.rodata,"a",@progbits
	.p2align	6, 0x0
	.amdhsa_kernel _ZL20rocblas_gemvn_kernelILi32ELi16El16rocblas_bfloat16fS0_EviiT3_lPKT2_lT1_lS4_lS5_lS1_lPT4_lS5_li
		.amdhsa_group_segment_fixed_size 8192
		.amdhsa_private_segment_fixed_size 0
		.amdhsa_kernarg_size 400
		.amdhsa_user_sgpr_count 2
		.amdhsa_user_sgpr_dispatch_ptr 0
		.amdhsa_user_sgpr_queue_ptr 0
		.amdhsa_user_sgpr_kernarg_segment_ptr 1
		.amdhsa_user_sgpr_dispatch_id 0
		.amdhsa_user_sgpr_kernarg_preload_length 0
		.amdhsa_user_sgpr_kernarg_preload_offset 0
		.amdhsa_user_sgpr_private_segment_size 0
		.amdhsa_uses_dynamic_stack 0
		.amdhsa_enable_private_segment 0
		.amdhsa_system_sgpr_workgroup_id_x 1
		.amdhsa_system_sgpr_workgroup_id_y 0
		.amdhsa_system_sgpr_workgroup_id_z 1
		.amdhsa_system_sgpr_workgroup_info 0
		.amdhsa_system_vgpr_workitem_id 1
		.amdhsa_next_free_vgpr 51
		.amdhsa_next_free_sgpr 53
		.amdhsa_accum_offset 52
		.amdhsa_reserve_vcc 1
		.amdhsa_float_round_mode_32 0
		.amdhsa_float_round_mode_16_64 0
		.amdhsa_float_denorm_mode_32 3
		.amdhsa_float_denorm_mode_16_64 3
		.amdhsa_dx10_clamp 1
		.amdhsa_ieee_mode 1
		.amdhsa_fp16_overflow 0
		.amdhsa_tg_split 0
		.amdhsa_exception_fp_ieee_invalid_op 0
		.amdhsa_exception_fp_denorm_src 0
		.amdhsa_exception_fp_ieee_div_zero 0
		.amdhsa_exception_fp_ieee_overflow 0
		.amdhsa_exception_fp_ieee_underflow 0
		.amdhsa_exception_fp_ieee_inexact 0
		.amdhsa_exception_int_div_zero 0
	.end_amdhsa_kernel
	.section	.text._ZL20rocblas_gemvn_kernelILi32ELi16El16rocblas_bfloat16fS0_EviiT3_lPKT2_lT1_lS4_lS5_lS1_lPT4_lS5_li,"axG",@progbits,_ZL20rocblas_gemvn_kernelILi32ELi16El16rocblas_bfloat16fS0_EviiT3_lPKT2_lT1_lS4_lS5_lS1_lPT4_lS5_li,comdat
.Lfunc_end549:
	.size	_ZL20rocblas_gemvn_kernelILi32ELi16El16rocblas_bfloat16fS0_EviiT3_lPKT2_lT1_lS4_lS5_lS1_lPT4_lS5_li, .Lfunc_end549-_ZL20rocblas_gemvn_kernelILi32ELi16El16rocblas_bfloat16fS0_EviiT3_lPKT2_lT1_lS4_lS5_lS1_lPT4_lS5_li
                                        ; -- End function
	.section	.AMDGPU.csdata,"",@progbits
; Kernel info:
; codeLenInByte = 3268
; NumSgprs: 59
; NumVgprs: 51
; NumAgprs: 0
; TotalNumVgprs: 51
; ScratchSize: 0
; MemoryBound: 0
; FloatMode: 240
; IeeeMode: 1
; LDSByteSize: 8192 bytes/workgroup (compile time only)
; SGPRBlocks: 7
; VGPRBlocks: 6
; NumSGPRsForWavesPerEU: 59
; NumVGPRsForWavesPerEU: 51
; AccumOffset: 52
; Occupancy: 8
; WaveLimiterHint : 1
; COMPUTE_PGM_RSRC2:SCRATCH_EN: 0
; COMPUTE_PGM_RSRC2:USER_SGPR: 2
; COMPUTE_PGM_RSRC2:TRAP_HANDLER: 0
; COMPUTE_PGM_RSRC2:TGID_X_EN: 1
; COMPUTE_PGM_RSRC2:TGID_Y_EN: 0
; COMPUTE_PGM_RSRC2:TGID_Z_EN: 1
; COMPUTE_PGM_RSRC2:TIDIG_COMP_CNT: 1
; COMPUTE_PGM_RSRC3_GFX90A:ACCUM_OFFSET: 12
; COMPUTE_PGM_RSRC3_GFX90A:TG_SPLIT: 0
	.section	.text._ZL20rocblas_gemvn_kernelILi64ELi16Ei16rocblas_bfloat16PKfS0_EviiT3_lPKT2_lT1_lS6_lS7_lS3_lPT4_lS7_li,"axG",@progbits,_ZL20rocblas_gemvn_kernelILi64ELi16Ei16rocblas_bfloat16PKfS0_EviiT3_lPKT2_lT1_lS6_lS7_lS3_lPT4_lS7_li,comdat
	.globl	_ZL20rocblas_gemvn_kernelILi64ELi16Ei16rocblas_bfloat16PKfS0_EviiT3_lPKT2_lT1_lS6_lS7_lS3_lPT4_lS7_li ; -- Begin function _ZL20rocblas_gemvn_kernelILi64ELi16Ei16rocblas_bfloat16PKfS0_EviiT3_lPKT2_lT1_lS6_lS7_lS3_lPT4_lS7_li
	.p2align	8
	.type	_ZL20rocblas_gemvn_kernelILi64ELi16Ei16rocblas_bfloat16PKfS0_EviiT3_lPKT2_lT1_lS6_lS7_lS3_lPT4_lS7_li,@function
_ZL20rocblas_gemvn_kernelILi64ELi16Ei16rocblas_bfloat16PKfS0_EviiT3_lPKT2_lT1_lS6_lS7_lS3_lPT4_lS7_li: ; @_ZL20rocblas_gemvn_kernelILi64ELi16Ei16rocblas_bfloat16PKfS0_EviiT3_lPKT2_lT1_lS6_lS7_lS3_lPT4_lS7_li
; %bb.0:
	s_load_dwordx2 s[4:5], s[0:1], 0x9c
	s_waitcnt lgkmcnt(0)
	s_lshr_b32 s6, s4, 16
	s_and_b32 s4, s4, 0xffff
	s_and_b32 s5, s5, 0xffff
	s_mul_i32 s4, s6, s4
	s_mul_i32 s4, s4, s5
	s_cmpk_lg_i32 s4, 0x400
	s_cbranch_scc1 .LBB550_69
; %bb.1:
	s_load_dwordx8 s[12:19], s[0:1], 0x8
	s_load_dwordx8 s[4:11], s[0:1], 0x50
	s_waitcnt lgkmcnt(0)
	s_mul_i32 s15, s3, s15
	s_mul_hi_u32 s20, s3, s14
	s_mul_i32 s14, s3, s14
	s_add_i32 s15, s20, s15
	s_lshl_b64 s[14:15], s[14:15], 2
	s_add_u32 s12, s12, s14
	s_addc_u32 s13, s13, s15
	s_mul_i32 s9, s3, s9
	s_load_dword s30, s[12:13], 0x0
	s_mul_hi_u32 s12, s3, s8
	s_add_i32 s9, s12, s9
	s_mul_i32 s8, s3, s8
	s_lshl_b64 s[8:9], s[8:9], 2
	s_add_u32 s6, s6, s8
	s_addc_u32 s7, s7, s9
	s_load_dword s28, s[6:7], 0x0
	s_waitcnt lgkmcnt(0)
	v_cmp_eq_f32_e64 s[6:7], s30, 0
	v_cmp_eq_f32_e64 s[8:9], s28, 1.0
	s_and_b64 s[6:7], s[6:7], s[8:9]
	s_and_b64 vcc, exec, s[6:7]
	s_cbranch_vccnz .LBB550_69
; %bb.2:
	s_load_dwordx2 s[6:7], s[0:1], 0x80
	s_load_dword s29, s[0:1], 0x78
	s_load_dwordx2 s[8:9], s[0:1], 0x70
	s_load_dwordx2 s[12:13], s[0:1], 0x0
	v_and_b32_e32 v2, 0x3ff, v0
	s_waitcnt lgkmcnt(0)
	s_mul_i32 s7, s3, s7
	s_mul_hi_u32 s14, s3, s6
	s_add_i32 s7, s14, s7
	s_mul_i32 s6, s3, s6
	s_lshl_b64 s[6:7], s[6:7], 1
	s_add_u32 s10, s10, s6
	s_addc_u32 s11, s11, s7
	s_lshl_b64 s[6:7], s[8:9], 1
	s_add_u32 s8, s10, s6
	s_addc_u32 s9, s11, s7
	v_bfe_u32 v18, v0, 10, 10
	v_cmp_neq_f32_e64 s[6:7], s30, 0
	v_lshl_add_u32 v3, v18, 6, v2
	s_and_b64 vcc, exec, s[6:7]
	s_cbranch_vccnz .LBB550_13
; %bb.3:
	s_movk_i32 s6, 0x100
	v_cmp_gt_u32_e32 vcc, s6, v3
	s_mov_b64 s[6:7], 0
	s_mov_b64 s[10:11], 0
                                        ; implicit-def: $vgpr5
                                        ; implicit-def: $vgpr0_vgpr1
	s_and_saveexec_b64 s[14:15], vcc
	s_cbranch_execz .LBB550_14
; %bb.4:
	v_lshl_or_b32 v4, s2, 8, v3
	v_mov_b32_e32 v5, 0
	s_ashr_i32 s11, s12, 31
	s_mov_b32 s10, s12
	v_cmp_gt_i64_e32 vcc, s[10:11], v[4:5]
	s_mov_b64 s[20:21], 0
                                        ; implicit-def: $vgpr0_vgpr1
	s_and_saveexec_b64 s[10:11], vcc
	s_cbranch_execz .LBB550_12
; %bb.5:
	v_mad_u64_u32 v[0:1], s[22:23], s29, v4, 0
	s_ashr_i32 s24, s29, 31
	v_mov_b32_e32 v6, v1
	v_cmp_eq_f32_e64 s[20:21], s28, 0
	v_mad_u64_u32 v[6:7], s[22:23], s24, v4, v[6:7]
	v_mov_b32_e32 v1, v6
	s_and_b64 vcc, exec, s[20:21]
	s_cbranch_vccnz .LBB550_11
; %bb.6:
	v_lshl_add_u64 v[4:5], v[0:1], 1, s[8:9]
	global_load_ushort v4, v[4:5], off
	s_mov_b32 s20, 0x7f800000
	s_waitcnt vmcnt(0)
	v_lshlrev_b32_e32 v4, 16, v4
	v_mul_f32_e32 v4, s28, v4
	v_and_b32_e32 v5, 0x7f800000, v4
	v_cmp_ne_u32_e32 vcc, s20, v5
                                        ; implicit-def: $vgpr5
	s_and_saveexec_b64 s[20:21], vcc
	s_xor_b64 s[20:21], exec, s[20:21]
; %bb.7:
	v_bfe_u32 v5, v4, 16, 1
	s_movk_i32 s22, 0x7fff
	v_add3_u32 v5, v4, v5, s22
                                        ; implicit-def: $vgpr4
; %bb.8:
	s_andn2_saveexec_b64 s[20:21], s[20:21]
; %bb.9:
	v_mov_b32_e32 v5, 0
	v_or_b32_e32 v6, 0x10000, v4
	v_cmp_eq_u32_sdwa vcc, v4, v5 src0_sel:WORD_0 src1_sel:DWORD
	s_nop 1
	v_cndmask_b32_e32 v5, v6, v4, vcc
; %bb.10:
	s_or_b64 exec, exec, s[20:21]
	v_lshrrev_b32_e32 v5, 16, v5
.LBB550_11:
	s_mov_b64 s[20:21], exec
.LBB550_12:
	s_or_b64 exec, exec, s[10:11]
	s_and_b64 s[10:11], s[20:21], exec
	s_or_b64 exec, exec, s[14:15]
	s_and_b64 vcc, exec, s[6:7]
	s_cbranch_vccnz .LBB550_15
	s_branch .LBB550_67
.LBB550_13:
	s_mov_b64 s[10:11], 0
                                        ; implicit-def: $vgpr5
                                        ; implicit-def: $vgpr0_vgpr1
	s_cbranch_execnz .LBB550_15
	s_branch .LBB550_67
.LBB550_14:
	s_or_b64 exec, exec, s[14:15]
	s_and_b64 vcc, exec, s[6:7]
	s_cbranch_vccz .LBB550_67
.LBB550_15:
	s_load_dwordx4 s[20:23], s[0:1], 0x30
	s_load_dword s33, s[0:1], 0x28
	s_load_dwordx2 s[6:7], s[0:1], 0x40
	s_load_dword s34, s[0:1], 0x48
	v_lshlrev_b32_e32 v24, 2, v18
	s_waitcnt lgkmcnt(0)
	s_mul_i32 s0, s3, s21
	s_mul_hi_u32 s1, s3, s20
	s_add_i32 s1, s1, s0
	s_mul_i32 s0, s3, s20
	s_lshl_b64 s[0:1], s[0:1], 1
	s_add_u32 s14, s16, s0
	s_addc_u32 s15, s17, s1
	s_lshl_b64 s[0:1], s[18:19], 1
	s_add_u32 s14, s14, s0
	s_addc_u32 s15, s15, s1
	s_mul_i32 s0, s3, s5
	s_mul_hi_u32 s1, s3, s4
	s_add_i32 s1, s1, s0
	s_mul_i32 s0, s3, s4
	s_lshl_b64 s[0:1], s[0:1], 1
	s_add_u32 s3, s22, s0
	s_addc_u32 s4, s23, s1
	s_lshl_b64 s[0:1], s[6:7], 1
	s_add_u32 s16, s3, s0
	s_addc_u32 s17, s4, s1
	s_ashr_i32 s0, s13, 31
	s_lshr_b32 s0, s0, 26
	s_add_i32 s35, s13, s0
	s_lshl_b32 s31, s2, 8
	s_andn2_b32 s35, s35, 63
	v_add_u32_e32 v23, s31, v2
	v_cmp_gt_i32_e32 vcc, s35, v24
	v_mov_b32_e32 v19, 0
	v_mov_b32_e32 v20, 0
	v_mov_b32_e32 v21, 0
	v_mov_b32_e32 v22, 0
	s_and_saveexec_b64 s[18:19], vcc
	s_cbranch_execz .LBB550_27
; %bb.16:
	v_add_u32_e32 v0, 64, v23
	v_cmp_gt_i32_e64 s[0:1], s12, v0
	v_add_u32_e32 v0, 0x80, v23
	v_cmp_gt_i32_e64 s[2:3], s12, v0
	;; [unrolled: 2-line block ×3, first 2 shown]
	v_mul_lo_u32 v0, s33, v24
	v_add_u32_e32 v6, 2, v24
	v_add_u32_e32 v7, 3, v24
	v_add3_u32 v25, v0, s33, v2
	v_mad_u64_u32 v[0:1], s[6:7], s33, v6, v[2:3]
	v_mad_u64_u32 v[4:5], s[6:7], s33, v7, v[2:3]
	v_mul_lo_u32 v1, v18, s33
	v_mul_lo_u32 v5, s34, v24
	;; [unrolled: 1-line block ×4, first 2 shown]
	v_cmp_gt_i32_e32 vcc, s12, v23
	s_lshl_b32 s36, s33, 6
	v_lshl_add_u32 v1, v1, 2, v2
	v_add_u32_e32 v5, s34, v5
	s_lshl_b32 s37, s34, 6
	v_mul_lo_u32 v27, s34, v7
	v_lshlrev_b32_e32 v28, 2, v6
	s_mov_b32 s38, 0
	s_mov_b64 s[20:21], 0
	v_mov_b32_e32 v19, 0
	v_mov_b32_e32 v20, 0
	v_mov_b32_e32 v21, 0
	v_mov_b32_e32 v22, 0
	s_branch .LBB550_21
.LBB550_17:                             ;   in Loop: Header=BB550_21 Depth=1
	s_or_b64 exec, exec, s[26:27]
	s_waitcnt vmcnt(3)
	v_lshlrev_b32_e32 v10, 16, v40
	v_fmac_f32_e32 v21, v8, v10
	s_waitcnt vmcnt(2)
	v_lshlrev_b32_e32 v10, 16, v39
	v_fmac_f32_e32 v21, v9, v10
	s_waitcnt vmcnt(1)
	v_lshlrev_b32_e32 v10, 16, v38
	v_fmac_f32_e32 v21, v6, v10
	s_waitcnt vmcnt(0)
	v_lshlrev_b32_e32 v10, 16, v37
	v_fmac_f32_e32 v21, v7, v10
.LBB550_18:                             ;   in Loop: Header=BB550_21 Depth=1
	s_or_b64 exec, exec, s[24:25]
	s_waitcnt vmcnt(3)
	v_lshlrev_b32_e32 v10, 16, v36
	v_fmac_f32_e32 v20, v8, v10
	s_waitcnt vmcnt(2)
	v_lshlrev_b32_e32 v10, 16, v35
	v_fmac_f32_e32 v20, v9, v10
	;; [unrolled: 3-line block ×4, first 2 shown]
.LBB550_19:                             ;   in Loop: Header=BB550_21 Depth=1
	s_or_b64 exec, exec, s[22:23]
	s_waitcnt vmcnt(3)
	v_lshlrev_b32_e32 v10, 16, v32
	v_fmac_f32_e32 v19, v8, v10
	s_waitcnt vmcnt(2)
	v_lshlrev_b32_e32 v8, 16, v31
	v_fmac_f32_e32 v19, v9, v8
	;; [unrolled: 3-line block ×4, first 2 shown]
.LBB550_20:                             ;   in Loop: Header=BB550_21 Depth=1
	s_or_b64 exec, exec, s[6:7]
	v_add_u32_e32 v24, 64, v24
	s_add_i32 s38, s38, s37
	v_cmp_le_i32_e64 s[6:7], s35, v24
	v_add_u32_e32 v25, s36, v25
	v_add_u32_e32 v0, s36, v0
	;; [unrolled: 1-line block ×3, first 2 shown]
	s_or_b64 s[20:21], s[6:7], s[20:21]
	v_add_u32_e32 v1, s36, v1
	s_andn2_b64 exec, exec, s[20:21]
	s_cbranch_execz .LBB550_26
.LBB550_21:                             ; =>This Inner Loop Header: Depth=1
	s_and_saveexec_b64 s[6:7], vcc
	s_cbranch_execz .LBB550_20
; %bb.22:                               ;   in Loop: Header=BB550_21 Depth=1
	v_add_u32_e32 v6, s38, v28
	v_ashrrev_i32_e32 v7, 31, v6
	v_add_u32_e32 v8, s38, v5
	v_add_u32_e32 v10, s38, v26
	;; [unrolled: 1-line block ×3, first 2 shown]
	v_lshl_add_u64 v[6:7], v[6:7], 1, s[16:17]
	v_ashrrev_i32_e32 v9, 31, v8
	v_ashrrev_i32_e32 v11, 31, v10
	;; [unrolled: 1-line block ×3, first 2 shown]
	v_lshl_add_u64 v[8:9], v[8:9], 1, s[16:17]
	v_lshl_add_u64 v[10:11], v[10:11], 1, s[16:17]
	;; [unrolled: 1-line block ×3, first 2 shown]
	global_load_ushort v33, v[6:7], off
	global_load_ushort v34, v[8:9], off
	;; [unrolled: 1-line block ×4, first 2 shown]
	v_add_u32_e32 v6, s31, v1
	v_ashrrev_i32_e32 v7, 31, v6
	v_lshl_add_u64 v[10:11], v[6:7], 1, s[14:15]
	v_add_u32_e32 v6, s31, v25
	v_ashrrev_i32_e32 v7, 31, v6
	v_lshl_add_u64 v[12:13], v[6:7], 1, s[14:15]
	;; [unrolled: 3-line block ×4, first 2 shown]
	global_load_ushort v32, v[10:11], off
	global_load_ushort v31, v[12:13], off
	;; [unrolled: 1-line block ×4, first 2 shown]
	s_waitcnt vmcnt(7)
	v_lshlrev_b32_e32 v8, 16, v33
	s_waitcnt vmcnt(6)
	v_lshlrev_b32_e32 v9, 16, v34
	;; [unrolled: 2-line block ×4, first 2 shown]
	s_and_saveexec_b64 s[22:23], s[0:1]
	s_cbranch_execz .LBB550_19
; %bb.23:                               ;   in Loop: Header=BB550_21 Depth=1
	global_load_ushort v36, v[10:11], off offset:128
	global_load_ushort v35, v[12:13], off offset:128
	global_load_ushort v34, v[14:15], off offset:128
	global_load_ushort v33, v[16:17], off offset:128
	s_and_saveexec_b64 s[24:25], s[2:3]
	s_cbranch_execz .LBB550_18
; %bb.24:                               ;   in Loop: Header=BB550_21 Depth=1
	global_load_ushort v40, v[10:11], off offset:256
	global_load_ushort v39, v[12:13], off offset:256
	global_load_ushort v38, v[14:15], off offset:256
	global_load_ushort v37, v[16:17], off offset:256
	;; [unrolled: 7-line block ×3, first 2 shown]
	s_waitcnt vmcnt(3)
	v_lshlrev_b32_e32 v11, 16, v41
	s_waitcnt vmcnt(2)
	v_lshlrev_b32_e32 v10, 16, v42
	v_pk_mul_f32 v[10:11], v[8:9], v[10:11]
	s_waitcnt vmcnt(1)
	v_lshlrev_b32_e32 v13, 16, v43
	s_waitcnt vmcnt(0)
	v_lshlrev_b32_e32 v12, 16, v44
	v_add_f32_e32 v10, v22, v10
	v_add_f32_e32 v14, v10, v11
	v_pk_mul_f32 v[10:11], v[6:7], v[12:13]
	s_nop 0
	v_add_f32_e32 v10, v14, v10
	v_add_f32_e32 v22, v10, v11
	s_branch .LBB550_17
.LBB550_26:
	s_or_b64 exec, exec, s[20:21]
.LBB550_27:
	s_or_b64 exec, exec, s[18:19]
	s_sub_i32 s0, s13, s35
	s_cmp_lt_i32 s0, 1
	s_cbranch_scc1 .LBB550_45
; %bb.28:
	v_cmp_gt_i32_e32 vcc, s13, v24
	v_mov_b32_e32 v10, 0
	v_or_b32_e32 v4, 1, v24
	v_mov_b32_e32 v11, 0
	v_mov_b32_e32 v12, 0
	;; [unrolled: 1-line block ×3, first 2 shown]
	s_and_saveexec_b64 s[2:3], vcc
	s_cbranch_execz .LBB550_36
; %bb.29:
	v_mul_lo_u32 v0, v24, s34
	v_ashrrev_i32_e32 v1, 31, v0
	v_lshl_add_u64 v[0:1], v[0:1], 1, s[16:17]
	global_load_ushort v0, v[0:1], off
	v_cmp_gt_i32_e64 s[0:1], s13, v4
	v_mov_b32_e32 v12, 0
	v_mov_b32_e32 v11, 0
	;; [unrolled: 1-line block ×3, first 2 shown]
	s_and_saveexec_b64 s[4:5], s[0:1]
	s_cbranch_execz .LBB550_35
; %bb.30:
	v_mul_lo_u32 v6, v4, s34
	v_ashrrev_i32_e32 v7, 31, v6
	v_lshl_add_u64 v[6:7], v[6:7], 1, s[16:17]
	global_load_ushort v1, v[6:7], off
	v_or_b32_e32 v5, 2, v24
	v_cmp_gt_i32_e64 s[0:1], s13, v5
	v_mov_b32_e32 v11, 0
	v_mov_b32_e32 v10, 0
	s_and_saveexec_b64 s[6:7], s[0:1]
	s_cbranch_execz .LBB550_34
; %bb.31:
	v_mul_lo_u32 v6, v5, s34
	v_ashrrev_i32_e32 v7, 31, v6
	v_lshl_add_u64 v[6:7], v[6:7], 1, s[16:17]
	global_load_ushort v5, v[6:7], off
	v_or_b32_e32 v6, 3, v24
	v_cmp_gt_i32_e64 s[0:1], s13, v6
	v_mov_b32_e32 v10, 0
	s_and_saveexec_b64 s[18:19], s[0:1]
	s_cbranch_execz .LBB550_33
; %bb.32:
	v_mul_lo_u32 v6, v6, s34
	v_ashrrev_i32_e32 v7, 31, v6
	v_lshl_add_u64 v[6:7], v[6:7], 1, s[16:17]
	global_load_ushort v6, v[6:7], off
	s_waitcnt vmcnt(0)
	v_lshlrev_b32_e32 v10, 16, v6
.LBB550_33:
	s_or_b64 exec, exec, s[18:19]
	s_waitcnt vmcnt(0)
	v_lshlrev_b32_e32 v11, 16, v5
.LBB550_34:
	s_or_b64 exec, exec, s[6:7]
	s_waitcnt vmcnt(0)
	v_lshlrev_b32_e32 v12, 16, v1
.LBB550_35:
	s_or_b64 exec, exec, s[4:5]
	s_waitcnt vmcnt(0)
	v_lshlrev_b32_e32 v13, 16, v0
.LBB550_36:
	s_or_b64 exec, exec, s[2:3]
	v_cmp_gt_i32_e64 s[0:1], s12, v23
	s_and_saveexec_b64 s[2:3], s[0:1]
	s_cbranch_execz .LBB550_44
; %bb.37:
	v_mul_lo_u32 v0, v24, s33
	v_cndmask_b32_e32 v0, 0, v0, vcc
	v_mul_lo_u32 v5, v4, s33
	v_cmp_gt_i32_e32 vcc, s13, v4
	v_or_b32_e32 v6, 2, v24
	v_add_u32_e32 v0, v0, v23
	v_cndmask_b32_e32 v4, 0, v5, vcc
	v_mul_lo_u32 v7, v6, s33
	v_cmp_gt_i32_e32 vcc, s13, v6
	v_or_b32_e32 v8, 3, v24
	v_ashrrev_i32_e32 v1, 31, v0
	v_add_u32_e32 v4, v4, v23
	v_cndmask_b32_e32 v6, 0, v7, vcc
	v_mul_lo_u32 v9, v8, s33
	v_cmp_gt_i32_e32 vcc, s13, v8
	v_lshl_add_u64 v[0:1], v[0:1], 1, s[14:15]
	v_ashrrev_i32_e32 v5, 31, v4
	v_add_u32_e32 v6, v6, v23
	v_cndmask_b32_e32 v8, 0, v9, vcc
	v_lshl_add_u64 v[4:5], v[4:5], 1, s[14:15]
	v_ashrrev_i32_e32 v7, 31, v6
	v_add_u32_e32 v8, v8, v23
	global_load_ushort v14, v[0:1], off
	global_load_ushort v15, v[4:5], off
	v_lshl_add_u64 v[6:7], v[6:7], 1, s[14:15]
	v_ashrrev_i32_e32 v9, 31, v8
	v_lshl_add_u64 v[8:9], v[8:9], 1, s[14:15]
	global_load_ushort v16, v[6:7], off
	global_load_ushort v17, v[8:9], off
	v_add_u32_e32 v24, 64, v23
	v_cmp_gt_i32_e32 vcc, s12, v24
	s_waitcnt vmcnt(3)
	v_lshlrev_b32_e32 v14, 16, v14
	s_waitcnt vmcnt(2)
	v_lshlrev_b32_e32 v15, 16, v15
	v_fmac_f32_e32 v19, v13, v14
	v_fmac_f32_e32 v19, v12, v15
	s_waitcnt vmcnt(1)
	v_lshlrev_b32_e32 v16, 16, v16
	s_waitcnt vmcnt(0)
	v_lshlrev_b32_e32 v14, 16, v17
	v_fmac_f32_e32 v19, v11, v16
	s_and_saveexec_b64 s[0:1], vcc
	s_cbranch_execz .LBB550_43
; %bb.38:
	global_load_ushort v15, v[0:1], off offset:128
	global_load_ushort v16, v[4:5], off offset:128
	;; [unrolled: 1-line block ×4, first 2 shown]
	v_add_u32_e32 v25, 0x80, v23
	v_cmp_gt_i32_e32 vcc, s12, v25
	s_waitcnt vmcnt(3)
	v_lshlrev_b32_e32 v26, 16, v15
	s_waitcnt vmcnt(2)
	v_lshlrev_b32_e32 v16, 16, v16
	v_fmac_f32_e32 v20, v13, v26
	s_waitcnt vmcnt(1)
	v_lshlrev_b32_e32 v17, 16, v17
	v_fmac_f32_e32 v20, v12, v16
	;; [unrolled: 3-line block ×3, first 2 shown]
	s_and_saveexec_b64 s[4:5], vcc
	s_cbranch_execz .LBB550_42
; %bb.39:
	global_load_ushort v16, v[0:1], off offset:256
	global_load_ushort v17, v[4:5], off offset:256
	;; [unrolled: 1-line block ×4, first 2 shown]
	v_add_u32_e32 v23, 0xc0, v23
	v_cmp_gt_i32_e32 vcc, s12, v23
	s_waitcnt vmcnt(3)
	v_lshlrev_b32_e32 v26, 16, v16
	s_waitcnt vmcnt(2)
	v_lshlrev_b32_e32 v17, 16, v17
	v_fmac_f32_e32 v21, v13, v26
	s_waitcnt vmcnt(1)
	v_lshlrev_b32_e32 v24, 16, v24
	v_fmac_f32_e32 v21, v12, v17
	;; [unrolled: 3-line block ×3, first 2 shown]
	s_and_saveexec_b64 s[6:7], vcc
	s_cbranch_execz .LBB550_41
; %bb.40:
	global_load_ushort v17, v[0:1], off offset:384
	global_load_ushort v23, v[4:5], off offset:384
	;; [unrolled: 1-line block ×4, first 2 shown]
	s_waitcnt vmcnt(3)
	v_lshlrev_b32_e32 v0, 16, v17
	s_waitcnt vmcnt(2)
	v_lshlrev_b32_e32 v1, 16, v23
	v_fmac_f32_e32 v22, v13, v0
	s_waitcnt vmcnt(1)
	v_lshlrev_b32_e32 v4, 16, v24
	v_fmac_f32_e32 v22, v12, v1
	v_fmac_f32_e32 v22, v11, v4
	s_waitcnt vmcnt(0)
	v_lshlrev_b32_e32 v0, 16, v25
	v_fmac_f32_e32 v22, v10, v0
.LBB550_41:
	s_or_b64 exec, exec, s[6:7]
	v_fmac_f32_e32 v21, v10, v16
.LBB550_42:
	s_or_b64 exec, exec, s[4:5]
	v_fmac_f32_e32 v20, v10, v15
.LBB550_43:
	s_or_b64 exec, exec, s[0:1]
	v_fmac_f32_e32 v19, v10, v14
.LBB550_44:
	s_or_b64 exec, exec, s[2:3]
.LBB550_45:
	v_lshlrev_b32_e32 v0, 8, v18
	s_movk_i32 s0, 0x100
	v_add_lshl_u32 v0, v0, v2, 2
	v_cmp_gt_u32_e32 vcc, s0, v3
	ds_write2st64_b32 v0, v19, v20 offset1:1
	ds_write2st64_b32 v0, v21, v22 offset0:2 offset1:3
	s_waitcnt lgkmcnt(0)
	s_barrier
	s_waitcnt lgkmcnt(0)
                                        ; implicit-def: $vgpr5
                                        ; implicit-def: $vgpr0_vgpr1
	s_and_saveexec_b64 s[0:1], vcc
	s_cbranch_execz .LBB550_66
; %bb.46:
	v_lshlrev_b32_e32 v12, 2, v3
	ds_read2st64_b32 v[0:1], v12 offset1:4
	ds_read2st64_b32 v[4:5], v12 offset0:8 offset1:12
	ds_read2st64_b32 v[6:7], v12 offset0:16 offset1:20
	;; [unrolled: 1-line block ×4, first 2 shown]
	s_waitcnt lgkmcnt(4)
	v_add_f32_e32 v0, v0, v1
	s_waitcnt lgkmcnt(3)
	v_add_f32_e32 v0, v4, v0
	v_add_f32_e32 v0, v5, v0
	s_waitcnt lgkmcnt(2)
	v_add_f32_e32 v0, v6, v0
	;; [unrolled: 3-line block ×3, first 2 shown]
	v_add_f32_e32 v2, v9, v0
	ds_read2st64_b32 v[0:1], v12 offset0:40 offset1:44
	ds_read2st64_b32 v[4:5], v12 offset0:48 offset1:52
	s_waitcnt lgkmcnt(2)
	v_add_f32_e32 v2, v10, v2
	v_add_f32_e32 v2, v11, v2
	ds_read2st64_b32 v[6:7], v12 offset0:56 offset1:60
	s_waitcnt lgkmcnt(2)
	v_add_f32_e32 v0, v0, v2
	v_add_f32_e32 v0, v1, v0
	s_waitcnt lgkmcnt(1)
	v_add_f32_e32 v0, v4, v0
	v_add_f32_e32 v0, v5, v0
	s_waitcnt lgkmcnt(0)
	v_add_f32_e32 v0, v6, v0
	v_or_b32_e32 v4, s31, v3
	v_add_f32_e32 v2, v7, v0
	v_cmp_gt_i32_e32 vcc, s12, v4
	s_mov_b64 s[4:5], s[10:11]
	ds_write_b32 v12, v2
                                        ; implicit-def: $vgpr5
                                        ; implicit-def: $vgpr0_vgpr1
	s_and_saveexec_b64 s[2:3], vcc
	s_cbranch_execz .LBB550_65
; %bb.47:
	v_cmp_eq_f32_e64 s[4:5], s28, 0
	v_mul_f32_e32 v2, s30, v2
	s_and_b64 vcc, exec, s[4:5]
	s_cbranch_vccz .LBB550_53
; %bb.48:
	s_mov_b32 s4, 0x7f800000
	v_and_b32_e32 v0, 0x7f800000, v2
	v_cmp_ne_u32_e32 vcc, s4, v0
                                        ; implicit-def: $vgpr3
	s_and_saveexec_b64 s[4:5], vcc
	s_xor_b64 s[4:5], exec, s[4:5]
; %bb.49:
	v_bfe_u32 v0, v2, 16, 1
	s_movk_i32 s6, 0x7fff
	v_add3_u32 v3, v2, v0, s6
; %bb.50:
	s_andn2_saveexec_b64 s[4:5], s[4:5]
; %bb.51:
	v_mov_b32_e32 v0, 0
	v_or_b32_e32 v1, 0x10000, v2
	v_cmp_eq_u32_sdwa vcc, v2, v0 src0_sel:WORD_0 src1_sel:DWORD
	s_nop 1
	v_cndmask_b32_e32 v3, v1, v2, vcc
; %bb.52:
	s_or_b64 exec, exec, s[4:5]
	s_mov_b64 s[4:5], 0
	s_branch .LBB550_54
.LBB550_53:
	s_mov_b64 s[4:5], -1
                                        ; implicit-def: $vgpr3
.LBB550_54:
	v_mul_lo_u32 v0, v4, s29
	s_andn2_b64 vcc, exec, s[4:5]
	v_ashrrev_i32_e32 v1, 31, v0
	s_cbranch_vccnz .LBB550_64
; %bb.55:
	v_lshl_add_u64 v[4:5], v[0:1], 1, s[8:9]
	global_load_ushort v3, v[4:5], off
	s_mov_b32 s4, 0x7f800000
	s_waitcnt vmcnt(0)
	v_lshlrev_b32_e32 v3, 16, v3
	v_mul_f32_e32 v3, s28, v3
	v_and_b32_e32 v4, 0x7f800000, v3
	v_cmp_ne_u32_e32 vcc, s4, v4
                                        ; implicit-def: $vgpr4
	s_and_saveexec_b64 s[4:5], vcc
	s_xor_b64 s[4:5], exec, s[4:5]
; %bb.56:
	v_bfe_u32 v4, v3, 16, 1
	s_movk_i32 s6, 0x7fff
	v_add3_u32 v4, v3, v4, s6
                                        ; implicit-def: $vgpr3
; %bb.57:
	s_andn2_saveexec_b64 s[4:5], s[4:5]
; %bb.58:
	v_mov_b32_e32 v4, 0
	v_or_b32_e32 v5, 0x10000, v3
	v_cmp_eq_u32_sdwa vcc, v3, v4 src0_sel:WORD_0 src1_sel:DWORD
	s_nop 1
	v_cndmask_b32_e32 v4, v5, v3, vcc
; %bb.59:
	s_or_b64 exec, exec, s[4:5]
	v_and_b32_e32 v3, 0xffff0000, v4
	v_add_f32_e32 v2, v2, v3
	s_mov_b32 s4, 0x7f800000
	v_and_b32_e32 v3, 0x7f800000, v2
	v_cmp_ne_u32_e32 vcc, s4, v3
                                        ; implicit-def: $vgpr3
	s_and_saveexec_b64 s[4:5], vcc
	s_xor_b64 s[4:5], exec, s[4:5]
; %bb.60:
	v_bfe_u32 v3, v2, 16, 1
	s_movk_i32 s6, 0x7fff
	v_add3_u32 v3, v2, v3, s6
                                        ; implicit-def: $vgpr2
; %bb.61:
	s_andn2_saveexec_b64 s[4:5], s[4:5]
; %bb.62:
	v_mov_b32_e32 v3, 0
	v_or_b32_e32 v4, 0x10000, v2
	v_cmp_eq_u32_sdwa vcc, v2, v3 src0_sel:WORD_0 src1_sel:DWORD
	s_nop 1
	v_cndmask_b32_e32 v3, v4, v2, vcc
; %bb.63:
	s_or_b64 exec, exec, s[4:5]
.LBB550_64:
	v_lshrrev_b32_e32 v5, 16, v3
	s_or_b64 s[4:5], s[10:11], exec
.LBB550_65:
	s_or_b64 exec, exec, s[2:3]
	s_andn2_b64 s[2:3], s[10:11], exec
	s_and_b64 s[4:5], s[4:5], exec
	s_or_b64 s[10:11], s[2:3], s[4:5]
.LBB550_66:
	s_or_b64 exec, exec, s[0:1]
.LBB550_67:
	s_and_saveexec_b64 s[0:1], s[10:11]
	s_cbranch_execz .LBB550_69
; %bb.68:
	v_lshl_add_u64 v[0:1], v[0:1], 1, s[8:9]
	global_store_short v[0:1], v5, off
.LBB550_69:
	s_endpgm
	.section	.rodata,"a",@progbits
	.p2align	6, 0x0
	.amdhsa_kernel _ZL20rocblas_gemvn_kernelILi64ELi16Ei16rocblas_bfloat16PKfS0_EviiT3_lPKT2_lT1_lS6_lS7_lS3_lPT4_lS7_li
		.amdhsa_group_segment_fixed_size 16384
		.amdhsa_private_segment_fixed_size 0
		.amdhsa_kernarg_size 400
		.amdhsa_user_sgpr_count 2
		.amdhsa_user_sgpr_dispatch_ptr 0
		.amdhsa_user_sgpr_queue_ptr 0
		.amdhsa_user_sgpr_kernarg_segment_ptr 1
		.amdhsa_user_sgpr_dispatch_id 0
		.amdhsa_user_sgpr_kernarg_preload_length 0
		.amdhsa_user_sgpr_kernarg_preload_offset 0
		.amdhsa_user_sgpr_private_segment_size 0
		.amdhsa_uses_dynamic_stack 0
		.amdhsa_enable_private_segment 0
		.amdhsa_system_sgpr_workgroup_id_x 1
		.amdhsa_system_sgpr_workgroup_id_y 0
		.amdhsa_system_sgpr_workgroup_id_z 1
		.amdhsa_system_sgpr_workgroup_info 0
		.amdhsa_system_vgpr_workitem_id 1
		.amdhsa_next_free_vgpr 45
		.amdhsa_next_free_sgpr 39
		.amdhsa_accum_offset 48
		.amdhsa_reserve_vcc 1
		.amdhsa_float_round_mode_32 0
		.amdhsa_float_round_mode_16_64 0
		.amdhsa_float_denorm_mode_32 3
		.amdhsa_float_denorm_mode_16_64 3
		.amdhsa_dx10_clamp 1
		.amdhsa_ieee_mode 1
		.amdhsa_fp16_overflow 0
		.amdhsa_tg_split 0
		.amdhsa_exception_fp_ieee_invalid_op 0
		.amdhsa_exception_fp_denorm_src 0
		.amdhsa_exception_fp_ieee_div_zero 0
		.amdhsa_exception_fp_ieee_overflow 0
		.amdhsa_exception_fp_ieee_underflow 0
		.amdhsa_exception_fp_ieee_inexact 0
		.amdhsa_exception_int_div_zero 0
	.end_amdhsa_kernel
	.section	.text._ZL20rocblas_gemvn_kernelILi64ELi16Ei16rocblas_bfloat16PKfS0_EviiT3_lPKT2_lT1_lS6_lS7_lS3_lPT4_lS7_li,"axG",@progbits,_ZL20rocblas_gemvn_kernelILi64ELi16Ei16rocblas_bfloat16PKfS0_EviiT3_lPKT2_lT1_lS6_lS7_lS3_lPT4_lS7_li,comdat
.Lfunc_end550:
	.size	_ZL20rocblas_gemvn_kernelILi64ELi16Ei16rocblas_bfloat16PKfS0_EviiT3_lPKT2_lT1_lS6_lS7_lS3_lPT4_lS7_li, .Lfunc_end550-_ZL20rocblas_gemvn_kernelILi64ELi16Ei16rocblas_bfloat16PKfS0_EviiT3_lPKT2_lT1_lS6_lS7_lS3_lPT4_lS7_li
                                        ; -- End function
	.section	.AMDGPU.csdata,"",@progbits
; Kernel info:
; codeLenInByte = 3016
; NumSgprs: 45
; NumVgprs: 45
; NumAgprs: 0
; TotalNumVgprs: 45
; ScratchSize: 0
; MemoryBound: 0
; FloatMode: 240
; IeeeMode: 1
; LDSByteSize: 16384 bytes/workgroup (compile time only)
; SGPRBlocks: 5
; VGPRBlocks: 5
; NumSGPRsForWavesPerEU: 45
; NumVGPRsForWavesPerEU: 45
; AccumOffset: 48
; Occupancy: 8
; WaveLimiterHint : 1
; COMPUTE_PGM_RSRC2:SCRATCH_EN: 0
; COMPUTE_PGM_RSRC2:USER_SGPR: 2
; COMPUTE_PGM_RSRC2:TRAP_HANDLER: 0
; COMPUTE_PGM_RSRC2:TGID_X_EN: 1
; COMPUTE_PGM_RSRC2:TGID_Y_EN: 0
; COMPUTE_PGM_RSRC2:TGID_Z_EN: 1
; COMPUTE_PGM_RSRC2:TIDIG_COMP_CNT: 1
; COMPUTE_PGM_RSRC3_GFX90A:ACCUM_OFFSET: 11
; COMPUTE_PGM_RSRC3_GFX90A:TG_SPLIT: 0
	.section	.text._ZL20rocblas_gemvn_kernelILi64ELi16El16rocblas_bfloat16PKfS0_EviiT3_lPKT2_lT1_lS6_lS7_lS3_lPT4_lS7_li,"axG",@progbits,_ZL20rocblas_gemvn_kernelILi64ELi16El16rocblas_bfloat16PKfS0_EviiT3_lPKT2_lT1_lS6_lS7_lS3_lPT4_lS7_li,comdat
	.globl	_ZL20rocblas_gemvn_kernelILi64ELi16El16rocblas_bfloat16PKfS0_EviiT3_lPKT2_lT1_lS6_lS7_lS3_lPT4_lS7_li ; -- Begin function _ZL20rocblas_gemvn_kernelILi64ELi16El16rocblas_bfloat16PKfS0_EviiT3_lPKT2_lT1_lS6_lS7_lS3_lPT4_lS7_li
	.p2align	8
	.type	_ZL20rocblas_gemvn_kernelILi64ELi16El16rocblas_bfloat16PKfS0_EviiT3_lPKT2_lT1_lS6_lS7_lS3_lPT4_lS7_li,@function
_ZL20rocblas_gemvn_kernelILi64ELi16El16rocblas_bfloat16PKfS0_EviiT3_lPKT2_lT1_lS6_lS7_lS3_lPT4_lS7_li: ; @_ZL20rocblas_gemvn_kernelILi64ELi16El16rocblas_bfloat16PKfS0_EviiT3_lPKT2_lT1_lS6_lS7_lS3_lPT4_lS7_li
; %bb.0:
	s_load_dwordx2 s[4:5], s[0:1], 0x9c
	s_waitcnt lgkmcnt(0)
	s_lshr_b32 s6, s4, 16
	s_and_b32 s4, s4, 0xffff
	s_and_b32 s5, s5, 0xffff
	s_mul_i32 s4, s6, s4
	s_mul_i32 s4, s4, s5
	s_cmpk_lg_i32 s4, 0x400
	s_cbranch_scc1 .LBB551_69
; %bb.1:
	s_load_dwordx16 s[36:51], s[0:1], 0x8
	s_load_dwordx16 s[8:23], s[0:1], 0x48
	s_waitcnt lgkmcnt(0)
	s_mul_i32 s5, s3, s39
	s_mul_hi_u32 s6, s3, s38
	s_mul_i32 s4, s3, s38
	s_add_i32 s5, s6, s5
	s_lshl_b64 s[4:5], s[4:5], 2
	s_add_u32 s4, s36, s4
	s_addc_u32 s5, s37, s5
	s_mul_i32 s7, s3, s15
	s_load_dword s52, s[4:5], 0x0
	s_mul_hi_u32 s4, s3, s14
	s_add_i32 s5, s4, s7
	s_mul_i32 s4, s3, s14
	s_lshl_b64 s[4:5], s[4:5], 2
	s_add_u32 s4, s12, s4
	s_addc_u32 s5, s13, s5
	s_load_dword s33, s[4:5], 0x0
	s_waitcnt lgkmcnt(0)
	v_cmp_eq_f32_e64 s[4:5], s52, 0
	v_cmp_eq_f32_e64 s[6:7], s33, 1.0
	s_and_b64 s[4:5], s[4:5], s[6:7]
	s_and_b64 vcc, exec, s[4:5]
	s_cbranch_vccnz .LBB551_69
; %bb.2:
	s_load_dwordx2 s[24:25], s[0:1], 0x0
	s_mul_i32 s0, s3, s23
	s_mul_hi_u32 s1, s3, s22
	s_add_i32 s1, s1, s0
	s_mul_i32 s0, s3, s22
	s_lshl_b64 s[0:1], s[0:1], 1
	s_add_u32 s4, s16, s0
	s_addc_u32 s5, s17, s1
	s_lshl_b64 s[0:1], s[18:19], 1
	s_add_u32 s12, s4, s0
	s_addc_u32 s13, s5, s1
	v_and_b32_e32 v33, 0x3ff, v0
	v_bfe_u32 v34, v0, 10, 10
	v_cmp_neq_f32_e64 s[0:1], s52, 0
	v_lshl_add_u32 v32, v34, 6, v33
	s_and_b64 vcc, exec, s[0:1]
	s_cbranch_vccnz .LBB551_13
; %bb.3:
	s_movk_i32 s0, 0x100
	v_cmp_gt_u32_e32 vcc, s0, v32
	s_mov_b64 s[0:1], 0
	s_mov_b64 s[14:15], 0
                                        ; implicit-def: $vgpr3
                                        ; implicit-def: $vgpr0_vgpr1
	s_and_saveexec_b64 s[4:5], vcc
	s_cbranch_execz .LBB551_14
; %bb.4:
	v_lshl_or_b32 v2, s2, 8, v32
	v_mov_b32_e32 v3, 0
	s_waitcnt lgkmcnt(0)
	s_ashr_i32 s7, s24, 31
	s_mov_b32 s6, s24
	v_cmp_gt_i64_e32 vcc, s[6:7], v[2:3]
                                        ; implicit-def: $vgpr0_vgpr1
	s_and_saveexec_b64 s[6:7], vcc
	s_cbranch_execz .LBB551_12
; %bb.5:
	v_mad_u64_u32 v[0:1], s[16:17], v2, s20, 0
	v_mov_b32_e32 v4, v1
	v_cmp_eq_f32_e64 s[14:15], s33, 0
	v_mad_u64_u32 v[4:5], s[16:17], v2, s21, v[4:5]
	v_mov_b32_e32 v1, v4
	s_and_b64 vcc, exec, s[14:15]
	s_cbranch_vccnz .LBB551_11
; %bb.6:
	v_lshl_add_u64 v[2:3], v[0:1], 1, s[12:13]
	global_load_ushort v2, v[2:3], off
	s_mov_b32 s14, 0x7f800000
	s_waitcnt vmcnt(0)
	v_lshlrev_b32_e32 v2, 16, v2
	v_mul_f32_e32 v2, s33, v2
	v_and_b32_e32 v3, 0x7f800000, v2
	v_cmp_ne_u32_e32 vcc, s14, v3
                                        ; implicit-def: $vgpr3
	s_and_saveexec_b64 s[14:15], vcc
	s_xor_b64 s[14:15], exec, s[14:15]
; %bb.7:
	v_bfe_u32 v3, v2, 16, 1
	s_movk_i32 s16, 0x7fff
	v_add3_u32 v3, v2, v3, s16
                                        ; implicit-def: $vgpr2
; %bb.8:
	s_andn2_saveexec_b64 s[14:15], s[14:15]
; %bb.9:
	v_mov_b32_e32 v3, 0
	v_or_b32_e32 v4, 0x10000, v2
	v_cmp_eq_u32_sdwa vcc, v2, v3 src0_sel:WORD_0 src1_sel:DWORD
	s_nop 1
	v_cndmask_b32_e32 v3, v4, v2, vcc
; %bb.10:
	s_or_b64 exec, exec, s[14:15]
	v_lshrrev_b32_e32 v3, 16, v3
.LBB551_11:
	s_mov_b64 s[14:15], exec
.LBB551_12:
	s_or_b64 exec, exec, s[6:7]
	s_and_b64 s[14:15], s[14:15], exec
	s_or_b64 exec, exec, s[4:5]
	s_and_b64 vcc, exec, s[0:1]
	s_cbranch_vccnz .LBB551_15
	s_branch .LBB551_67
.LBB551_13:
	s_mov_b64 s[14:15], 0
                                        ; implicit-def: $vgpr3
                                        ; implicit-def: $vgpr0_vgpr1
	s_cbranch_execnz .LBB551_15
	s_branch .LBB551_67
.LBB551_14:
	s_or_b64 exec, exec, s[4:5]
	s_and_b64 vcc, exec, s[0:1]
	s_cbranch_vccz .LBB551_67
.LBB551_15:
	s_mul_i32 s0, s3, s47
	s_mul_hi_u32 s1, s3, s46
	s_add_i32 s17, s1, s0
	s_mul_i32 s0, s3, s11
	s_mul_hi_u32 s1, s3, s10
	s_add_i32 s11, s1, s0
	s_waitcnt lgkmcnt(0)
	s_ashr_i32 s0, s25, 31
	s_lshr_b32 s0, s0, 26
	s_add_i32 s47, s25, s0
	s_mul_i32 s16, s3, s46
	s_lshl_b32 s46, s2, 8
	s_andn2_b32 s47, s47, 63
	v_lshlrev_b32_e32 v39, 2, v34
	s_mul_i32 s10, s3, s10
	v_add_u32_e32 v0, s46, v33
	v_cmp_gt_i32_e32 vcc, s47, v39
	v_mov_b32_e32 v35, 0
	v_mov_b32_e32 v36, 0
	;; [unrolled: 1-line block ×4, first 2 shown]
	s_and_saveexec_b64 s[18:19], vcc
	s_cbranch_execz .LBB551_27
; %bb.16:
	v_add_u32_e32 v2, 64, v0
	v_cmp_gt_i32_e64 s[0:1], s24, v2
	v_add_u32_e32 v2, 0x80, v0
	v_cmp_gt_i32_e64 s[2:3], s24, v2
	;; [unrolled: 2-line block ×3, first 2 shown]
	v_mad_u64_u32 v[2:3], s[6:7], s8, v34, 0
	v_mov_b32_e32 v4, v3
	v_ashrrev_i32_e32 v1, 31, v0
	v_mad_u64_u32 v[4:5], s[6:7], s9, v34, v[4:5]
	v_mov_b32_e32 v3, v4
	v_lshlrev_b64 v[4:5], 1, v[0:1]
	v_lshlrev_b32_e32 v1, 2, v34
	v_or_b32_e32 v11, 3, v1
	v_mad_u64_u32 v[6:7], s[28:29], s44, v11, 0
	v_mov_b32_e32 v8, v7
	v_mad_u64_u32 v[8:9], s[28:29], s45, v11, v[8:9]
	v_mov_b32_e32 v7, v8
	;; [unrolled: 2-line block ×5, first 2 shown]
	v_mad_u64_u32 v[12:13], s[34:35], s45, v34, v[12:13]
	v_or_b32_e32 v17, 2, v1
	v_mov_b32_e32 v11, v12
	v_mad_u64_u32 v[12:13], s[34:35], s44, v17, 0
	v_mov_b32_e32 v14, v13
	v_mad_u64_u32 v[14:15], s[34:35], s45, v17, v[14:15]
	;; [unrolled: 2-line block ×4, first 2 shown]
	v_mov_b32_e32 v15, v16
	v_mov_b64_e32 v[16:17], s[8:9]
	v_mad_u64_u32 v[16:17], s[34:35], s8, v1, v[16:17]
	s_lshl_b64 s[22:23], s[50:51], 1
	s_lshl_b64 s[6:7], s[10:11], 1
	v_mov_b32_e32 v18, v17
	s_add_u32 s6, s48, s6
	v_mad_u64_u32 v[18:19], s[34:35], s9, v1, v[18:19]
	s_addc_u32 s7, s49, s7
	s_lshl_b64 s[26:27], s[8:9], 7
	s_lshl_b64 s[28:29], s[16:17], 1
	;; [unrolled: 1-line block ×3, first 2 shown]
	v_mov_b32_e32 v17, v18
	v_mov_b64_e32 v[18:19], s[44:45]
	v_lshl_add_u64 v[2:3], v[2:3], 3, s[6:7]
	s_add_u32 s30, s40, s30
	v_lshl_add_u64 v[8:9], v[8:9], 1, s[6:7]
	v_lshl_add_u64 v[14:15], v[14:15], 1, s[6:7]
	;; [unrolled: 1-line block ×3, first 2 shown]
	v_mad_u64_u32 v[18:19], s[6:7], s44, v1, v[18:19]
	s_addc_u32 s31, s41, s31
	v_mov_b32_e32 v20, v19
	s_add_u32 s30, s30, s28
	v_mad_u64_u32 v[20:21], s[6:7], s45, v1, v[20:21]
	s_addc_u32 s31, s31, s29
	v_mov_b32_e32 v19, v20
	v_cmp_gt_i32_e32 vcc, s24, v0
	v_lshl_add_u64 v[6:7], v[6:7], 1, s[30:31]
	s_lshl_b64 s[28:29], s[44:45], 7
	v_lshl_add_u64 v[10:11], v[10:11], 3, s[30:31]
	v_lshl_add_u64 v[12:13], v[12:13], 1, s[30:31]
	;; [unrolled: 1-line block ×3, first 2 shown]
	s_mov_b64 s[30:31], 0
	v_mov_b32_e32 v35, 0
	v_mov_b32_e32 v36, 0
	;; [unrolled: 1-line block ×4, first 2 shown]
	s_branch .LBB551_21
.LBB551_17:                             ;   in Loop: Header=BB551_21 Depth=1
	s_or_b64 exec, exec, s[38:39]
	s_waitcnt vmcnt(3)
	v_lshlrev_b32_e32 v24, 16, v50
	v_fmac_f32_e32 v37, v22, v24
	s_waitcnt vmcnt(2)
	v_lshlrev_b32_e32 v24, 16, v49
	v_fmac_f32_e32 v37, v23, v24
	s_waitcnt vmcnt(1)
	v_lshlrev_b32_e32 v24, 16, v48
	v_fmac_f32_e32 v37, v20, v24
	s_waitcnt vmcnt(0)
	v_lshlrev_b32_e32 v24, 16, v47
	v_fmac_f32_e32 v37, v21, v24
.LBB551_18:                             ;   in Loop: Header=BB551_21 Depth=1
	s_or_b64 exec, exec, s[36:37]
	s_waitcnt vmcnt(3)
	v_lshlrev_b32_e32 v24, 16, v46
	v_fmac_f32_e32 v36, v22, v24
	s_waitcnt vmcnt(2)
	v_lshlrev_b32_e32 v24, 16, v45
	v_fmac_f32_e32 v36, v23, v24
	;; [unrolled: 3-line block ×4, first 2 shown]
.LBB551_19:                             ;   in Loop: Header=BB551_21 Depth=1
	s_or_b64 exec, exec, s[34:35]
	s_waitcnt vmcnt(3)
	v_lshlrev_b32_e32 v24, 16, v42
	v_fmac_f32_e32 v35, v22, v24
	s_waitcnt vmcnt(2)
	v_lshlrev_b32_e32 v22, 16, v41
	v_fmac_f32_e32 v35, v23, v22
	;; [unrolled: 3-line block ×4, first 2 shown]
.LBB551_20:                             ;   in Loop: Header=BB551_21 Depth=1
	s_or_b64 exec, exec, s[6:7]
	v_add_u32_e32 v39, 64, v39
	v_cmp_le_i32_e64 s[6:7], s47, v39
	v_lshl_add_u64 v[2:3], v[2:3], 0, s[26:27]
	v_lshl_add_u64 v[6:7], v[6:7], 0, s[28:29]
	;; [unrolled: 1-line block ×7, first 2 shown]
	s_or_b64 s[30:31], s[6:7], s[30:31]
	v_lshl_add_u64 v[18:19], v[18:19], 0, s[28:29]
	s_andn2_b64 exec, exec, s[30:31]
	s_cbranch_execz .LBB551_26
.LBB551_21:                             ; =>This Inner Loop Header: Depth=1
	s_and_saveexec_b64 s[6:7], vcc
	s_cbranch_execz .LBB551_20
; %bb.22:                               ;   in Loop: Header=BB551_21 Depth=1
	v_lshl_add_u64 v[20:21], v[2:3], 0, s[22:23]
	v_lshl_add_u64 v[22:23], v[16:17], 0, s[22:23]
	global_load_ushort v43, v[20:21], off
	global_load_ushort v44, v[22:23], off
	v_lshl_add_u64 v[20:21], v[14:15], 0, s[22:23]
	v_lshl_add_u64 v[22:23], v[8:9], 0, s[22:23]
	global_load_ushort v45, v[20:21], off
	global_load_ushort v46, v[22:23], off
	v_lshl_add_u64 v[28:29], v[10:11], 0, v[4:5]
	v_lshl_add_u64 v[30:31], v[18:19], 0, v[4:5]
	;; [unrolled: 1-line block ×4, first 2 shown]
	global_load_ushort v42, v[28:29], off
	global_load_ushort v41, v[30:31], off
	;; [unrolled: 1-line block ×4, first 2 shown]
	s_waitcnt vmcnt(7)
	v_lshlrev_b32_e32 v22, 16, v43
	s_waitcnt vmcnt(6)
	v_lshlrev_b32_e32 v23, 16, v44
	;; [unrolled: 2-line block ×4, first 2 shown]
	s_and_saveexec_b64 s[34:35], s[0:1]
	s_cbranch_execz .LBB551_19
; %bb.23:                               ;   in Loop: Header=BB551_21 Depth=1
	global_load_ushort v46, v[28:29], off offset:128
	global_load_ushort v45, v[30:31], off offset:128
	;; [unrolled: 1-line block ×4, first 2 shown]
	s_and_saveexec_b64 s[36:37], s[2:3]
	s_cbranch_execz .LBB551_18
; %bb.24:                               ;   in Loop: Header=BB551_21 Depth=1
	global_load_ushort v50, v[28:29], off offset:256
	global_load_ushort v49, v[30:31], off offset:256
	global_load_ushort v48, v[24:25], off offset:256
	global_load_ushort v47, v[26:27], off offset:256
	s_and_saveexec_b64 s[38:39], s[4:5]
	s_cbranch_execz .LBB551_17
; %bb.25:                               ;   in Loop: Header=BB551_21 Depth=1
	global_load_ushort v30, v[30:31], off offset:384
	s_nop 0
	global_load_ushort v28, v[28:29], off offset:384
	s_nop 0
	;; [unrolled: 2-line block ×3, first 2 shown]
	global_load_ushort v29, v[24:25], off offset:384
	s_waitcnt vmcnt(3)
	v_lshlrev_b32_e32 v25, 16, v30
	s_waitcnt vmcnt(2)
	v_lshlrev_b32_e32 v24, 16, v28
	v_pk_mul_f32 v[24:25], v[22:23], v[24:25]
	s_waitcnt vmcnt(1)
	v_lshlrev_b32_e32 v27, 16, v26
	s_waitcnt vmcnt(0)
	v_lshlrev_b32_e32 v26, 16, v29
	v_add_f32_e32 v24, v38, v24
	v_add_f32_e32 v28, v24, v25
	v_pk_mul_f32 v[24:25], v[20:21], v[26:27]
	s_nop 0
	v_add_f32_e32 v24, v28, v24
	v_add_f32_e32 v38, v24, v25
	s_branch .LBB551_17
.LBB551_26:
	s_or_b64 exec, exec, s[30:31]
.LBB551_27:
	s_or_b64 exec, exec, s[18:19]
	s_sub_i32 s0, s25, s47
	s_cmp_lt_i32 s0, 1
	s_cbranch_scc1 .LBB551_45
; %bb.28:
	v_cmp_gt_i32_e32 vcc, s25, v39
	v_mov_b32_e32 v10, 0
	v_or_b32_e32 v4, 1, v39
	v_mov_b32_e32 v11, 0
	v_mov_b32_e32 v12, 0
	;; [unrolled: 1-line block ×3, first 2 shown]
	s_and_saveexec_b64 s[2:3], vcc
	s_cbranch_execz .LBB551_36
; %bb.29:
	s_lshl_b64 s[0:1], s[10:11], 1
	s_add_u32 s4, s48, s0
	s_addc_u32 s5, s49, s1
	s_lshl_b64 s[0:1], s[50:51], 1
	s_add_u32 s6, s4, s0
	s_addc_u32 s7, s5, s1
	v_mad_u64_u32 v[2:3], s[0:1], v39, s8, 0
	v_mov_b32_e32 v6, v3
	v_mad_u64_u32 v[6:7], s[0:1], v39, s9, v[6:7]
	v_mov_b32_e32 v3, v6
	v_lshl_add_u64 v[2:3], v[2:3], 1, s[6:7]
	global_load_ushort v1, v[2:3], off
	v_cmp_gt_i32_e64 s[0:1], s25, v4
	v_mov_b32_e32 v12, 0
	v_mov_b32_e32 v11, 0
	;; [unrolled: 1-line block ×3, first 2 shown]
	s_and_saveexec_b64 s[4:5], s[0:1]
	s_cbranch_execz .LBB551_35
; %bb.30:
	v_mad_u64_u32 v[2:3], s[0:1], v4, s8, 0
	v_mov_b32_e32 v6, v3
	v_mad_u64_u32 v[6:7], s[0:1], v4, s9, v[6:7]
	v_mov_b32_e32 v3, v6
	v_lshl_add_u64 v[2:3], v[2:3], 1, s[6:7]
	global_load_ushort v2, v[2:3], off
	v_or_b32_e32 v3, 2, v39
	v_cmp_gt_i32_e64 s[0:1], s25, v3
	v_mov_b32_e32 v11, 0
	v_mov_b32_e32 v10, 0
	s_and_saveexec_b64 s[10:11], s[0:1]
	s_cbranch_execz .LBB551_34
; %bb.31:
	v_mad_u64_u32 v[6:7], s[0:1], v3, s8, 0
	v_mov_b32_e32 v8, v7
	v_mad_u64_u32 v[8:9], s[0:1], v3, s9, v[8:9]
	v_mov_b32_e32 v7, v8
	v_lshl_add_u64 v[6:7], v[6:7], 1, s[6:7]
	global_load_ushort v3, v[6:7], off
	v_or_b32_e32 v5, 3, v39
	v_cmp_gt_i32_e64 s[0:1], s25, v5
	v_mov_b32_e32 v10, 0
	s_and_saveexec_b64 s[18:19], s[0:1]
	s_cbranch_execz .LBB551_33
; %bb.32:
	v_mad_u64_u32 v[6:7], s[0:1], v5, s8, 0
	v_mov_b32_e32 v8, v7
	v_mad_u64_u32 v[8:9], s[0:1], v5, s9, v[8:9]
	v_mov_b32_e32 v7, v8
	v_lshl_add_u64 v[6:7], v[6:7], 1, s[6:7]
	global_load_ushort v5, v[6:7], off
	s_waitcnt vmcnt(0)
	v_lshlrev_b32_e32 v10, 16, v5
.LBB551_33:
	s_or_b64 exec, exec, s[18:19]
	s_waitcnt vmcnt(0)
	v_lshlrev_b32_e32 v11, 16, v3
.LBB551_34:
	s_or_b64 exec, exec, s[10:11]
	s_waitcnt vmcnt(0)
	v_lshlrev_b32_e32 v12, 16, v2
.LBB551_35:
	s_or_b64 exec, exec, s[4:5]
	s_waitcnt vmcnt(0)
	v_lshlrev_b32_e32 v13, 16, v1
.LBB551_36:
	s_or_b64 exec, exec, s[2:3]
	v_cmp_gt_i32_e64 s[0:1], s24, v0
	s_and_saveexec_b64 s[2:3], s[0:1]
	s_cbranch_execz .LBB551_44
; %bb.37:
	s_lshl_b64 s[0:1], s[16:17], 1
	s_add_u32 s4, s40, s0
	s_addc_u32 s5, s41, s1
	s_lshl_b64 s[0:1], s[42:43], 1
	s_add_u32 s0, s4, s0
	s_addc_u32 s1, s5, s1
	v_mad_u64_u32 v[2:3], s[4:5], v39, s44, 0
	v_mov_b32_e32 v6, v3
	v_mad_u64_u32 v[6:7], s[4:5], v39, s45, v[6:7]
	v_ashrrev_i32_e32 v1, 31, v0
	v_cndmask_b32_e32 v3, 0, v6, vcc
	v_mad_u64_u32 v[6:7], s[4:5], v4, s44, 0
	v_cndmask_b32_e32 v2, 0, v2, vcc
	v_lshlrev_b64 v[8:9], 1, v[0:1]
	v_mov_b32_e32 v14, v7
	v_cmp_gt_i32_e32 vcc, s25, v4
	v_or_b32_e32 v1, 2, v39
	v_mad_u64_u32 v[14:15], s[4:5], v4, s45, v[14:15]
	v_cndmask_b32_e32 v4, 0, v6, vcc
	v_mad_u64_u32 v[6:7], s[4:5], v1, s44, 0
	v_cndmask_b32_e32 v5, 0, v14, vcc
	v_mov_b32_e32 v14, v7
	v_mad_u64_u32 v[14:15], s[4:5], v1, s45, v[14:15]
	v_cmp_gt_i32_e32 vcc, s25, v1
	v_or_b32_e32 v1, 3, v39
	v_lshl_add_u64 v[2:3], v[2:3], 1, s[0:1]
	v_cndmask_b32_e32 v7, 0, v14, vcc
	v_mad_u64_u32 v[14:15], s[4:5], v1, s44, 0
	v_mov_b32_e32 v16, v15
	v_cndmask_b32_e32 v6, 0, v6, vcc
	v_mad_u64_u32 v[16:17], s[4:5], v1, s45, v[16:17]
	v_cmp_gt_i32_e32 vcc, s25, v1
	v_lshl_add_u64 v[2:3], v[2:3], 0, v[8:9]
	v_lshl_add_u64 v[4:5], v[4:5], 1, s[0:1]
	v_cndmask_b32_e32 v14, 0, v14, vcc
	v_cndmask_b32_e32 v15, 0, v16, vcc
	v_lshl_add_u64 v[6:7], v[6:7], 1, s[0:1]
	v_lshl_add_u64 v[14:15], v[14:15], 1, s[0:1]
	;; [unrolled: 1-line block ×5, first 2 shown]
	global_load_ushort v1, v[2:3], off
	global_load_ushort v14, v[4:5], off
	;; [unrolled: 1-line block ×4, first 2 shown]
	v_add_u32_e32 v17, 64, v0
	v_cmp_gt_i32_e32 vcc, s24, v17
	s_waitcnt vmcnt(3)
	v_lshlrev_b32_e32 v18, 16, v1
	s_waitcnt vmcnt(2)
	v_lshlrev_b32_e32 v14, 16, v14
	v_fmac_f32_e32 v35, v13, v18
	s_waitcnt vmcnt(1)
	v_lshlrev_b32_e32 v15, 16, v15
	v_fmac_f32_e32 v35, v12, v14
	s_waitcnt vmcnt(0)
	v_lshlrev_b32_e32 v1, 16, v16
	v_fmac_f32_e32 v35, v11, v15
	s_and_saveexec_b64 s[0:1], vcc
	s_cbranch_execz .LBB551_43
; %bb.38:
	global_load_ushort v14, v[2:3], off offset:128
	global_load_ushort v15, v[4:5], off offset:128
	global_load_ushort v16, v[6:7], off offset:128
	global_load_ushort v17, v[8:9], off offset:128
	v_add_u32_e32 v18, 0x80, v0
	v_cmp_gt_i32_e32 vcc, s24, v18
	s_waitcnt vmcnt(3)
	v_lshlrev_b32_e32 v19, 16, v14
	s_waitcnt vmcnt(2)
	v_lshlrev_b32_e32 v15, 16, v15
	v_fmac_f32_e32 v36, v13, v19
	s_waitcnt vmcnt(1)
	v_lshlrev_b32_e32 v16, 16, v16
	v_fmac_f32_e32 v36, v12, v15
	s_waitcnt vmcnt(0)
	v_lshlrev_b32_e32 v14, 16, v17
	v_fmac_f32_e32 v36, v11, v16
	s_and_saveexec_b64 s[4:5], vcc
	s_cbranch_execz .LBB551_42
; %bb.39:
	global_load_ushort v15, v[2:3], off offset:256
	global_load_ushort v16, v[4:5], off offset:256
	global_load_ushort v17, v[6:7], off offset:256
	global_load_ushort v18, v[8:9], off offset:256
	;; [unrolled: 20-line block ×3, first 2 shown]
	s_waitcnt vmcnt(3)
	v_lshlrev_b32_e32 v2, 16, v15
	s_waitcnt vmcnt(2)
	v_lshlrev_b32_e32 v3, 16, v16
	v_fmac_f32_e32 v38, v13, v2
	s_waitcnt vmcnt(1)
	v_lshlrev_b32_e32 v4, 16, v17
	v_fmac_f32_e32 v38, v12, v3
	v_fmac_f32_e32 v38, v11, v4
	s_waitcnt vmcnt(0)
	v_lshlrev_b32_e32 v2, 16, v18
	v_fmac_f32_e32 v38, v10, v2
.LBB551_41:
	s_or_b64 exec, exec, s[6:7]
	v_fmac_f32_e32 v37, v10, v0
.LBB551_42:
	s_or_b64 exec, exec, s[4:5]
	v_fmac_f32_e32 v36, v10, v14
.LBB551_43:
	s_or_b64 exec, exec, s[0:1]
	v_fmac_f32_e32 v35, v10, v1
.LBB551_44:
	s_or_b64 exec, exec, s[2:3]
.LBB551_45:
	v_lshlrev_b32_e32 v0, 8, v34
	s_movk_i32 s0, 0x100
	v_add_lshl_u32 v0, v0, v33, 2
	v_cmp_gt_u32_e32 vcc, s0, v32
	ds_write2st64_b32 v0, v35, v36 offset1:1
	ds_write2st64_b32 v0, v37, v38 offset0:2 offset1:3
	s_waitcnt lgkmcnt(0)
	s_barrier
	s_waitcnt lgkmcnt(0)
                                        ; implicit-def: $vgpr3
                                        ; implicit-def: $vgpr0_vgpr1
	s_and_saveexec_b64 s[0:1], vcc
	s_cbranch_execz .LBB551_66
; %bb.46:
	v_lshlrev_b32_e32 v10, 2, v32
	ds_read2st64_b32 v[0:1], v10 offset1:4
	ds_read2st64_b32 v[2:3], v10 offset0:8 offset1:12
	ds_read2st64_b32 v[4:5], v10 offset0:16 offset1:20
	;; [unrolled: 1-line block ×4, first 2 shown]
	s_waitcnt lgkmcnt(4)
	v_add_f32_e32 v0, v0, v1
	s_waitcnt lgkmcnt(3)
	v_add_f32_e32 v0, v2, v0
	v_add_f32_e32 v0, v3, v0
	s_waitcnt lgkmcnt(2)
	v_add_f32_e32 v0, v4, v0
	;; [unrolled: 3-line block ×3, first 2 shown]
	v_add_f32_e32 v2, v7, v0
	ds_read2st64_b32 v[0:1], v10 offset0:40 offset1:44
	s_waitcnt lgkmcnt(1)
	v_add_f32_e32 v4, v8, v2
	ds_read2st64_b32 v[2:3], v10 offset0:48 offset1:52
	v_add_f32_e32 v6, v9, v4
	ds_read2st64_b32 v[4:5], v10 offset0:56 offset1:60
	s_waitcnt lgkmcnt(2)
	v_add_f32_e32 v0, v0, v6
	v_add_f32_e32 v0, v1, v0
	s_waitcnt lgkmcnt(1)
	v_add_f32_e32 v0, v2, v0
	v_add_f32_e32 v0, v3, v0
	s_waitcnt lgkmcnt(0)
	v_add_f32_e32 v0, v4, v0
	v_or_b32_e32 v2, s46, v32
	v_add_f32_e32 v4, v5, v0
	v_cmp_gt_i32_e32 vcc, s24, v2
	s_mov_b64 s[4:5], s[14:15]
	ds_write_b32 v10, v4
                                        ; implicit-def: $vgpr3
                                        ; implicit-def: $vgpr0_vgpr1
	s_and_saveexec_b64 s[2:3], vcc
	s_cbranch_execz .LBB551_65
; %bb.47:
	v_cmp_eq_f32_e64 s[4:5], s33, 0
	v_mul_f32_e32 v0, s52, v4
	s_and_b64 vcc, exec, s[4:5]
	s_cbranch_vccz .LBB551_53
; %bb.48:
	s_mov_b32 s4, 0x7f800000
	v_and_b32_e32 v1, 0x7f800000, v0
	v_cmp_ne_u32_e32 vcc, s4, v1
                                        ; implicit-def: $vgpr1
	s_and_saveexec_b64 s[4:5], vcc
	s_xor_b64 s[4:5], exec, s[4:5]
; %bb.49:
	v_bfe_u32 v1, v0, 16, 1
	s_movk_i32 s6, 0x7fff
	v_add3_u32 v1, v0, v1, s6
; %bb.50:
	s_andn2_saveexec_b64 s[4:5], s[4:5]
; %bb.51:
	v_mov_b32_e32 v1, 0
	v_or_b32_e32 v3, 0x10000, v0
	v_cmp_eq_u32_sdwa vcc, v0, v1 src0_sel:WORD_0 src1_sel:DWORD
	s_nop 1
	v_cndmask_b32_e32 v1, v3, v0, vcc
; %bb.52:
	s_or_b64 exec, exec, s[4:5]
	s_mov_b64 s[4:5], 0
	s_branch .LBB551_54
.LBB551_53:
	s_mov_b64 s[4:5], -1
                                        ; implicit-def: $vgpr1
.LBB551_54:
	v_ashrrev_i32_e32 v3, 31, v2
	s_andn2_b64 vcc, exec, s[4:5]
	v_mul_lo_u32 v4, v2, s21
	v_mul_lo_u32 v5, v3, s20
	s_cbranch_vccnz .LBB551_64
; %bb.55:
	v_mad_u64_u32 v[6:7], s[4:5], v2, s20, 0
	v_add3_u32 v7, v7, v4, v5
	v_lshl_add_u64 v[6:7], v[6:7], 1, s[12:13]
	global_load_ushort v1, v[6:7], off
	s_mov_b32 s4, 0x7f800000
	s_waitcnt vmcnt(0)
	v_lshlrev_b32_e32 v1, 16, v1
	v_mul_f32_e32 v1, s33, v1
	v_and_b32_e32 v3, 0x7f800000, v1
	v_cmp_ne_u32_e32 vcc, s4, v3
                                        ; implicit-def: $vgpr3
	s_and_saveexec_b64 s[4:5], vcc
	s_xor_b64 s[4:5], exec, s[4:5]
; %bb.56:
	v_bfe_u32 v3, v1, 16, 1
	s_movk_i32 s6, 0x7fff
	v_add3_u32 v3, v1, v3, s6
                                        ; implicit-def: $vgpr1
; %bb.57:
	s_andn2_saveexec_b64 s[4:5], s[4:5]
; %bb.58:
	v_mov_b32_e32 v3, 0
	v_or_b32_e32 v6, 0x10000, v1
	v_cmp_eq_u32_sdwa vcc, v1, v3 src0_sel:WORD_0 src1_sel:DWORD
	s_nop 1
	v_cndmask_b32_e32 v3, v6, v1, vcc
; %bb.59:
	s_or_b64 exec, exec, s[4:5]
	v_and_b32_e32 v1, 0xffff0000, v3
	v_add_f32_e32 v0, v0, v1
	s_mov_b32 s4, 0x7f800000
	v_and_b32_e32 v1, 0x7f800000, v0
	v_cmp_ne_u32_e32 vcc, s4, v1
                                        ; implicit-def: $vgpr1
	s_and_saveexec_b64 s[4:5], vcc
	s_xor_b64 s[4:5], exec, s[4:5]
; %bb.60:
	v_bfe_u32 v1, v0, 16, 1
	s_movk_i32 s6, 0x7fff
	v_add3_u32 v1, v0, v1, s6
                                        ; implicit-def: $vgpr0
; %bb.61:
	s_andn2_saveexec_b64 s[4:5], s[4:5]
; %bb.62:
	v_mov_b32_e32 v1, 0
	v_or_b32_e32 v3, 0x10000, v0
	v_cmp_eq_u32_sdwa vcc, v0, v1 src0_sel:WORD_0 src1_sel:DWORD
	s_nop 1
	v_cndmask_b32_e32 v1, v3, v0, vcc
; %bb.63:
	s_or_b64 exec, exec, s[4:5]
.LBB551_64:
	v_lshrrev_b32_e32 v3, 16, v1
	v_mad_u64_u32 v[0:1], s[4:5], v2, s20, 0
	v_add3_u32 v1, v1, v4, v5
	s_or_b64 s[4:5], s[14:15], exec
.LBB551_65:
	s_or_b64 exec, exec, s[2:3]
	s_andn2_b64 s[2:3], s[14:15], exec
	s_and_b64 s[4:5], s[4:5], exec
	s_or_b64 s[14:15], s[2:3], s[4:5]
.LBB551_66:
	s_or_b64 exec, exec, s[0:1]
.LBB551_67:
	s_and_saveexec_b64 s[0:1], s[14:15]
	s_cbranch_execz .LBB551_69
; %bb.68:
	v_lshl_add_u64 v[0:1], v[0:1], 1, s[12:13]
	global_store_short v[0:1], v3, off
.LBB551_69:
	s_endpgm
	.section	.rodata,"a",@progbits
	.p2align	6, 0x0
	.amdhsa_kernel _ZL20rocblas_gemvn_kernelILi64ELi16El16rocblas_bfloat16PKfS0_EviiT3_lPKT2_lT1_lS6_lS7_lS3_lPT4_lS7_li
		.amdhsa_group_segment_fixed_size 16384
		.amdhsa_private_segment_fixed_size 0
		.amdhsa_kernarg_size 400
		.amdhsa_user_sgpr_count 2
		.amdhsa_user_sgpr_dispatch_ptr 0
		.amdhsa_user_sgpr_queue_ptr 0
		.amdhsa_user_sgpr_kernarg_segment_ptr 1
		.amdhsa_user_sgpr_dispatch_id 0
		.amdhsa_user_sgpr_kernarg_preload_length 0
		.amdhsa_user_sgpr_kernarg_preload_offset 0
		.amdhsa_user_sgpr_private_segment_size 0
		.amdhsa_uses_dynamic_stack 0
		.amdhsa_enable_private_segment 0
		.amdhsa_system_sgpr_workgroup_id_x 1
		.amdhsa_system_sgpr_workgroup_id_y 0
		.amdhsa_system_sgpr_workgroup_id_z 1
		.amdhsa_system_sgpr_workgroup_info 0
		.amdhsa_system_vgpr_workitem_id 1
		.amdhsa_next_free_vgpr 51
		.amdhsa_next_free_sgpr 53
		.amdhsa_accum_offset 52
		.amdhsa_reserve_vcc 1
		.amdhsa_float_round_mode_32 0
		.amdhsa_float_round_mode_16_64 0
		.amdhsa_float_denorm_mode_32 3
		.amdhsa_float_denorm_mode_16_64 3
		.amdhsa_dx10_clamp 1
		.amdhsa_ieee_mode 1
		.amdhsa_fp16_overflow 0
		.amdhsa_tg_split 0
		.amdhsa_exception_fp_ieee_invalid_op 0
		.amdhsa_exception_fp_denorm_src 0
		.amdhsa_exception_fp_ieee_div_zero 0
		.amdhsa_exception_fp_ieee_overflow 0
		.amdhsa_exception_fp_ieee_underflow 0
		.amdhsa_exception_fp_ieee_inexact 0
		.amdhsa_exception_int_div_zero 0
	.end_amdhsa_kernel
	.section	.text._ZL20rocblas_gemvn_kernelILi64ELi16El16rocblas_bfloat16PKfS0_EviiT3_lPKT2_lT1_lS6_lS7_lS3_lPT4_lS7_li,"axG",@progbits,_ZL20rocblas_gemvn_kernelILi64ELi16El16rocblas_bfloat16PKfS0_EviiT3_lPKT2_lT1_lS6_lS7_lS3_lPT4_lS7_li,comdat
.Lfunc_end551:
	.size	_ZL20rocblas_gemvn_kernelILi64ELi16El16rocblas_bfloat16PKfS0_EviiT3_lPKT2_lT1_lS6_lS7_lS3_lPT4_lS7_li, .Lfunc_end551-_ZL20rocblas_gemvn_kernelILi64ELi16El16rocblas_bfloat16PKfS0_EviiT3_lPKT2_lT1_lS6_lS7_lS3_lPT4_lS7_li
                                        ; -- End function
	.section	.AMDGPU.csdata,"",@progbits
; Kernel info:
; codeLenInByte = 3336
; NumSgprs: 59
; NumVgprs: 51
; NumAgprs: 0
; TotalNumVgprs: 51
; ScratchSize: 0
; MemoryBound: 0
; FloatMode: 240
; IeeeMode: 1
; LDSByteSize: 16384 bytes/workgroup (compile time only)
; SGPRBlocks: 7
; VGPRBlocks: 6
; NumSGPRsForWavesPerEU: 59
; NumVGPRsForWavesPerEU: 51
; AccumOffset: 52
; Occupancy: 8
; WaveLimiterHint : 0
; COMPUTE_PGM_RSRC2:SCRATCH_EN: 0
; COMPUTE_PGM_RSRC2:USER_SGPR: 2
; COMPUTE_PGM_RSRC2:TRAP_HANDLER: 0
; COMPUTE_PGM_RSRC2:TGID_X_EN: 1
; COMPUTE_PGM_RSRC2:TGID_Y_EN: 0
; COMPUTE_PGM_RSRC2:TGID_Z_EN: 1
; COMPUTE_PGM_RSRC2:TIDIG_COMP_CNT: 1
; COMPUTE_PGM_RSRC3_GFX90A:ACCUM_OFFSET: 12
; COMPUTE_PGM_RSRC3_GFX90A:TG_SPLIT: 0
	.section	.text._ZL20rocblas_gemvn_kernelILi64ELi16Ei16rocblas_bfloat16fS0_EviiT3_lPKT2_lT1_lS4_lS5_lS1_lPT4_lS5_li,"axG",@progbits,_ZL20rocblas_gemvn_kernelILi64ELi16Ei16rocblas_bfloat16fS0_EviiT3_lPKT2_lT1_lS4_lS5_lS1_lPT4_lS5_li,comdat
	.globl	_ZL20rocblas_gemvn_kernelILi64ELi16Ei16rocblas_bfloat16fS0_EviiT3_lPKT2_lT1_lS4_lS5_lS1_lPT4_lS5_li ; -- Begin function _ZL20rocblas_gemvn_kernelILi64ELi16Ei16rocblas_bfloat16fS0_EviiT3_lPKT2_lT1_lS4_lS5_lS1_lPT4_lS5_li
	.p2align	8
	.type	_ZL20rocblas_gemvn_kernelILi64ELi16Ei16rocblas_bfloat16fS0_EviiT3_lPKT2_lT1_lS4_lS5_lS1_lPT4_lS5_li,@function
_ZL20rocblas_gemvn_kernelILi64ELi16Ei16rocblas_bfloat16fS0_EviiT3_lPKT2_lT1_lS4_lS5_lS1_lPT4_lS5_li: ; @_ZL20rocblas_gemvn_kernelILi64ELi16Ei16rocblas_bfloat16fS0_EviiT3_lPKT2_lT1_lS4_lS5_lS1_lPT4_lS5_li
; %bb.0:
	s_load_dwordx2 s[4:5], s[0:1], 0x9c
	s_waitcnt lgkmcnt(0)
	s_lshr_b32 s6, s4, 16
	s_and_b32 s4, s4, 0xffff
	s_and_b32 s5, s5, 0xffff
	s_mul_i32 s4, s6, s4
	s_mul_i32 s4, s4, s5
	s_cmpk_lg_i32 s4, 0x400
	s_cbranch_scc1 .LBB552_69
; %bb.1:
	s_load_dwordx4 s[8:11], s[0:1], 0x0
	s_waitcnt lgkmcnt(0)
	s_load_dword s11, s[0:1], 0x58
	v_cmp_eq_f32_e64 s[4:5], s10, 0
	s_waitcnt lgkmcnt(0)
	v_cmp_eq_f32_e64 s[6:7], s11, 1.0
	s_and_b64 s[4:5], s[4:5], s[6:7]
	s_and_b64 vcc, exec, s[4:5]
	s_cbranch_vccnz .LBB552_69
; %bb.2:
	s_load_dwordx2 s[12:13], s[0:1], 0x80
	s_load_dwordx4 s[4:7], s[0:1], 0x68
	s_load_dword s30, s[0:1], 0x78
	v_and_b32_e32 v2, 0x3ff, v0
	v_bfe_u32 v18, v0, 10, 10
	s_waitcnt lgkmcnt(0)
	s_mul_i32 s13, s3, s13
	s_mul_hi_u32 s14, s3, s12
	s_mul_i32 s12, s3, s12
	s_add_i32 s13, s14, s13
	s_lshl_b64 s[12:13], s[12:13], 1
	s_add_u32 s12, s4, s12
	s_addc_u32 s13, s5, s13
	s_lshl_b64 s[4:5], s[6:7], 1
	s_add_u32 s12, s12, s4
	s_addc_u32 s13, s13, s5
	v_cmp_neq_f32_e64 s[4:5], s10, 0
	v_lshl_add_u32 v3, v18, 6, v2
	s_and_b64 vcc, exec, s[4:5]
	s_cbranch_vccnz .LBB552_13
; %bb.3:
	s_movk_i32 s4, 0x100
	v_cmp_gt_u32_e32 vcc, s4, v3
	s_mov_b64 s[4:5], 0
	s_mov_b64 s[14:15], 0
                                        ; implicit-def: $vgpr5
                                        ; implicit-def: $vgpr0_vgpr1
	s_and_saveexec_b64 s[6:7], vcc
	s_cbranch_execz .LBB552_14
; %bb.4:
	v_lshl_or_b32 v4, s2, 8, v3
	v_mov_b32_e32 v5, 0
	s_ashr_i32 s15, s8, 31
	s_mov_b32 s14, s8
	v_cmp_gt_i64_e32 vcc, s[14:15], v[4:5]
	s_mov_b64 s[16:17], 0
                                        ; implicit-def: $vgpr0_vgpr1
	s_and_saveexec_b64 s[14:15], vcc
	s_cbranch_execz .LBB552_12
; %bb.5:
	v_mad_u64_u32 v[0:1], s[18:19], s30, v4, 0
	s_ashr_i32 s20, s30, 31
	v_mov_b32_e32 v6, v1
	v_cmp_eq_f32_e64 s[16:17], s11, 0
	v_mad_u64_u32 v[6:7], s[18:19], s20, v4, v[6:7]
	v_mov_b32_e32 v1, v6
	s_and_b64 vcc, exec, s[16:17]
	s_cbranch_vccnz .LBB552_11
; %bb.6:
	v_lshl_add_u64 v[4:5], v[0:1], 1, s[12:13]
	global_load_ushort v4, v[4:5], off
	s_mov_b32 s16, 0x7f800000
	s_waitcnt vmcnt(0)
	v_lshlrev_b32_e32 v4, 16, v4
	v_mul_f32_e32 v4, s11, v4
	v_and_b32_e32 v5, 0x7f800000, v4
	v_cmp_ne_u32_e32 vcc, s16, v5
                                        ; implicit-def: $vgpr5
	s_and_saveexec_b64 s[16:17], vcc
	s_xor_b64 s[16:17], exec, s[16:17]
; %bb.7:
	v_bfe_u32 v5, v4, 16, 1
	s_movk_i32 s18, 0x7fff
	v_add3_u32 v5, v4, v5, s18
                                        ; implicit-def: $vgpr4
; %bb.8:
	s_andn2_saveexec_b64 s[16:17], s[16:17]
; %bb.9:
	v_mov_b32_e32 v5, 0
	v_or_b32_e32 v6, 0x10000, v4
	v_cmp_eq_u32_sdwa vcc, v4, v5 src0_sel:WORD_0 src1_sel:DWORD
	s_nop 1
	v_cndmask_b32_e32 v5, v6, v4, vcc
; %bb.10:
	s_or_b64 exec, exec, s[16:17]
	v_lshrrev_b32_e32 v5, 16, v5
.LBB552_11:
	s_mov_b64 s[16:17], exec
.LBB552_12:
	s_or_b64 exec, exec, s[14:15]
	s_and_b64 s[14:15], s[16:17], exec
	s_or_b64 exec, exec, s[6:7]
	s_and_b64 vcc, exec, s[4:5]
	s_cbranch_vccnz .LBB552_15
	s_branch .LBB552_67
.LBB552_13:
	s_mov_b64 s[14:15], 0
                                        ; implicit-def: $vgpr5
                                        ; implicit-def: $vgpr0_vgpr1
	s_cbranch_execnz .LBB552_15
	s_branch .LBB552_67
.LBB552_14:
	s_or_b64 exec, exec, s[6:7]
	s_and_b64 vcc, exec, s[4:5]
	s_cbranch_vccz .LBB552_67
.LBB552_15:
	s_load_dwordx4 s[4:7], s[0:1], 0x30
	s_load_dwordx4 s[16:19], s[0:1], 0x18
	s_load_dword s33, s[0:1], 0x28
	s_load_dwordx2 s[20:21], s[0:1], 0x40
	s_load_dword s34, s[0:1], 0x48
	s_load_dwordx2 s[22:23], s[0:1], 0x50
	s_waitcnt lgkmcnt(0)
	s_mul_i32 s0, s3, s5
	s_mul_hi_u32 s1, s3, s4
	s_add_i32 s1, s1, s0
	s_mul_i32 s0, s3, s4
	s_lshl_b64 s[0:1], s[0:1], 1
	s_add_u32 s4, s16, s0
	s_addc_u32 s5, s17, s1
	s_lshl_b64 s[0:1], s[18:19], 1
	s_add_u32 s16, s4, s0
	s_addc_u32 s17, s5, s1
	s_mul_i32 s0, s3, s23
	s_mul_hi_u32 s1, s3, s22
	s_add_i32 s1, s1, s0
	s_mul_i32 s0, s3, s22
	s_lshl_b64 s[0:1], s[0:1], 1
	s_add_u32 s3, s6, s0
	s_addc_u32 s4, s7, s1
	s_lshl_b64 s[0:1], s[20:21], 1
	s_add_u32 s18, s3, s0
	s_addc_u32 s19, s4, s1
	s_ashr_i32 s0, s9, 31
	s_lshr_b32 s0, s0, 26
	s_add_i32 s35, s9, s0
	s_lshl_b32 s31, s2, 8
	s_andn2_b32 s35, s35, 63
	v_lshlrev_b32_e32 v24, 2, v18
	v_add_u32_e32 v23, s31, v2
	v_cmp_gt_i32_e32 vcc, s35, v24
	v_mov_b32_e32 v19, 0
	v_mov_b32_e32 v20, 0
	;; [unrolled: 1-line block ×4, first 2 shown]
	s_and_saveexec_b64 s[20:21], vcc
	s_cbranch_execz .LBB552_27
; %bb.16:
	v_add_u32_e32 v0, 64, v23
	v_cmp_gt_i32_e64 s[0:1], s8, v0
	v_add_u32_e32 v0, 0x80, v23
	v_cmp_gt_i32_e64 s[2:3], s8, v0
	;; [unrolled: 2-line block ×3, first 2 shown]
	v_mul_lo_u32 v0, s33, v24
	v_add_u32_e32 v6, 2, v24
	v_add_u32_e32 v7, 3, v24
	v_add3_u32 v25, v0, s33, v2
	v_mad_u64_u32 v[0:1], s[6:7], s33, v6, v[2:3]
	v_mad_u64_u32 v[4:5], s[6:7], s33, v7, v[2:3]
	v_mul_lo_u32 v1, v18, s33
	v_mul_lo_u32 v5, s34, v24
	;; [unrolled: 1-line block ×4, first 2 shown]
	v_cmp_gt_i32_e32 vcc, s8, v23
	s_lshl_b32 s36, s33, 6
	v_lshl_add_u32 v1, v1, 2, v2
	v_add_u32_e32 v5, s34, v5
	s_lshl_b32 s37, s34, 6
	v_mul_lo_u32 v27, s34, v7
	v_lshlrev_b32_e32 v28, 2, v6
	s_mov_b32 s38, 0
	s_mov_b64 s[22:23], 0
	v_mov_b32_e32 v19, 0
	v_mov_b32_e32 v20, 0
	;; [unrolled: 1-line block ×4, first 2 shown]
	s_branch .LBB552_21
.LBB552_17:                             ;   in Loop: Header=BB552_21 Depth=1
	s_or_b64 exec, exec, s[28:29]
	s_waitcnt vmcnt(3)
	v_lshlrev_b32_e32 v10, 16, v40
	v_fmac_f32_e32 v21, v8, v10
	s_waitcnt vmcnt(2)
	v_lshlrev_b32_e32 v10, 16, v39
	v_fmac_f32_e32 v21, v9, v10
	;; [unrolled: 3-line block ×4, first 2 shown]
.LBB552_18:                             ;   in Loop: Header=BB552_21 Depth=1
	s_or_b64 exec, exec, s[26:27]
	s_waitcnt vmcnt(3)
	v_lshlrev_b32_e32 v10, 16, v36
	v_fmac_f32_e32 v20, v8, v10
	s_waitcnt vmcnt(2)
	v_lshlrev_b32_e32 v10, 16, v35
	v_fmac_f32_e32 v20, v9, v10
	;; [unrolled: 3-line block ×4, first 2 shown]
.LBB552_19:                             ;   in Loop: Header=BB552_21 Depth=1
	s_or_b64 exec, exec, s[24:25]
	s_waitcnt vmcnt(3)
	v_lshlrev_b32_e32 v10, 16, v32
	v_fmac_f32_e32 v19, v8, v10
	s_waitcnt vmcnt(2)
	v_lshlrev_b32_e32 v8, 16, v31
	v_fmac_f32_e32 v19, v9, v8
	;; [unrolled: 3-line block ×4, first 2 shown]
.LBB552_20:                             ;   in Loop: Header=BB552_21 Depth=1
	s_or_b64 exec, exec, s[6:7]
	v_add_u32_e32 v24, 64, v24
	s_add_i32 s38, s38, s37
	v_cmp_le_i32_e64 s[6:7], s35, v24
	v_add_u32_e32 v25, s36, v25
	v_add_u32_e32 v0, s36, v0
	;; [unrolled: 1-line block ×3, first 2 shown]
	s_or_b64 s[22:23], s[6:7], s[22:23]
	v_add_u32_e32 v1, s36, v1
	s_andn2_b64 exec, exec, s[22:23]
	s_cbranch_execz .LBB552_26
.LBB552_21:                             ; =>This Inner Loop Header: Depth=1
	s_and_saveexec_b64 s[6:7], vcc
	s_cbranch_execz .LBB552_20
; %bb.22:                               ;   in Loop: Header=BB552_21 Depth=1
	v_add_u32_e32 v6, s38, v28
	v_ashrrev_i32_e32 v7, 31, v6
	v_add_u32_e32 v8, s38, v5
	v_add_u32_e32 v10, s38, v26
	;; [unrolled: 1-line block ×3, first 2 shown]
	v_lshl_add_u64 v[6:7], v[6:7], 1, s[18:19]
	v_ashrrev_i32_e32 v9, 31, v8
	v_ashrrev_i32_e32 v11, 31, v10
	;; [unrolled: 1-line block ×3, first 2 shown]
	v_lshl_add_u64 v[8:9], v[8:9], 1, s[18:19]
	v_lshl_add_u64 v[10:11], v[10:11], 1, s[18:19]
	;; [unrolled: 1-line block ×3, first 2 shown]
	global_load_ushort v33, v[6:7], off
	global_load_ushort v34, v[8:9], off
	;; [unrolled: 1-line block ×4, first 2 shown]
	v_add_u32_e32 v6, s31, v1
	v_ashrrev_i32_e32 v7, 31, v6
	v_lshl_add_u64 v[10:11], v[6:7], 1, s[16:17]
	v_add_u32_e32 v6, s31, v25
	v_ashrrev_i32_e32 v7, 31, v6
	v_lshl_add_u64 v[12:13], v[6:7], 1, s[16:17]
	;; [unrolled: 3-line block ×4, first 2 shown]
	global_load_ushort v32, v[10:11], off
	global_load_ushort v31, v[12:13], off
	;; [unrolled: 1-line block ×4, first 2 shown]
	s_waitcnt vmcnt(7)
	v_lshlrev_b32_e32 v8, 16, v33
	s_waitcnt vmcnt(6)
	v_lshlrev_b32_e32 v9, 16, v34
	;; [unrolled: 2-line block ×4, first 2 shown]
	s_and_saveexec_b64 s[24:25], s[0:1]
	s_cbranch_execz .LBB552_19
; %bb.23:                               ;   in Loop: Header=BB552_21 Depth=1
	global_load_ushort v36, v[10:11], off offset:128
	global_load_ushort v35, v[12:13], off offset:128
	global_load_ushort v34, v[14:15], off offset:128
	global_load_ushort v33, v[16:17], off offset:128
	s_and_saveexec_b64 s[26:27], s[2:3]
	s_cbranch_execz .LBB552_18
; %bb.24:                               ;   in Loop: Header=BB552_21 Depth=1
	global_load_ushort v40, v[10:11], off offset:256
	global_load_ushort v39, v[12:13], off offset:256
	global_load_ushort v38, v[14:15], off offset:256
	global_load_ushort v37, v[16:17], off offset:256
	;; [unrolled: 7-line block ×3, first 2 shown]
	s_waitcnt vmcnt(3)
	v_lshlrev_b32_e32 v11, 16, v41
	s_waitcnt vmcnt(2)
	v_lshlrev_b32_e32 v10, 16, v42
	v_pk_mul_f32 v[10:11], v[8:9], v[10:11]
	s_waitcnt vmcnt(1)
	v_lshlrev_b32_e32 v13, 16, v43
	s_waitcnt vmcnt(0)
	v_lshlrev_b32_e32 v12, 16, v44
	v_add_f32_e32 v10, v22, v10
	v_add_f32_e32 v14, v10, v11
	v_pk_mul_f32 v[10:11], v[6:7], v[12:13]
	s_nop 0
	v_add_f32_e32 v10, v14, v10
	v_add_f32_e32 v22, v10, v11
	s_branch .LBB552_17
.LBB552_26:
	s_or_b64 exec, exec, s[22:23]
.LBB552_27:
	s_or_b64 exec, exec, s[20:21]
	s_sub_i32 s0, s9, s35
	s_cmp_lt_i32 s0, 1
	s_cbranch_scc1 .LBB552_45
; %bb.28:
	v_cmp_gt_i32_e32 vcc, s9, v24
	v_mov_b32_e32 v10, 0
	v_or_b32_e32 v4, 1, v24
	v_mov_b32_e32 v11, 0
	v_mov_b32_e32 v12, 0
	v_mov_b32_e32 v13, 0
	s_and_saveexec_b64 s[2:3], vcc
	s_cbranch_execz .LBB552_36
; %bb.29:
	v_mul_lo_u32 v0, v24, s34
	v_ashrrev_i32_e32 v1, 31, v0
	v_lshl_add_u64 v[0:1], v[0:1], 1, s[18:19]
	global_load_ushort v0, v[0:1], off
	v_cmp_gt_i32_e64 s[0:1], s9, v4
	v_mov_b32_e32 v12, 0
	v_mov_b32_e32 v11, 0
	;; [unrolled: 1-line block ×3, first 2 shown]
	s_and_saveexec_b64 s[4:5], s[0:1]
	s_cbranch_execz .LBB552_35
; %bb.30:
	v_mul_lo_u32 v6, v4, s34
	v_ashrrev_i32_e32 v7, 31, v6
	v_lshl_add_u64 v[6:7], v[6:7], 1, s[18:19]
	global_load_ushort v1, v[6:7], off
	v_or_b32_e32 v5, 2, v24
	v_cmp_gt_i32_e64 s[0:1], s9, v5
	v_mov_b32_e32 v11, 0
	v_mov_b32_e32 v10, 0
	s_and_saveexec_b64 s[6:7], s[0:1]
	s_cbranch_execz .LBB552_34
; %bb.31:
	v_mul_lo_u32 v6, v5, s34
	v_ashrrev_i32_e32 v7, 31, v6
	v_lshl_add_u64 v[6:7], v[6:7], 1, s[18:19]
	global_load_ushort v5, v[6:7], off
	v_or_b32_e32 v6, 3, v24
	v_cmp_gt_i32_e64 s[0:1], s9, v6
	v_mov_b32_e32 v10, 0
	s_and_saveexec_b64 s[20:21], s[0:1]
	s_cbranch_execz .LBB552_33
; %bb.32:
	v_mul_lo_u32 v6, v6, s34
	v_ashrrev_i32_e32 v7, 31, v6
	v_lshl_add_u64 v[6:7], v[6:7], 1, s[18:19]
	global_load_ushort v6, v[6:7], off
	s_waitcnt vmcnt(0)
	v_lshlrev_b32_e32 v10, 16, v6
.LBB552_33:
	s_or_b64 exec, exec, s[20:21]
	s_waitcnt vmcnt(0)
	v_lshlrev_b32_e32 v11, 16, v5
.LBB552_34:
	s_or_b64 exec, exec, s[6:7]
	s_waitcnt vmcnt(0)
	v_lshlrev_b32_e32 v12, 16, v1
.LBB552_35:
	s_or_b64 exec, exec, s[4:5]
	s_waitcnt vmcnt(0)
	v_lshlrev_b32_e32 v13, 16, v0
.LBB552_36:
	s_or_b64 exec, exec, s[2:3]
	v_cmp_gt_i32_e64 s[0:1], s8, v23
	s_and_saveexec_b64 s[2:3], s[0:1]
	s_cbranch_execz .LBB552_44
; %bb.37:
	v_mul_lo_u32 v0, v24, s33
	v_cndmask_b32_e32 v0, 0, v0, vcc
	v_mul_lo_u32 v5, v4, s33
	v_cmp_gt_i32_e32 vcc, s9, v4
	v_or_b32_e32 v6, 2, v24
	v_add_u32_e32 v0, v0, v23
	v_cndmask_b32_e32 v4, 0, v5, vcc
	v_mul_lo_u32 v7, v6, s33
	v_cmp_gt_i32_e32 vcc, s9, v6
	v_or_b32_e32 v8, 3, v24
	v_ashrrev_i32_e32 v1, 31, v0
	v_add_u32_e32 v4, v4, v23
	v_cndmask_b32_e32 v6, 0, v7, vcc
	v_mul_lo_u32 v9, v8, s33
	v_cmp_gt_i32_e32 vcc, s9, v8
	v_lshl_add_u64 v[0:1], v[0:1], 1, s[16:17]
	v_ashrrev_i32_e32 v5, 31, v4
	v_add_u32_e32 v6, v6, v23
	v_cndmask_b32_e32 v8, 0, v9, vcc
	v_lshl_add_u64 v[4:5], v[4:5], 1, s[16:17]
	v_ashrrev_i32_e32 v7, 31, v6
	v_add_u32_e32 v8, v8, v23
	global_load_ushort v14, v[0:1], off
	global_load_ushort v15, v[4:5], off
	v_lshl_add_u64 v[6:7], v[6:7], 1, s[16:17]
	v_ashrrev_i32_e32 v9, 31, v8
	v_lshl_add_u64 v[8:9], v[8:9], 1, s[16:17]
	global_load_ushort v16, v[6:7], off
	global_load_ushort v17, v[8:9], off
	v_add_u32_e32 v24, 64, v23
	v_cmp_gt_i32_e32 vcc, s8, v24
	s_waitcnt vmcnt(3)
	v_lshlrev_b32_e32 v14, 16, v14
	s_waitcnt vmcnt(2)
	v_lshlrev_b32_e32 v15, 16, v15
	v_fmac_f32_e32 v19, v13, v14
	v_fmac_f32_e32 v19, v12, v15
	s_waitcnt vmcnt(1)
	v_lshlrev_b32_e32 v16, 16, v16
	s_waitcnt vmcnt(0)
	v_lshlrev_b32_e32 v14, 16, v17
	v_fmac_f32_e32 v19, v11, v16
	s_and_saveexec_b64 s[0:1], vcc
	s_cbranch_execz .LBB552_43
; %bb.38:
	global_load_ushort v15, v[0:1], off offset:128
	global_load_ushort v16, v[4:5], off offset:128
	;; [unrolled: 1-line block ×4, first 2 shown]
	v_add_u32_e32 v25, 0x80, v23
	v_cmp_gt_i32_e32 vcc, s8, v25
	s_waitcnt vmcnt(3)
	v_lshlrev_b32_e32 v26, 16, v15
	s_waitcnt vmcnt(2)
	v_lshlrev_b32_e32 v16, 16, v16
	v_fmac_f32_e32 v20, v13, v26
	s_waitcnt vmcnt(1)
	v_lshlrev_b32_e32 v17, 16, v17
	v_fmac_f32_e32 v20, v12, v16
	;; [unrolled: 3-line block ×3, first 2 shown]
	s_and_saveexec_b64 s[4:5], vcc
	s_cbranch_execz .LBB552_42
; %bb.39:
	global_load_ushort v16, v[0:1], off offset:256
	global_load_ushort v17, v[4:5], off offset:256
	;; [unrolled: 1-line block ×4, first 2 shown]
	v_add_u32_e32 v23, 0xc0, v23
	v_cmp_gt_i32_e32 vcc, s8, v23
	s_waitcnt vmcnt(3)
	v_lshlrev_b32_e32 v26, 16, v16
	s_waitcnt vmcnt(2)
	v_lshlrev_b32_e32 v17, 16, v17
	v_fmac_f32_e32 v21, v13, v26
	s_waitcnt vmcnt(1)
	v_lshlrev_b32_e32 v24, 16, v24
	v_fmac_f32_e32 v21, v12, v17
	;; [unrolled: 3-line block ×3, first 2 shown]
	s_and_saveexec_b64 s[6:7], vcc
	s_cbranch_execz .LBB552_41
; %bb.40:
	global_load_ushort v17, v[0:1], off offset:384
	global_load_ushort v23, v[4:5], off offset:384
	;; [unrolled: 1-line block ×4, first 2 shown]
	s_waitcnt vmcnt(3)
	v_lshlrev_b32_e32 v0, 16, v17
	s_waitcnt vmcnt(2)
	v_lshlrev_b32_e32 v1, 16, v23
	v_fmac_f32_e32 v22, v13, v0
	s_waitcnt vmcnt(1)
	v_lshlrev_b32_e32 v4, 16, v24
	v_fmac_f32_e32 v22, v12, v1
	v_fmac_f32_e32 v22, v11, v4
	s_waitcnt vmcnt(0)
	v_lshlrev_b32_e32 v0, 16, v25
	v_fmac_f32_e32 v22, v10, v0
.LBB552_41:
	s_or_b64 exec, exec, s[6:7]
	v_fmac_f32_e32 v21, v10, v16
.LBB552_42:
	s_or_b64 exec, exec, s[4:5]
	v_fmac_f32_e32 v20, v10, v15
.LBB552_43:
	s_or_b64 exec, exec, s[0:1]
	v_fmac_f32_e32 v19, v10, v14
.LBB552_44:
	s_or_b64 exec, exec, s[2:3]
.LBB552_45:
	v_lshlrev_b32_e32 v0, 8, v18
	s_movk_i32 s0, 0x100
	v_add_lshl_u32 v0, v0, v2, 2
	v_cmp_gt_u32_e32 vcc, s0, v3
	ds_write2st64_b32 v0, v19, v20 offset1:1
	ds_write2st64_b32 v0, v21, v22 offset0:2 offset1:3
	s_waitcnt lgkmcnt(0)
	s_barrier
	s_waitcnt lgkmcnt(0)
                                        ; implicit-def: $vgpr5
                                        ; implicit-def: $vgpr0_vgpr1
	s_and_saveexec_b64 s[0:1], vcc
	s_cbranch_execz .LBB552_66
; %bb.46:
	v_lshlrev_b32_e32 v12, 2, v3
	ds_read2st64_b32 v[0:1], v12 offset1:4
	ds_read2st64_b32 v[4:5], v12 offset0:8 offset1:12
	ds_read2st64_b32 v[6:7], v12 offset0:16 offset1:20
	;; [unrolled: 1-line block ×4, first 2 shown]
	s_waitcnt lgkmcnt(4)
	v_add_f32_e32 v0, v0, v1
	s_waitcnt lgkmcnt(3)
	v_add_f32_e32 v0, v4, v0
	v_add_f32_e32 v0, v5, v0
	s_waitcnt lgkmcnt(2)
	v_add_f32_e32 v0, v6, v0
	;; [unrolled: 3-line block ×3, first 2 shown]
	v_add_f32_e32 v2, v9, v0
	ds_read2st64_b32 v[0:1], v12 offset0:40 offset1:44
	ds_read2st64_b32 v[4:5], v12 offset0:48 offset1:52
	s_waitcnt lgkmcnt(2)
	v_add_f32_e32 v2, v10, v2
	v_add_f32_e32 v2, v11, v2
	ds_read2st64_b32 v[6:7], v12 offset0:56 offset1:60
	s_waitcnt lgkmcnt(2)
	v_add_f32_e32 v0, v0, v2
	v_add_f32_e32 v0, v1, v0
	s_waitcnt lgkmcnt(1)
	v_add_f32_e32 v0, v4, v0
	v_add_f32_e32 v0, v5, v0
	s_waitcnt lgkmcnt(0)
	v_add_f32_e32 v0, v6, v0
	v_or_b32_e32 v4, s31, v3
	v_add_f32_e32 v2, v7, v0
	v_cmp_gt_i32_e32 vcc, s8, v4
	s_mov_b64 s[4:5], s[14:15]
	ds_write_b32 v12, v2
                                        ; implicit-def: $vgpr5
                                        ; implicit-def: $vgpr0_vgpr1
	s_and_saveexec_b64 s[2:3], vcc
	s_cbranch_execz .LBB552_65
; %bb.47:
	v_cmp_eq_f32_e64 s[4:5], s11, 0
	v_mul_f32_e32 v2, s10, v2
	s_and_b64 vcc, exec, s[4:5]
	s_cbranch_vccz .LBB552_53
; %bb.48:
	s_mov_b32 s4, 0x7f800000
	v_and_b32_e32 v0, 0x7f800000, v2
	v_cmp_ne_u32_e32 vcc, s4, v0
                                        ; implicit-def: $vgpr3
	s_and_saveexec_b64 s[4:5], vcc
	s_xor_b64 s[4:5], exec, s[4:5]
; %bb.49:
	v_bfe_u32 v0, v2, 16, 1
	s_movk_i32 s6, 0x7fff
	v_add3_u32 v3, v2, v0, s6
; %bb.50:
	s_andn2_saveexec_b64 s[4:5], s[4:5]
; %bb.51:
	v_mov_b32_e32 v0, 0
	v_or_b32_e32 v1, 0x10000, v2
	v_cmp_eq_u32_sdwa vcc, v2, v0 src0_sel:WORD_0 src1_sel:DWORD
	s_nop 1
	v_cndmask_b32_e32 v3, v1, v2, vcc
; %bb.52:
	s_or_b64 exec, exec, s[4:5]
	s_mov_b64 s[4:5], 0
	s_branch .LBB552_54
.LBB552_53:
	s_mov_b64 s[4:5], -1
                                        ; implicit-def: $vgpr3
.LBB552_54:
	v_mul_lo_u32 v0, v4, s30
	s_andn2_b64 vcc, exec, s[4:5]
	v_ashrrev_i32_e32 v1, 31, v0
	s_cbranch_vccnz .LBB552_64
; %bb.55:
	v_lshl_add_u64 v[4:5], v[0:1], 1, s[12:13]
	global_load_ushort v3, v[4:5], off
	s_mov_b32 s4, 0x7f800000
	s_waitcnt vmcnt(0)
	v_lshlrev_b32_e32 v3, 16, v3
	v_mul_f32_e32 v3, s11, v3
	v_and_b32_e32 v4, 0x7f800000, v3
	v_cmp_ne_u32_e32 vcc, s4, v4
                                        ; implicit-def: $vgpr4
	s_and_saveexec_b64 s[4:5], vcc
	s_xor_b64 s[4:5], exec, s[4:5]
; %bb.56:
	v_bfe_u32 v4, v3, 16, 1
	s_movk_i32 s6, 0x7fff
	v_add3_u32 v4, v3, v4, s6
                                        ; implicit-def: $vgpr3
; %bb.57:
	s_andn2_saveexec_b64 s[4:5], s[4:5]
; %bb.58:
	v_mov_b32_e32 v4, 0
	v_or_b32_e32 v5, 0x10000, v3
	v_cmp_eq_u32_sdwa vcc, v3, v4 src0_sel:WORD_0 src1_sel:DWORD
	s_nop 1
	v_cndmask_b32_e32 v4, v5, v3, vcc
; %bb.59:
	s_or_b64 exec, exec, s[4:5]
	v_and_b32_e32 v3, 0xffff0000, v4
	v_add_f32_e32 v2, v2, v3
	s_mov_b32 s4, 0x7f800000
	v_and_b32_e32 v3, 0x7f800000, v2
	v_cmp_ne_u32_e32 vcc, s4, v3
                                        ; implicit-def: $vgpr3
	s_and_saveexec_b64 s[4:5], vcc
	s_xor_b64 s[4:5], exec, s[4:5]
; %bb.60:
	v_bfe_u32 v3, v2, 16, 1
	s_movk_i32 s6, 0x7fff
	v_add3_u32 v3, v2, v3, s6
                                        ; implicit-def: $vgpr2
; %bb.61:
	s_andn2_saveexec_b64 s[4:5], s[4:5]
; %bb.62:
	v_mov_b32_e32 v3, 0
	v_or_b32_e32 v4, 0x10000, v2
	v_cmp_eq_u32_sdwa vcc, v2, v3 src0_sel:WORD_0 src1_sel:DWORD
	s_nop 1
	v_cndmask_b32_e32 v3, v4, v2, vcc
; %bb.63:
	s_or_b64 exec, exec, s[4:5]
.LBB552_64:
	v_lshrrev_b32_e32 v5, 16, v3
	s_or_b64 s[4:5], s[14:15], exec
.LBB552_65:
	s_or_b64 exec, exec, s[2:3]
	s_andn2_b64 s[2:3], s[14:15], exec
	s_and_b64 s[4:5], s[4:5], exec
	s_or_b64 s[14:15], s[2:3], s[4:5]
.LBB552_66:
	s_or_b64 exec, exec, s[0:1]
.LBB552_67:
	s_and_saveexec_b64 s[0:1], s[14:15]
	s_cbranch_execz .LBB552_69
; %bb.68:
	v_lshl_add_u64 v[0:1], v[0:1], 1, s[12:13]
	global_store_short v[0:1], v5, off
.LBB552_69:
	s_endpgm
	.section	.rodata,"a",@progbits
	.p2align	6, 0x0
	.amdhsa_kernel _ZL20rocblas_gemvn_kernelILi64ELi16Ei16rocblas_bfloat16fS0_EviiT3_lPKT2_lT1_lS4_lS5_lS1_lPT4_lS5_li
		.amdhsa_group_segment_fixed_size 16384
		.amdhsa_private_segment_fixed_size 0
		.amdhsa_kernarg_size 400
		.amdhsa_user_sgpr_count 2
		.amdhsa_user_sgpr_dispatch_ptr 0
		.amdhsa_user_sgpr_queue_ptr 0
		.amdhsa_user_sgpr_kernarg_segment_ptr 1
		.amdhsa_user_sgpr_dispatch_id 0
		.amdhsa_user_sgpr_kernarg_preload_length 0
		.amdhsa_user_sgpr_kernarg_preload_offset 0
		.amdhsa_user_sgpr_private_segment_size 0
		.amdhsa_uses_dynamic_stack 0
		.amdhsa_enable_private_segment 0
		.amdhsa_system_sgpr_workgroup_id_x 1
		.amdhsa_system_sgpr_workgroup_id_y 0
		.amdhsa_system_sgpr_workgroup_id_z 1
		.amdhsa_system_sgpr_workgroup_info 0
		.amdhsa_system_vgpr_workitem_id 1
		.amdhsa_next_free_vgpr 45
		.amdhsa_next_free_sgpr 39
		.amdhsa_accum_offset 48
		.amdhsa_reserve_vcc 1
		.amdhsa_float_round_mode_32 0
		.amdhsa_float_round_mode_16_64 0
		.amdhsa_float_denorm_mode_32 3
		.amdhsa_float_denorm_mode_16_64 3
		.amdhsa_dx10_clamp 1
		.amdhsa_ieee_mode 1
		.amdhsa_fp16_overflow 0
		.amdhsa_tg_split 0
		.amdhsa_exception_fp_ieee_invalid_op 0
		.amdhsa_exception_fp_denorm_src 0
		.amdhsa_exception_fp_ieee_div_zero 0
		.amdhsa_exception_fp_ieee_overflow 0
		.amdhsa_exception_fp_ieee_underflow 0
		.amdhsa_exception_fp_ieee_inexact 0
		.amdhsa_exception_int_div_zero 0
	.end_amdhsa_kernel
	.section	.text._ZL20rocblas_gemvn_kernelILi64ELi16Ei16rocblas_bfloat16fS0_EviiT3_lPKT2_lT1_lS4_lS5_lS1_lPT4_lS5_li,"axG",@progbits,_ZL20rocblas_gemvn_kernelILi64ELi16Ei16rocblas_bfloat16fS0_EviiT3_lPKT2_lT1_lS4_lS5_lS1_lPT4_lS5_li,comdat
.Lfunc_end552:
	.size	_ZL20rocblas_gemvn_kernelILi64ELi16Ei16rocblas_bfloat16fS0_EviiT3_lPKT2_lT1_lS4_lS5_lS1_lPT4_lS5_li, .Lfunc_end552-_ZL20rocblas_gemvn_kernelILi64ELi16Ei16rocblas_bfloat16fS0_EviiT3_lPKT2_lT1_lS4_lS5_lS1_lPT4_lS5_li
                                        ; -- End function
	.section	.AMDGPU.csdata,"",@progbits
; Kernel info:
; codeLenInByte = 2952
; NumSgprs: 45
; NumVgprs: 45
; NumAgprs: 0
; TotalNumVgprs: 45
; ScratchSize: 0
; MemoryBound: 0
; FloatMode: 240
; IeeeMode: 1
; LDSByteSize: 16384 bytes/workgroup (compile time only)
; SGPRBlocks: 5
; VGPRBlocks: 5
; NumSGPRsForWavesPerEU: 45
; NumVGPRsForWavesPerEU: 45
; AccumOffset: 48
; Occupancy: 8
; WaveLimiterHint : 1
; COMPUTE_PGM_RSRC2:SCRATCH_EN: 0
; COMPUTE_PGM_RSRC2:USER_SGPR: 2
; COMPUTE_PGM_RSRC2:TRAP_HANDLER: 0
; COMPUTE_PGM_RSRC2:TGID_X_EN: 1
; COMPUTE_PGM_RSRC2:TGID_Y_EN: 0
; COMPUTE_PGM_RSRC2:TGID_Z_EN: 1
; COMPUTE_PGM_RSRC2:TIDIG_COMP_CNT: 1
; COMPUTE_PGM_RSRC3_GFX90A:ACCUM_OFFSET: 11
; COMPUTE_PGM_RSRC3_GFX90A:TG_SPLIT: 0
	.section	.text._ZL20rocblas_gemvn_kernelILi64ELi16El16rocblas_bfloat16fS0_EviiT3_lPKT2_lT1_lS4_lS5_lS1_lPT4_lS5_li,"axG",@progbits,_ZL20rocblas_gemvn_kernelILi64ELi16El16rocblas_bfloat16fS0_EviiT3_lPKT2_lT1_lS4_lS5_lS1_lPT4_lS5_li,comdat
	.globl	_ZL20rocblas_gemvn_kernelILi64ELi16El16rocblas_bfloat16fS0_EviiT3_lPKT2_lT1_lS4_lS5_lS1_lPT4_lS5_li ; -- Begin function _ZL20rocblas_gemvn_kernelILi64ELi16El16rocblas_bfloat16fS0_EviiT3_lPKT2_lT1_lS4_lS5_lS1_lPT4_lS5_li
	.p2align	8
	.type	_ZL20rocblas_gemvn_kernelILi64ELi16El16rocblas_bfloat16fS0_EviiT3_lPKT2_lT1_lS4_lS5_lS1_lPT4_lS5_li,@function
_ZL20rocblas_gemvn_kernelILi64ELi16El16rocblas_bfloat16fS0_EviiT3_lPKT2_lT1_lS4_lS5_lS1_lPT4_lS5_li: ; @_ZL20rocblas_gemvn_kernelILi64ELi16El16rocblas_bfloat16fS0_EviiT3_lPKT2_lT1_lS4_lS5_lS1_lPT4_lS5_li
; %bb.0:
	s_load_dwordx2 s[4:5], s[0:1], 0x9c
	s_waitcnt lgkmcnt(0)
	s_lshr_b32 s6, s4, 16
	s_and_b32 s4, s4, 0xffff
	s_and_b32 s5, s5, 0xffff
	s_mul_i32 s4, s6, s4
	s_mul_i32 s4, s4, s5
	s_cmpk_lg_i32 s4, 0x400
	s_cbranch_scc1 .LBB553_69
; %bb.1:
	s_load_dwordx4 s[28:31], s[0:1], 0x0
	s_waitcnt lgkmcnt(0)
	s_load_dword s31, s[0:1], 0x58
	v_cmp_eq_f32_e64 s[4:5], s30, 0
	s_waitcnt lgkmcnt(0)
	v_cmp_eq_f32_e64 s[6:7], s31, 1.0
	s_and_b64 s[4:5], s[4:5], s[6:7]
	s_and_b64 vcc, exec, s[4:5]
	s_cbranch_vccnz .LBB553_69
; %bb.2:
	s_load_dwordx8 s[20:27], s[0:1], 0x68
	v_and_b32_e32 v33, 0x3ff, v0
	v_bfe_u32 v34, v0, 10, 10
	v_lshl_add_u32 v32, v34, 6, v33
	s_waitcnt lgkmcnt(0)
	s_mul_i32 s5, s3, s27
	s_mul_hi_u32 s6, s3, s26
	s_mul_i32 s4, s3, s26
	s_add_i32 s5, s6, s5
	s_lshl_b64 s[4:5], s[4:5], 1
	s_add_u32 s6, s20, s4
	s_addc_u32 s7, s21, s5
	s_lshl_b64 s[4:5], s[22:23], 1
	s_add_u32 s26, s6, s4
	s_addc_u32 s27, s7, s5
	v_cmp_neq_f32_e64 s[4:5], s30, 0
	s_and_b64 vcc, exec, s[4:5]
	s_cbranch_vccnz .LBB553_13
; %bb.3:
	s_movk_i32 s4, 0x100
	v_cmp_gt_u32_e32 vcc, s4, v32
	s_mov_b64 s[4:5], 0
	s_mov_b64 s[34:35], 0
                                        ; implicit-def: $vgpr3
                                        ; implicit-def: $vgpr0_vgpr1
	s_and_saveexec_b64 s[6:7], vcc
	s_cbranch_execz .LBB553_14
; %bb.4:
	v_lshl_or_b32 v2, s2, 8, v32
	v_mov_b32_e32 v3, 0
	s_ashr_i32 s9, s28, 31
	s_mov_b32 s8, s28
	v_cmp_gt_i64_e32 vcc, s[8:9], v[2:3]
	s_mov_b64 s[10:11], 0
                                        ; implicit-def: $vgpr0_vgpr1
	s_and_saveexec_b64 s[8:9], vcc
	s_cbranch_execz .LBB553_12
; %bb.5:
	v_mad_u64_u32 v[0:1], s[12:13], v2, s24, 0
	v_mov_b32_e32 v4, v1
	v_cmp_eq_f32_e64 s[10:11], s31, 0
	v_mad_u64_u32 v[4:5], s[12:13], v2, s25, v[4:5]
	v_mov_b32_e32 v1, v4
	s_and_b64 vcc, exec, s[10:11]
	s_cbranch_vccnz .LBB553_11
; %bb.6:
	v_lshl_add_u64 v[2:3], v[0:1], 1, s[26:27]
	global_load_ushort v2, v[2:3], off
	s_mov_b32 s10, 0x7f800000
	s_waitcnt vmcnt(0)
	v_lshlrev_b32_e32 v2, 16, v2
	v_mul_f32_e32 v2, s31, v2
	v_and_b32_e32 v3, 0x7f800000, v2
	v_cmp_ne_u32_e32 vcc, s10, v3
                                        ; implicit-def: $vgpr3
	s_and_saveexec_b64 s[10:11], vcc
	s_xor_b64 s[10:11], exec, s[10:11]
; %bb.7:
	v_bfe_u32 v3, v2, 16, 1
	s_movk_i32 s12, 0x7fff
	v_add3_u32 v3, v2, v3, s12
                                        ; implicit-def: $vgpr2
; %bb.8:
	s_andn2_saveexec_b64 s[10:11], s[10:11]
; %bb.9:
	v_mov_b32_e32 v3, 0
	v_or_b32_e32 v4, 0x10000, v2
	v_cmp_eq_u32_sdwa vcc, v2, v3 src0_sel:WORD_0 src1_sel:DWORD
	s_nop 1
	v_cndmask_b32_e32 v3, v4, v2, vcc
; %bb.10:
	s_or_b64 exec, exec, s[10:11]
	v_lshrrev_b32_e32 v3, 16, v3
.LBB553_11:
	s_mov_b64 s[10:11], exec
.LBB553_12:
	s_or_b64 exec, exec, s[8:9]
	s_and_b64 s[34:35], s[10:11], exec
	s_or_b64 exec, exec, s[6:7]
	s_and_b64 vcc, exec, s[4:5]
	s_cbranch_vccnz .LBB553_15
	s_branch .LBB553_67
.LBB553_13:
	s_mov_b64 s[34:35], 0
                                        ; implicit-def: $vgpr3
                                        ; implicit-def: $vgpr0_vgpr1
	s_cbranch_execnz .LBB553_15
	s_branch .LBB553_67
.LBB553_14:
	s_or_b64 exec, exec, s[6:7]
	s_and_b64 vcc, exec, s[4:5]
	s_cbranch_vccz .LBB553_67
.LBB553_15:
	s_load_dwordx16 s[8:23], s[0:1], 0x18
	s_lshl_b32 s33, s2, 8
	v_lshlrev_b32_e32 v39, 2, v34
	v_add_u32_e32 v0, s33, v33
	v_mov_b32_e32 v35, 0
	s_waitcnt lgkmcnt(0)
	s_mul_i32 s0, s3, s15
	s_mul_hi_u32 s1, s3, s14
	s_add_i32 s15, s1, s0
	s_ashr_i32 s0, s29, 31
	s_lshr_b32 s0, s0, 26
	s_add_i32 s52, s29, s0
	s_mul_i32 s4, s3, s23
	s_mul_hi_u32 s5, s3, s22
	s_andn2_b32 s52, s52, 63
	s_mul_i32 s14, s3, s14
	s_add_i32 s23, s5, s4
	s_mul_i32 s22, s3, s22
	v_cmp_gt_i32_e32 vcc, s52, v39
	v_mov_b32_e32 v36, 0
	v_mov_b32_e32 v37, 0
	;; [unrolled: 1-line block ×3, first 2 shown]
	s_and_saveexec_b64 s[36:37], vcc
	s_cbranch_execz .LBB553_27
; %bb.16:
	v_add_u32_e32 v2, 64, v0
	v_cmp_gt_i32_e64 s[0:1], s28, v2
	v_add_u32_e32 v2, 0x80, v0
	v_cmp_gt_i32_e64 s[2:3], s28, v2
	;; [unrolled: 2-line block ×3, first 2 shown]
	v_mad_u64_u32 v[2:3], s[6:7], s20, v34, 0
	v_mov_b32_e32 v4, v3
	v_ashrrev_i32_e32 v1, 31, v0
	v_mad_u64_u32 v[4:5], s[6:7], s21, v34, v[4:5]
	v_mov_b32_e32 v3, v4
	v_lshlrev_b64 v[4:5], 1, v[0:1]
	v_lshlrev_b32_e32 v1, 2, v34
	v_or_b32_e32 v11, 3, v1
	v_mad_u64_u32 v[6:7], s[42:43], s12, v11, 0
	v_mov_b32_e32 v8, v7
	v_mad_u64_u32 v[8:9], s[42:43], s13, v11, v[8:9]
	v_mov_b32_e32 v7, v8
	;; [unrolled: 2-line block ×5, first 2 shown]
	v_mad_u64_u32 v[12:13], s[46:47], s13, v34, v[12:13]
	v_or_b32_e32 v17, 2, v1
	v_mov_b32_e32 v11, v12
	v_mad_u64_u32 v[12:13], s[46:47], s12, v17, 0
	v_mov_b32_e32 v14, v13
	v_mad_u64_u32 v[14:15], s[46:47], s13, v17, v[14:15]
	;; [unrolled: 2-line block ×4, first 2 shown]
	v_mov_b32_e32 v15, v16
	v_mov_b64_e32 v[16:17], s[20:21]
	v_mad_u64_u32 v[16:17], s[46:47], s20, v1, v[16:17]
	s_lshl_b64 s[38:39], s[18:19], 1
	s_lshl_b64 s[6:7], s[22:23], 1
	v_mov_b32_e32 v18, v17
	s_add_u32 s6, s16, s6
	v_mad_u64_u32 v[18:19], s[46:47], s21, v1, v[18:19]
	s_addc_u32 s7, s17, s7
	s_lshl_b64 s[40:41], s[20:21], 7
	s_lshl_b64 s[42:43], s[14:15], 1
	s_lshl_b64 s[44:45], s[10:11], 1
	v_mov_b32_e32 v17, v18
	v_mov_b64_e32 v[18:19], s[12:13]
	v_lshl_add_u64 v[2:3], v[2:3], 3, s[6:7]
	s_add_u32 s44, s8, s44
	v_lshl_add_u64 v[8:9], v[8:9], 1, s[6:7]
	v_lshl_add_u64 v[14:15], v[14:15], 1, s[6:7]
	;; [unrolled: 1-line block ×3, first 2 shown]
	v_mad_u64_u32 v[18:19], s[6:7], s12, v1, v[18:19]
	s_addc_u32 s45, s9, s45
	v_mov_b32_e32 v20, v19
	s_add_u32 s44, s44, s42
	v_mad_u64_u32 v[20:21], s[6:7], s13, v1, v[20:21]
	s_addc_u32 s45, s45, s43
	v_mov_b32_e32 v19, v20
	v_cmp_gt_i32_e32 vcc, s28, v0
	v_lshl_add_u64 v[6:7], v[6:7], 1, s[44:45]
	s_lshl_b64 s[42:43], s[12:13], 7
	v_lshl_add_u64 v[10:11], v[10:11], 3, s[44:45]
	v_lshl_add_u64 v[12:13], v[12:13], 1, s[44:45]
	;; [unrolled: 1-line block ×3, first 2 shown]
	s_mov_b64 s[44:45], 0
	v_mov_b32_e32 v35, 0
	v_mov_b32_e32 v36, 0
	;; [unrolled: 1-line block ×4, first 2 shown]
	s_branch .LBB553_21
.LBB553_17:                             ;   in Loop: Header=BB553_21 Depth=1
	s_or_b64 exec, exec, s[50:51]
	s_waitcnt vmcnt(3)
	v_lshlrev_b32_e32 v24, 16, v50
	v_fmac_f32_e32 v37, v22, v24
	s_waitcnt vmcnt(2)
	v_lshlrev_b32_e32 v24, 16, v49
	v_fmac_f32_e32 v37, v23, v24
	;; [unrolled: 3-line block ×4, first 2 shown]
.LBB553_18:                             ;   in Loop: Header=BB553_21 Depth=1
	s_or_b64 exec, exec, s[48:49]
	s_waitcnt vmcnt(3)
	v_lshlrev_b32_e32 v24, 16, v46
	v_fmac_f32_e32 v36, v22, v24
	s_waitcnt vmcnt(2)
	v_lshlrev_b32_e32 v24, 16, v45
	v_fmac_f32_e32 v36, v23, v24
	;; [unrolled: 3-line block ×4, first 2 shown]
.LBB553_19:                             ;   in Loop: Header=BB553_21 Depth=1
	s_or_b64 exec, exec, s[46:47]
	s_waitcnt vmcnt(3)
	v_lshlrev_b32_e32 v24, 16, v42
	v_fmac_f32_e32 v35, v22, v24
	s_waitcnt vmcnt(2)
	v_lshlrev_b32_e32 v22, 16, v41
	v_fmac_f32_e32 v35, v23, v22
	s_waitcnt vmcnt(1)
	v_lshlrev_b32_e32 v22, 16, v40
	v_fmac_f32_e32 v35, v20, v22
	s_waitcnt vmcnt(0)
	v_lshlrev_b32_e32 v1, 16, v1
	v_fmac_f32_e32 v35, v21, v1
.LBB553_20:                             ;   in Loop: Header=BB553_21 Depth=1
	s_or_b64 exec, exec, s[6:7]
	v_add_u32_e32 v39, 64, v39
	v_cmp_le_i32_e64 s[6:7], s52, v39
	v_lshl_add_u64 v[2:3], v[2:3], 0, s[40:41]
	v_lshl_add_u64 v[6:7], v[6:7], 0, s[42:43]
	;; [unrolled: 1-line block ×7, first 2 shown]
	s_or_b64 s[44:45], s[6:7], s[44:45]
	v_lshl_add_u64 v[18:19], v[18:19], 0, s[42:43]
	s_andn2_b64 exec, exec, s[44:45]
	s_cbranch_execz .LBB553_26
.LBB553_21:                             ; =>This Inner Loop Header: Depth=1
	s_and_saveexec_b64 s[6:7], vcc
	s_cbranch_execz .LBB553_20
; %bb.22:                               ;   in Loop: Header=BB553_21 Depth=1
	v_lshl_add_u64 v[20:21], v[2:3], 0, s[38:39]
	v_lshl_add_u64 v[22:23], v[16:17], 0, s[38:39]
	global_load_ushort v43, v[20:21], off
	global_load_ushort v44, v[22:23], off
	v_lshl_add_u64 v[20:21], v[14:15], 0, s[38:39]
	v_lshl_add_u64 v[22:23], v[8:9], 0, s[38:39]
	global_load_ushort v45, v[20:21], off
	global_load_ushort v46, v[22:23], off
	v_lshl_add_u64 v[28:29], v[10:11], 0, v[4:5]
	v_lshl_add_u64 v[30:31], v[18:19], 0, v[4:5]
	;; [unrolled: 1-line block ×4, first 2 shown]
	global_load_ushort v42, v[28:29], off
	global_load_ushort v41, v[30:31], off
	;; [unrolled: 1-line block ×4, first 2 shown]
	s_waitcnt vmcnt(7)
	v_lshlrev_b32_e32 v22, 16, v43
	s_waitcnt vmcnt(6)
	v_lshlrev_b32_e32 v23, 16, v44
	;; [unrolled: 2-line block ×4, first 2 shown]
	s_and_saveexec_b64 s[46:47], s[0:1]
	s_cbranch_execz .LBB553_19
; %bb.23:                               ;   in Loop: Header=BB553_21 Depth=1
	global_load_ushort v46, v[28:29], off offset:128
	global_load_ushort v45, v[30:31], off offset:128
	;; [unrolled: 1-line block ×4, first 2 shown]
	s_and_saveexec_b64 s[48:49], s[2:3]
	s_cbranch_execz .LBB553_18
; %bb.24:                               ;   in Loop: Header=BB553_21 Depth=1
	global_load_ushort v50, v[28:29], off offset:256
	global_load_ushort v49, v[30:31], off offset:256
	global_load_ushort v48, v[24:25], off offset:256
	global_load_ushort v47, v[26:27], off offset:256
	s_and_saveexec_b64 s[50:51], s[4:5]
	s_cbranch_execz .LBB553_17
; %bb.25:                               ;   in Loop: Header=BB553_21 Depth=1
	global_load_ushort v30, v[30:31], off offset:384
	s_nop 0
	global_load_ushort v28, v[28:29], off offset:384
	s_nop 0
	global_load_ushort v26, v[26:27], off offset:384
	s_nop 0
	global_load_ushort v29, v[24:25], off offset:384
	s_waitcnt vmcnt(3)
	v_lshlrev_b32_e32 v25, 16, v30
	s_waitcnt vmcnt(2)
	v_lshlrev_b32_e32 v24, 16, v28
	v_pk_mul_f32 v[24:25], v[22:23], v[24:25]
	s_waitcnt vmcnt(1)
	v_lshlrev_b32_e32 v27, 16, v26
	s_waitcnt vmcnt(0)
	v_lshlrev_b32_e32 v26, 16, v29
	v_add_f32_e32 v24, v38, v24
	v_add_f32_e32 v28, v24, v25
	v_pk_mul_f32 v[24:25], v[20:21], v[26:27]
	s_nop 0
	v_add_f32_e32 v24, v28, v24
	v_add_f32_e32 v38, v24, v25
	s_branch .LBB553_17
.LBB553_26:
	s_or_b64 exec, exec, s[44:45]
.LBB553_27:
	s_or_b64 exec, exec, s[36:37]
	s_sub_i32 s0, s29, s52
	s_cmp_lt_i32 s0, 1
	s_cbranch_scc1 .LBB553_45
; %bb.28:
	v_cmp_gt_i32_e32 vcc, s29, v39
	v_mov_b32_e32 v10, 0
	v_or_b32_e32 v4, 1, v39
	v_mov_b32_e32 v11, 0
	v_mov_b32_e32 v12, 0
	;; [unrolled: 1-line block ×3, first 2 shown]
	s_and_saveexec_b64 s[2:3], vcc
	s_cbranch_execz .LBB553_36
; %bb.29:
	s_lshl_b64 s[0:1], s[22:23], 1
	s_add_u32 s4, s16, s0
	s_addc_u32 s5, s17, s1
	s_lshl_b64 s[0:1], s[18:19], 1
	s_add_u32 s6, s4, s0
	s_addc_u32 s7, s5, s1
	v_mad_u64_u32 v[2:3], s[0:1], v39, s20, 0
	v_mov_b32_e32 v6, v3
	v_mad_u64_u32 v[6:7], s[0:1], v39, s21, v[6:7]
	v_mov_b32_e32 v3, v6
	v_lshl_add_u64 v[2:3], v[2:3], 1, s[6:7]
	global_load_ushort v1, v[2:3], off
	v_cmp_gt_i32_e64 s[0:1], s29, v4
	v_mov_b32_e32 v12, 0
	v_mov_b32_e32 v11, 0
	;; [unrolled: 1-line block ×3, first 2 shown]
	s_and_saveexec_b64 s[4:5], s[0:1]
	s_cbranch_execz .LBB553_35
; %bb.30:
	v_mad_u64_u32 v[2:3], s[0:1], v4, s20, 0
	v_mov_b32_e32 v6, v3
	v_mad_u64_u32 v[6:7], s[0:1], v4, s21, v[6:7]
	v_mov_b32_e32 v3, v6
	v_lshl_add_u64 v[2:3], v[2:3], 1, s[6:7]
	global_load_ushort v2, v[2:3], off
	v_or_b32_e32 v3, 2, v39
	v_cmp_gt_i32_e64 s[0:1], s29, v3
	v_mov_b32_e32 v11, 0
	v_mov_b32_e32 v10, 0
	s_and_saveexec_b64 s[16:17], s[0:1]
	s_cbranch_execz .LBB553_34
; %bb.31:
	v_mad_u64_u32 v[6:7], s[0:1], v3, s20, 0
	v_mov_b32_e32 v8, v7
	v_mad_u64_u32 v[8:9], s[0:1], v3, s21, v[8:9]
	v_mov_b32_e32 v7, v8
	v_lshl_add_u64 v[6:7], v[6:7], 1, s[6:7]
	global_load_ushort v3, v[6:7], off
	v_or_b32_e32 v5, 3, v39
	v_cmp_gt_i32_e64 s[0:1], s29, v5
	v_mov_b32_e32 v10, 0
	s_and_saveexec_b64 s[18:19], s[0:1]
	s_cbranch_execz .LBB553_33
; %bb.32:
	v_mad_u64_u32 v[6:7], s[0:1], v5, s20, 0
	v_mov_b32_e32 v8, v7
	v_mad_u64_u32 v[8:9], s[0:1], v5, s21, v[8:9]
	v_mov_b32_e32 v7, v8
	v_lshl_add_u64 v[6:7], v[6:7], 1, s[6:7]
	global_load_ushort v5, v[6:7], off
	s_waitcnt vmcnt(0)
	v_lshlrev_b32_e32 v10, 16, v5
.LBB553_33:
	s_or_b64 exec, exec, s[18:19]
	s_waitcnt vmcnt(0)
	v_lshlrev_b32_e32 v11, 16, v3
.LBB553_34:
	s_or_b64 exec, exec, s[16:17]
	s_waitcnt vmcnt(0)
	v_lshlrev_b32_e32 v12, 16, v2
.LBB553_35:
	s_or_b64 exec, exec, s[4:5]
	s_waitcnt vmcnt(0)
	v_lshlrev_b32_e32 v13, 16, v1
.LBB553_36:
	s_or_b64 exec, exec, s[2:3]
	v_cmp_gt_i32_e64 s[0:1], s28, v0
	s_and_saveexec_b64 s[2:3], s[0:1]
	s_cbranch_execz .LBB553_44
; %bb.37:
	s_lshl_b64 s[0:1], s[14:15], 1
	s_add_u32 s4, s8, s0
	s_addc_u32 s5, s9, s1
	s_lshl_b64 s[0:1], s[10:11], 1
	s_add_u32 s0, s4, s0
	s_addc_u32 s1, s5, s1
	v_mad_u64_u32 v[2:3], s[4:5], v39, s12, 0
	v_mov_b32_e32 v6, v3
	v_mad_u64_u32 v[6:7], s[4:5], v39, s13, v[6:7]
	v_ashrrev_i32_e32 v1, 31, v0
	v_cndmask_b32_e32 v3, 0, v6, vcc
	v_mad_u64_u32 v[6:7], s[4:5], v4, s12, 0
	v_cndmask_b32_e32 v2, 0, v2, vcc
	v_lshlrev_b64 v[8:9], 1, v[0:1]
	v_mov_b32_e32 v14, v7
	v_cmp_gt_i32_e32 vcc, s29, v4
	v_or_b32_e32 v1, 2, v39
	v_mad_u64_u32 v[14:15], s[4:5], v4, s13, v[14:15]
	v_cndmask_b32_e32 v4, 0, v6, vcc
	v_mad_u64_u32 v[6:7], s[4:5], v1, s12, 0
	v_cndmask_b32_e32 v5, 0, v14, vcc
	v_mov_b32_e32 v14, v7
	v_mad_u64_u32 v[14:15], s[4:5], v1, s13, v[14:15]
	v_cmp_gt_i32_e32 vcc, s29, v1
	v_or_b32_e32 v1, 3, v39
	v_lshl_add_u64 v[2:3], v[2:3], 1, s[0:1]
	v_cndmask_b32_e32 v7, 0, v14, vcc
	v_mad_u64_u32 v[14:15], s[4:5], v1, s12, 0
	v_mov_b32_e32 v16, v15
	v_cndmask_b32_e32 v6, 0, v6, vcc
	v_mad_u64_u32 v[16:17], s[4:5], v1, s13, v[16:17]
	v_cmp_gt_i32_e32 vcc, s29, v1
	v_lshl_add_u64 v[2:3], v[2:3], 0, v[8:9]
	v_lshl_add_u64 v[4:5], v[4:5], 1, s[0:1]
	v_cndmask_b32_e32 v14, 0, v14, vcc
	v_cndmask_b32_e32 v15, 0, v16, vcc
	v_lshl_add_u64 v[6:7], v[6:7], 1, s[0:1]
	v_lshl_add_u64 v[14:15], v[14:15], 1, s[0:1]
	;; [unrolled: 1-line block ×5, first 2 shown]
	global_load_ushort v1, v[2:3], off
	global_load_ushort v14, v[4:5], off
	;; [unrolled: 1-line block ×4, first 2 shown]
	v_add_u32_e32 v17, 64, v0
	v_cmp_gt_i32_e32 vcc, s28, v17
	s_waitcnt vmcnt(3)
	v_lshlrev_b32_e32 v18, 16, v1
	s_waitcnt vmcnt(2)
	v_lshlrev_b32_e32 v14, 16, v14
	v_fmac_f32_e32 v35, v13, v18
	s_waitcnt vmcnt(1)
	v_lshlrev_b32_e32 v15, 16, v15
	v_fmac_f32_e32 v35, v12, v14
	s_waitcnt vmcnt(0)
	v_lshlrev_b32_e32 v1, 16, v16
	v_fmac_f32_e32 v35, v11, v15
	s_and_saveexec_b64 s[0:1], vcc
	s_cbranch_execz .LBB553_43
; %bb.38:
	global_load_ushort v14, v[2:3], off offset:128
	global_load_ushort v15, v[4:5], off offset:128
	global_load_ushort v16, v[6:7], off offset:128
	global_load_ushort v17, v[8:9], off offset:128
	v_add_u32_e32 v18, 0x80, v0
	v_cmp_gt_i32_e32 vcc, s28, v18
	s_waitcnt vmcnt(3)
	v_lshlrev_b32_e32 v19, 16, v14
	s_waitcnt vmcnt(2)
	v_lshlrev_b32_e32 v15, 16, v15
	v_fmac_f32_e32 v36, v13, v19
	s_waitcnt vmcnt(1)
	v_lshlrev_b32_e32 v16, 16, v16
	v_fmac_f32_e32 v36, v12, v15
	s_waitcnt vmcnt(0)
	v_lshlrev_b32_e32 v14, 16, v17
	v_fmac_f32_e32 v36, v11, v16
	s_and_saveexec_b64 s[4:5], vcc
	s_cbranch_execz .LBB553_42
; %bb.39:
	global_load_ushort v15, v[2:3], off offset:256
	global_load_ushort v16, v[4:5], off offset:256
	global_load_ushort v17, v[6:7], off offset:256
	global_load_ushort v18, v[8:9], off offset:256
	;; [unrolled: 20-line block ×3, first 2 shown]
	s_waitcnt vmcnt(3)
	v_lshlrev_b32_e32 v2, 16, v15
	s_waitcnt vmcnt(2)
	v_lshlrev_b32_e32 v3, 16, v16
	v_fmac_f32_e32 v38, v13, v2
	s_waitcnt vmcnt(1)
	v_lshlrev_b32_e32 v4, 16, v17
	v_fmac_f32_e32 v38, v12, v3
	v_fmac_f32_e32 v38, v11, v4
	s_waitcnt vmcnt(0)
	v_lshlrev_b32_e32 v2, 16, v18
	v_fmac_f32_e32 v38, v10, v2
.LBB553_41:
	s_or_b64 exec, exec, s[6:7]
	v_fmac_f32_e32 v37, v10, v0
.LBB553_42:
	s_or_b64 exec, exec, s[4:5]
	v_fmac_f32_e32 v36, v10, v14
.LBB553_43:
	s_or_b64 exec, exec, s[0:1]
	v_fmac_f32_e32 v35, v10, v1
.LBB553_44:
	s_or_b64 exec, exec, s[2:3]
.LBB553_45:
	v_lshlrev_b32_e32 v0, 8, v34
	s_movk_i32 s0, 0x100
	v_add_lshl_u32 v0, v0, v33, 2
	v_cmp_gt_u32_e32 vcc, s0, v32
	ds_write2st64_b32 v0, v35, v36 offset1:1
	ds_write2st64_b32 v0, v37, v38 offset0:2 offset1:3
	s_waitcnt lgkmcnt(0)
	s_barrier
	s_waitcnt lgkmcnt(0)
                                        ; implicit-def: $vgpr3
                                        ; implicit-def: $vgpr0_vgpr1
	s_and_saveexec_b64 s[0:1], vcc
	s_cbranch_execz .LBB553_66
; %bb.46:
	v_lshlrev_b32_e32 v10, 2, v32
	ds_read2st64_b32 v[0:1], v10 offset1:4
	ds_read2st64_b32 v[2:3], v10 offset0:8 offset1:12
	ds_read2st64_b32 v[4:5], v10 offset0:16 offset1:20
	;; [unrolled: 1-line block ×4, first 2 shown]
	s_waitcnt lgkmcnt(4)
	v_add_f32_e32 v0, v0, v1
	s_waitcnt lgkmcnt(3)
	v_add_f32_e32 v0, v2, v0
	v_add_f32_e32 v0, v3, v0
	s_waitcnt lgkmcnt(2)
	v_add_f32_e32 v0, v4, v0
	;; [unrolled: 3-line block ×3, first 2 shown]
	v_add_f32_e32 v2, v7, v0
	ds_read2st64_b32 v[0:1], v10 offset0:40 offset1:44
	s_waitcnt lgkmcnt(1)
	v_add_f32_e32 v4, v8, v2
	ds_read2st64_b32 v[2:3], v10 offset0:48 offset1:52
	v_add_f32_e32 v6, v9, v4
	ds_read2st64_b32 v[4:5], v10 offset0:56 offset1:60
	s_waitcnt lgkmcnt(2)
	v_add_f32_e32 v0, v0, v6
	v_add_f32_e32 v0, v1, v0
	s_waitcnt lgkmcnt(1)
	v_add_f32_e32 v0, v2, v0
	v_add_f32_e32 v0, v3, v0
	s_waitcnt lgkmcnt(0)
	v_add_f32_e32 v0, v4, v0
	v_or_b32_e32 v2, s33, v32
	v_add_f32_e32 v4, v5, v0
	v_cmp_gt_i32_e32 vcc, s28, v2
	s_mov_b64 s[4:5], s[34:35]
	ds_write_b32 v10, v4
                                        ; implicit-def: $vgpr3
                                        ; implicit-def: $vgpr0_vgpr1
	s_and_saveexec_b64 s[2:3], vcc
	s_cbranch_execz .LBB553_65
; %bb.47:
	v_cmp_eq_f32_e64 s[4:5], s31, 0
	v_mul_f32_e32 v0, s30, v4
	s_and_b64 vcc, exec, s[4:5]
	s_cbranch_vccz .LBB553_53
; %bb.48:
	s_mov_b32 s4, 0x7f800000
	v_and_b32_e32 v1, 0x7f800000, v0
	v_cmp_ne_u32_e32 vcc, s4, v1
                                        ; implicit-def: $vgpr1
	s_and_saveexec_b64 s[4:5], vcc
	s_xor_b64 s[4:5], exec, s[4:5]
; %bb.49:
	v_bfe_u32 v1, v0, 16, 1
	s_movk_i32 s6, 0x7fff
	v_add3_u32 v1, v0, v1, s6
; %bb.50:
	s_andn2_saveexec_b64 s[4:5], s[4:5]
; %bb.51:
	v_mov_b32_e32 v1, 0
	v_or_b32_e32 v3, 0x10000, v0
	v_cmp_eq_u32_sdwa vcc, v0, v1 src0_sel:WORD_0 src1_sel:DWORD
	s_nop 1
	v_cndmask_b32_e32 v1, v3, v0, vcc
; %bb.52:
	s_or_b64 exec, exec, s[4:5]
	s_mov_b64 s[4:5], 0
	s_branch .LBB553_54
.LBB553_53:
	s_mov_b64 s[4:5], -1
                                        ; implicit-def: $vgpr1
.LBB553_54:
	v_ashrrev_i32_e32 v3, 31, v2
	s_andn2_b64 vcc, exec, s[4:5]
	v_mul_lo_u32 v4, v2, s25
	v_mul_lo_u32 v5, v3, s24
	s_cbranch_vccnz .LBB553_64
; %bb.55:
	v_mad_u64_u32 v[6:7], s[4:5], v2, s24, 0
	v_add3_u32 v7, v7, v4, v5
	v_lshl_add_u64 v[6:7], v[6:7], 1, s[26:27]
	global_load_ushort v1, v[6:7], off
	s_mov_b32 s4, 0x7f800000
	s_waitcnt vmcnt(0)
	v_lshlrev_b32_e32 v1, 16, v1
	v_mul_f32_e32 v1, s31, v1
	v_and_b32_e32 v3, 0x7f800000, v1
	v_cmp_ne_u32_e32 vcc, s4, v3
                                        ; implicit-def: $vgpr3
	s_and_saveexec_b64 s[4:5], vcc
	s_xor_b64 s[4:5], exec, s[4:5]
; %bb.56:
	v_bfe_u32 v3, v1, 16, 1
	s_movk_i32 s6, 0x7fff
	v_add3_u32 v3, v1, v3, s6
                                        ; implicit-def: $vgpr1
; %bb.57:
	s_andn2_saveexec_b64 s[4:5], s[4:5]
; %bb.58:
	v_mov_b32_e32 v3, 0
	v_or_b32_e32 v6, 0x10000, v1
	v_cmp_eq_u32_sdwa vcc, v1, v3 src0_sel:WORD_0 src1_sel:DWORD
	s_nop 1
	v_cndmask_b32_e32 v3, v6, v1, vcc
; %bb.59:
	s_or_b64 exec, exec, s[4:5]
	v_and_b32_e32 v1, 0xffff0000, v3
	v_add_f32_e32 v0, v0, v1
	s_mov_b32 s4, 0x7f800000
	v_and_b32_e32 v1, 0x7f800000, v0
	v_cmp_ne_u32_e32 vcc, s4, v1
                                        ; implicit-def: $vgpr1
	s_and_saveexec_b64 s[4:5], vcc
	s_xor_b64 s[4:5], exec, s[4:5]
; %bb.60:
	v_bfe_u32 v1, v0, 16, 1
	s_movk_i32 s6, 0x7fff
	v_add3_u32 v1, v0, v1, s6
                                        ; implicit-def: $vgpr0
; %bb.61:
	s_andn2_saveexec_b64 s[4:5], s[4:5]
; %bb.62:
	v_mov_b32_e32 v1, 0
	v_or_b32_e32 v3, 0x10000, v0
	v_cmp_eq_u32_sdwa vcc, v0, v1 src0_sel:WORD_0 src1_sel:DWORD
	s_nop 1
	v_cndmask_b32_e32 v1, v3, v0, vcc
; %bb.63:
	s_or_b64 exec, exec, s[4:5]
.LBB553_64:
	v_lshrrev_b32_e32 v3, 16, v1
	v_mad_u64_u32 v[0:1], s[4:5], v2, s24, 0
	v_add3_u32 v1, v1, v4, v5
	s_or_b64 s[4:5], s[34:35], exec
.LBB553_65:
	s_or_b64 exec, exec, s[2:3]
	s_andn2_b64 s[2:3], s[34:35], exec
	s_and_b64 s[4:5], s[4:5], exec
	s_or_b64 s[34:35], s[2:3], s[4:5]
.LBB553_66:
	s_or_b64 exec, exec, s[0:1]
.LBB553_67:
	s_and_saveexec_b64 s[0:1], s[34:35]
	s_cbranch_execz .LBB553_69
; %bb.68:
	v_lshl_add_u64 v[0:1], v[0:1], 1, s[26:27]
	global_store_short v[0:1], v3, off
.LBB553_69:
	s_endpgm
	.section	.rodata,"a",@progbits
	.p2align	6, 0x0
	.amdhsa_kernel _ZL20rocblas_gemvn_kernelILi64ELi16El16rocblas_bfloat16fS0_EviiT3_lPKT2_lT1_lS4_lS5_lS1_lPT4_lS5_li
		.amdhsa_group_segment_fixed_size 16384
		.amdhsa_private_segment_fixed_size 0
		.amdhsa_kernarg_size 400
		.amdhsa_user_sgpr_count 2
		.amdhsa_user_sgpr_dispatch_ptr 0
		.amdhsa_user_sgpr_queue_ptr 0
		.amdhsa_user_sgpr_kernarg_segment_ptr 1
		.amdhsa_user_sgpr_dispatch_id 0
		.amdhsa_user_sgpr_kernarg_preload_length 0
		.amdhsa_user_sgpr_kernarg_preload_offset 0
		.amdhsa_user_sgpr_private_segment_size 0
		.amdhsa_uses_dynamic_stack 0
		.amdhsa_enable_private_segment 0
		.amdhsa_system_sgpr_workgroup_id_x 1
		.amdhsa_system_sgpr_workgroup_id_y 0
		.amdhsa_system_sgpr_workgroup_id_z 1
		.amdhsa_system_sgpr_workgroup_info 0
		.amdhsa_system_vgpr_workitem_id 1
		.amdhsa_next_free_vgpr 51
		.amdhsa_next_free_sgpr 53
		.amdhsa_accum_offset 52
		.amdhsa_reserve_vcc 1
		.amdhsa_float_round_mode_32 0
		.amdhsa_float_round_mode_16_64 0
		.amdhsa_float_denorm_mode_32 3
		.amdhsa_float_denorm_mode_16_64 3
		.amdhsa_dx10_clamp 1
		.amdhsa_ieee_mode 1
		.amdhsa_fp16_overflow 0
		.amdhsa_tg_split 0
		.amdhsa_exception_fp_ieee_invalid_op 0
		.amdhsa_exception_fp_denorm_src 0
		.amdhsa_exception_fp_ieee_div_zero 0
		.amdhsa_exception_fp_ieee_overflow 0
		.amdhsa_exception_fp_ieee_underflow 0
		.amdhsa_exception_fp_ieee_inexact 0
		.amdhsa_exception_int_div_zero 0
	.end_amdhsa_kernel
	.section	.text._ZL20rocblas_gemvn_kernelILi64ELi16El16rocblas_bfloat16fS0_EviiT3_lPKT2_lT1_lS4_lS5_lS1_lPT4_lS5_li,"axG",@progbits,_ZL20rocblas_gemvn_kernelILi64ELi16El16rocblas_bfloat16fS0_EviiT3_lPKT2_lT1_lS4_lS5_lS1_lPT4_lS5_li,comdat
.Lfunc_end553:
	.size	_ZL20rocblas_gemvn_kernelILi64ELi16El16rocblas_bfloat16fS0_EviiT3_lPKT2_lT1_lS4_lS5_lS1_lPT4_lS5_li, .Lfunc_end553-_ZL20rocblas_gemvn_kernelILi64ELi16El16rocblas_bfloat16fS0_EviiT3_lPKT2_lT1_lS4_lS5_lS1_lPT4_lS5_li
                                        ; -- End function
	.section	.AMDGPU.csdata,"",@progbits
; Kernel info:
; codeLenInByte = 3276
; NumSgprs: 59
; NumVgprs: 51
; NumAgprs: 0
; TotalNumVgprs: 51
; ScratchSize: 0
; MemoryBound: 0
; FloatMode: 240
; IeeeMode: 1
; LDSByteSize: 16384 bytes/workgroup (compile time only)
; SGPRBlocks: 7
; VGPRBlocks: 6
; NumSGPRsForWavesPerEU: 59
; NumVGPRsForWavesPerEU: 51
; AccumOffset: 52
; Occupancy: 8
; WaveLimiterHint : 1
; COMPUTE_PGM_RSRC2:SCRATCH_EN: 0
; COMPUTE_PGM_RSRC2:USER_SGPR: 2
; COMPUTE_PGM_RSRC2:TRAP_HANDLER: 0
; COMPUTE_PGM_RSRC2:TGID_X_EN: 1
; COMPUTE_PGM_RSRC2:TGID_Y_EN: 0
; COMPUTE_PGM_RSRC2:TGID_Z_EN: 1
; COMPUTE_PGM_RSRC2:TIDIG_COMP_CNT: 1
; COMPUTE_PGM_RSRC3_GFX90A:ACCUM_OFFSET: 12
; COMPUTE_PGM_RSRC3_GFX90A:TG_SPLIT: 0
	.section	.text._ZL22rocblas_gemvtsm_kernelILb0ELi256E16rocblas_bfloat16PKfS0_EviiT2_lPKT1_lilS6_lilS3_lPT3_lil,"axG",@progbits,_ZL22rocblas_gemvtsm_kernelILb0ELi256E16rocblas_bfloat16PKfS0_EviiT2_lPKT1_lilS6_lilS3_lPT3_lil,comdat
	.globl	_ZL22rocblas_gemvtsm_kernelILb0ELi256E16rocblas_bfloat16PKfS0_EviiT2_lPKT1_lilS6_lilS3_lPT3_lil ; -- Begin function _ZL22rocblas_gemvtsm_kernelILb0ELi256E16rocblas_bfloat16PKfS0_EviiT2_lPKT1_lilS6_lilS3_lPT3_lil
	.p2align	8
	.type	_ZL22rocblas_gemvtsm_kernelILb0ELi256E16rocblas_bfloat16PKfS0_EviiT2_lPKT1_lilS6_lilS3_lPT3_lil,@function
_ZL22rocblas_gemvtsm_kernelILb0ELi256E16rocblas_bfloat16PKfS0_EviiT2_lPKT1_lilS6_lilS3_lPT3_lil: ; @_ZL22rocblas_gemvtsm_kernelILb0ELi256E16rocblas_bfloat16PKfS0_EviiT2_lPKT1_lilS6_lilS3_lPT3_lil
; %bb.0:
	s_load_dwordx8 s[4:11], s[0:1], 0x8
	s_load_dwordx8 s[12:19], s[0:1], 0x50
	s_waitcnt lgkmcnt(0)
	s_mul_i32 s3, s2, s7
	s_mul_hi_u32 s7, s2, s6
	s_add_i32 s7, s7, s3
	s_mul_i32 s6, s2, s6
	s_lshl_b64 s[6:7], s[6:7], 2
	s_add_u32 s4, s4, s6
	s_addc_u32 s5, s5, s7
	s_load_dword s3, s[4:5], 0x0
	s_mul_i32 s4, s2, s17
	s_mul_hi_u32 s5, s2, s16
	s_add_i32 s5, s5, s4
	s_mul_i32 s4, s2, s16
	s_lshl_b64 s[4:5], s[4:5], 2
	s_add_u32 s4, s14, s4
	s_addc_u32 s5, s15, s5
	s_load_dword s28, s[4:5], 0x0
	s_waitcnt lgkmcnt(0)
	v_cmp_eq_f32_e64 s[4:5], s3, 0
	v_cmp_eq_f32_e64 s[6:7], s28, 1.0
	s_and_b64 s[4:5], s[4:5], s[6:7]
	s_and_b64 vcc, exec, s[4:5]
	s_cbranch_vccnz .LBB554_70
; %bb.1:
	s_load_dwordx2 s[4:5], s[0:1], 0x80
	s_load_dword s14, s[0:1], 0x78
	s_load_dwordx2 s[20:21], s[0:1], 0x70
	s_load_dwordx2 s[16:17], s[0:1], 0x0
	s_waitcnt lgkmcnt(0)
	s_mul_i32 s5, s2, s5
	s_mul_hi_u32 s6, s2, s4
	s_add_i32 s23, s6, s5
	s_mul_i32 s22, s2, s4
	v_cmp_neq_f32_e64 s[4:5], s3, 0
	s_and_b64 vcc, exec, s[4:5]
	s_cbranch_vccnz .LBB554_9
; %bb.2:
	s_cmp_gt_i32 s17, 0
	s_cselect_b64 s[6:7], -1, 0
	v_cmp_neq_f32_e64 s[4:5], s28, 0
	v_cndmask_b32_e64 v1, 0, 1, s[6:7]
	s_and_b64 vcc, exec, s[4:5]
	v_cmp_ne_u32_e64 s[4:5], 1, v1
	s_cbranch_vccnz .LBB554_10
; %bb.3:
	s_and_b64 vcc, exec, s[4:5]
	s_cbranch_vccnz .LBB554_8
; %bb.4:
	v_mad_i64_i32 v[2:3], s[24:25], s14, v0, 0
	s_ashr_i32 s15, s14, 31
	s_lshl_b64 s[6:7], s[22:23], 1
	s_lshl_b64 s[24:25], s[20:21], 1
	s_add_u32 s24, s18, s24
	s_addc_u32 s25, s19, s25
	s_add_u32 s6, s24, s6
	s_addc_u32 s7, s25, s7
	v_lshl_add_u64 v[2:3], v[2:3], 1, s[6:7]
	s_lshl_b64 s[6:7], s[14:15], 9
	s_mov_b32 s15, 0
	v_mov_b32_e32 v1, 0
	s_branch .LBB554_6
.LBB554_5:                              ;   in Loop: Header=BB554_6 Depth=1
	s_or_b64 exec, exec, s[24:25]
	s_addk_i32 s15, 0x100
	s_cmp_ge_i32 s15, s17
	v_lshl_add_u64 v[2:3], v[2:3], 0, s[6:7]
	s_cbranch_scc1 .LBB554_8
.LBB554_6:                              ; =>This Inner Loop Header: Depth=1
	v_add_u32_e32 v4, s15, v0
	v_cmp_gt_i32_e32 vcc, s17, v4
	s_and_saveexec_b64 s[24:25], vcc
	s_cbranch_execz .LBB554_5
; %bb.7:                                ;   in Loop: Header=BB554_6 Depth=1
	global_store_short v[2:3], v1, off
	s_branch .LBB554_5
.LBB554_8:
	s_cbranch_execz .LBB554_11
	s_branch .LBB554_20
.LBB554_9:
	s_branch .LBB554_21
.LBB554_10:
.LBB554_11:
	s_and_b64 vcc, exec, s[4:5]
	s_cbranch_vccnz .LBB554_20
; %bb.12:
	v_mad_i64_i32 v[2:3], s[6:7], s14, v0, 0
	s_ashr_i32 s15, s14, 31
	s_lshl_b64 s[4:5], s[22:23], 1
	s_lshl_b64 s[6:7], s[20:21], 1
	s_add_u32 s6, s18, s6
	s_addc_u32 s7, s19, s7
	s_add_u32 s4, s6, s4
	s_addc_u32 s5, s7, s5
	v_lshl_add_u64 v[2:3], v[2:3], 1, s[4:5]
	s_lshl_b64 s[4:5], s[14:15], 9
	s_mov_b32 s15, 0
	s_mov_b32 s26, 0x7f800000
	s_movk_i32 s27, 0x7fff
	v_mov_b32_e32 v1, 0
	s_branch .LBB554_15
.LBB554_13:                             ;   in Loop: Header=BB554_15 Depth=1
	s_or_b64 exec, exec, s[24:25]
	global_store_short_d16_hi v[2:3], v5, off
.LBB554_14:                             ;   in Loop: Header=BB554_15 Depth=1
	s_or_b64 exec, exec, s[6:7]
	s_addk_i32 s15, 0x100
	s_cmp_ge_i32 s15, s17
	v_lshl_add_u64 v[2:3], v[2:3], 0, s[4:5]
	s_cbranch_scc1 .LBB554_20
.LBB554_15:                             ; =>This Inner Loop Header: Depth=1
	v_add_u32_e32 v4, s15, v0
	v_cmp_gt_i32_e32 vcc, s17, v4
	s_and_saveexec_b64 s[6:7], vcc
	s_cbranch_execz .LBB554_14
; %bb.16:                               ;   in Loop: Header=BB554_15 Depth=1
	global_load_ushort v4, v[2:3], off
	s_waitcnt vmcnt(0)
	v_lshlrev_b32_e32 v4, 16, v4
	v_mul_f32_e32 v4, s28, v4
	v_and_b32_e32 v5, 0x7f800000, v4
	v_cmp_ne_u32_e32 vcc, s26, v5
                                        ; implicit-def: $vgpr5
	s_and_saveexec_b64 s[24:25], vcc
	s_xor_b64 s[24:25], exec, s[24:25]
; %bb.17:                               ;   in Loop: Header=BB554_15 Depth=1
	v_bfe_u32 v5, v4, 16, 1
	v_add3_u32 v5, v4, v5, s27
                                        ; implicit-def: $vgpr4
; %bb.18:                               ;   in Loop: Header=BB554_15 Depth=1
	s_andn2_saveexec_b64 s[24:25], s[24:25]
	s_cbranch_execz .LBB554_13
; %bb.19:                               ;   in Loop: Header=BB554_15 Depth=1
	v_or_b32_e32 v5, 0x10000, v4
	v_cmp_eq_u32_sdwa vcc, v4, v1 src0_sel:WORD_0 src1_sel:DWORD
	s_nop 1
	v_cndmask_b32_e32 v5, v5, v4, vcc
	s_branch .LBB554_13
.LBB554_20:
	s_cbranch_execnz .LBB554_70
.LBB554_21:
	s_load_dwordx4 s[4:7], s[0:1], 0x30
	s_load_dwordx2 s[26:27], s[0:1], 0x40
	v_cmp_gt_i32_e32 vcc, s16, v0
	s_and_saveexec_b64 s[24:25], vcc
	s_cbranch_execz .LBB554_27
; %bb.22:
	s_mul_i32 s13, s2, s13
	s_mul_hi_u32 s15, s2, s12
	s_add_i32 s13, s15, s13
	s_mul_i32 s12, s2, s12
	s_load_dword s15, s[0:1], 0x48
	s_lshl_b64 s[12:13], s[12:13], 1
	s_waitcnt lgkmcnt(0)
	s_add_u32 s12, s6, s12
	s_addc_u32 s13, s7, s13
	s_lshl_b64 s[6:7], s[26:27], 1
	s_add_u32 s6, s12, s6
	s_addc_u32 s7, s13, s7
	v_mad_i64_i32 v[2:3], s[12:13], s15, v0, 0
	v_lshl_add_u64 v[2:3], v[2:3], 1, s[6:7]
	global_load_ushort v1, v[2:3], off
	s_waitcnt vmcnt(0)
	v_lshlrev_b32_e32 v1, 16, v1
	v_mul_f32_e32 v1, s3, v1
	s_mov_b32 s3, 0x7f800000
	v_and_b32_e32 v2, 0x7f800000, v1
	v_cmp_ne_u32_e32 vcc, s3, v2
                                        ; implicit-def: $vgpr2
	s_and_saveexec_b64 s[6:7], vcc
	s_xor_b64 s[6:7], exec, s[6:7]
; %bb.23:
	v_bfe_u32 v2, v1, 16, 1
	s_movk_i32 s3, 0x7fff
	v_add3_u32 v2, v1, v2, s3
                                        ; implicit-def: $vgpr1
; %bb.24:
	s_andn2_saveexec_b64 s[6:7], s[6:7]
; %bb.25:
	v_mov_b32_e32 v2, 0
	v_or_b32_e32 v3, 0x10000, v1
	v_cmp_eq_u32_sdwa vcc, v1, v2 src0_sel:WORD_0 src1_sel:DWORD
	s_nop 1
	v_cndmask_b32_e32 v2, v3, v1, vcc
; %bb.26:
	s_or_b64 exec, exec, s[6:7]
	v_and_b32_e32 v1, 0xffff0000, v2
	v_lshlrev_b32_e32 v2, 2, v0
	ds_write_b32 v2, v1
.LBB554_27:
	s_or_b64 exec, exec, s[24:25]
	s_cmp_lt_i32 s17, 1
	s_waitcnt lgkmcnt(0)
	s_barrier
	s_cbranch_scc1 .LBB554_70
; %bb.28:
	s_load_dword s0, s[0:1], 0x28
	s_lshl_b64 s[6:7], s[22:23], 1
	s_add_u32 s3, s18, s6
	s_addc_u32 s1, s19, s7
	s_lshl_b64 s[6:7], s[20:21], 1
	s_add_u32 s6, s3, s6
	s_addc_u32 s7, s1, s7
	s_waitcnt lgkmcnt(0)
	s_ashr_i32 s1, s0, 31
	s_ashr_i32 s15, s14, 31
	s_cmp_gt_i32 s16, 0
	s_cselect_b64 s[20:21], -1, 0
	s_and_b32 s22, s16, 3
	s_cmp_gt_u32 s16, 3
	s_cselect_b64 s[26:27], -1, 0
	s_and_b32 s16, s16, 0x7ffffffc
	s_cmp_lg_u32 s22, 0
	s_mul_i32 s3, s5, s2
	s_mul_hi_u32 s5, s4, s2
	s_cselect_b64 s[18:19], -1, 0
	s_add_i32 s3, s5, s3
	s_mul_i32 s2, s4, s2
	v_mad_i64_i32 v[2:3], s[4:5], s0, v0, 0
	s_lshl_b64 s[2:3], s[2:3], 1
	s_lshl_b64 s[4:5], s[10:11], 1
	s_add_u32 s4, s8, s4
	s_addc_u32 s5, s9, s5
	s_add_u32 s2, s4, s2
	s_addc_u32 s3, s5, s3
	s_lshl_b64 s[8:9], s[0:1], 9
	v_cmp_neq_f32_e64 s[0:1], s28, 0
	v_lshl_add_u64 v[2:3], v[2:3], 1, s[2:3]
	v_cndmask_b32_e64 v6, 0, 1, s[20:21]
	v_cndmask_b32_e64 v1, 0, 1, s[0:1]
	;; [unrolled: 1-line block ×3, first 2 shown]
	s_mov_b32 s13, 0
	v_lshl_add_u64 v[4:5], v[2:3], 0, 4
	v_cmp_ne_u32_e64 s[0:1], 1, v1
	s_mov_b32 s23, 0x7f800000
	s_movk_i32 s24, 0x7fff
	v_mov_b32_e32 v1, 0
	v_cmp_ne_u32_e64 s[2:3], 1, v6
	v_cmp_ne_u32_e64 s[4:5], 1, v7
	s_mov_b32 s25, 0
	s_branch .LBB554_31
.LBB554_29:                             ;   in Loop: Header=BB554_31 Depth=1
	s_or_b64 exec, exec, s[20:21]
	global_store_short_d16_hi v[6:7], v8, off
.LBB554_30:                             ;   in Loop: Header=BB554_31 Depth=1
	s_or_b64 exec, exec, s[10:11]
	s_addk_i32 s25, 0x100
	v_lshl_add_u64 v[4:5], v[4:5], 0, s[8:9]
	s_cmp_ge_i32 s25, s17
	v_lshl_add_u64 v[2:3], v[2:3], 0, s[8:9]
	s_cbranch_scc1 .LBB554_70
.LBB554_31:                             ; =>This Loop Header: Depth=1
                                        ;     Child Loop BB554_42 Depth 2
                                        ;     Child Loop BB554_62 Depth 2
	v_add_u32_e32 v6, s25, v0
	v_cmp_gt_i32_e32 vcc, s17, v6
	s_and_saveexec_b64 s[10:11], vcc
	s_cbranch_execz .LBB554_30
; %bb.32:                               ;   in Loop: Header=BB554_31 Depth=1
	v_mad_u64_u32 v[8:9], s[20:21], v6, s14, 0
	v_mov_b32_e32 v10, v9
	v_mad_u64_u32 v[6:7], s[20:21], v6, s15, v[10:11]
	v_mov_b32_e32 v9, v6
	s_and_b64 vcc, exec, s[0:1]
	v_lshl_add_u64 v[6:7], v[8:9], 1, s[6:7]
	s_cbranch_vccnz .LBB554_38
; %bb.33:                               ;   in Loop: Header=BB554_31 Depth=1
	global_load_ushort v8, v[6:7], off
	s_waitcnt vmcnt(0)
	v_lshlrev_b32_e32 v8, 16, v8
	v_mul_f32_e32 v8, s28, v8
	v_and_b32_e32 v9, 0x7f800000, v8
	v_cmp_ne_u32_e32 vcc, s23, v9
                                        ; implicit-def: $vgpr9
	s_and_saveexec_b64 s[20:21], vcc
	s_xor_b64 s[20:21], exec, s[20:21]
; %bb.34:                               ;   in Loop: Header=BB554_31 Depth=1
	v_bfe_u32 v9, v8, 16, 1
	v_add3_u32 v9, v8, v9, s24
                                        ; implicit-def: $vgpr8
; %bb.35:                               ;   in Loop: Header=BB554_31 Depth=1
	s_andn2_saveexec_b64 s[20:21], s[20:21]
; %bb.36:                               ;   in Loop: Header=BB554_31 Depth=1
	v_or_b32_e32 v9, 0x10000, v8
	v_cmp_eq_u32_sdwa vcc, v8, v1 src0_sel:WORD_0 src1_sel:DWORD
	s_nop 1
	v_cndmask_b32_e32 v9, v9, v8, vcc
; %bb.37:                               ;   in Loop: Header=BB554_31 Depth=1
	s_or_b64 exec, exec, s[20:21]
	v_and_b32_e32 v8, 0xffff0000, v9
	v_cvt_i32_f32_e32 v8, v8
	v_cvt_f32_i32_e32 v10, v8
	s_and_b64 vcc, exec, s[2:3]
	s_cbranch_vccz .LBB554_39
	s_branch .LBB554_66
.LBB554_38:                             ;   in Loop: Header=BB554_31 Depth=1
	v_mov_b32_e32 v8, 0
	v_cvt_f32_i32_e32 v10, v8
	s_and_b64 vcc, exec, s[2:3]
	s_cbranch_vccnz .LBB554_66
.LBB554_39:                             ;   in Loop: Header=BB554_31 Depth=1
	s_mov_b32 s12, 0
	s_and_b64 vcc, exec, s[4:5]
	s_cbranch_vccnz .LBB554_59
; %bb.40:                               ;   in Loop: Header=BB554_31 Depth=1
	s_mov_b32 s26, 0
	v_mov_b64_e32 v[8:9], v[4:5]
	s_branch .LBB554_42
.LBB554_41:                             ;   in Loop: Header=BB554_42 Depth=2
	s_or_b64 exec, exec, s[20:21]
	v_and_b32_e32 v11, 0xffff0000, v11
	v_add_f32_e32 v10, v10, v11
	v_and_b32_e32 v11, 0xffff0000, v12
	v_add_f32_e32 v10, v10, v11
	v_and_b32_e32 v11, 0xffff0000, v13
	v_add_f32_e32 v10, v10, v11
	v_and_b32_e32 v11, 0xffff0000, v14
	s_add_i32 s26, s26, 4
	s_add_i32 s12, s12, 16
	v_add_f32_e32 v10, v10, v11
	s_cmp_eq_u32 s16, s26
	v_lshl_add_u64 v[8:9], v[8:9], 0, 8
	s_cbranch_scc1 .LBB554_58
.LBB554_42:                             ;   Parent Loop BB554_31 Depth=1
                                        ; =>  This Inner Loop Header: Depth=2
	global_load_ushort v11, v[8:9], off offset:-4
	v_mov_b32_e32 v12, s12
	ds_read_b32 v12, v12
	s_waitcnt vmcnt(0)
	v_lshlrev_b32_e32 v11, 16, v11
	s_waitcnt lgkmcnt(0)
	v_mul_f32_e32 v12, v12, v11
	v_and_b32_e32 v11, 0x7f800000, v12
	v_cmp_ne_u32_e32 vcc, s23, v11
                                        ; implicit-def: $vgpr11
	s_and_saveexec_b64 s[20:21], vcc
	s_xor_b64 s[20:21], exec, s[20:21]
; %bb.43:                               ;   in Loop: Header=BB554_42 Depth=2
	v_bfe_u32 v11, v12, 16, 1
	v_add3_u32 v11, v12, v11, s24
                                        ; implicit-def: $vgpr12
; %bb.44:                               ;   in Loop: Header=BB554_42 Depth=2
	s_andn2_saveexec_b64 s[20:21], s[20:21]
; %bb.45:                               ;   in Loop: Header=BB554_42 Depth=2
	v_or_b32_e32 v11, 0x10000, v12
	v_cmp_eq_u32_sdwa vcc, v12, v1 src0_sel:WORD_0 src1_sel:DWORD
	s_nop 1
	v_cndmask_b32_e32 v11, v11, v12, vcc
; %bb.46:                               ;   in Loop: Header=BB554_42 Depth=2
	s_or_b64 exec, exec, s[20:21]
	global_load_ushort v12, v[8:9], off offset:-2
	v_mov_b32_e32 v13, s12
	ds_read_b32 v13, v13 offset:4
	s_waitcnt vmcnt(0)
	v_lshlrev_b32_e32 v12, 16, v12
	s_waitcnt lgkmcnt(0)
	v_mul_f32_e32 v13, v13, v12
	v_and_b32_e32 v12, 0x7f800000, v13
	v_cmp_ne_u32_e32 vcc, s23, v12
                                        ; implicit-def: $vgpr12
	s_and_saveexec_b64 s[20:21], vcc
	s_xor_b64 s[20:21], exec, s[20:21]
; %bb.47:                               ;   in Loop: Header=BB554_42 Depth=2
	v_bfe_u32 v12, v13, 16, 1
	v_add3_u32 v12, v13, v12, s24
                                        ; implicit-def: $vgpr13
; %bb.48:                               ;   in Loop: Header=BB554_42 Depth=2
	s_andn2_saveexec_b64 s[20:21], s[20:21]
; %bb.49:                               ;   in Loop: Header=BB554_42 Depth=2
	v_or_b32_e32 v12, 0x10000, v13
	v_cmp_eq_u32_sdwa vcc, v13, v1 src0_sel:WORD_0 src1_sel:DWORD
	s_nop 1
	v_cndmask_b32_e32 v12, v12, v13, vcc
; %bb.50:                               ;   in Loop: Header=BB554_42 Depth=2
	s_or_b64 exec, exec, s[20:21]
	global_load_ushort v13, v[8:9], off
	v_mov_b32_e32 v14, s12
	ds_read_b32 v14, v14 offset:8
	s_waitcnt vmcnt(0)
	v_lshlrev_b32_e32 v13, 16, v13
	s_waitcnt lgkmcnt(0)
	v_mul_f32_e32 v14, v14, v13
	v_and_b32_e32 v13, 0x7f800000, v14
	v_cmp_ne_u32_e32 vcc, s23, v13
                                        ; implicit-def: $vgpr13
	s_and_saveexec_b64 s[20:21], vcc
	s_xor_b64 s[20:21], exec, s[20:21]
; %bb.51:                               ;   in Loop: Header=BB554_42 Depth=2
	v_bfe_u32 v13, v14, 16, 1
	v_add3_u32 v13, v14, v13, s24
                                        ; implicit-def: $vgpr14
; %bb.52:                               ;   in Loop: Header=BB554_42 Depth=2
	s_andn2_saveexec_b64 s[20:21], s[20:21]
; %bb.53:                               ;   in Loop: Header=BB554_42 Depth=2
	v_or_b32_e32 v13, 0x10000, v14
	v_cmp_eq_u32_sdwa vcc, v14, v1 src0_sel:WORD_0 src1_sel:DWORD
	s_nop 1
	v_cndmask_b32_e32 v13, v13, v14, vcc
; %bb.54:                               ;   in Loop: Header=BB554_42 Depth=2
	s_or_b64 exec, exec, s[20:21]
	global_load_ushort v14, v[8:9], off offset:2
	v_mov_b32_e32 v15, s12
	ds_read_b32 v15, v15 offset:12
	s_waitcnt vmcnt(0)
	v_lshlrev_b32_e32 v14, 16, v14
	s_waitcnt lgkmcnt(0)
	v_mul_f32_e32 v15, v15, v14
	v_and_b32_e32 v14, 0x7f800000, v15
	v_cmp_ne_u32_e32 vcc, s23, v14
                                        ; implicit-def: $vgpr14
	s_and_saveexec_b64 s[20:21], vcc
	s_xor_b64 s[20:21], exec, s[20:21]
; %bb.55:                               ;   in Loop: Header=BB554_42 Depth=2
	v_bfe_u32 v14, v15, 16, 1
	v_add3_u32 v14, v15, v14, s24
                                        ; implicit-def: $vgpr15
; %bb.56:                               ;   in Loop: Header=BB554_42 Depth=2
	s_andn2_saveexec_b64 s[20:21], s[20:21]
	s_cbranch_execz .LBB554_41
; %bb.57:                               ;   in Loop: Header=BB554_42 Depth=2
	v_or_b32_e32 v14, 0x10000, v15
	v_cmp_eq_u32_sdwa vcc, v15, v1 src0_sel:WORD_0 src1_sel:DWORD
	s_nop 1
	v_cndmask_b32_e32 v14, v14, v15, vcc
	s_branch .LBB554_41
.LBB554_58:                             ;   in Loop: Header=BB554_31 Depth=1
	s_mov_b32 s12, s16
.LBB554_59:                             ;   in Loop: Header=BB554_31 Depth=1
	s_andn2_b64 vcc, exec, s[18:19]
	s_cbranch_vccnz .LBB554_66
; %bb.60:                               ;   in Loop: Header=BB554_31 Depth=1
	s_lshl_b32 s26, s12, 2
	s_lshl_b32 s12, s12, 1
	v_lshl_add_u64 v[8:9], v[2:3], 0, s[12:13]
	s_mov_b32 s12, s22
	s_branch .LBB554_62
.LBB554_61:                             ;   in Loop: Header=BB554_62 Depth=2
	s_or_b64 exec, exec, s[20:21]
	v_and_b32_e32 v11, 0xffff0000, v12
	s_add_i32 s26, s26, 4
	s_add_i32 s12, s12, -1
	v_add_f32_e32 v10, v10, v11
	s_cmp_lg_u32 s12, 0
	v_lshl_add_u64 v[8:9], v[8:9], 0, 2
	s_cbranch_scc0 .LBB554_66
.LBB554_62:                             ;   Parent Loop BB554_31 Depth=1
                                        ; =>  This Inner Loop Header: Depth=2
	global_load_ushort v11, v[8:9], off
	v_mov_b32_e32 v12, s26
	ds_read_b32 v12, v12
	s_waitcnt vmcnt(0)
	v_lshlrev_b32_e32 v11, 16, v11
	s_waitcnt lgkmcnt(0)
	v_mul_f32_e32 v11, v12, v11
	v_and_b32_e32 v12, 0x7f800000, v11
	v_cmp_ne_u32_e32 vcc, s23, v12
                                        ; implicit-def: $vgpr12
	s_and_saveexec_b64 s[20:21], vcc
	s_xor_b64 s[20:21], exec, s[20:21]
; %bb.63:                               ;   in Loop: Header=BB554_62 Depth=2
	v_bfe_u32 v12, v11, 16, 1
	v_add3_u32 v12, v11, v12, s24
                                        ; implicit-def: $vgpr11
; %bb.64:                               ;   in Loop: Header=BB554_62 Depth=2
	s_andn2_saveexec_b64 s[20:21], s[20:21]
	s_cbranch_execz .LBB554_61
; %bb.65:                               ;   in Loop: Header=BB554_62 Depth=2
	v_or_b32_e32 v12, 0x10000, v11
	v_cmp_eq_u32_sdwa vcc, v11, v1 src0_sel:WORD_0 src1_sel:DWORD
	s_nop 1
	v_cndmask_b32_e32 v12, v12, v11, vcc
	s_branch .LBB554_61
.LBB554_66:                             ;   in Loop: Header=BB554_31 Depth=1
	v_and_b32_e32 v8, 0x7f800000, v10
	v_cmp_ne_u32_e32 vcc, s23, v8
                                        ; implicit-def: $vgpr8
	s_and_saveexec_b64 s[20:21], vcc
	s_xor_b64 s[20:21], exec, s[20:21]
; %bb.67:                               ;   in Loop: Header=BB554_31 Depth=1
	v_bfe_u32 v8, v10, 16, 1
	v_add3_u32 v8, v10, v8, s24
                                        ; implicit-def: $vgpr10
; %bb.68:                               ;   in Loop: Header=BB554_31 Depth=1
	s_andn2_saveexec_b64 s[20:21], s[20:21]
	s_cbranch_execz .LBB554_29
; %bb.69:                               ;   in Loop: Header=BB554_31 Depth=1
	v_or_b32_e32 v8, 0x10000, v10
	v_cmp_eq_u32_sdwa vcc, v10, v1 src0_sel:WORD_0 src1_sel:DWORD
	s_nop 1
	v_cndmask_b32_e32 v8, v8, v10, vcc
	s_branch .LBB554_29
.LBB554_70:
	s_endpgm
	.section	.rodata,"a",@progbits
	.p2align	6, 0x0
	.amdhsa_kernel _ZL22rocblas_gemvtsm_kernelILb0ELi256E16rocblas_bfloat16PKfS0_EviiT2_lPKT1_lilS6_lilS3_lPT3_lil
		.amdhsa_group_segment_fixed_size 256
		.amdhsa_private_segment_fixed_size 0
		.amdhsa_kernarg_size 136
		.amdhsa_user_sgpr_count 2
		.amdhsa_user_sgpr_dispatch_ptr 0
		.amdhsa_user_sgpr_queue_ptr 0
		.amdhsa_user_sgpr_kernarg_segment_ptr 1
		.amdhsa_user_sgpr_dispatch_id 0
		.amdhsa_user_sgpr_kernarg_preload_length 0
		.amdhsa_user_sgpr_kernarg_preload_offset 0
		.amdhsa_user_sgpr_private_segment_size 0
		.amdhsa_uses_dynamic_stack 0
		.amdhsa_enable_private_segment 0
		.amdhsa_system_sgpr_workgroup_id_x 1
		.amdhsa_system_sgpr_workgroup_id_y 0
		.amdhsa_system_sgpr_workgroup_id_z 0
		.amdhsa_system_sgpr_workgroup_info 0
		.amdhsa_system_vgpr_workitem_id 0
		.amdhsa_next_free_vgpr 16
		.amdhsa_next_free_sgpr 29
		.amdhsa_accum_offset 16
		.amdhsa_reserve_vcc 1
		.amdhsa_float_round_mode_32 0
		.amdhsa_float_round_mode_16_64 0
		.amdhsa_float_denorm_mode_32 3
		.amdhsa_float_denorm_mode_16_64 3
		.amdhsa_dx10_clamp 1
		.amdhsa_ieee_mode 1
		.amdhsa_fp16_overflow 0
		.amdhsa_tg_split 0
		.amdhsa_exception_fp_ieee_invalid_op 0
		.amdhsa_exception_fp_denorm_src 0
		.amdhsa_exception_fp_ieee_div_zero 0
		.amdhsa_exception_fp_ieee_overflow 0
		.amdhsa_exception_fp_ieee_underflow 0
		.amdhsa_exception_fp_ieee_inexact 0
		.amdhsa_exception_int_div_zero 0
	.end_amdhsa_kernel
	.section	.text._ZL22rocblas_gemvtsm_kernelILb0ELi256E16rocblas_bfloat16PKfS0_EviiT2_lPKT1_lilS6_lilS3_lPT3_lil,"axG",@progbits,_ZL22rocblas_gemvtsm_kernelILb0ELi256E16rocblas_bfloat16PKfS0_EviiT2_lPKT1_lilS6_lilS3_lPT3_lil,comdat
.Lfunc_end554:
	.size	_ZL22rocblas_gemvtsm_kernelILb0ELi256E16rocblas_bfloat16PKfS0_EviiT2_lPKT1_lilS6_lilS3_lPT3_lil, .Lfunc_end554-_ZL22rocblas_gemvtsm_kernelILb0ELi256E16rocblas_bfloat16PKfS0_EviiT2_lPKT1_lilS6_lilS3_lPT3_lil
                                        ; -- End function
	.section	.AMDGPU.csdata,"",@progbits
; Kernel info:
; codeLenInByte = 2076
; NumSgprs: 35
; NumVgprs: 16
; NumAgprs: 0
; TotalNumVgprs: 16
; ScratchSize: 0
; MemoryBound: 0
; FloatMode: 240
; IeeeMode: 1
; LDSByteSize: 256 bytes/workgroup (compile time only)
; SGPRBlocks: 4
; VGPRBlocks: 1
; NumSGPRsForWavesPerEU: 35
; NumVGPRsForWavesPerEU: 16
; AccumOffset: 16
; Occupancy: 8
; WaveLimiterHint : 1
; COMPUTE_PGM_RSRC2:SCRATCH_EN: 0
; COMPUTE_PGM_RSRC2:USER_SGPR: 2
; COMPUTE_PGM_RSRC2:TRAP_HANDLER: 0
; COMPUTE_PGM_RSRC2:TGID_X_EN: 1
; COMPUTE_PGM_RSRC2:TGID_Y_EN: 0
; COMPUTE_PGM_RSRC2:TGID_Z_EN: 0
; COMPUTE_PGM_RSRC2:TIDIG_COMP_CNT: 0
; COMPUTE_PGM_RSRC3_GFX90A:ACCUM_OFFSET: 3
; COMPUTE_PGM_RSRC3_GFX90A:TG_SPLIT: 0
	.section	.text._ZL22rocblas_gemvtsm_kernelILb0ELi256E16rocblas_bfloat16fS0_EviiT2_lPKT1_lilS4_lilS1_lPT3_lil,"axG",@progbits,_ZL22rocblas_gemvtsm_kernelILb0ELi256E16rocblas_bfloat16fS0_EviiT2_lPKT1_lilS4_lilS1_lPT3_lil,comdat
	.globl	_ZL22rocblas_gemvtsm_kernelILb0ELi256E16rocblas_bfloat16fS0_EviiT2_lPKT1_lilS4_lilS1_lPT3_lil ; -- Begin function _ZL22rocblas_gemvtsm_kernelILb0ELi256E16rocblas_bfloat16fS0_EviiT2_lPKT1_lilS4_lilS1_lPT3_lil
	.p2align	8
	.type	_ZL22rocblas_gemvtsm_kernelILb0ELi256E16rocblas_bfloat16fS0_EviiT2_lPKT1_lilS4_lilS1_lPT3_lil,@function
_ZL22rocblas_gemvtsm_kernelILb0ELi256E16rocblas_bfloat16fS0_EviiT2_lPKT1_lilS4_lilS1_lPT3_lil: ; @_ZL22rocblas_gemvtsm_kernelILb0ELi256E16rocblas_bfloat16fS0_EviiT2_lPKT1_lilS4_lilS1_lPT3_lil
; %bb.0:
	s_load_dwordx4 s[8:11], s[0:1], 0x0
	s_load_dword s24, s[0:1], 0x58
	s_waitcnt lgkmcnt(0)
	v_cmp_eq_f32_e64 s[4:5], s10, 0
	v_cmp_eq_f32_e64 s[6:7], s24, 1.0
	s_and_b64 s[4:5], s[4:5], s[6:7]
	s_and_b64 vcc, exec, s[4:5]
	s_cbranch_vccnz .LBB555_70
; %bb.1:
	s_load_dwordx2 s[4:5], s[0:1], 0x80
	s_load_dwordx4 s[12:15], s[0:1], 0x68
	s_load_dword s16, s[0:1], 0x78
	s_waitcnt lgkmcnt(0)
	s_mul_i32 s3, s2, s5
	s_mul_hi_u32 s5, s2, s4
	s_mul_i32 s18, s2, s4
	s_add_i32 s19, s5, s3
	v_cmp_neq_f32_e64 s[4:5], s10, 0
	s_and_b64 vcc, exec, s[4:5]
	s_cbranch_vccnz .LBB555_9
; %bb.2:
	s_cmp_gt_i32 s9, 0
	s_cselect_b64 s[6:7], -1, 0
	v_cmp_neq_f32_e64 s[4:5], s24, 0
	v_cndmask_b32_e64 v1, 0, 1, s[6:7]
	s_and_b64 vcc, exec, s[4:5]
	v_cmp_ne_u32_e64 s[4:5], 1, v1
	s_cbranch_vccnz .LBB555_10
; %bb.3:
	s_and_b64 vcc, exec, s[4:5]
	s_cbranch_vccnz .LBB555_8
; %bb.4:
	v_mad_i64_i32 v[2:3], s[20:21], s16, v0, 0
	s_ashr_i32 s17, s16, 31
	s_lshl_b64 s[6:7], s[18:19], 1
	s_lshl_b64 s[20:21], s[14:15], 1
	s_add_u32 s3, s12, s20
	s_addc_u32 s11, s13, s21
	s_add_u32 s6, s3, s6
	s_addc_u32 s7, s11, s7
	v_lshl_add_u64 v[2:3], v[2:3], 1, s[6:7]
	s_lshl_b64 s[6:7], s[16:17], 9
	s_mov_b32 s3, 0
	v_mov_b32_e32 v1, 0
	s_branch .LBB555_6
.LBB555_5:                              ;   in Loop: Header=BB555_6 Depth=1
	s_or_b64 exec, exec, s[20:21]
	s_addk_i32 s3, 0x100
	s_cmp_ge_i32 s3, s9
	v_lshl_add_u64 v[2:3], v[2:3], 0, s[6:7]
	s_cbranch_scc1 .LBB555_8
.LBB555_6:                              ; =>This Inner Loop Header: Depth=1
	v_add_u32_e32 v4, s3, v0
	v_cmp_gt_i32_e32 vcc, s9, v4
	s_and_saveexec_b64 s[20:21], vcc
	s_cbranch_execz .LBB555_5
; %bb.7:                                ;   in Loop: Header=BB555_6 Depth=1
	global_store_short v[2:3], v1, off
	s_branch .LBB555_5
.LBB555_8:
	s_cbranch_execz .LBB555_11
	s_branch .LBB555_20
.LBB555_9:
	s_branch .LBB555_21
.LBB555_10:
.LBB555_11:
	s_and_b64 vcc, exec, s[4:5]
	s_cbranch_vccnz .LBB555_20
; %bb.12:
	v_mad_i64_i32 v[2:3], s[6:7], s16, v0, 0
	s_ashr_i32 s17, s16, 31
	s_lshl_b64 s[4:5], s[18:19], 1
	s_lshl_b64 s[6:7], s[14:15], 1
	s_add_u32 s3, s12, s6
	s_addc_u32 s6, s13, s7
	s_add_u32 s4, s3, s4
	s_addc_u32 s5, s6, s5
	v_lshl_add_u64 v[2:3], v[2:3], 1, s[4:5]
	s_lshl_b64 s[4:5], s[16:17], 9
	s_mov_b32 s3, 0
	s_mov_b32 s11, 0x7f800000
	s_movk_i32 s17, 0x7fff
	v_mov_b32_e32 v1, 0
	s_branch .LBB555_15
.LBB555_13:                             ;   in Loop: Header=BB555_15 Depth=1
	s_or_b64 exec, exec, s[20:21]
	global_store_short_d16_hi v[2:3], v5, off
.LBB555_14:                             ;   in Loop: Header=BB555_15 Depth=1
	s_or_b64 exec, exec, s[6:7]
	s_addk_i32 s3, 0x100
	s_cmp_ge_i32 s3, s9
	v_lshl_add_u64 v[2:3], v[2:3], 0, s[4:5]
	s_cbranch_scc1 .LBB555_20
.LBB555_15:                             ; =>This Inner Loop Header: Depth=1
	v_add_u32_e32 v4, s3, v0
	v_cmp_gt_i32_e32 vcc, s9, v4
	s_and_saveexec_b64 s[6:7], vcc
	s_cbranch_execz .LBB555_14
; %bb.16:                               ;   in Loop: Header=BB555_15 Depth=1
	global_load_ushort v4, v[2:3], off
	s_waitcnt vmcnt(0)
	v_lshlrev_b32_e32 v4, 16, v4
	v_mul_f32_e32 v4, s24, v4
	v_and_b32_e32 v5, 0x7f800000, v4
	v_cmp_ne_u32_e32 vcc, s11, v5
                                        ; implicit-def: $vgpr5
	s_and_saveexec_b64 s[20:21], vcc
	s_xor_b64 s[20:21], exec, s[20:21]
; %bb.17:                               ;   in Loop: Header=BB555_15 Depth=1
	v_bfe_u32 v5, v4, 16, 1
	v_add3_u32 v5, v4, v5, s17
                                        ; implicit-def: $vgpr4
; %bb.18:                               ;   in Loop: Header=BB555_15 Depth=1
	s_andn2_saveexec_b64 s[20:21], s[20:21]
	s_cbranch_execz .LBB555_13
; %bb.19:                               ;   in Loop: Header=BB555_15 Depth=1
	v_or_b32_e32 v5, 0x10000, v4
	v_cmp_eq_u32_sdwa vcc, v4, v1 src0_sel:WORD_0 src1_sel:DWORD
	s_nop 1
	v_cndmask_b32_e32 v5, v5, v4, vcc
	s_branch .LBB555_13
.LBB555_20:
	s_cbranch_execnz .LBB555_70
.LBB555_21:
	s_load_dwordx4 s[4:7], s[0:1], 0x30
	s_load_dwordx2 s[22:23], s[0:1], 0x40
	v_cmp_gt_i32_e32 vcc, s8, v0
	s_and_saveexec_b64 s[20:21], vcc
	s_cbranch_execz .LBB555_27
; %bb.22:
	s_load_dwordx2 s[26:27], s[0:1], 0x50
	s_load_dword s3, s[0:1], 0x48
	s_waitcnt lgkmcnt(0)
	s_mul_i32 s11, s2, s27
	s_mul_hi_u32 s17, s2, s26
	s_mul_i32 s26, s2, s26
	s_add_i32 s27, s17, s11
	s_lshl_b64 s[26:27], s[26:27], 1
	s_add_u32 s11, s6, s26
	s_addc_u32 s17, s7, s27
	s_lshl_b64 s[6:7], s[22:23], 1
	s_add_u32 s6, s11, s6
	s_addc_u32 s7, s17, s7
	v_mad_i64_i32 v[2:3], s[22:23], s3, v0, 0
	v_lshl_add_u64 v[2:3], v[2:3], 1, s[6:7]
	global_load_ushort v1, v[2:3], off
	s_mov_b32 s3, 0x7f800000
	s_waitcnt vmcnt(0)
	v_lshlrev_b32_e32 v1, 16, v1
	v_mul_f32_e32 v1, s10, v1
	v_and_b32_e32 v2, 0x7f800000, v1
	v_cmp_ne_u32_e32 vcc, s3, v2
                                        ; implicit-def: $vgpr2
	s_and_saveexec_b64 s[6:7], vcc
	s_xor_b64 s[6:7], exec, s[6:7]
; %bb.23:
	v_bfe_u32 v2, v1, 16, 1
	s_movk_i32 s3, 0x7fff
	v_add3_u32 v2, v1, v2, s3
                                        ; implicit-def: $vgpr1
; %bb.24:
	s_andn2_saveexec_b64 s[6:7], s[6:7]
; %bb.25:
	v_mov_b32_e32 v2, 0
	v_or_b32_e32 v3, 0x10000, v1
	v_cmp_eq_u32_sdwa vcc, v1, v2 src0_sel:WORD_0 src1_sel:DWORD
	s_nop 1
	v_cndmask_b32_e32 v2, v3, v1, vcc
; %bb.26:
	s_or_b64 exec, exec, s[6:7]
	v_and_b32_e32 v1, 0xffff0000, v2
	v_lshlrev_b32_e32 v2, 2, v0
	ds_write_b32 v2, v1
.LBB555_27:
	s_or_b64 exec, exec, s[20:21]
	s_cmp_lt_i32 s9, 1
	s_waitcnt lgkmcnt(0)
	s_barrier
	s_cbranch_scc1 .LBB555_70
; %bb.28:
	s_lshl_b64 s[6:7], s[18:19], 1
	s_add_u32 s3, s12, s6
	s_load_dwordx4 s[28:31], s[0:1], 0x18
	s_load_dword s6, s[0:1], 0x28
	s_addc_u32 s7, s13, s7
	s_lshl_b64 s[0:1], s[14:15], 1
	s_add_u32 s10, s3, s0
	s_addc_u32 s11, s7, s1
	s_waitcnt lgkmcnt(0)
	s_ashr_i32 s7, s6, 31
	s_ashr_i32 s17, s16, 31
	s_cmp_gt_i32 s8, 0
	s_cselect_b64 s[18:19], -1, 0
	s_and_b32 s22, s8, 3
	s_cmp_gt_u32 s8, 3
	s_cselect_b64 s[20:21], -1, 0
	s_and_b32 s8, s8, 0x7ffffffc
	s_cmp_lg_u32 s22, 0
	s_mul_i32 s0, s5, s2
	s_mul_hi_u32 s1, s4, s2
	s_cselect_b64 s[26:27], -1, 0
	s_add_i32 s1, s1, s0
	s_mul_i32 s0, s4, s2
	v_mad_i64_i32 v[2:3], s[2:3], s6, v0, 0
	s_lshl_b64 s[0:1], s[0:1], 1
	s_lshl_b64 s[2:3], s[30:31], 1
	s_add_u32 s2, s28, s2
	s_addc_u32 s3, s29, s3
	s_add_u32 s0, s2, s0
	s_addc_u32 s1, s3, s1
	v_lshl_add_u64 v[2:3], v[2:3], 1, s[0:1]
	v_cmp_neq_f32_e64 s[0:1], s24, 0
	v_cndmask_b32_e64 v6, 0, 1, s[18:19]
	v_cndmask_b32_e64 v7, 0, 1, s[26:27]
	;; [unrolled: 1-line block ×3, first 2 shown]
	v_cmp_ne_u32_e64 s[0:1], 1, v1
	v_cndmask_b32_e64 v1, 0, 1, s[20:21]
	s_mov_b32 s13, 0
	v_lshl_add_u64 v[4:5], v[2:3], 0, 4
	s_lshl_b64 s[14:15], s[6:7], 9
	s_mov_b32 s23, 0x7f800000
	s_movk_i32 s25, 0x7fff
	v_cmp_ne_u32_e64 s[2:3], 1, v1
	v_mov_b32_e32 v1, 0
	v_cmp_ne_u32_e64 s[4:5], 1, v6
	v_cmp_ne_u32_e64 s[6:7], 1, v7
	s_mov_b32 s26, 0
	s_branch .LBB555_31
.LBB555_29:                             ;   in Loop: Header=BB555_31 Depth=1
	s_or_b64 exec, exec, s[20:21]
	global_store_short_d16_hi v[6:7], v8, off
.LBB555_30:                             ;   in Loop: Header=BB555_31 Depth=1
	s_or_b64 exec, exec, s[18:19]
	s_addk_i32 s26, 0x100
	v_lshl_add_u64 v[4:5], v[4:5], 0, s[14:15]
	s_cmp_ge_i32 s26, s9
	v_lshl_add_u64 v[2:3], v[2:3], 0, s[14:15]
	s_cbranch_scc1 .LBB555_70
.LBB555_31:                             ; =>This Loop Header: Depth=1
                                        ;     Child Loop BB555_42 Depth 2
                                        ;     Child Loop BB555_62 Depth 2
	v_add_u32_e32 v6, s26, v0
	v_cmp_gt_i32_e32 vcc, s9, v6
	s_and_saveexec_b64 s[18:19], vcc
	s_cbranch_execz .LBB555_30
; %bb.32:                               ;   in Loop: Header=BB555_31 Depth=1
	v_mad_u64_u32 v[8:9], s[20:21], v6, s16, 0
	v_mov_b32_e32 v10, v9
	v_mad_u64_u32 v[6:7], s[20:21], v6, s17, v[10:11]
	v_mov_b32_e32 v9, v6
	s_and_b64 vcc, exec, s[0:1]
	v_lshl_add_u64 v[6:7], v[8:9], 1, s[10:11]
	s_cbranch_vccnz .LBB555_38
; %bb.33:                               ;   in Loop: Header=BB555_31 Depth=1
	global_load_ushort v8, v[6:7], off
	s_waitcnt vmcnt(0)
	v_lshlrev_b32_e32 v8, 16, v8
	v_mul_f32_e32 v8, s24, v8
	v_and_b32_e32 v9, 0x7f800000, v8
	v_cmp_ne_u32_e32 vcc, s23, v9
                                        ; implicit-def: $vgpr9
	s_and_saveexec_b64 s[20:21], vcc
	s_xor_b64 s[20:21], exec, s[20:21]
; %bb.34:                               ;   in Loop: Header=BB555_31 Depth=1
	v_bfe_u32 v9, v8, 16, 1
	v_add3_u32 v9, v8, v9, s25
                                        ; implicit-def: $vgpr8
; %bb.35:                               ;   in Loop: Header=BB555_31 Depth=1
	s_andn2_saveexec_b64 s[20:21], s[20:21]
; %bb.36:                               ;   in Loop: Header=BB555_31 Depth=1
	v_or_b32_e32 v9, 0x10000, v8
	v_cmp_eq_u32_sdwa vcc, v8, v1 src0_sel:WORD_0 src1_sel:DWORD
	s_nop 1
	v_cndmask_b32_e32 v9, v9, v8, vcc
; %bb.37:                               ;   in Loop: Header=BB555_31 Depth=1
	s_or_b64 exec, exec, s[20:21]
	v_and_b32_e32 v8, 0xffff0000, v9
	v_cvt_i32_f32_e32 v8, v8
	v_cvt_f32_i32_e32 v10, v8
	s_and_b64 vcc, exec, s[4:5]
	s_cbranch_vccz .LBB555_39
	s_branch .LBB555_66
.LBB555_38:                             ;   in Loop: Header=BB555_31 Depth=1
	v_mov_b32_e32 v8, 0
	v_cvt_f32_i32_e32 v10, v8
	s_and_b64 vcc, exec, s[4:5]
	s_cbranch_vccnz .LBB555_66
.LBB555_39:                             ;   in Loop: Header=BB555_31 Depth=1
	s_mov_b32 s12, 0
	s_and_b64 vcc, exec, s[2:3]
	s_cbranch_vccnz .LBB555_59
; %bb.40:                               ;   in Loop: Header=BB555_31 Depth=1
	s_mov_b32 s27, 0
	v_mov_b64_e32 v[8:9], v[4:5]
	s_branch .LBB555_42
.LBB555_41:                             ;   in Loop: Header=BB555_42 Depth=2
	s_or_b64 exec, exec, s[20:21]
	v_and_b32_e32 v11, 0xffff0000, v11
	v_add_f32_e32 v10, v10, v11
	v_and_b32_e32 v11, 0xffff0000, v12
	v_add_f32_e32 v10, v10, v11
	;; [unrolled: 2-line block ×3, first 2 shown]
	v_and_b32_e32 v11, 0xffff0000, v14
	s_add_i32 s27, s27, 4
	s_add_i32 s12, s12, 16
	v_add_f32_e32 v10, v10, v11
	s_cmp_eq_u32 s8, s27
	v_lshl_add_u64 v[8:9], v[8:9], 0, 8
	s_cbranch_scc1 .LBB555_58
.LBB555_42:                             ;   Parent Loop BB555_31 Depth=1
                                        ; =>  This Inner Loop Header: Depth=2
	global_load_ushort v11, v[8:9], off offset:-4
	v_mov_b32_e32 v12, s12
	ds_read_b32 v12, v12
	s_waitcnt vmcnt(0)
	v_lshlrev_b32_e32 v11, 16, v11
	s_waitcnt lgkmcnt(0)
	v_mul_f32_e32 v12, v12, v11
	v_and_b32_e32 v11, 0x7f800000, v12
	v_cmp_ne_u32_e32 vcc, s23, v11
                                        ; implicit-def: $vgpr11
	s_and_saveexec_b64 s[20:21], vcc
	s_xor_b64 s[20:21], exec, s[20:21]
; %bb.43:                               ;   in Loop: Header=BB555_42 Depth=2
	v_bfe_u32 v11, v12, 16, 1
	v_add3_u32 v11, v12, v11, s25
                                        ; implicit-def: $vgpr12
; %bb.44:                               ;   in Loop: Header=BB555_42 Depth=2
	s_andn2_saveexec_b64 s[20:21], s[20:21]
; %bb.45:                               ;   in Loop: Header=BB555_42 Depth=2
	v_or_b32_e32 v11, 0x10000, v12
	v_cmp_eq_u32_sdwa vcc, v12, v1 src0_sel:WORD_0 src1_sel:DWORD
	s_nop 1
	v_cndmask_b32_e32 v11, v11, v12, vcc
; %bb.46:                               ;   in Loop: Header=BB555_42 Depth=2
	s_or_b64 exec, exec, s[20:21]
	global_load_ushort v12, v[8:9], off offset:-2
	v_mov_b32_e32 v13, s12
	ds_read_b32 v13, v13 offset:4
	s_waitcnt vmcnt(0)
	v_lshlrev_b32_e32 v12, 16, v12
	s_waitcnt lgkmcnt(0)
	v_mul_f32_e32 v13, v13, v12
	v_and_b32_e32 v12, 0x7f800000, v13
	v_cmp_ne_u32_e32 vcc, s23, v12
                                        ; implicit-def: $vgpr12
	s_and_saveexec_b64 s[20:21], vcc
	s_xor_b64 s[20:21], exec, s[20:21]
; %bb.47:                               ;   in Loop: Header=BB555_42 Depth=2
	v_bfe_u32 v12, v13, 16, 1
	v_add3_u32 v12, v13, v12, s25
                                        ; implicit-def: $vgpr13
; %bb.48:                               ;   in Loop: Header=BB555_42 Depth=2
	s_andn2_saveexec_b64 s[20:21], s[20:21]
; %bb.49:                               ;   in Loop: Header=BB555_42 Depth=2
	v_or_b32_e32 v12, 0x10000, v13
	v_cmp_eq_u32_sdwa vcc, v13, v1 src0_sel:WORD_0 src1_sel:DWORD
	s_nop 1
	v_cndmask_b32_e32 v12, v12, v13, vcc
; %bb.50:                               ;   in Loop: Header=BB555_42 Depth=2
	s_or_b64 exec, exec, s[20:21]
	global_load_ushort v13, v[8:9], off
	v_mov_b32_e32 v14, s12
	ds_read_b32 v14, v14 offset:8
	s_waitcnt vmcnt(0)
	v_lshlrev_b32_e32 v13, 16, v13
	s_waitcnt lgkmcnt(0)
	v_mul_f32_e32 v14, v14, v13
	v_and_b32_e32 v13, 0x7f800000, v14
	v_cmp_ne_u32_e32 vcc, s23, v13
                                        ; implicit-def: $vgpr13
	s_and_saveexec_b64 s[20:21], vcc
	s_xor_b64 s[20:21], exec, s[20:21]
; %bb.51:                               ;   in Loop: Header=BB555_42 Depth=2
	v_bfe_u32 v13, v14, 16, 1
	v_add3_u32 v13, v14, v13, s25
                                        ; implicit-def: $vgpr14
; %bb.52:                               ;   in Loop: Header=BB555_42 Depth=2
	s_andn2_saveexec_b64 s[20:21], s[20:21]
; %bb.53:                               ;   in Loop: Header=BB555_42 Depth=2
	v_or_b32_e32 v13, 0x10000, v14
	v_cmp_eq_u32_sdwa vcc, v14, v1 src0_sel:WORD_0 src1_sel:DWORD
	s_nop 1
	v_cndmask_b32_e32 v13, v13, v14, vcc
; %bb.54:                               ;   in Loop: Header=BB555_42 Depth=2
	s_or_b64 exec, exec, s[20:21]
	global_load_ushort v14, v[8:9], off offset:2
	v_mov_b32_e32 v15, s12
	ds_read_b32 v15, v15 offset:12
	s_waitcnt vmcnt(0)
	v_lshlrev_b32_e32 v14, 16, v14
	s_waitcnt lgkmcnt(0)
	v_mul_f32_e32 v15, v15, v14
	v_and_b32_e32 v14, 0x7f800000, v15
	v_cmp_ne_u32_e32 vcc, s23, v14
                                        ; implicit-def: $vgpr14
	s_and_saveexec_b64 s[20:21], vcc
	s_xor_b64 s[20:21], exec, s[20:21]
; %bb.55:                               ;   in Loop: Header=BB555_42 Depth=2
	v_bfe_u32 v14, v15, 16, 1
	v_add3_u32 v14, v15, v14, s25
                                        ; implicit-def: $vgpr15
; %bb.56:                               ;   in Loop: Header=BB555_42 Depth=2
	s_andn2_saveexec_b64 s[20:21], s[20:21]
	s_cbranch_execz .LBB555_41
; %bb.57:                               ;   in Loop: Header=BB555_42 Depth=2
	v_or_b32_e32 v14, 0x10000, v15
	v_cmp_eq_u32_sdwa vcc, v15, v1 src0_sel:WORD_0 src1_sel:DWORD
	s_nop 1
	v_cndmask_b32_e32 v14, v14, v15, vcc
	s_branch .LBB555_41
.LBB555_58:                             ;   in Loop: Header=BB555_31 Depth=1
	s_mov_b32 s12, s8
.LBB555_59:                             ;   in Loop: Header=BB555_31 Depth=1
	s_and_b64 vcc, exec, s[6:7]
	s_cbranch_vccnz .LBB555_66
; %bb.60:                               ;   in Loop: Header=BB555_31 Depth=1
	s_lshl_b32 s27, s12, 2
	s_lshl_b32 s12, s12, 1
	v_lshl_add_u64 v[8:9], v[2:3], 0, s[12:13]
	s_mov_b32 s12, s22
	s_branch .LBB555_62
.LBB555_61:                             ;   in Loop: Header=BB555_62 Depth=2
	s_or_b64 exec, exec, s[20:21]
	v_and_b32_e32 v11, 0xffff0000, v12
	s_add_i32 s27, s27, 4
	s_add_i32 s12, s12, -1
	v_add_f32_e32 v10, v10, v11
	s_cmp_lg_u32 s12, 0
	v_lshl_add_u64 v[8:9], v[8:9], 0, 2
	s_cbranch_scc0 .LBB555_66
.LBB555_62:                             ;   Parent Loop BB555_31 Depth=1
                                        ; =>  This Inner Loop Header: Depth=2
	global_load_ushort v11, v[8:9], off
	v_mov_b32_e32 v12, s27
	ds_read_b32 v12, v12
	s_waitcnt vmcnt(0)
	v_lshlrev_b32_e32 v11, 16, v11
	s_waitcnt lgkmcnt(0)
	v_mul_f32_e32 v11, v12, v11
	v_and_b32_e32 v12, 0x7f800000, v11
	v_cmp_ne_u32_e32 vcc, s23, v12
                                        ; implicit-def: $vgpr12
	s_and_saveexec_b64 s[20:21], vcc
	s_xor_b64 s[20:21], exec, s[20:21]
; %bb.63:                               ;   in Loop: Header=BB555_62 Depth=2
	v_bfe_u32 v12, v11, 16, 1
	v_add3_u32 v12, v11, v12, s25
                                        ; implicit-def: $vgpr11
; %bb.64:                               ;   in Loop: Header=BB555_62 Depth=2
	s_andn2_saveexec_b64 s[20:21], s[20:21]
	s_cbranch_execz .LBB555_61
; %bb.65:                               ;   in Loop: Header=BB555_62 Depth=2
	v_or_b32_e32 v12, 0x10000, v11
	v_cmp_eq_u32_sdwa vcc, v11, v1 src0_sel:WORD_0 src1_sel:DWORD
	s_nop 1
	v_cndmask_b32_e32 v12, v12, v11, vcc
	s_branch .LBB555_61
.LBB555_66:                             ;   in Loop: Header=BB555_31 Depth=1
	v_and_b32_e32 v8, 0x7f800000, v10
	v_cmp_ne_u32_e32 vcc, s23, v8
                                        ; implicit-def: $vgpr8
	s_and_saveexec_b64 s[20:21], vcc
	s_xor_b64 s[20:21], exec, s[20:21]
; %bb.67:                               ;   in Loop: Header=BB555_31 Depth=1
	v_bfe_u32 v8, v10, 16, 1
	v_add3_u32 v8, v10, v8, s25
                                        ; implicit-def: $vgpr10
; %bb.68:                               ;   in Loop: Header=BB555_31 Depth=1
	s_andn2_saveexec_b64 s[20:21], s[20:21]
	s_cbranch_execz .LBB555_29
; %bb.69:                               ;   in Loop: Header=BB555_31 Depth=1
	v_or_b32_e32 v8, 0x10000, v10
	v_cmp_eq_u32_sdwa vcc, v10, v1 src0_sel:WORD_0 src1_sel:DWORD
	s_nop 1
	v_cndmask_b32_e32 v8, v8, v10, vcc
	s_branch .LBB555_29
.LBB555_70:
	s_endpgm
	.section	.rodata,"a",@progbits
	.p2align	6, 0x0
	.amdhsa_kernel _ZL22rocblas_gemvtsm_kernelILb0ELi256E16rocblas_bfloat16fS0_EviiT2_lPKT1_lilS4_lilS1_lPT3_lil
		.amdhsa_group_segment_fixed_size 256
		.amdhsa_private_segment_fixed_size 0
		.amdhsa_kernarg_size 136
		.amdhsa_user_sgpr_count 2
		.amdhsa_user_sgpr_dispatch_ptr 0
		.amdhsa_user_sgpr_queue_ptr 0
		.amdhsa_user_sgpr_kernarg_segment_ptr 1
		.amdhsa_user_sgpr_dispatch_id 0
		.amdhsa_user_sgpr_kernarg_preload_length 0
		.amdhsa_user_sgpr_kernarg_preload_offset 0
		.amdhsa_user_sgpr_private_segment_size 0
		.amdhsa_uses_dynamic_stack 0
		.amdhsa_enable_private_segment 0
		.amdhsa_system_sgpr_workgroup_id_x 1
		.amdhsa_system_sgpr_workgroup_id_y 0
		.amdhsa_system_sgpr_workgroup_id_z 0
		.amdhsa_system_sgpr_workgroup_info 0
		.amdhsa_system_vgpr_workitem_id 0
		.amdhsa_next_free_vgpr 16
		.amdhsa_next_free_sgpr 32
		.amdhsa_accum_offset 16
		.amdhsa_reserve_vcc 1
		.amdhsa_float_round_mode_32 0
		.amdhsa_float_round_mode_16_64 0
		.amdhsa_float_denorm_mode_32 3
		.amdhsa_float_denorm_mode_16_64 3
		.amdhsa_dx10_clamp 1
		.amdhsa_ieee_mode 1
		.amdhsa_fp16_overflow 0
		.amdhsa_tg_split 0
		.amdhsa_exception_fp_ieee_invalid_op 0
		.amdhsa_exception_fp_denorm_src 0
		.amdhsa_exception_fp_ieee_div_zero 0
		.amdhsa_exception_fp_ieee_overflow 0
		.amdhsa_exception_fp_ieee_underflow 0
		.amdhsa_exception_fp_ieee_inexact 0
		.amdhsa_exception_int_div_zero 0
	.end_amdhsa_kernel
	.section	.text._ZL22rocblas_gemvtsm_kernelILb0ELi256E16rocblas_bfloat16fS0_EviiT2_lPKT1_lilS4_lilS1_lPT3_lil,"axG",@progbits,_ZL22rocblas_gemvtsm_kernelILb0ELi256E16rocblas_bfloat16fS0_EviiT2_lPKT1_lilS4_lilS1_lPT3_lil,comdat
.Lfunc_end555:
	.size	_ZL22rocblas_gemvtsm_kernelILb0ELi256E16rocblas_bfloat16fS0_EviiT2_lPKT1_lilS4_lilS1_lPT3_lil, .Lfunc_end555-_ZL22rocblas_gemvtsm_kernelILb0ELi256E16rocblas_bfloat16fS0_EviiT2_lPKT1_lilS4_lilS1_lPT3_lil
                                        ; -- End function
	.section	.AMDGPU.csdata,"",@progbits
; Kernel info:
; codeLenInByte = 2024
; NumSgprs: 38
; NumVgprs: 16
; NumAgprs: 0
; TotalNumVgprs: 16
; ScratchSize: 0
; MemoryBound: 0
; FloatMode: 240
; IeeeMode: 1
; LDSByteSize: 256 bytes/workgroup (compile time only)
; SGPRBlocks: 4
; VGPRBlocks: 1
; NumSGPRsForWavesPerEU: 38
; NumVGPRsForWavesPerEU: 16
; AccumOffset: 16
; Occupancy: 8
; WaveLimiterHint : 1
; COMPUTE_PGM_RSRC2:SCRATCH_EN: 0
; COMPUTE_PGM_RSRC2:USER_SGPR: 2
; COMPUTE_PGM_RSRC2:TRAP_HANDLER: 0
; COMPUTE_PGM_RSRC2:TGID_X_EN: 1
; COMPUTE_PGM_RSRC2:TGID_Y_EN: 0
; COMPUTE_PGM_RSRC2:TGID_Z_EN: 0
; COMPUTE_PGM_RSRC2:TIDIG_COMP_CNT: 0
; COMPUTE_PGM_RSRC3_GFX90A:ACCUM_OFFSET: 3
; COMPUTE_PGM_RSRC3_GFX90A:TG_SPLIT: 0
	.section	.text._ZL23rocblas_gemvt_sn_kernelILb0ELi256ELi4Ei16rocblas_bfloat16PKffEviiT4_lPKT3_lilS6_lilPT5_i,"axG",@progbits,_ZL23rocblas_gemvt_sn_kernelILb0ELi256ELi4Ei16rocblas_bfloat16PKffEviiT4_lPKT3_lilS6_lilPT5_i,comdat
	.globl	_ZL23rocblas_gemvt_sn_kernelILb0ELi256ELi4Ei16rocblas_bfloat16PKffEviiT4_lPKT3_lilS6_lilPT5_i ; -- Begin function _ZL23rocblas_gemvt_sn_kernelILb0ELi256ELi4Ei16rocblas_bfloat16PKffEviiT4_lPKT3_lilS6_lilPT5_i
	.p2align	8
	.type	_ZL23rocblas_gemvt_sn_kernelILb0ELi256ELi4Ei16rocblas_bfloat16PKffEviiT4_lPKT3_lilS6_lilPT5_i,@function
_ZL23rocblas_gemvt_sn_kernelILb0ELi256ELi4Ei16rocblas_bfloat16PKffEviiT4_lPKT3_lilS6_lilPT5_i: ; @_ZL23rocblas_gemvt_sn_kernelILb0ELi256ELi4Ei16rocblas_bfloat16PKffEviiT4_lPKT3_lilS6_lilPT5_i
; %bb.0:
	s_load_dwordx8 s[12:19], s[0:1], 0x8
	s_load_dwordx2 s[20:21], s[0:1], 0x0
	s_mov_b32 s6, s3
	s_mov_b32 s23, 0
	s_waitcnt lgkmcnt(0)
	s_mul_i32 s3, s3, s15
	s_mul_hi_u32 s4, s6, s14
	s_add_i32 s5, s4, s3
	s_mul_i32 s4, s6, s14
	s_lshl_b64 s[4:5], s[4:5], 2
	s_add_u32 s4, s12, s4
	s_addc_u32 s5, s13, s5
	s_load_dword s33, s[4:5], 0x0
	s_load_dwordx4 s[8:11], s[0:1], 0x50
	s_load_dword s22, s[0:1], 0x68
	s_ashr_i32 s7, s21, 31
	s_mul_hi_u32 s3, s21, s6
	s_mul_i32 s4, s7, s6
	s_add_i32 s13, s3, s4
	s_mul_i32 s12, s21, s6
	s_waitcnt lgkmcnt(0)
	s_mul_i32 s3, s13, s22
	s_mul_hi_u32 s4, s12, s22
	s_add_i32 s5, s4, s3
	s_mul_i32 s4, s12, s22
	s_lshl_b64 s[4:5], s[4:5], 2
	s_add_u32 s49, s10, s4
	s_addc_u32 s50, s11, s5
	v_cmp_neq_f32_e64 s[4:5], s33, 0
	s_and_b64 vcc, exec, s[4:5]
	v_cmp_eq_u32_e64 s[4:5], 0, v0
	s_cbranch_vccnz .LBB556_10
; %bb.1:
	s_cmp_gt_i32 s21, 0
	s_cselect_b64 s[14:15], -1, 0
	s_and_b64 s[14:15], s[4:5], s[14:15]
	s_and_saveexec_b64 s[4:5], s[14:15]
	s_cbranch_execz .LBB556_9
; %bb.2:
	s_cmp_gt_u32 s21, 1
	s_cselect_b64 s[14:15], -1, 0
	s_cmp_eq_u32 s22, 1
	s_cselect_b64 s[26:27], -1, 0
	s_mov_b32 s3, 0
	s_and_b64 s[14:15], s[14:15], s[26:27]
	s_mov_b64 s[24:25], -1
	s_andn2_b64 vcc, exec, s[14:15]
	s_mov_b32 s14, s3
	s_cbranch_vccnz .LBB556_6
; %bb.3:
	s_lshl_b64 s[14:15], s[2:3], 2
	s_add_u32 s24, s49, s14
	s_addc_u32 s25, s50, s15
	s_and_b32 s14, s21, 0x7ffffffe
	v_mov_b32_e32 v2, 0
	v_mov_b32_e32 v3, v2
	s_mov_b32 s15, s14
.LBB556_4:                              ; =>This Inner Loop Header: Depth=1
	global_store_dwordx2 v2, v[2:3], s[24:25]
	s_add_u32 s24, s24, 8
	s_addc_u32 s25, s25, 0
	s_add_i32 s15, s15, -2
	s_cmp_lg_u32 s15, 0
	s_cbranch_scc1 .LBB556_4
; %bb.5:
	s_cmp_lg_u32 s14, s21
	s_cselect_b64 s[24:25], -1, 0
.LBB556_6:
	s_and_b64 vcc, exec, s[24:25]
	s_cbranch_vccz .LBB556_9
; %bb.7:
	s_mov_b32 s15, 0
	s_sub_i32 s24, s21, s14
	s_lshl_b64 s[12:13], s[12:13], 2
	s_lshl_b64 s[14:15], s[14:15], 2
	s_add_u32 s12, s12, s14
	s_addc_u32 s13, s13, s15
	s_mul_i32 s13, s13, s22
	s_mul_hi_u32 s14, s12, s22
	s_add_i32 s14, s14, s13
	s_mul_i32 s15, s12, s22
	s_lshl_b64 s[12:13], s[2:3], 2
	s_add_u32 s3, s15, s12
	s_addc_u32 s12, s14, s13
	s_add_u32 s10, s10, s3
	s_addc_u32 s11, s11, s12
	s_lshl_b64 s[12:13], s[22:23], 2
	v_mov_b32_e32 v1, 0
.LBB556_8:                              ; =>This Inner Loop Header: Depth=1
	s_add_i32 s24, s24, -1
	global_store_dword v1, v1, s[10:11]
	s_add_u32 s10, s10, s12
	s_addc_u32 s11, s11, s13
	s_cmp_eq_u32 s24, 0
	s_cbranch_scc0 .LBB556_8
.LBB556_9:
	s_or_b64 exec, exec, s[4:5]
	s_cbranch_execz .LBB556_11
	s_branch .LBB556_84
.LBB556_10:
.LBB556_11:
	s_load_dword s24, s[0:1], 0x28
	s_load_dwordx4 s[12:15], s[0:1], 0x30
	s_load_dwordx2 s[4:5], s[0:1], 0x40
	s_load_dword s23, s[0:1], 0x48
	s_mul_i32 s0, s6, s9
	s_mul_hi_u32 s1, s6, s8
	s_add_i32 s1, s1, s0
	s_mul_i32 s0, s6, s8
	s_lshl_b64 s[0:1], s[0:1], 1
	s_waitcnt lgkmcnt(0)
	s_add_u32 s3, s14, s0
	s_addc_u32 s8, s15, s1
	s_lshl_b64 s[0:1], s[4:5], 1
	s_add_u32 s26, s3, s0
	s_addc_u32 s27, s8, s1
	s_mul_i32 s0, s6, s13
	s_mul_hi_u32 s1, s6, s12
	s_add_i32 s1, s1, s0
	s_mul_i32 s0, s6, s12
	s_lshl_b64 s[28:29], s[0:1], 1
	s_add_u32 s0, s16, s28
	s_addc_u32 s1, s17, s29
	s_lshl_b64 s[18:19], s[18:19], 1
	s_add_u32 s0, s0, s18
	s_addc_u32 s1, s1, s19
	s_lshl_b32 s3, s2, 10
	v_lshl_or_b32 v10, v0, 2, s3
	v_ashrrev_i32_e32 v11, 31, v10
	v_lshl_add_u64 v[6:7], v[10:11], 1, s[0:1]
	s_lshr_b32 s0, s7, 30
	s_add_i32 s0, s21, s0
	s_and_b32 s3, s0, -4
	s_ashr_i32 s0, s20, 31
	s_lshr_b32 s0, s0, 30
	s_add_i32 s0, s20, s0
	s_and_b32 s0, s0, -4
	s_sub_i32 s48, s20, s0
	s_cmp_lt_i32 s3, 1
	v_add_u32_e32 v31, 4, v10
	v_add_u32_e32 v32, s48, v10
	v_and_b32_e32 v1, 63, v0
	v_cmp_gt_u32_e64 s[0:1], 64, v0
	v_mbcnt_lo_u32_b32 v30, -1, 0
	v_cmp_gt_u32_e64 s[4:5], 4, v0
	v_lshrrev_b32_e32 v9, 4, v0
	v_mul_lo_u32 v8, v10, s23
	s_cbranch_scc1 .LBB556_59
; %bb.12:
	v_mbcnt_hi_u32_b32 v2, -1, v30
	v_and_b32_e32 v3, 63, v2
	v_cmp_gt_u32_e32 vcc, 32, v3
	v_mul_lo_u32 v12, v10, s23
	s_cmp_gt_i32 s48, 0
	v_cndmask_b32_e64 v4, 0, 1, vcc
	v_lshlrev_b32_e32 v4, 5, v4
	v_cmp_gt_u32_e32 vcc, 48, v3
	v_add_lshl_u32 v33, v4, v2, 2
	s_cselect_b64 s[34:35], -1, 0
	v_cndmask_b32_e64 v4, 0, 1, vcc
	v_lshlrev_b32_e32 v4, 4, v4
	v_cmp_gt_u32_e32 vcc, 56, v3
	v_add_lshl_u32 v34, v4, v2, 2
	s_lshl_b32 s51, s24, 2
	v_cndmask_b32_e64 v4, 0, 1, vcc
	v_lshlrev_b32_e32 v4, 3, v4
	v_cmp_gt_u32_e32 vcc, 60, v3
	v_add_lshl_u32 v35, v4, v2, 2
	s_lshl_b32 s30, s24, 1
	v_cndmask_b32_e64 v4, 0, 1, vcc
	v_lshlrev_b32_e32 v4, 2, v4
	v_cmp_gt_u32_e32 vcc, 62, v3
	v_add_lshl_u32 v36, v4, v2, 2
	s_add_u32 s14, s28, s18
	v_cndmask_b32_e64 v4, 0, 1, vcc
	v_lshlrev_b32_e32 v4, 1, v4
	v_cmp_ne_u32_e32 vcc, 63, v3
	v_add_lshl_u32 v37, v4, v2, 2
	s_addc_u32 s15, s29, s19
	v_addc_co_u32_e32 v2, vcc, 0, v2, vcc
	v_lshlrev_b32_e32 v38, 2, v2
	v_add_u32_e32 v2, s23, v12
	v_ashrrev_i32_e32 v3, 31, v2
	v_lshl_add_u64 v[16:17], v[2:3], 1, s[26:27]
	v_add_u32_e32 v2, s23, v2
	v_ashrrev_i32_e32 v3, 31, v2
	s_mov_b32 s31, 0
	v_lshl_add_u64 v[18:19], v[2:3], 1, s[26:27]
	v_add_u32_e32 v2, s23, v2
	s_add_u32 s14, s16, s14
	v_ashrrev_i32_e32 v13, 31, v12
	v_ashrrev_i32_e32 v3, 31, v2
	s_mov_b32 s25, s31
	s_addc_u32 s15, s17, s15
	v_cmp_ge_i32_e64 s[6:7], s20, v31
	v_cmp_ge_i32_e64 s[8:9], s20, v32
	v_cmp_eq_u32_e64 s[10:11], 0, v1
	v_lshlrev_b32_e32 v39, 2, v1
	v_and_b32_e32 v40, 12, v9
	v_cmp_eq_u32_e64 s[12:13], 0, v0
	v_lshl_add_u64 v[14:15], v[12:13], 1, s[26:27]
	v_lshl_add_u64 v[20:21], v[2:3], 1, s[26:27]
	s_mul_i32 s52, s24, 3
	s_mov_b32 s53, s31
	v_lshl_add_u64 v[22:23], v[10:11], 1, s[14:15]
	v_mov_b32_e32 v13, 0
	s_mov_b32 s36, s31
	s_mov_b64 s[38:39], s[30:31]
	s_mov_b64 s[40:41], s[24:25]
	s_mov_b32 s25, 0
                                        ; implicit-def: $vgpr2_vgpr3_vgpr4_vgpr5
	s_branch .LBB556_14
.LBB556_13:                             ;   in Loop: Header=BB556_14 Depth=1
	s_or_b64 exec, exec, s[14:15]
	s_add_i32 s25, s25, 4
	s_add_u32 s40, s40, s51
	s_addc_u32 s41, s41, 0
	s_add_u32 s38, s38, s51
	s_addc_u32 s39, s39, 0
	;; [unrolled: 2-line block ×3, first 2 shown]
	s_add_i32 s36, s36, s51
	s_cmp_ge_i32 s25, s3
	s_cbranch_scc1 .LBB556_60
.LBB556_14:                             ; =>This Loop Header: Depth=1
                                        ;     Child Loop BB556_45 Depth 2
                                        ;     Child Loop BB556_48 Depth 2
                                        ; implicit-def: $vgpr25
                                        ; implicit-def: $vgpr27
	s_and_saveexec_b64 s[14:15], s[6:7]
	s_xor_b64 s[14:15], exec, s[14:15]
	s_cbranch_execnz .LBB556_41
; %bb.15:                               ;   in Loop: Header=BB556_14 Depth=1
	s_andn2_saveexec_b64 s[42:43], s[14:15]
	s_cbranch_execnz .LBB556_42
.LBB556_16:                             ;   in Loop: Header=BB556_14 Depth=1
	s_or_b64 exec, exec, s[42:43]
	s_and_saveexec_b64 s[14:15], s[0:1]
	s_cbranch_execz .LBB556_18
.LBB556_17:                             ;   in Loop: Header=BB556_14 Depth=1
	ds_write_b32 v39, v13
.LBB556_18:                             ;   in Loop: Header=BB556_14 Depth=1
	s_or_b64 exec, exec, s[14:15]
	ds_bpermute_b32 v28, v33, v26
	s_waitcnt lgkmcnt(0)
	s_barrier
	v_add_f32_e32 v26, v26, v28
	ds_bpermute_b32 v28, v34, v26
	s_waitcnt lgkmcnt(0)
	v_add_f32_e32 v26, v26, v28
	ds_bpermute_b32 v28, v35, v26
	s_waitcnt lgkmcnt(0)
	v_add_f32_e32 v26, v26, v28
	ds_bpermute_b32 v28, v36, v26
	s_waitcnt lgkmcnt(0)
	v_add_f32_e32 v26, v26, v28
	ds_bpermute_b32 v28, v37, v26
	s_waitcnt lgkmcnt(0)
	v_add_f32_e32 v26, v26, v28
	ds_bpermute_b32 v28, v38, v26
	s_and_saveexec_b64 s[14:15], s[10:11]
	s_cbranch_execz .LBB556_20
; %bb.19:                               ;   in Loop: Header=BB556_14 Depth=1
	s_waitcnt lgkmcnt(0)
	v_add_f32_e32 v26, v26, v28
	ds_write_b32 v40, v26
.LBB556_20:                             ;   in Loop: Header=BB556_14 Depth=1
	s_or_b64 exec, exec, s[14:15]
	v_mov_b32_e32 v26, 0
	s_waitcnt lgkmcnt(0)
	s_barrier
	s_and_saveexec_b64 s[14:15], s[4:5]
	s_cbranch_execnz .LBB556_50
; %bb.21:                               ;   in Loop: Header=BB556_14 Depth=1
	s_or_b64 exec, exec, s[14:15]
	s_and_saveexec_b64 s[14:15], s[0:1]
	s_cbranch_execnz .LBB556_51
.LBB556_22:                             ;   in Loop: Header=BB556_14 Depth=1
	s_or_b64 exec, exec, s[14:15]
	s_and_saveexec_b64 s[14:15], s[0:1]
	s_cbranch_execz .LBB556_24
.LBB556_23:                             ;   in Loop: Header=BB556_14 Depth=1
	ds_write_b32 v39, v13
.LBB556_24:                             ;   in Loop: Header=BB556_14 Depth=1
	s_or_b64 exec, exec, s[14:15]
	ds_bpermute_b32 v28, v33, v27
	s_waitcnt lgkmcnt(0)
	s_barrier
	v_add_f32_e32 v27, v27, v28
	ds_bpermute_b32 v28, v34, v27
	s_waitcnt lgkmcnt(0)
	v_add_f32_e32 v27, v27, v28
	ds_bpermute_b32 v28, v35, v27
	s_waitcnt lgkmcnt(0)
	;; [unrolled: 3-line block ×4, first 2 shown]
	v_add_f32_e32 v27, v27, v28
	ds_bpermute_b32 v28, v38, v27
	s_and_saveexec_b64 s[14:15], s[10:11]
	s_cbranch_execz .LBB556_26
; %bb.25:                               ;   in Loop: Header=BB556_14 Depth=1
	s_waitcnt lgkmcnt(0)
	v_add_f32_e32 v27, v27, v28
	ds_write_b32 v40, v27
.LBB556_26:                             ;   in Loop: Header=BB556_14 Depth=1
	s_or_b64 exec, exec, s[14:15]
	v_mov_b32_e32 v27, 0
	s_waitcnt lgkmcnt(0)
	s_barrier
	s_and_saveexec_b64 s[14:15], s[4:5]
	s_cbranch_execnz .LBB556_52
; %bb.27:                               ;   in Loop: Header=BB556_14 Depth=1
	s_or_b64 exec, exec, s[14:15]
	s_and_saveexec_b64 s[14:15], s[0:1]
	s_cbranch_execnz .LBB556_53
.LBB556_28:                             ;   in Loop: Header=BB556_14 Depth=1
	s_or_b64 exec, exec, s[14:15]
	s_and_saveexec_b64 s[14:15], s[0:1]
	s_cbranch_execz .LBB556_30
.LBB556_29:                             ;   in Loop: Header=BB556_14 Depth=1
	ds_write_b32 v39, v13
.LBB556_30:                             ;   in Loop: Header=BB556_14 Depth=1
	s_or_b64 exec, exec, s[14:15]
	ds_bpermute_b32 v28, v33, v24
	s_waitcnt lgkmcnt(0)
	s_barrier
	v_add_f32_e32 v24, v24, v28
	ds_bpermute_b32 v28, v34, v24
	s_waitcnt lgkmcnt(0)
	v_add_f32_e32 v24, v24, v28
	ds_bpermute_b32 v28, v35, v24
	s_waitcnt lgkmcnt(0)
	;; [unrolled: 3-line block ×4, first 2 shown]
	v_add_f32_e32 v24, v24, v28
	ds_bpermute_b32 v28, v38, v24
	s_and_saveexec_b64 s[14:15], s[10:11]
	s_cbranch_execz .LBB556_32
; %bb.31:                               ;   in Loop: Header=BB556_14 Depth=1
	s_waitcnt lgkmcnt(0)
	v_add_f32_e32 v24, v24, v28
	ds_write_b32 v40, v24
.LBB556_32:                             ;   in Loop: Header=BB556_14 Depth=1
	s_or_b64 exec, exec, s[14:15]
	v_mov_b32_e32 v24, 0
	s_waitcnt lgkmcnt(0)
	s_barrier
	s_and_saveexec_b64 s[14:15], s[4:5]
	s_cbranch_execnz .LBB556_54
; %bb.33:                               ;   in Loop: Header=BB556_14 Depth=1
	s_or_b64 exec, exec, s[14:15]
	s_and_saveexec_b64 s[14:15], s[0:1]
	s_cbranch_execnz .LBB556_55
.LBB556_34:                             ;   in Loop: Header=BB556_14 Depth=1
	s_or_b64 exec, exec, s[14:15]
	s_and_saveexec_b64 s[14:15], s[0:1]
	s_cbranch_execz .LBB556_36
.LBB556_35:                             ;   in Loop: Header=BB556_14 Depth=1
	ds_write_b32 v39, v13
.LBB556_36:                             ;   in Loop: Header=BB556_14 Depth=1
	s_or_b64 exec, exec, s[14:15]
	ds_bpermute_b32 v28, v33, v25
	s_waitcnt lgkmcnt(0)
	s_barrier
	v_add_f32_e32 v25, v25, v28
	ds_bpermute_b32 v28, v34, v25
	s_waitcnt lgkmcnt(0)
	v_add_f32_e32 v25, v25, v28
	ds_bpermute_b32 v28, v35, v25
	s_waitcnt lgkmcnt(0)
	;; [unrolled: 3-line block ×4, first 2 shown]
	v_add_f32_e32 v25, v25, v28
	ds_bpermute_b32 v28, v38, v25
	s_and_saveexec_b64 s[14:15], s[10:11]
	s_cbranch_execz .LBB556_38
; %bb.37:                               ;   in Loop: Header=BB556_14 Depth=1
	s_waitcnt lgkmcnt(0)
	v_add_f32_e32 v25, v25, v28
	ds_write_b32 v40, v25
.LBB556_38:                             ;   in Loop: Header=BB556_14 Depth=1
	s_or_b64 exec, exec, s[14:15]
	v_mov_b32_e32 v25, 0
	s_waitcnt lgkmcnt(0)
	s_barrier
	s_and_saveexec_b64 s[14:15], s[4:5]
	s_cbranch_execnz .LBB556_56
; %bb.39:                               ;   in Loop: Header=BB556_14 Depth=1
	s_or_b64 exec, exec, s[14:15]
	s_and_saveexec_b64 s[14:15], s[0:1]
	s_cbranch_execnz .LBB556_57
.LBB556_40:                             ;   in Loop: Header=BB556_14 Depth=1
	s_or_b64 exec, exec, s[14:15]
	s_and_saveexec_b64 s[14:15], s[12:13]
	s_cbranch_execz .LBB556_13
	s_branch .LBB556_58
.LBB556_41:                             ;   in Loop: Header=BB556_14 Depth=1
	s_mul_i32 s42, s25, s24
	s_ashr_i32 s43, s42, 31
	v_lshl_add_u64 v[2:3], s[42:43], 1, v[6:7]
	s_add_i32 s42, s42, s24
	s_ashr_i32 s43, s42, 31
	global_load_ushort v4, v[14:15], off
	global_load_ushort v5, v[16:17], off
	global_load_ushort v41, v[18:19], off
	global_load_ushort v44, v[20:21], off
	s_waitcnt lgkmcnt(0)
	global_load_dwordx2 v[24:25], v[2:3], off
	v_lshl_add_u64 v[2:3], s[42:43], 1, v[6:7]
	s_add_i32 s42, s42, s24
	s_ashr_i32 s43, s42, 31
	global_load_dwordx2 v[26:27], v[2:3], off
	v_lshl_add_u64 v[2:3], s[42:43], 1, v[6:7]
	s_add_i32 s42, s42, s24
	s_ashr_i32 s43, s42, 31
	global_load_dwordx2 v[28:29], v[2:3], off
	v_lshl_add_u64 v[2:3], s[42:43], 1, v[6:7]
	global_load_dwordx2 v[42:43], v[2:3], off
	s_waitcnt vmcnt(7)
	v_lshlrev_b32_e32 v2, 16, v4
	s_waitcnt vmcnt(6)
	v_lshlrev_b32_e32 v45, 16, v5
	s_waitcnt vmcnt(5)
	v_lshlrev_b32_e32 v46, 16, v41
	s_waitcnt vmcnt(4)
	v_lshlrev_b32_e32 v49, 16, v44
	s_waitcnt vmcnt(3)
	v_lshlrev_b32_e32 v56, 16, v25
	v_and_b32_e32 v58, 0xffff0000, v25
	v_mov_b32_e32 v50, v45
	v_lshlrev_b32_e32 v54, 16, v24
	s_waitcnt vmcnt(2)
	v_lshlrev_b32_e32 v55, 16, v26
	v_and_b32_e32 v25, 0xffff0000, v26
	v_lshlrev_b32_e32 v57, 16, v27
	v_and_b32_e32 v59, 0xffff0000, v27
	s_waitcnt vmcnt(1)
	v_lshlrev_b32_e32 v26, 16, v28
	v_and_b32_e32 v27, 0xffff0000, v28
	s_waitcnt vmcnt(0)
	v_and_b32_e32 v3, 0xffff0000, v42
	v_lshlrev_b32_e32 v44, 16, v42
	v_and_b32_e32 v47, 0xffff0000, v43
	v_lshlrev_b32_e32 v48, 16, v43
	v_pk_mul_f32 v[62:63], v[44:45], v[2:3]
	v_lshlrev_b32_e32 v41, 16, v29
	v_and_b32_e32 v29, 0xffff0000, v29
	v_mul_f32_e32 v26, v2, v26
	v_mul_f32_e32 v28, v45, v27
	v_mov_b32_e32 v3, v45
	v_pk_mul_f32 v[44:45], v[48:49], v[46:47]
	v_mov_b32_e32 v27, v62
	v_and_b32_e32 v24, 0xffff0000, v24
	v_mul_f32_e32 v60, v49, v29
	v_mov_b32_e32 v29, v63
	v_mov_b32_e32 v43, v44
	;; [unrolled: 1-line block ×3, first 2 shown]
	v_pk_fma_f32 v[44:45], v[2:3], v[54:55], 0 op_sel_hi:[0,1,0]
	v_pk_add_f32 v[26:27], v[26:27], 0 op_sel_hi:[1,0]
	v_mul_f32_e32 v42, v46, v41
	v_pk_fma_f32 v[24:25], v[50:51], v[24:25], v[44:45] op_sel_hi:[0,1,1]
	v_pk_add_f32 v[26:27], v[26:27], v[28:29]
	v_mov_b32_e32 v52, v49
	v_pk_fma_f32 v[28:29], v[46:47], v[56:57], v[24:25] op_sel_hi:[0,1,1]
	v_pk_add_f32 v[24:25], v[26:27], v[42:43]
	v_mov_b32_e32 v4, v46
	v_mov_b32_e32 v5, v49
	v_pk_add_f32 v[24:25], v[24:25], v[60:61]
	v_pk_fma_f32 v[26:27], v[52:53], v[58:59], v[28:29] op_sel_hi:[0,1,1]
	s_andn2_saveexec_b64 s[42:43], s[14:15]
	s_cbranch_execz .LBB556_16
.LBB556_42:                             ;   in Loop: Header=BB556_14 Depth=1
	s_waitcnt lgkmcnt(0)
	v_mov_b32_e32 v25, 0
	v_mov_b32_e32 v24, 0
	;; [unrolled: 1-line block ×4, first 2 shown]
	s_and_saveexec_b64 s[44:45], s[8:9]
	s_cbranch_execz .LBB556_49
; %bb.43:                               ;   in Loop: Header=BB556_14 Depth=1
	v_cndmask_b32_e64 v24, 0, 1, s[34:35]
	v_cmp_ne_u32_e64 s[14:15], 1, v24
	s_andn2_b64 vcc, exec, s[34:35]
	s_cbranch_vccnz .LBB556_46
; %bb.44:                               ;   in Loop: Header=BB556_14 Depth=1
	s_mov_b64 s[46:47], 0
	v_mov_b32_e32 v24, v12
.LBB556_45:                             ;   Parent Loop BB556_14 Depth=1
                                        ; =>  This Inner Loop Header: Depth=2
	v_ashrrev_i32_e32 v25, 31, v24
	v_lshl_add_u64 v[26:27], v[24:25], 1, s[26:27]
	global_load_ushort v25, v[26:27], off
	s_cmp_eq_u32 s46, 3
	s_cselect_b64 vcc, -1, 0
	s_cmp_eq_u32 s46, 2
	v_add_u32_e32 v24, s23, v24
	s_waitcnt vmcnt(0)
	v_lshlrev_b32_e32 v25, 16, v25
	v_cndmask_b32_e32 v5, v5, v25, vcc
	s_cselect_b64 vcc, -1, 0
	s_cmp_eq_u32 s46, 1
	v_cndmask_b32_e32 v4, v4, v25, vcc
	s_cselect_b64 vcc, -1, 0
	s_cmp_eq_u32 s46, 0
	v_cndmask_b32_e32 v3, v3, v25, vcc
	s_cselect_b64 vcc, -1, 0
	s_add_u32 s46, s46, 1
	s_addc_u32 s47, s47, 0
	s_cmp_eq_u32 s48, s46
	v_cndmask_b32_e32 v2, v2, v25, vcc
	s_cbranch_scc0 .LBB556_45
.LBB556_46:                             ;   in Loop: Header=BB556_14 Depth=1
	v_mov_b32_e32 v25, 0
	s_and_b64 vcc, exec, s[14:15]
	v_mov_b32_e32 v24, v25
	v_mov_b32_e32 v27, v25
	;; [unrolled: 1-line block ×3, first 2 shown]
	s_cbranch_vccnz .LBB556_49
; %bb.47:                               ;   in Loop: Header=BB556_14 Depth=1
	s_ashr_i32 s37, s36, 31
	v_mov_b32_e32 v26, 0
	v_lshl_add_u64 v[28:29], s[36:37], 1, v[22:23]
	s_mov_b64 s[14:15], 0
	v_mov_b32_e32 v27, v26
	v_mov_b32_e32 v24, v26
	;; [unrolled: 1-line block ×3, first 2 shown]
.LBB556_48:                             ;   Parent Loop BB556_14 Depth=1
                                        ; =>  This Inner Loop Header: Depth=2
	s_cmp_eq_u32 s14, 1
	s_cselect_b64 vcc, -1, 0
	s_cmp_eq_u32 s14, 2
	v_cndmask_b32_e32 v42, v2, v3, vcc
	s_cselect_b64 vcc, -1, 0
	s_cmp_eq_u32 s14, 3
	v_cndmask_b32_e32 v48, v42, v4, vcc
	s_cselect_b64 vcc, -1, 0
	s_add_i32 s46, s40, s14
	s_add_i32 s56, s52, s14
	;; [unrolled: 1-line block ×3, first 2 shown]
	s_ashr_i32 s47, s46, 31
	s_ashr_i32 s57, s56, 31
	s_ashr_i32 s55, s54, 31
	v_lshl_add_u64 v[42:43], s[46:47], 1, v[6:7]
	v_lshl_add_u64 v[46:47], s[56:57], 1, v[6:7]
	global_load_ushort v41, v[28:29], off
	v_lshl_add_u64 v[44:45], s[54:55], 1, v[6:7]
	global_load_ushort v43, v[42:43], off
	s_nop 0
	global_load_ushort v46, v[46:47], off
	s_nop 0
	global_load_ushort v49, v[44:45], off
	s_add_u32 s14, s14, 1
	v_cndmask_b32_e32 v42, v48, v5, vcc
	s_addc_u32 s15, s15, 0
	v_lshl_add_u64 v[28:29], v[28:29], 0, 2
	s_cmp_lg_u32 s48, s14
	s_waitcnt vmcnt(3)
	v_lshlrev_b32_e32 v44, 16, v41
	s_waitcnt vmcnt(2)
	v_lshlrev_b32_e32 v45, 16, v43
	;; [unrolled: 2-line block ×4, first 2 shown]
	v_pk_fma_f32 v[26:27], v[42:43], v[44:45], v[26:27] op_sel_hi:[0,1,1]
	v_pk_fma_f32 v[24:25], v[42:43], v[46:47], v[24:25] op_sel_hi:[0,1,1]
	s_cbranch_scc1 .LBB556_48
.LBB556_49:                             ;   in Loop: Header=BB556_14 Depth=1
	s_or_b64 exec, exec, s[44:45]
	s_or_b64 exec, exec, s[42:43]
	s_and_saveexec_b64 s[14:15], s[0:1]
	s_cbranch_execnz .LBB556_17
	s_branch .LBB556_18
.LBB556_50:                             ;   in Loop: Header=BB556_14 Depth=1
	ds_read_b32 v26, v39
	s_or_b64 exec, exec, s[14:15]
	s_and_saveexec_b64 s[14:15], s[0:1]
	s_cbranch_execz .LBB556_22
.LBB556_51:                             ;   in Loop: Header=BB556_14 Depth=1
	s_waitcnt lgkmcnt(0)
	ds_bpermute_b32 v28, v37, v26
	s_waitcnt lgkmcnt(0)
	v_add_f32_e32 v26, v26, v28
	ds_bpermute_b32 v28, v38, v26
	s_waitcnt lgkmcnt(0)
	v_add_f32_e32 v26, v26, v28
	s_or_b64 exec, exec, s[14:15]
	s_and_saveexec_b64 s[14:15], s[0:1]
	s_cbranch_execnz .LBB556_23
	s_branch .LBB556_24
.LBB556_52:                             ;   in Loop: Header=BB556_14 Depth=1
	ds_read_b32 v27, v39
	s_or_b64 exec, exec, s[14:15]
	s_and_saveexec_b64 s[14:15], s[0:1]
	s_cbranch_execz .LBB556_28
.LBB556_53:                             ;   in Loop: Header=BB556_14 Depth=1
	s_waitcnt lgkmcnt(0)
	ds_bpermute_b32 v28, v37, v27
	s_waitcnt lgkmcnt(0)
	v_add_f32_e32 v27, v27, v28
	ds_bpermute_b32 v28, v38, v27
	s_waitcnt lgkmcnt(0)
	v_add_f32_e32 v27, v27, v28
	s_or_b64 exec, exec, s[14:15]
	s_and_saveexec_b64 s[14:15], s[0:1]
	s_cbranch_execnz .LBB556_29
	s_branch .LBB556_30
.LBB556_54:                             ;   in Loop: Header=BB556_14 Depth=1
	ds_read_b32 v24, v39
	s_or_b64 exec, exec, s[14:15]
	s_and_saveexec_b64 s[14:15], s[0:1]
	s_cbranch_execz .LBB556_34
.LBB556_55:                             ;   in Loop: Header=BB556_14 Depth=1
	s_waitcnt lgkmcnt(0)
	ds_bpermute_b32 v28, v37, v24
	s_waitcnt lgkmcnt(0)
	v_add_f32_e32 v24, v24, v28
	ds_bpermute_b32 v28, v38, v24
	s_waitcnt lgkmcnt(0)
	v_add_f32_e32 v24, v24, v28
	s_or_b64 exec, exec, s[14:15]
	s_and_saveexec_b64 s[14:15], s[0:1]
	s_cbranch_execnz .LBB556_35
	s_branch .LBB556_36
.LBB556_56:                             ;   in Loop: Header=BB556_14 Depth=1
	ds_read_b32 v25, v39
	s_or_b64 exec, exec, s[14:15]
	s_and_saveexec_b64 s[14:15], s[0:1]
	s_cbranch_execz .LBB556_40
.LBB556_57:                             ;   in Loop: Header=BB556_14 Depth=1
	s_waitcnt lgkmcnt(0)
	ds_bpermute_b32 v28, v37, v25
	s_waitcnt lgkmcnt(0)
	v_add_f32_e32 v25, v25, v28
	ds_bpermute_b32 v28, v38, v25
	s_waitcnt lgkmcnt(0)
	v_add_f32_e32 v25, v25, v28
	s_or_b64 exec, exec, s[14:15]
	s_and_saveexec_b64 s[14:15], s[12:13]
	s_cbranch_execz .LBB556_13
.LBB556_58:                             ;   in Loop: Header=BB556_14 Depth=1
	s_mul_i32 s30, s25, s22
	s_add_i32 s30, s30, s2
	s_lshl_b64 s[42:43], s[30:31], 2
	s_add_u32 s42, s49, s42
	v_mul_f32_e32 v26, s33, v26
	s_addc_u32 s43, s50, s43
	s_add_i32 s30, s30, s22
	global_store_dword v13, v26, s[42:43]
	s_lshl_b64 s[42:43], s[30:31], 2
	s_add_u32 s42, s49, s42
	v_mul_f32_e32 v26, s33, v27
	s_addc_u32 s43, s50, s43
	s_add_i32 s30, s30, s22
	global_store_dword v13, v26, s[42:43]
	;; [unrolled: 6-line block ×3, first 2 shown]
	s_lshl_b64 s[42:43], s[30:31], 2
	s_add_u32 s42, s49, s42
	s_waitcnt lgkmcnt(0)
	v_mul_f32_e32 v24, s33, v25
	s_addc_u32 s43, s50, s43
	global_store_dword v13, v24, s[42:43]
	s_branch .LBB556_13
.LBB556_59:
	s_mov_b32 s25, 0
                                        ; implicit-def: $vgpr2_vgpr3_vgpr4_vgpr5
.LBB556_60:
	s_cmp_ge_i32 s25, s21
	s_cbranch_scc1 .LBB556_84
; %bb.61:
	v_mbcnt_hi_u32_b32 v12, -1, v30
	v_and_b32_e32 v13, 63, v12
	v_cmp_gt_u32_e32 vcc, 32, v13
	s_mov_b32 s3, 0
	s_cmp_gt_i32 s48, 0
	v_cndmask_b32_e64 v14, 0, 1, vcc
	v_lshlrev_b32_e32 v14, 5, v14
	v_cmp_gt_u32_e32 vcc, 48, v13
	v_add_lshl_u32 v23, v14, v12, 2
	s_cselect_b64 s[30:31], -1, 0
	v_cndmask_b32_e64 v14, 0, 1, vcc
	v_lshlrev_b32_e32 v14, 4, v14
	v_cmp_gt_u32_e32 vcc, 56, v13
	v_add_lshl_u32 v24, v14, v12, 2
	s_lshl_b64 s[14:15], s[2:3], 2
	v_cndmask_b32_e64 v14, 0, 1, vcc
	v_lshlrev_b32_e32 v14, 3, v14
	v_cmp_gt_u32_e32 vcc, 60, v13
	s_waitcnt lgkmcnt(0)
	v_add_lshl_u32 v25, v14, v12, 2
	s_add_u32 s2, s49, s14
	v_cndmask_b32_e64 v14, 0, 1, vcc
	v_cmp_ge_i32_e64 s[0:1], s20, v31
	v_cmp_ge_i32_e64 s[4:5], s20, v32
	v_lshlrev_b32_e32 v14, 2, v14
	v_cmp_gt_u32_e32 vcc, 62, v13
	s_addc_u32 s20, s50, s15
	v_add_u32_e32 v16, s23, v8
	v_add_lshl_u32 v26, v14, v12, 2
	v_cndmask_b32_e64 v14, 0, 1, vcc
	v_add_u32_e32 v18, s23, v16
	s_add_u32 s14, s28, s18
	v_lshlrev_b32_e32 v14, 1, v14
	v_ashrrev_i32_e32 v17, 31, v16
	v_ashrrev_i32_e32 v19, 31, v18
	s_addc_u32 s15, s29, s19
	v_add_lshl_u32 v27, v14, v12, 2
	v_cmp_ne_u32_e32 vcc, 63, v13
	v_lshl_add_u64 v[14:15], v[16:17], 1, s[26:27]
	v_lshl_add_u64 v[16:17], v[18:19], 1, s[26:27]
	v_add_u32_e32 v18, s23, v18
	s_add_u32 s14, s16, s14
	v_lshlrev_b32_e32 v22, 2, v1
	v_addc_co_u32_e32 v12, vcc, 0, v12, vcc
	v_cmp_eq_u32_e64 s[8:9], 0, v1
	v_and_b32_e32 v1, 12, v9
	v_ashrrev_i32_e32 v9, 31, v8
	v_ashrrev_i32_e32 v19, 31, v18
	s_addc_u32 s15, s17, s15
	v_cmp_gt_u32_e64 s[6:7], 64, v0
	v_lshlrev_b32_e32 v28, 2, v12
	v_cmp_gt_u32_e64 s[10:11], 4, v0
	v_cmp_eq_u32_e64 s[12:13], 0, v0
	v_lshl_add_u64 v[12:13], v[8:9], 1, s[26:27]
	v_lshl_add_u64 v[18:19], v[18:19], 1, s[26:27]
	;; [unrolled: 1-line block ×3, first 2 shown]
	s_mul_i32 s16, s25, s24
	v_mov_b32_e32 v9, 0
	s_branch .LBB556_63
.LBB556_62:                             ;   in Loop: Header=BB556_63 Depth=1
	s_or_b64 exec, exec, s[14:15]
	s_add_i32 s25, s25, 1
	s_add_i32 s16, s16, s24
	s_cmp_ge_i32 s25, s21
	s_cbranch_scc1 .LBB556_84
.LBB556_63:                             ; =>This Loop Header: Depth=1
                                        ;     Child Loop BB556_76 Depth 2
                                        ;     Child Loop BB556_79 Depth 2
	s_waitcnt lgkmcnt(0)
	v_mov_b32_e32 v0, s3
	s_and_saveexec_b64 s[14:15], s[0:1]
	s_xor_b64 s[14:15], exec, s[14:15]
	s_cbranch_execnz .LBB556_72
; %bb.64:                               ;   in Loop: Header=BB556_63 Depth=1
	s_andn2_saveexec_b64 s[18:19], s[14:15]
	s_cbranch_execnz .LBB556_73
.LBB556_65:                             ;   in Loop: Header=BB556_63 Depth=1
	s_or_b64 exec, exec, s[18:19]
	s_and_saveexec_b64 s[14:15], s[6:7]
	s_cbranch_execz .LBB556_67
.LBB556_66:                             ;   in Loop: Header=BB556_63 Depth=1
	ds_write_b32 v22, v9
.LBB556_67:                             ;   in Loop: Header=BB556_63 Depth=1
	s_or_b64 exec, exec, s[14:15]
	ds_bpermute_b32 v20, v23, v0
	s_waitcnt lgkmcnt(0)
	s_barrier
	v_add_f32_e32 v0, v0, v20
	ds_bpermute_b32 v20, v24, v0
	s_waitcnt lgkmcnt(0)
	v_add_f32_e32 v0, v0, v20
	ds_bpermute_b32 v20, v25, v0
	s_waitcnt lgkmcnt(0)
	;; [unrolled: 3-line block ×4, first 2 shown]
	v_add_f32_e32 v0, v0, v20
	ds_bpermute_b32 v20, v28, v0
	s_and_saveexec_b64 s[14:15], s[8:9]
	s_cbranch_execz .LBB556_69
; %bb.68:                               ;   in Loop: Header=BB556_63 Depth=1
	s_waitcnt lgkmcnt(0)
	v_add_f32_e32 v0, v0, v20
	ds_write_b32 v1, v0
.LBB556_69:                             ;   in Loop: Header=BB556_63 Depth=1
	s_or_b64 exec, exec, s[14:15]
	v_mov_b32_e32 v0, 0
	s_waitcnt lgkmcnt(0)
	s_barrier
	s_and_saveexec_b64 s[14:15], s[10:11]
	s_cbranch_execnz .LBB556_81
; %bb.70:                               ;   in Loop: Header=BB556_63 Depth=1
	s_or_b64 exec, exec, s[14:15]
	s_and_saveexec_b64 s[14:15], s[6:7]
	s_cbranch_execnz .LBB556_82
.LBB556_71:                             ;   in Loop: Header=BB556_63 Depth=1
	s_or_b64 exec, exec, s[14:15]
	s_and_saveexec_b64 s[14:15], s[12:13]
	s_cbranch_execz .LBB556_62
	s_branch .LBB556_83
.LBB556_72:                             ;   in Loop: Header=BB556_63 Depth=1
	s_mul_i32 s18, s25, s24
	s_ashr_i32 s19, s18, 31
	v_lshl_add_u64 v[2:3], s[18:19], 1, v[6:7]
	global_load_ushort v0, v[12:13], off
	global_load_ushort v4, v[14:15], off
	;; [unrolled: 1-line block ×4, first 2 shown]
	global_load_dwordx2 v[20:21], v[2:3], off
	s_waitcnt vmcnt(4)
	v_lshlrev_b32_e32 v2, 16, v0
	s_waitcnt vmcnt(3)
	v_lshlrev_b32_e32 v3, 16, v4
	;; [unrolled: 2-line block ×4, first 2 shown]
	s_waitcnt vmcnt(0)
	v_and_b32_e32 v31, 0xffff0000, v20
	v_lshlrev_b32_e32 v30, 16, v20
	v_and_b32_e32 v33, 0xffff0000, v21
	v_lshlrev_b32_e32 v32, 16, v21
	v_pk_mul_f32 v[20:21], v[2:3], v[30:31]
	s_nop 0
	v_add_f32_e32 v0, 0, v20
	v_add_f32_e32 v0, v0, v21
	v_pk_mul_f32 v[20:21], v[4:5], v[32:33]
	s_nop 0
	v_add_f32_e32 v0, v0, v20
	v_add_f32_e32 v0, v0, v21
	s_andn2_saveexec_b64 s[18:19], s[14:15]
	s_cbranch_execz .LBB556_65
.LBB556_73:                             ;   in Loop: Header=BB556_63 Depth=1
	s_and_saveexec_b64 s[28:29], s[4:5]
	s_cbranch_execz .LBB556_80
; %bb.74:                               ;   in Loop: Header=BB556_63 Depth=1
	v_cndmask_b32_e64 v20, 0, 1, s[30:31]
	v_cmp_ne_u32_e64 s[14:15], 1, v20
	s_andn2_b64 vcc, exec, s[30:31]
	s_cbranch_vccnz .LBB556_77
; %bb.75:                               ;   in Loop: Header=BB556_63 Depth=1
	s_mov_b64 s[34:35], 0
	v_mov_b32_e32 v20, v8
.LBB556_76:                             ;   Parent Loop BB556_63 Depth=1
                                        ; =>  This Inner Loop Header: Depth=2
	v_ashrrev_i32_e32 v21, 31, v20
	v_lshl_add_u64 v[30:31], v[20:21], 1, s[26:27]
	global_load_ushort v21, v[30:31], off
	s_cmp_eq_u32 s34, 3
	s_cselect_b64 vcc, -1, 0
	s_cmp_eq_u32 s34, 2
	v_add_u32_e32 v20, s23, v20
	s_waitcnt vmcnt(0)
	v_lshlrev_b32_e32 v21, 16, v21
	v_cndmask_b32_e32 v5, v5, v21, vcc
	s_cselect_b64 vcc, -1, 0
	s_cmp_eq_u32 s34, 1
	v_cndmask_b32_e32 v4, v4, v21, vcc
	s_cselect_b64 vcc, -1, 0
	s_cmp_eq_u32 s34, 0
	v_cndmask_b32_e32 v3, v3, v21, vcc
	s_cselect_b64 vcc, -1, 0
	s_add_u32 s34, s34, 1
	s_addc_u32 s35, s35, 0
	s_cmp_eq_u32 s48, s34
	v_cndmask_b32_e32 v2, v2, v21, vcc
	s_cbranch_scc0 .LBB556_76
.LBB556_77:                             ;   in Loop: Header=BB556_63 Depth=1
	s_and_b64 vcc, exec, s[14:15]
	s_cbranch_vccnz .LBB556_80
; %bb.78:                               ;   in Loop: Header=BB556_63 Depth=1
	s_ashr_i32 s17, s16, 31
	v_lshl_add_u64 v[20:21], s[16:17], 1, v[10:11]
	s_mov_b64 s[14:15], 0
.LBB556_79:                             ;   Parent Loop BB556_63 Depth=1
                                        ; =>  This Inner Loop Header: Depth=2
	global_load_ushort v29, v[20:21], off
	s_cmp_eq_u32 s14, 1
	s_cselect_b64 vcc, -1, 0
	s_cmp_eq_u32 s14, 2
	v_cndmask_b32_e32 v30, v2, v3, vcc
	s_cselect_b64 vcc, -1, 0
	s_cmp_eq_u32 s14, 3
	v_cndmask_b32_e32 v30, v30, v4, vcc
	s_cselect_b64 vcc, -1, 0
	s_add_u32 s14, s14, 1
	v_cndmask_b32_e32 v30, v30, v5, vcc
	s_addc_u32 s15, s15, 0
	v_lshl_add_u64 v[20:21], v[20:21], 0, 2
	s_cmp_lg_u32 s48, s14
	s_waitcnt vmcnt(0)
	v_lshlrev_b32_e32 v29, 16, v29
	v_fmac_f32_e32 v0, v30, v29
	s_cbranch_scc1 .LBB556_79
.LBB556_80:                             ;   in Loop: Header=BB556_63 Depth=1
	s_or_b64 exec, exec, s[28:29]
	s_or_b64 exec, exec, s[18:19]
	s_and_saveexec_b64 s[14:15], s[6:7]
	s_cbranch_execnz .LBB556_66
	s_branch .LBB556_67
.LBB556_81:                             ;   in Loop: Header=BB556_63 Depth=1
	ds_read_b32 v0, v22
	s_or_b64 exec, exec, s[14:15]
	s_and_saveexec_b64 s[14:15], s[6:7]
	s_cbranch_execz .LBB556_71
.LBB556_82:                             ;   in Loop: Header=BB556_63 Depth=1
	s_waitcnt lgkmcnt(0)
	ds_bpermute_b32 v20, v27, v0
	s_waitcnt lgkmcnt(0)
	v_add_f32_e32 v0, v0, v20
	ds_bpermute_b32 v20, v28, v0
	s_waitcnt lgkmcnt(0)
	v_add_f32_e32 v0, v0, v20
	s_or_b64 exec, exec, s[14:15]
	s_and_saveexec_b64 s[14:15], s[12:13]
	s_cbranch_execz .LBB556_62
.LBB556_83:                             ;   in Loop: Header=BB556_63 Depth=1
	s_mul_hi_u32 s19, s25, s22
	s_mul_i32 s18, s25, s22
	s_lshl_b64 s[18:19], s[18:19], 2
	s_add_u32 s18, s2, s18
	s_waitcnt lgkmcnt(0)
	v_mul_f32_e32 v0, s33, v0
	s_addc_u32 s19, s20, s19
	global_store_dword v9, v0, s[18:19]
	s_branch .LBB556_62
.LBB556_84:
	s_endpgm
	.section	.rodata,"a",@progbits
	.p2align	6, 0x0
	.amdhsa_kernel _ZL23rocblas_gemvt_sn_kernelILb0ELi256ELi4Ei16rocblas_bfloat16PKffEviiT4_lPKT3_lilS6_lilPT5_i
		.amdhsa_group_segment_fixed_size 256
		.amdhsa_private_segment_fixed_size 0
		.amdhsa_kernarg_size 360
		.amdhsa_user_sgpr_count 2
		.amdhsa_user_sgpr_dispatch_ptr 0
		.amdhsa_user_sgpr_queue_ptr 0
		.amdhsa_user_sgpr_kernarg_segment_ptr 1
		.amdhsa_user_sgpr_dispatch_id 0
		.amdhsa_user_sgpr_kernarg_preload_length 0
		.amdhsa_user_sgpr_kernarg_preload_offset 0
		.amdhsa_user_sgpr_private_segment_size 0
		.amdhsa_uses_dynamic_stack 0
		.amdhsa_enable_private_segment 0
		.amdhsa_system_sgpr_workgroup_id_x 1
		.amdhsa_system_sgpr_workgroup_id_y 0
		.amdhsa_system_sgpr_workgroup_id_z 1
		.amdhsa_system_sgpr_workgroup_info 0
		.amdhsa_system_vgpr_workitem_id 0
		.amdhsa_next_free_vgpr 64
		.amdhsa_next_free_sgpr 58
		.amdhsa_accum_offset 64
		.amdhsa_reserve_vcc 1
		.amdhsa_float_round_mode_32 0
		.amdhsa_float_round_mode_16_64 0
		.amdhsa_float_denorm_mode_32 3
		.amdhsa_float_denorm_mode_16_64 3
		.amdhsa_dx10_clamp 1
		.amdhsa_ieee_mode 1
		.amdhsa_fp16_overflow 0
		.amdhsa_tg_split 0
		.amdhsa_exception_fp_ieee_invalid_op 0
		.amdhsa_exception_fp_denorm_src 0
		.amdhsa_exception_fp_ieee_div_zero 0
		.amdhsa_exception_fp_ieee_overflow 0
		.amdhsa_exception_fp_ieee_underflow 0
		.amdhsa_exception_fp_ieee_inexact 0
		.amdhsa_exception_int_div_zero 0
	.end_amdhsa_kernel
	.section	.text._ZL23rocblas_gemvt_sn_kernelILb0ELi256ELi4Ei16rocblas_bfloat16PKffEviiT4_lPKT3_lilS6_lilPT5_i,"axG",@progbits,_ZL23rocblas_gemvt_sn_kernelILb0ELi256ELi4Ei16rocblas_bfloat16PKffEviiT4_lPKT3_lilS6_lilPT5_i,comdat
.Lfunc_end556:
	.size	_ZL23rocblas_gemvt_sn_kernelILb0ELi256ELi4Ei16rocblas_bfloat16PKffEviiT4_lPKT3_lilS6_lilPT5_i, .Lfunc_end556-_ZL23rocblas_gemvt_sn_kernelILb0ELi256ELi4Ei16rocblas_bfloat16PKffEviiT4_lPKT3_lilS6_lilPT5_i
                                        ; -- End function
	.section	.AMDGPU.csdata,"",@progbits
; Kernel info:
; codeLenInByte = 4108
; NumSgprs: 64
; NumVgprs: 64
; NumAgprs: 0
; TotalNumVgprs: 64
; ScratchSize: 0
; MemoryBound: 0
; FloatMode: 240
; IeeeMode: 1
; LDSByteSize: 256 bytes/workgroup (compile time only)
; SGPRBlocks: 7
; VGPRBlocks: 7
; NumSGPRsForWavesPerEU: 64
; NumVGPRsForWavesPerEU: 64
; AccumOffset: 64
; Occupancy: 8
; WaveLimiterHint : 1
; COMPUTE_PGM_RSRC2:SCRATCH_EN: 0
; COMPUTE_PGM_RSRC2:USER_SGPR: 2
; COMPUTE_PGM_RSRC2:TRAP_HANDLER: 0
; COMPUTE_PGM_RSRC2:TGID_X_EN: 1
; COMPUTE_PGM_RSRC2:TGID_Y_EN: 0
; COMPUTE_PGM_RSRC2:TGID_Z_EN: 1
; COMPUTE_PGM_RSRC2:TIDIG_COMP_CNT: 0
; COMPUTE_PGM_RSRC3_GFX90A:ACCUM_OFFSET: 15
; COMPUTE_PGM_RSRC3_GFX90A:TG_SPLIT: 0
	.section	.text._ZL23rocblas_gemvt_sn_kernelILb0ELi256ELi4El16rocblas_bfloat16PKffEviiT4_lPKT3_lilS6_lilPT5_i,"axG",@progbits,_ZL23rocblas_gemvt_sn_kernelILb0ELi256ELi4El16rocblas_bfloat16PKffEviiT4_lPKT3_lilS6_lilPT5_i,comdat
	.globl	_ZL23rocblas_gemvt_sn_kernelILb0ELi256ELi4El16rocblas_bfloat16PKffEviiT4_lPKT3_lilS6_lilPT5_i ; -- Begin function _ZL23rocblas_gemvt_sn_kernelILb0ELi256ELi4El16rocblas_bfloat16PKffEviiT4_lPKT3_lilS6_lilPT5_i
	.p2align	8
	.type	_ZL23rocblas_gemvt_sn_kernelILb0ELi256ELi4El16rocblas_bfloat16PKffEviiT4_lPKT3_lilS6_lilPT5_i,@function
_ZL23rocblas_gemvt_sn_kernelILb0ELi256ELi4El16rocblas_bfloat16PKffEviiT4_lPKT3_lilS6_lilPT5_i: ; @_ZL23rocblas_gemvt_sn_kernelILb0ELi256ELi4El16rocblas_bfloat16PKffEviiT4_lPKT3_lilS6_lilPT5_i
; %bb.0:
	s_load_dwordx8 s[12:19], s[0:1], 0x8
	s_load_dwordx2 s[24:25], s[0:1], 0x0
	s_mov_b32 s6, s3
	s_mov_b32 s27, 0
	s_waitcnt lgkmcnt(0)
	s_mul_i32 s3, s3, s15
	s_mul_hi_u32 s4, s6, s14
	s_add_i32 s5, s4, s3
	s_mul_i32 s4, s6, s14
	s_lshl_b64 s[4:5], s[4:5], 2
	s_add_u32 s4, s12, s4
	s_addc_u32 s5, s13, s5
	s_load_dword s33, s[4:5], 0x0
	s_load_dwordx4 s[8:11], s[0:1], 0x50
	s_load_dword s26, s[0:1], 0x68
	s_ashr_i32 s7, s25, 31
	s_mul_hi_u32 s3, s25, s6
	s_mul_i32 s4, s7, s6
	s_add_i32 s13, s3, s4
	s_mul_i32 s12, s25, s6
	s_waitcnt lgkmcnt(0)
	s_mul_i32 s3, s13, s26
	s_mul_hi_u32 s4, s12, s26
	s_add_i32 s5, s4, s3
	s_mul_i32 s4, s12, s26
	s_lshl_b64 s[4:5], s[4:5], 2
	s_add_u32 s58, s10, s4
	s_addc_u32 s59, s11, s5
	v_cmp_neq_f32_e64 s[4:5], s33, 0
	s_and_b64 vcc, exec, s[4:5]
	v_cmp_eq_u32_e64 s[4:5], 0, v0
	s_cbranch_vccnz .LBB557_10
; %bb.1:
	s_cmp_gt_i32 s25, 0
	s_cselect_b64 s[14:15], -1, 0
	s_and_b64 s[14:15], s[4:5], s[14:15]
	s_and_saveexec_b64 s[4:5], s[14:15]
	s_cbranch_execz .LBB557_9
; %bb.2:
	s_cmp_gt_u32 s25, 1
	s_cselect_b64 s[14:15], -1, 0
	s_cmp_eq_u32 s26, 1
	s_cselect_b64 s[22:23], -1, 0
	s_mov_b32 s3, 0
	s_and_b64 s[14:15], s[14:15], s[22:23]
	s_mov_b64 s[20:21], -1
	s_andn2_b64 vcc, exec, s[14:15]
	s_mov_b32 s14, s3
	s_cbranch_vccnz .LBB557_6
; %bb.3:
	s_lshl_b64 s[14:15], s[2:3], 2
	s_add_u32 s20, s58, s14
	s_addc_u32 s21, s59, s15
	s_and_b32 s14, s25, 0x7ffffffe
	v_mov_b32_e32 v2, 0
	v_mov_b32_e32 v3, v2
	s_mov_b32 s15, s14
.LBB557_4:                              ; =>This Inner Loop Header: Depth=1
	global_store_dwordx2 v2, v[2:3], s[20:21]
	s_add_u32 s20, s20, 8
	s_addc_u32 s21, s21, 0
	s_add_i32 s15, s15, -2
	s_cmp_lg_u32 s15, 0
	s_cbranch_scc1 .LBB557_4
; %bb.5:
	s_cmp_lg_u32 s14, s25
	s_cselect_b64 s[20:21], -1, 0
.LBB557_6:
	s_and_b64 vcc, exec, s[20:21]
	s_cbranch_vccz .LBB557_9
; %bb.7:
	s_mov_b32 s15, 0
	s_sub_i32 s20, s25, s14
	s_lshl_b64 s[12:13], s[12:13], 2
	s_lshl_b64 s[14:15], s[14:15], 2
	s_add_u32 s12, s12, s14
	s_addc_u32 s13, s13, s15
	s_mul_i32 s13, s13, s26
	s_mul_hi_u32 s14, s12, s26
	s_add_i32 s14, s14, s13
	s_mul_i32 s15, s12, s26
	s_lshl_b64 s[12:13], s[2:3], 2
	s_add_u32 s3, s15, s12
	s_addc_u32 s12, s14, s13
	s_add_u32 s10, s10, s3
	s_addc_u32 s11, s11, s12
	s_lshl_b64 s[12:13], s[26:27], 2
	v_mov_b32_e32 v1, 0
.LBB557_8:                              ; =>This Inner Loop Header: Depth=1
	s_add_i32 s20, s20, -1
	global_store_dword v1, v1, s[10:11]
	s_add_u32 s10, s10, s12
	s_addc_u32 s11, s11, s13
	s_cmp_eq_u32 s20, 0
	s_cbranch_scc0 .LBB557_8
.LBB557_9:
	s_or_b64 exec, exec, s[4:5]
	s_cbranch_execz .LBB557_11
	s_branch .LBB557_84
.LBB557_10:
.LBB557_11:
	s_load_dword s28, s[0:1], 0x28
	s_load_dword s30, s[0:1], 0x48
	s_load_dwordx2 s[4:5], s[0:1], 0x40
	s_load_dwordx4 s[20:23], s[0:1], 0x30
	s_mul_i32 s0, s6, s9
	s_mul_hi_u32 s1, s6, s8
	s_add_i32 s1, s1, s0
	s_mul_i32 s0, s6, s8
	s_waitcnt lgkmcnt(0)
	s_ashr_i32 s29, s28, 31
	s_ashr_i32 s31, s30, 31
	s_lshl_b64 s[34:35], s[0:1], 1
	s_add_u32 s0, s22, s34
	s_addc_u32 s1, s23, s35
	s_lshl_b64 s[36:37], s[4:5], 1
	s_add_u32 s38, s0, s36
	s_addc_u32 s39, s1, s37
	s_mul_i32 s0, s6, s21
	s_mul_hi_u32 s1, s6, s20
	s_add_i32 s1, s1, s0
	s_mul_i32 s0, s6, s20
	s_lshl_b64 s[20:21], s[0:1], 1
	s_add_u32 s0, s16, s20
	s_addc_u32 s1, s17, s21
	s_lshl_b64 s[18:19], s[18:19], 1
	s_add_u32 s0, s0, s18
	s_addc_u32 s1, s1, s19
	s_lshl_b32 s3, s2, 10
	v_lshl_or_b32 v8, v0, 2, s3
	v_ashrrev_i32_e32 v9, 31, v8
	v_lshl_add_u64 v[6:7], v[8:9], 1, s[0:1]
	s_lshr_b32 s0, s7, 30
	s_add_i32 s0, s25, s0
	s_and_b32 s60, s0, -4
	s_ashr_i32 s0, s24, 31
	s_lshr_b32 s0, s0, 30
	s_add_i32 s0, s24, s0
	s_and_b32 s0, s0, -4
	s_sub_i32 s27, s24, s0
	s_cmp_lt_i32 s60, 1
	v_add_u32_e32 v33, 4, v8
	v_add_u32_e32 v34, s27, v8
	v_and_b32_e32 v30, 63, v0
	v_cmp_gt_u32_e64 s[0:1], 64, v0
	v_mbcnt_lo_u32_b32 v32, -1, 0
	v_cmp_gt_u32_e64 s[4:5], 4, v0
	v_lshrrev_b32_e32 v31, 4, v0
	v_or_b32_e32 v29, 1, v8
	v_or_b32_e32 v28, 2, v8
	;; [unrolled: 1-line block ×3, first 2 shown]
	s_cbranch_scc1 .LBB557_59
; %bb.12:
	v_mbcnt_hi_u32_b32 v2, -1, v32
	v_and_b32_e32 v3, 63, v2
	v_cmp_gt_u32_e32 vcc, 32, v3
	s_mov_b32 s3, 0
	s_cmp_gt_i32 s27, 0
	v_cndmask_b32_e64 v4, 0, 1, vcc
	v_lshlrev_b32_e32 v4, 5, v4
	v_cmp_gt_u32_e32 vcc, 48, v3
	v_add_lshl_u32 v35, v4, v2, 2
	s_cselect_b64 s[40:41], -1, 0
	v_cndmask_b32_e64 v4, 0, 1, vcc
	v_lshlrev_b32_e32 v4, 4, v4
	v_cmp_gt_u32_e32 vcc, 56, v3
	v_add_lshl_u32 v36, v4, v2, 2
	s_lshl_b64 s[14:15], s[2:3], 2
	v_cndmask_b32_e64 v4, 0, 1, vcc
	v_lshlrev_b32_e32 v4, 3, v4
	v_cmp_gt_u32_e32 vcc, 60, v3
	v_add_lshl_u32 v37, v4, v2, 2
	s_add_u32 s61, s58, s14
	v_cndmask_b32_e64 v4, 0, 1, vcc
	v_lshlrev_b32_e32 v4, 2, v4
	v_cmp_gt_u32_e32 vcc, 62, v3
	v_add_lshl_u32 v38, v4, v2, 2
	s_addc_u32 s62, s59, s15
	v_cndmask_b32_e64 v4, 0, 1, vcc
	v_lshlrev_b32_e32 v4, 1, v4
	v_add_lshl_u32 v39, v4, v2, 2
	v_cmp_ne_u32_e32 vcc, 63, v3
	v_mad_i64_i32 v[4:5], s[14:15], s30, v29, 0
	s_nop 0
	v_addc_co_u32_e32 v2, vcc, 0, v2, vcc
	v_lshl_add_u64 v[12:13], v[4:5], 1, s[38:39]
	v_mad_i64_i32 v[4:5], s[14:15], s30, v28, 0
	v_lshlrev_b32_e32 v40, 2, v2
	v_mad_i64_i32 v[2:3], s[14:15], s30, v8, 0
	v_lshl_add_u64 v[14:15], v[4:5], 1, s[38:39]
	v_mad_i64_i32 v[4:5], s[14:15], s30, v1, 0
	s_add_u32 s14, s22, s36
	s_addc_u32 s15, s23, s37
	s_add_u32 s14, s14, s34
	v_lshlrev_b64 v[2:3], 1, v[2:3]
	s_addc_u32 s15, s15, s35
	v_cmp_ge_i32_e64 s[6:7], s24, v33
	v_cmp_ge_i32_e64 s[8:9], s24, v34
	v_cmp_eq_u32_e64 s[10:11], 0, v30
	v_lshlrev_b32_e32 v41, 2, v30
	v_and_b32_e32 v42, 12, v31
	v_cmp_eq_u32_e64 s[12:13], 0, v0
	v_lshl_add_u64 v[10:11], s[38:39], 0, v[2:3]
	v_lshl_add_u64 v[16:17], v[4:5], 1, s[38:39]
	;; [unrolled: 1-line block ×3, first 2 shown]
	s_lshl_b64 s[42:43], s[30:31], 1
	s_lshl_b64 s[44:45], s[28:29], 3
	;; [unrolled: 1-line block ×4, first 2 shown]
	s_mul_hi_i32 s51, s28, 6
	s_mul_i32 s50, s28, 6
	v_mov_b32_e32 v43, 0
	v_mov_b64_e32 v[20:21], v[6:7]
                                        ; implicit-def: $vgpr2_vgpr3_vgpr4_vgpr5
	s_branch .LBB557_14
.LBB557_13:                             ;   in Loop: Header=BB557_14 Depth=1
	s_or_b64 exec, exec, s[14:15]
	s_add_i32 s3, s3, 4
	s_cmp_ge_i32 s3, s60
	v_lshl_add_u64 v[20:21], v[20:21], 0, s[44:45]
	s_cbranch_scc1 .LBB557_60
.LBB557_14:                             ; =>This Loop Header: Depth=1
                                        ;     Child Loop BB557_45 Depth 2
                                        ;     Child Loop BB557_48 Depth 2
                                        ; implicit-def: $vgpr23
                                        ; implicit-def: $vgpr25
	s_and_saveexec_b64 s[14:15], s[6:7]
	s_xor_b64 s[14:15], exec, s[14:15]
	s_cbranch_execnz .LBB557_41
; %bb.15:                               ;   in Loop: Header=BB557_14 Depth=1
	s_andn2_saveexec_b64 s[52:53], s[14:15]
	s_cbranch_execnz .LBB557_42
.LBB557_16:                             ;   in Loop: Header=BB557_14 Depth=1
	s_or_b64 exec, exec, s[52:53]
	s_and_saveexec_b64 s[14:15], s[0:1]
	s_cbranch_execz .LBB557_18
.LBB557_17:                             ;   in Loop: Header=BB557_14 Depth=1
	ds_write_b32 v41, v43
.LBB557_18:                             ;   in Loop: Header=BB557_14 Depth=1
	s_or_b64 exec, exec, s[14:15]
	ds_bpermute_b32 v26, v35, v24
	s_waitcnt lgkmcnt(0)
	s_barrier
	v_add_f32_e32 v24, v24, v26
	ds_bpermute_b32 v26, v36, v24
	s_waitcnt lgkmcnt(0)
	v_add_f32_e32 v24, v24, v26
	ds_bpermute_b32 v26, v37, v24
	s_waitcnt lgkmcnt(0)
	;; [unrolled: 3-line block ×4, first 2 shown]
	v_add_f32_e32 v24, v24, v26
	ds_bpermute_b32 v26, v40, v24
	s_and_saveexec_b64 s[14:15], s[10:11]
	s_cbranch_execz .LBB557_20
; %bb.19:                               ;   in Loop: Header=BB557_14 Depth=1
	s_waitcnt lgkmcnt(0)
	v_add_f32_e32 v24, v24, v26
	ds_write_b32 v42, v24
.LBB557_20:                             ;   in Loop: Header=BB557_14 Depth=1
	s_or_b64 exec, exec, s[14:15]
	v_mov_b32_e32 v24, 0
	s_waitcnt lgkmcnt(0)
	s_barrier
	s_and_saveexec_b64 s[14:15], s[4:5]
	s_cbranch_execnz .LBB557_50
; %bb.21:                               ;   in Loop: Header=BB557_14 Depth=1
	s_or_b64 exec, exec, s[14:15]
	s_and_saveexec_b64 s[14:15], s[0:1]
	s_cbranch_execnz .LBB557_51
.LBB557_22:                             ;   in Loop: Header=BB557_14 Depth=1
	s_or_b64 exec, exec, s[14:15]
	s_and_saveexec_b64 s[14:15], s[0:1]
	s_cbranch_execz .LBB557_24
.LBB557_23:                             ;   in Loop: Header=BB557_14 Depth=1
	ds_write_b32 v41, v43
.LBB557_24:                             ;   in Loop: Header=BB557_14 Depth=1
	s_or_b64 exec, exec, s[14:15]
	ds_bpermute_b32 v26, v35, v25
	s_waitcnt lgkmcnt(0)
	s_barrier
	v_add_f32_e32 v25, v25, v26
	ds_bpermute_b32 v26, v36, v25
	s_waitcnt lgkmcnt(0)
	v_add_f32_e32 v25, v25, v26
	ds_bpermute_b32 v26, v37, v25
	s_waitcnt lgkmcnt(0)
	;; [unrolled: 3-line block ×4, first 2 shown]
	v_add_f32_e32 v25, v25, v26
	ds_bpermute_b32 v26, v40, v25
	s_and_saveexec_b64 s[14:15], s[10:11]
	s_cbranch_execz .LBB557_26
; %bb.25:                               ;   in Loop: Header=BB557_14 Depth=1
	s_waitcnt lgkmcnt(0)
	v_add_f32_e32 v25, v25, v26
	ds_write_b32 v42, v25
.LBB557_26:                             ;   in Loop: Header=BB557_14 Depth=1
	s_or_b64 exec, exec, s[14:15]
	v_mov_b32_e32 v25, 0
	s_waitcnt lgkmcnt(0)
	s_barrier
	s_and_saveexec_b64 s[14:15], s[4:5]
	s_cbranch_execnz .LBB557_52
; %bb.27:                               ;   in Loop: Header=BB557_14 Depth=1
	s_or_b64 exec, exec, s[14:15]
	s_and_saveexec_b64 s[14:15], s[0:1]
	s_cbranch_execnz .LBB557_53
.LBB557_28:                             ;   in Loop: Header=BB557_14 Depth=1
	s_or_b64 exec, exec, s[14:15]
	s_and_saveexec_b64 s[14:15], s[0:1]
	s_cbranch_execz .LBB557_30
.LBB557_29:                             ;   in Loop: Header=BB557_14 Depth=1
	ds_write_b32 v41, v43
.LBB557_30:                             ;   in Loop: Header=BB557_14 Depth=1
	s_or_b64 exec, exec, s[14:15]
	ds_bpermute_b32 v26, v35, v22
	s_waitcnt lgkmcnt(0)
	s_barrier
	v_add_f32_e32 v22, v22, v26
	ds_bpermute_b32 v26, v36, v22
	s_waitcnt lgkmcnt(0)
	v_add_f32_e32 v22, v22, v26
	ds_bpermute_b32 v26, v37, v22
	s_waitcnt lgkmcnt(0)
	;; [unrolled: 3-line block ×4, first 2 shown]
	v_add_f32_e32 v22, v22, v26
	ds_bpermute_b32 v26, v40, v22
	s_and_saveexec_b64 s[14:15], s[10:11]
	s_cbranch_execz .LBB557_32
; %bb.31:                               ;   in Loop: Header=BB557_14 Depth=1
	s_waitcnt lgkmcnt(0)
	v_add_f32_e32 v22, v22, v26
	ds_write_b32 v42, v22
.LBB557_32:                             ;   in Loop: Header=BB557_14 Depth=1
	s_or_b64 exec, exec, s[14:15]
	v_mov_b32_e32 v22, 0
	s_waitcnt lgkmcnt(0)
	s_barrier
	s_and_saveexec_b64 s[14:15], s[4:5]
	s_cbranch_execnz .LBB557_54
; %bb.33:                               ;   in Loop: Header=BB557_14 Depth=1
	s_or_b64 exec, exec, s[14:15]
	s_and_saveexec_b64 s[14:15], s[0:1]
	s_cbranch_execnz .LBB557_55
.LBB557_34:                             ;   in Loop: Header=BB557_14 Depth=1
	s_or_b64 exec, exec, s[14:15]
	s_and_saveexec_b64 s[14:15], s[0:1]
	s_cbranch_execz .LBB557_36
.LBB557_35:                             ;   in Loop: Header=BB557_14 Depth=1
	ds_write_b32 v41, v43
.LBB557_36:                             ;   in Loop: Header=BB557_14 Depth=1
	s_or_b64 exec, exec, s[14:15]
	ds_bpermute_b32 v26, v35, v23
	s_waitcnt lgkmcnt(0)
	s_barrier
	v_add_f32_e32 v23, v23, v26
	ds_bpermute_b32 v26, v36, v23
	s_waitcnt lgkmcnt(0)
	v_add_f32_e32 v23, v23, v26
	ds_bpermute_b32 v26, v37, v23
	s_waitcnt lgkmcnt(0)
	;; [unrolled: 3-line block ×4, first 2 shown]
	v_add_f32_e32 v23, v23, v26
	ds_bpermute_b32 v26, v40, v23
	s_and_saveexec_b64 s[14:15], s[10:11]
	s_cbranch_execz .LBB557_38
; %bb.37:                               ;   in Loop: Header=BB557_14 Depth=1
	s_waitcnt lgkmcnt(0)
	v_add_f32_e32 v23, v23, v26
	ds_write_b32 v42, v23
.LBB557_38:                             ;   in Loop: Header=BB557_14 Depth=1
	s_or_b64 exec, exec, s[14:15]
	v_mov_b32_e32 v23, 0
	s_waitcnt lgkmcnt(0)
	s_barrier
	s_and_saveexec_b64 s[14:15], s[4:5]
	s_cbranch_execnz .LBB557_56
; %bb.39:                               ;   in Loop: Header=BB557_14 Depth=1
	s_or_b64 exec, exec, s[14:15]
	s_and_saveexec_b64 s[14:15], s[0:1]
	s_cbranch_execnz .LBB557_57
.LBB557_40:                             ;   in Loop: Header=BB557_14 Depth=1
	s_or_b64 exec, exec, s[14:15]
	s_and_saveexec_b64 s[14:15], s[12:13]
	s_cbranch_execz .LBB557_13
	s_branch .LBB557_58
.LBB557_41:                             ;   in Loop: Header=BB557_14 Depth=1
	s_mul_i32 s52, s3, s29
	s_mul_hi_u32 s53, s3, s28
	s_add_i32 s53, s53, s52
	s_mul_i32 s52, s3, s28
	v_lshl_add_u64 v[2:3], s[52:53], 1, v[6:7]
	s_or_b32 s52, s3, 2
	s_mul_i32 s53, s52, s29
	s_mul_hi_u32 s55, s52, s28
	s_add_i32 s53, s55, s53
	s_mul_i32 s52, s52, s28
	s_waitcnt lgkmcnt(0)
	global_load_dwordx2 v[22:23], v[2:3], off
	v_lshl_add_u64 v[2:3], s[52:53], 1, v[6:7]
	s_or_b32 s52, s3, 3
	s_mul_i32 s53, s52, s29
	s_mul_hi_u32 s55, s52, s28
	s_or_b32 s54, s3, 1
	s_add_i32 s53, s55, s53
	s_mul_i32 s52, s52, s28
	global_load_ushort v4, v[10:11], off
	global_load_ushort v5, v[12:13], off
	;; [unrolled: 1-line block ×4, first 2 shown]
	global_load_dwordx2 v[24:25], v[2:3], off
	v_lshl_add_u64 v[2:3], s[52:53], 1, v[6:7]
	s_mul_i32 s52, s54, s29
	s_mul_hi_u32 s53, s54, s28
	global_load_dwordx2 v[26:27], v[2:3], off
	s_add_i32 s53, s53, s52
	s_mul_i32 s52, s54, s28
	v_lshl_add_u64 v[2:3], s[52:53], 1, v[6:7]
	global_load_dwordx2 v[44:45], v[2:3], off
	s_waitcnt vmcnt(7)
	v_lshlrev_b32_e32 v56, 16, v22
	v_and_b32_e32 v22, 0xffff0000, v22
	v_lshlrev_b32_e32 v58, 16, v23
	v_and_b32_e32 v60, 0xffff0000, v23
	s_waitcnt vmcnt(6)
	v_lshlrev_b32_e32 v2, 16, v4
	s_waitcnt vmcnt(5)
	v_lshlrev_b32_e32 v47, 16, v5
	;; [unrolled: 2-line block ×5, first 2 shown]
	v_lshlrev_b32_e32 v62, 16, v25
	v_and_b32_e32 v25, 0xffff0000, v25
	v_and_b32_e32 v55, 0xffff0000, v24
	s_waitcnt vmcnt(1)
	v_and_b32_e32 v3, 0xffff0000, v26
	v_lshlrev_b32_e32 v46, 16, v26
	v_and_b32_e32 v49, 0xffff0000, v27
	v_lshlrev_b32_e32 v50, 16, v27
	v_pk_mul_f32 v[26:27], v[46:47], v[2:3]
	s_waitcnt vmcnt(0)
	v_lshlrev_b32_e32 v57, 16, v44
	v_mul_f32_e32 v24, v2, v53
	v_mov_b32_e32 v3, v47
	v_mul_f32_e32 v46, v48, v62
	v_pk_mul_f32 v[62:63], v[50:51], v[48:49]
	v_mul_f32_e32 v50, v51, v25
	v_mov_b32_e32 v25, v26
	v_mov_b32_e32 v52, v47
	v_and_b32_e32 v23, 0xffff0000, v44
	v_lshlrev_b32_e32 v59, 16, v45
	v_and_b32_e32 v61, 0xffff0000, v45
	v_mul_f32_e32 v44, v47, v55
	v_mov_b32_e32 v45, v27
	v_pk_fma_f32 v[26:27], v[2:3], v[56:57], 0 op_sel_hi:[0,1,0]
	v_pk_add_f32 v[24:25], v[24:25], 0 op_sel_hi:[1,0]
	v_mov_b32_e32 v47, v62
	v_pk_fma_f32 v[22:23], v[52:53], v[22:23], v[26:27] op_sel_hi:[0,1,1]
	v_pk_add_f32 v[24:25], v[24:25], v[44:45]
	v_mov_b32_e32 v5, v51
	v_mov_b32_e32 v54, v51
	;; [unrolled: 1-line block ×3, first 2 shown]
	v_pk_fma_f32 v[26:27], v[48:49], v[58:59], v[22:23] op_sel_hi:[0,1,1]
	v_pk_add_f32 v[22:23], v[24:25], v[46:47]
	v_mov_b32_e32 v4, v48
	v_pk_add_f32 v[22:23], v[22:23], v[50:51]
	v_pk_fma_f32 v[24:25], v[54:55], v[60:61], v[26:27] op_sel_hi:[0,1,1]
	s_andn2_saveexec_b64 s[52:53], s[14:15]
	s_cbranch_execz .LBB557_16
.LBB557_42:                             ;   in Loop: Header=BB557_14 Depth=1
	s_waitcnt lgkmcnt(0)
	v_mov_b32_e32 v23, 0
	v_mov_b32_e32 v22, 0
	;; [unrolled: 1-line block ×4, first 2 shown]
	s_and_saveexec_b64 s[54:55], s[8:9]
	s_cbranch_execz .LBB557_49
; %bb.43:                               ;   in Loop: Header=BB557_14 Depth=1
	v_cndmask_b32_e64 v22, 0, 1, s[40:41]
	v_cmp_ne_u32_e64 s[14:15], 1, v22
	s_andn2_b64 vcc, exec, s[40:41]
	s_cbranch_vccnz .LBB557_46
; %bb.44:                               ;   in Loop: Header=BB557_14 Depth=1
	s_mov_b64 s[56:57], 0
	v_mov_b64_e32 v[22:23], v[18:19]
.LBB557_45:                             ;   Parent Loop BB557_14 Depth=1
                                        ; =>  This Inner Loop Header: Depth=2
	global_load_ushort v24, v[22:23], off
	s_cmp_eq_u32 s56, 3
	s_cselect_b64 vcc, -1, 0
	s_cmp_eq_u32 s56, 2
	v_lshl_add_u64 v[22:23], v[22:23], 0, s[42:43]
	s_waitcnt vmcnt(0)
	v_lshlrev_b32_e32 v24, 16, v24
	v_cndmask_b32_e32 v5, v5, v24, vcc
	s_cselect_b64 vcc, -1, 0
	s_cmp_eq_u32 s56, 1
	v_cndmask_b32_e32 v4, v4, v24, vcc
	s_cselect_b64 vcc, -1, 0
	s_cmp_eq_u32 s56, 0
	v_cndmask_b32_e32 v3, v3, v24, vcc
	s_cselect_b64 vcc, -1, 0
	s_add_u32 s56, s56, 1
	s_addc_u32 s57, s57, 0
	s_cmp_eq_u32 s27, s56
	v_cndmask_b32_e32 v2, v2, v24, vcc
	s_cbranch_scc0 .LBB557_45
.LBB557_46:                             ;   in Loop: Header=BB557_14 Depth=1
	v_mov_b32_e32 v23, 0
	s_and_b64 vcc, exec, s[14:15]
	v_mov_b32_e32 v22, v23
	v_mov_b32_e32 v25, v23
	;; [unrolled: 1-line block ×3, first 2 shown]
	s_cbranch_vccnz .LBB557_49
; %bb.47:                               ;   in Loop: Header=BB557_14 Depth=1
	v_mov_b32_e32 v24, 0
	s_mov_b64 s[14:15], 0
	v_mov_b64_e32 v[26:27], v[20:21]
	v_mov_b32_e32 v25, v24
	v_mov_b32_e32 v22, v24
	;; [unrolled: 1-line block ×3, first 2 shown]
.LBB557_48:                             ;   Parent Loop BB557_14 Depth=1
                                        ; =>  This Inner Loop Header: Depth=2
	v_lshl_add_u64 v[44:45], v[26:27], 0, s[46:47]
	v_lshl_add_u64 v[48:49], v[26:27], 0, s[50:51]
	;; [unrolled: 1-line block ×3, first 2 shown]
	global_load_ushort v50, v[26:27], off
	s_nop 0
	global_load_ushort v45, v[44:45], off
	s_nop 0
	global_load_ushort v48, v[48:49], off
	s_nop 0
	global_load_ushort v51, v[46:47], off
	s_cmp_eq_u32 s14, 1
	s_cselect_b64 vcc, -1, 0
	s_cmp_eq_u32 s14, 2
	v_cndmask_b32_e32 v44, v2, v3, vcc
	s_cselect_b64 vcc, -1, 0
	s_cmp_eq_u32 s14, 3
	v_cndmask_b32_e32 v44, v44, v4, vcc
	s_cselect_b64 vcc, -1, 0
	s_add_u32 s14, s14, 1
	v_cndmask_b32_e32 v44, v44, v5, vcc
	s_addc_u32 s15, s15, 0
	v_lshl_add_u64 v[26:27], v[26:27], 0, 2
	s_cmp_lg_u32 s27, s14
	s_waitcnt vmcnt(3)
	v_lshlrev_b32_e32 v46, 16, v50
	s_waitcnt vmcnt(2)
	v_lshlrev_b32_e32 v47, 16, v45
	;; [unrolled: 2-line block ×4, first 2 shown]
	v_pk_fma_f32 v[24:25], v[44:45], v[46:47], v[24:25] op_sel_hi:[0,1,1]
	v_pk_fma_f32 v[22:23], v[44:45], v[48:49], v[22:23] op_sel_hi:[0,1,1]
	s_cbranch_scc1 .LBB557_48
.LBB557_49:                             ;   in Loop: Header=BB557_14 Depth=1
	s_or_b64 exec, exec, s[54:55]
	s_or_b64 exec, exec, s[52:53]
	s_and_saveexec_b64 s[14:15], s[0:1]
	s_cbranch_execnz .LBB557_17
	s_branch .LBB557_18
.LBB557_50:                             ;   in Loop: Header=BB557_14 Depth=1
	ds_read_b32 v24, v41
	s_or_b64 exec, exec, s[14:15]
	s_and_saveexec_b64 s[14:15], s[0:1]
	s_cbranch_execz .LBB557_22
.LBB557_51:                             ;   in Loop: Header=BB557_14 Depth=1
	s_waitcnt lgkmcnt(0)
	ds_bpermute_b32 v26, v39, v24
	s_waitcnt lgkmcnt(0)
	v_add_f32_e32 v24, v24, v26
	ds_bpermute_b32 v26, v40, v24
	s_waitcnt lgkmcnt(0)
	v_add_f32_e32 v24, v24, v26
	s_or_b64 exec, exec, s[14:15]
	s_and_saveexec_b64 s[14:15], s[0:1]
	s_cbranch_execnz .LBB557_23
	s_branch .LBB557_24
.LBB557_52:                             ;   in Loop: Header=BB557_14 Depth=1
	ds_read_b32 v25, v41
	s_or_b64 exec, exec, s[14:15]
	s_and_saveexec_b64 s[14:15], s[0:1]
	s_cbranch_execz .LBB557_28
.LBB557_53:                             ;   in Loop: Header=BB557_14 Depth=1
	s_waitcnt lgkmcnt(0)
	ds_bpermute_b32 v26, v39, v25
	s_waitcnt lgkmcnt(0)
	v_add_f32_e32 v25, v25, v26
	ds_bpermute_b32 v26, v40, v25
	s_waitcnt lgkmcnt(0)
	v_add_f32_e32 v25, v25, v26
	s_or_b64 exec, exec, s[14:15]
	s_and_saveexec_b64 s[14:15], s[0:1]
	s_cbranch_execnz .LBB557_29
	s_branch .LBB557_30
.LBB557_54:                             ;   in Loop: Header=BB557_14 Depth=1
	ds_read_b32 v22, v41
	s_or_b64 exec, exec, s[14:15]
	s_and_saveexec_b64 s[14:15], s[0:1]
	s_cbranch_execz .LBB557_34
.LBB557_55:                             ;   in Loop: Header=BB557_14 Depth=1
	s_waitcnt lgkmcnt(0)
	ds_bpermute_b32 v26, v39, v22
	s_waitcnt lgkmcnt(0)
	v_add_f32_e32 v22, v22, v26
	ds_bpermute_b32 v26, v40, v22
	s_waitcnt lgkmcnt(0)
	v_add_f32_e32 v22, v22, v26
	s_or_b64 exec, exec, s[14:15]
	s_and_saveexec_b64 s[14:15], s[0:1]
	s_cbranch_execnz .LBB557_35
	s_branch .LBB557_36
.LBB557_56:                             ;   in Loop: Header=BB557_14 Depth=1
	ds_read_b32 v23, v41
	s_or_b64 exec, exec, s[14:15]
	s_and_saveexec_b64 s[14:15], s[0:1]
	s_cbranch_execz .LBB557_40
.LBB557_57:                             ;   in Loop: Header=BB557_14 Depth=1
	s_waitcnt lgkmcnt(0)
	ds_bpermute_b32 v26, v39, v23
	s_waitcnt lgkmcnt(0)
	v_add_f32_e32 v23, v23, v26
	ds_bpermute_b32 v26, v40, v23
	s_waitcnt lgkmcnt(0)
	v_add_f32_e32 v23, v23, v26
	s_or_b64 exec, exec, s[14:15]
	s_and_saveexec_b64 s[14:15], s[12:13]
	s_cbranch_execz .LBB557_13
.LBB557_58:                             ;   in Loop: Header=BB557_14 Depth=1
	s_mul_hi_u32 s53, s3, s26
	s_mul_i32 s52, s3, s26
	s_lshl_b64 s[52:53], s[52:53], 2
	s_add_u32 s52, s61, s52
	v_mul_f32_e32 v24, s33, v24
	s_addc_u32 s53, s62, s53
	global_store_dword v43, v24, s[52:53]
	s_or_b32 s52, s3, 1
	s_mul_hi_u32 s53, s52, s26
	s_mul_i32 s52, s52, s26
	s_lshl_b64 s[52:53], s[52:53], 2
	s_add_u32 s52, s61, s52
	v_mul_f32_e32 v24, s33, v25
	s_addc_u32 s53, s62, s53
	global_store_dword v43, v24, s[52:53]
	s_or_b32 s52, s3, 2
	;; [unrolled: 8-line block ×3, first 2 shown]
	s_mul_hi_u32 s53, s52, s26
	s_mul_i32 s52, s52, s26
	s_lshl_b64 s[52:53], s[52:53], 2
	s_add_u32 s52, s61, s52
	s_waitcnt lgkmcnt(0)
	v_mul_f32_e32 v22, s33, v23
	s_addc_u32 s53, s62, s53
	global_store_dword v43, v22, s[52:53]
	s_branch .LBB557_13
.LBB557_59:
	s_mov_b32 s3, 0
                                        ; implicit-def: $vgpr2_vgpr3_vgpr4_vgpr5
.LBB557_60:
	s_cmp_ge_i32 s3, s25
	s_cbranch_scc1 .LBB557_84
; %bb.61:
	v_mbcnt_hi_u32_b32 v10, -1, v32
	v_and_b32_e32 v11, 63, v10
	v_cmp_gt_u32_e32 vcc, 32, v11
	s_mov_b32 s41, 0
	s_cmp_gt_i32 s27, 0
	v_cndmask_b32_e64 v12, 0, 1, vcc
	v_lshlrev_b32_e32 v12, 5, v12
	v_cmp_gt_u32_e32 vcc, 48, v11
	s_waitcnt lgkmcnt(0)
	v_add_lshl_u32 v23, v12, v10, 2
	s_mov_b32 s40, s2
	v_cndmask_b32_e64 v12, 0, 1, vcc
	v_lshlrev_b32_e32 v12, 4, v12
	v_cmp_gt_u32_e32 vcc, 56, v11
	v_add_lshl_u32 v24, v12, v10, 2
	s_cselect_b64 s[42:43], -1, 0
	v_cndmask_b32_e64 v12, 0, 1, vcc
	v_lshlrev_b32_e32 v12, 3, v12
	v_cmp_gt_u32_e32 vcc, 60, v11
	v_add_lshl_u32 v25, v12, v10, 2
	s_lshl_b64 s[14:15], s[40:41], 2
	v_cndmask_b32_e64 v12, 0, 1, vcc
	v_lshlrev_b32_e32 v12, 2, v12
	v_cmp_gt_u32_e32 vcc, 62, v11
	v_add_lshl_u32 v26, v12, v10, 2
	s_add_u32 s2, s58, s14
	v_cndmask_b32_e64 v12, 0, 1, vcc
	v_lshlrev_b32_e32 v12, 1, v12
	v_cmp_ne_u32_e32 vcc, 63, v11
	v_add_lshl_u32 v27, v12, v10, 2
	v_cmp_ge_i32_e64 s[0:1], s24, v33
	v_addc_co_u32_e32 v10, vcc, 0, v10, vcc
	v_cmp_ge_i32_e64 s[4:5], s24, v34
	v_cmp_gt_u32_e64 s[6:7], 64, v0
	v_lshlrev_b32_e32 v32, 2, v10
	v_cmp_gt_u32_e64 s[10:11], 4, v0
	v_cmp_eq_u32_e64 s[12:13], 0, v0
	s_addc_u32 s24, s59, s15
	v_mad_i64_i32 v[10:11], s[14:15], s30, v8, 0
	v_mad_i64_i32 v[12:13], s[14:15], s30, v29, 0
	;; [unrolled: 1-line block ×4, first 2 shown]
	s_add_u32 s14, s22, s36
	s_addc_u32 s15, s23, s37
	s_add_u32 s14, s14, s34
	v_lshlrev_b64 v[18:19], 1, v[10:11]
	s_addc_u32 s15, s15, s35
	v_lshl_add_u64 v[10:11], s[38:39], 0, v[18:19]
	v_lshl_add_u64 v[18:19], s[14:15], 0, v[18:19]
	s_mul_i32 s14, s29, s3
	s_mul_hi_u32 s15, s28, s3
	s_add_i32 s15, s15, s14
	s_mul_i32 s14, s28, s3
	s_lshl_b64 s[22:23], s[30:31], 1
	s_lshl_b64 s[14:15], s[14:15], 1
	s_add_u32 s14, s20, s14
	s_addc_u32 s15, s21, s15
	s_add_u32 s14, s14, s18
	s_addc_u32 s15, s15, s19
	s_add_u32 s14, s16, s14
	s_addc_u32 s15, s17, s15
	v_lshlrev_b32_e32 v22, 2, v30
	v_cmp_eq_u32_e64 s[8:9], 0, v30
	v_and_b32_e32 v30, 12, v31
	v_lshl_add_u64 v[12:13], v[12:13], 1, s[38:39]
	v_lshl_add_u64 v[14:15], v[14:15], 1, s[38:39]
	;; [unrolled: 1-line block ×4, first 2 shown]
	s_lshl_b64 s[16:17], s[28:29], 1
	v_mov_b32_e32 v1, 0
	s_branch .LBB557_63
.LBB557_62:                             ;   in Loop: Header=BB557_63 Depth=1
	s_or_b64 exec, exec, s[14:15]
	s_add_i32 s3, s3, 1
	s_cmp_ge_i32 s3, s25
	v_lshl_add_u64 v[8:9], v[8:9], 0, s[16:17]
	s_cbranch_scc1 .LBB557_84
.LBB557_63:                             ; =>This Loop Header: Depth=1
                                        ;     Child Loop BB557_76 Depth 2
                                        ;     Child Loop BB557_79 Depth 2
	s_waitcnt lgkmcnt(0)
	v_mov_b32_e32 v0, s41
	s_and_saveexec_b64 s[14:15], s[0:1]
	s_xor_b64 s[14:15], exec, s[14:15]
	s_cbranch_execnz .LBB557_72
; %bb.64:                               ;   in Loop: Header=BB557_63 Depth=1
	s_andn2_saveexec_b64 s[18:19], s[14:15]
	s_cbranch_execnz .LBB557_73
.LBB557_65:                             ;   in Loop: Header=BB557_63 Depth=1
	s_or_b64 exec, exec, s[18:19]
	s_and_saveexec_b64 s[14:15], s[6:7]
	s_cbranch_execz .LBB557_67
.LBB557_66:                             ;   in Loop: Header=BB557_63 Depth=1
	ds_write_b32 v22, v1
.LBB557_67:                             ;   in Loop: Header=BB557_63 Depth=1
	s_or_b64 exec, exec, s[14:15]
	ds_bpermute_b32 v20, v23, v0
	s_waitcnt lgkmcnt(0)
	s_barrier
	v_add_f32_e32 v0, v0, v20
	ds_bpermute_b32 v20, v24, v0
	s_waitcnt lgkmcnt(0)
	v_add_f32_e32 v0, v0, v20
	ds_bpermute_b32 v20, v25, v0
	s_waitcnt lgkmcnt(0)
	;; [unrolled: 3-line block ×4, first 2 shown]
	v_add_f32_e32 v0, v0, v20
	ds_bpermute_b32 v20, v32, v0
	s_and_saveexec_b64 s[14:15], s[8:9]
	s_cbranch_execz .LBB557_69
; %bb.68:                               ;   in Loop: Header=BB557_63 Depth=1
	s_waitcnt lgkmcnt(0)
	v_add_f32_e32 v0, v0, v20
	ds_write_b32 v30, v0
.LBB557_69:                             ;   in Loop: Header=BB557_63 Depth=1
	s_or_b64 exec, exec, s[14:15]
	v_mov_b32_e32 v0, 0
	s_waitcnt lgkmcnt(0)
	s_barrier
	s_and_saveexec_b64 s[14:15], s[10:11]
	s_cbranch_execnz .LBB557_81
; %bb.70:                               ;   in Loop: Header=BB557_63 Depth=1
	s_or_b64 exec, exec, s[14:15]
	s_and_saveexec_b64 s[14:15], s[6:7]
	s_cbranch_execnz .LBB557_82
.LBB557_71:                             ;   in Loop: Header=BB557_63 Depth=1
	s_or_b64 exec, exec, s[14:15]
	s_and_saveexec_b64 s[14:15], s[12:13]
	s_cbranch_execz .LBB557_62
	s_branch .LBB557_83
.LBB557_72:                             ;   in Loop: Header=BB557_63 Depth=1
	s_mul_i32 s18, s3, s29
	s_mul_hi_u32 s19, s3, s28
	s_add_i32 s19, s19, s18
	s_mul_i32 s18, s3, s28
	v_lshl_add_u64 v[2:3], s[18:19], 1, v[6:7]
	global_load_ushort v0, v[10:11], off
	global_load_ushort v4, v[12:13], off
	;; [unrolled: 1-line block ×4, first 2 shown]
	global_load_dwordx2 v[20:21], v[2:3], off
	s_waitcnt vmcnt(4)
	v_lshlrev_b32_e32 v2, 16, v0
	s_waitcnt vmcnt(3)
	v_lshlrev_b32_e32 v3, 16, v4
	;; [unrolled: 2-line block ×4, first 2 shown]
	s_waitcnt vmcnt(0)
	v_and_b32_e32 v29, 0xffff0000, v20
	v_lshlrev_b32_e32 v28, 16, v20
	v_and_b32_e32 v35, 0xffff0000, v21
	v_lshlrev_b32_e32 v34, 16, v21
	v_pk_mul_f32 v[20:21], v[2:3], v[28:29]
	s_nop 0
	v_add_f32_e32 v0, 0, v20
	v_add_f32_e32 v0, v0, v21
	v_pk_mul_f32 v[20:21], v[4:5], v[34:35]
	s_nop 0
	v_add_f32_e32 v0, v0, v20
	v_add_f32_e32 v0, v0, v21
	s_andn2_saveexec_b64 s[18:19], s[14:15]
	s_cbranch_execz .LBB557_65
.LBB557_73:                             ;   in Loop: Header=BB557_63 Depth=1
	s_and_saveexec_b64 s[20:21], s[4:5]
	s_cbranch_execz .LBB557_80
; %bb.74:                               ;   in Loop: Header=BB557_63 Depth=1
	v_cndmask_b32_e64 v20, 0, 1, s[42:43]
	v_cmp_ne_u32_e64 s[14:15], 1, v20
	s_andn2_b64 vcc, exec, s[42:43]
	s_cbranch_vccnz .LBB557_77
; %bb.75:                               ;   in Loop: Header=BB557_63 Depth=1
	s_mov_b64 s[30:31], 0
	v_mov_b64_e32 v[20:21], v[18:19]
.LBB557_76:                             ;   Parent Loop BB557_63 Depth=1
                                        ; =>  This Inner Loop Header: Depth=2
	global_load_ushort v28, v[20:21], off
	s_cmp_eq_u32 s30, 3
	s_cselect_b64 vcc, -1, 0
	s_cmp_eq_u32 s30, 2
	v_lshl_add_u64 v[20:21], v[20:21], 0, s[22:23]
	s_waitcnt vmcnt(0)
	v_lshlrev_b32_e32 v28, 16, v28
	v_cndmask_b32_e32 v5, v5, v28, vcc
	s_cselect_b64 vcc, -1, 0
	s_cmp_eq_u32 s30, 1
	v_cndmask_b32_e32 v4, v4, v28, vcc
	s_cselect_b64 vcc, -1, 0
	s_cmp_eq_u32 s30, 0
	v_cndmask_b32_e32 v3, v3, v28, vcc
	s_cselect_b64 vcc, -1, 0
	s_add_u32 s30, s30, 1
	s_addc_u32 s31, s31, 0
	s_cmp_eq_u32 s27, s30
	v_cndmask_b32_e32 v2, v2, v28, vcc
	s_cbranch_scc0 .LBB557_76
.LBB557_77:                             ;   in Loop: Header=BB557_63 Depth=1
	s_and_b64 vcc, exec, s[14:15]
	s_cbranch_vccnz .LBB557_80
; %bb.78:                               ;   in Loop: Header=BB557_63 Depth=1
	s_mov_b64 s[14:15], 0
	v_mov_b64_e32 v[20:21], v[8:9]
.LBB557_79:                             ;   Parent Loop BB557_63 Depth=1
                                        ; =>  This Inner Loop Header: Depth=2
	global_load_ushort v28, v[20:21], off
	s_cmp_eq_u32 s14, 1
	s_cselect_b64 vcc, -1, 0
	s_cmp_eq_u32 s14, 2
	v_cndmask_b32_e32 v29, v2, v3, vcc
	s_cselect_b64 vcc, -1, 0
	s_cmp_eq_u32 s14, 3
	v_cndmask_b32_e32 v29, v29, v4, vcc
	s_cselect_b64 vcc, -1, 0
	s_add_u32 s14, s14, 1
	v_cndmask_b32_e32 v29, v29, v5, vcc
	s_addc_u32 s15, s15, 0
	v_lshl_add_u64 v[20:21], v[20:21], 0, 2
	s_cmp_lg_u32 s27, s14
	s_waitcnt vmcnt(0)
	v_lshlrev_b32_e32 v28, 16, v28
	v_fmac_f32_e32 v0, v29, v28
	s_cbranch_scc1 .LBB557_79
.LBB557_80:                             ;   in Loop: Header=BB557_63 Depth=1
	s_or_b64 exec, exec, s[20:21]
	s_or_b64 exec, exec, s[18:19]
	s_and_saveexec_b64 s[14:15], s[6:7]
	s_cbranch_execnz .LBB557_66
	s_branch .LBB557_67
.LBB557_81:                             ;   in Loop: Header=BB557_63 Depth=1
	ds_read_b32 v0, v22
	s_or_b64 exec, exec, s[14:15]
	s_and_saveexec_b64 s[14:15], s[6:7]
	s_cbranch_execz .LBB557_71
.LBB557_82:                             ;   in Loop: Header=BB557_63 Depth=1
	s_waitcnt lgkmcnt(0)
	ds_bpermute_b32 v20, v27, v0
	s_waitcnt lgkmcnt(0)
	v_add_f32_e32 v0, v0, v20
	ds_bpermute_b32 v20, v32, v0
	s_waitcnt lgkmcnt(0)
	v_add_f32_e32 v0, v0, v20
	s_or_b64 exec, exec, s[14:15]
	s_and_saveexec_b64 s[14:15], s[12:13]
	s_cbranch_execz .LBB557_62
.LBB557_83:                             ;   in Loop: Header=BB557_63 Depth=1
	s_mul_hi_u32 s19, s3, s26
	s_mul_i32 s18, s3, s26
	s_lshl_b64 s[18:19], s[18:19], 2
	s_add_u32 s18, s2, s18
	s_waitcnt lgkmcnt(0)
	v_mul_f32_e32 v0, s33, v0
	s_addc_u32 s19, s24, s19
	global_store_dword v1, v0, s[18:19]
	s_branch .LBB557_62
.LBB557_84:
	s_endpgm
	.section	.rodata,"a",@progbits
	.p2align	6, 0x0
	.amdhsa_kernel _ZL23rocblas_gemvt_sn_kernelILb0ELi256ELi4El16rocblas_bfloat16PKffEviiT4_lPKT3_lilS6_lilPT5_i
		.amdhsa_group_segment_fixed_size 256
		.amdhsa_private_segment_fixed_size 0
		.amdhsa_kernarg_size 360
		.amdhsa_user_sgpr_count 2
		.amdhsa_user_sgpr_dispatch_ptr 0
		.amdhsa_user_sgpr_queue_ptr 0
		.amdhsa_user_sgpr_kernarg_segment_ptr 1
		.amdhsa_user_sgpr_dispatch_id 0
		.amdhsa_user_sgpr_kernarg_preload_length 0
		.amdhsa_user_sgpr_kernarg_preload_offset 0
		.amdhsa_user_sgpr_private_segment_size 0
		.amdhsa_uses_dynamic_stack 0
		.amdhsa_enable_private_segment 0
		.amdhsa_system_sgpr_workgroup_id_x 1
		.amdhsa_system_sgpr_workgroup_id_y 0
		.amdhsa_system_sgpr_workgroup_id_z 1
		.amdhsa_system_sgpr_workgroup_info 0
		.amdhsa_system_vgpr_workitem_id 0
		.amdhsa_next_free_vgpr 64
		.amdhsa_next_free_sgpr 63
		.amdhsa_accum_offset 64
		.amdhsa_reserve_vcc 1
		.amdhsa_float_round_mode_32 0
		.amdhsa_float_round_mode_16_64 0
		.amdhsa_float_denorm_mode_32 3
		.amdhsa_float_denorm_mode_16_64 3
		.amdhsa_dx10_clamp 1
		.amdhsa_ieee_mode 1
		.amdhsa_fp16_overflow 0
		.amdhsa_tg_split 0
		.amdhsa_exception_fp_ieee_invalid_op 0
		.amdhsa_exception_fp_denorm_src 0
		.amdhsa_exception_fp_ieee_div_zero 0
		.amdhsa_exception_fp_ieee_overflow 0
		.amdhsa_exception_fp_ieee_underflow 0
		.amdhsa_exception_fp_ieee_inexact 0
		.amdhsa_exception_int_div_zero 0
	.end_amdhsa_kernel
	.section	.text._ZL23rocblas_gemvt_sn_kernelILb0ELi256ELi4El16rocblas_bfloat16PKffEviiT4_lPKT3_lilS6_lilPT5_i,"axG",@progbits,_ZL23rocblas_gemvt_sn_kernelILb0ELi256ELi4El16rocblas_bfloat16PKffEviiT4_lPKT3_lilS6_lilPT5_i,comdat
.Lfunc_end557:
	.size	_ZL23rocblas_gemvt_sn_kernelILb0ELi256ELi4El16rocblas_bfloat16PKffEviiT4_lPKT3_lilS6_lilPT5_i, .Lfunc_end557-_ZL23rocblas_gemvt_sn_kernelILb0ELi256ELi4El16rocblas_bfloat16PKffEviiT4_lPKT3_lilS6_lilPT5_i
                                        ; -- End function
	.section	.AMDGPU.csdata,"",@progbits
; Kernel info:
; codeLenInByte = 4212
; NumSgprs: 69
; NumVgprs: 64
; NumAgprs: 0
; TotalNumVgprs: 64
; ScratchSize: 0
; MemoryBound: 0
; FloatMode: 240
; IeeeMode: 1
; LDSByteSize: 256 bytes/workgroup (compile time only)
; SGPRBlocks: 8
; VGPRBlocks: 7
; NumSGPRsForWavesPerEU: 69
; NumVGPRsForWavesPerEU: 64
; AccumOffset: 64
; Occupancy: 8
; WaveLimiterHint : 1
; COMPUTE_PGM_RSRC2:SCRATCH_EN: 0
; COMPUTE_PGM_RSRC2:USER_SGPR: 2
; COMPUTE_PGM_RSRC2:TRAP_HANDLER: 0
; COMPUTE_PGM_RSRC2:TGID_X_EN: 1
; COMPUTE_PGM_RSRC2:TGID_Y_EN: 0
; COMPUTE_PGM_RSRC2:TGID_Z_EN: 1
; COMPUTE_PGM_RSRC2:TIDIG_COMP_CNT: 0
; COMPUTE_PGM_RSRC3_GFX90A:ACCUM_OFFSET: 15
; COMPUTE_PGM_RSRC3_GFX90A:TG_SPLIT: 0
	.section	.text._ZL23rocblas_gemvt_sn_reduceILi256ELi8EfPKf16rocblas_bfloat16EviT2_lPT3_lilPT1_i,"axG",@progbits,_ZL23rocblas_gemvt_sn_reduceILi256ELi8EfPKf16rocblas_bfloat16EviT2_lPT3_lilPT1_i,comdat
	.globl	_ZL23rocblas_gemvt_sn_reduceILi256ELi8EfPKf16rocblas_bfloat16EviT2_lPT3_lilPT1_i ; -- Begin function _ZL23rocblas_gemvt_sn_reduceILi256ELi8EfPKf16rocblas_bfloat16EviT2_lPT3_lilPT1_i
	.p2align	8
	.type	_ZL23rocblas_gemvt_sn_reduceILi256ELi8EfPKf16rocblas_bfloat16EviT2_lPT3_lilPT1_i,@function
_ZL23rocblas_gemvt_sn_reduceILi256ELi8EfPKf16rocblas_bfloat16EviT2_lPT3_lilPT1_i: ; @_ZL23rocblas_gemvt_sn_reduceILi256ELi8EfPKf16rocblas_bfloat16EviT2_lPT3_lilPT1_i
; %bb.0:
	s_load_dword s5, s[0:1], 0x0
	s_load_dwordx8 s[8:15], s[0:1], 0x8
	v_lshlrev_b32_e32 v1, 3, v0
	s_mov_b32 s17, 0
	v_mov_b32_e32 v3, 0
	s_waitcnt lgkmcnt(0)
	s_ashr_i32 s16, s5, 31
	s_mul_i32 s2, s4, s11
	s_mul_hi_u32 s6, s4, s10
	s_add_i32 s7, s6, s2
	s_mul_i32 s6, s4, s10
	s_lshl_b64 s[10:11], s[6:7], 2
	s_add_u32 s8, s8, s10
	s_load_dwordx2 s[6:7], s[0:1], 0x38
	s_load_dword s10, s[0:1], 0x4c
	s_addc_u32 s9, s9, s11
	s_load_dword s2, s[8:9], 0x0
	s_add_u32 s18, s0, 0x48
	s_addc_u32 s19, s1, 0
	s_waitcnt lgkmcnt(0)
	s_mul_i32 s8, s10, s4
	s_add_i32 s8, s8, s3
	s_mul_i32 s9, s8, s16
	s_mul_hi_u32 s10, s8, s5
	s_add_i32 s9, s10, s9
	s_lshr_b32 s10, s16, 29
	s_add_i32 s10, s5, s10
	s_and_b32 s20, s10, -8
	s_mul_i32 s8, s8, s5
	v_cmp_gt_i32_e32 vcc, s20, v1
	s_and_saveexec_b64 s[10:11], vcc
	s_cbranch_execz .LBB558_4
; %bb.1:
	s_load_dword s16, s[18:19], 0xc
	s_lshl_b64 s[18:19], s[8:9], 2
	v_lshlrev_b32_e32 v2, 5, v0
	v_mov_b32_e32 v3, 0
	s_waitcnt lgkmcnt(0)
	s_and_b32 s16, s16, 0xffff
	s_lshl_b32 s21, s16, 3
	s_add_u32 s18, s6, s18
	s_addc_u32 s19, s7, s19
	v_lshl_add_u64 v[4:5], s[18:19], 0, v[2:3]
	s_lshl_b32 s16, s16, 5
	v_lshl_add_u64 v[4:5], v[4:5], 0, 28
	s_mov_b64 s[18:19], 0
.LBB558_2:                              ; =>This Inner Loop Header: Depth=1
	global_load_dwordx4 v[6:9], v[4:5], off offset:-28
	global_load_dwordx4 v[10:13], v[4:5], off offset:-12
	v_add_u32_e32 v1, s21, v1
	v_cmp_le_i32_e32 vcc, s20, v1
	v_lshl_add_u64 v[4:5], v[4:5], 0, s[16:17]
	s_or_b64 s[18:19], vcc, s[18:19]
	s_waitcnt vmcnt(1)
	v_add_f32_e32 v2, v3, v6
	v_add_f32_e32 v2, v2, v7
	;; [unrolled: 1-line block ×4, first 2 shown]
	s_waitcnt vmcnt(0)
	v_add_f32_e32 v2, v2, v10
	v_add_f32_e32 v2, v2, v11
	v_add_f32_e32 v2, v2, v12
	v_add_f32_e32 v3, v2, v13
	s_andn2_b64 exec, exec, s[18:19]
	s_cbranch_execnz .LBB558_2
; %bb.3:
	s_or_b64 exec, exec, s[18:19]
.LBB558_4:
	s_or_b64 exec, exec, s[10:11]
	s_sub_i32 s10, s5, s20
	v_cmp_gt_u32_e32 vcc, s10, v0
	s_and_saveexec_b64 s[10:11], vcc
	s_cbranch_execz .LBB558_6
; %bb.5:
	s_lshl_b64 s[8:9], s[8:9], 2
	s_add_u32 s6, s6, s8
	s_addc_u32 s7, s7, s9
	v_xad_u32 v4, v0, -1, s5
	v_mov_b32_e32 v5, 0
	v_lshl_add_u64 v[4:5], v[4:5], 2, s[6:7]
	global_load_dword v1, v[4:5], off
	s_waitcnt vmcnt(0)
	v_add_f32_e32 v3, v3, v1
.LBB558_6:
	s_or_b64 exec, exec, s[10:11]
	v_and_b32_e32 v1, 63, v0
	v_cmp_gt_u32_e32 vcc, 64, v0
	v_lshlrev_b32_e32 v2, 2, v1
	s_and_saveexec_b64 s[6:7], vcc
	s_cbranch_execz .LBB558_8
; %bb.7:
	v_mov_b32_e32 v4, 0
	ds_write_b32 v2, v4
.LBB558_8:
	s_or_b64 exec, exec, s[6:7]
	v_mbcnt_lo_u32_b32 v4, -1, 0
	v_mbcnt_hi_u32_b32 v4, -1, v4
	v_and_b32_e32 v5, 63, v4
	v_cmp_gt_u32_e64 s[6:7], 32, v5
	s_waitcnt lgkmcnt(0)
	s_barrier
	v_cndmask_b32_e64 v6, 0, 1, s[6:7]
	v_lshlrev_b32_e32 v6, 5, v6
	v_add_lshl_u32 v6, v6, v4, 2
	ds_bpermute_b32 v6, v6, v3
	v_cmp_gt_u32_e64 s[6:7], 48, v5
	s_waitcnt lgkmcnt(0)
	v_add_f32_e32 v3, v3, v6
	v_cndmask_b32_e64 v7, 0, 1, s[6:7]
	v_lshlrev_b32_e32 v7, 4, v7
	v_add_lshl_u32 v6, v7, v4, 2
	ds_bpermute_b32 v6, v6, v3
	v_cmp_gt_u32_e64 s[6:7], 56, v5
	s_waitcnt lgkmcnt(0)
	v_add_f32_e32 v3, v3, v6
	;; [unrolled: 7-line block ×4, first 2 shown]
	v_cndmask_b32_e64 v7, 0, 1, s[6:7]
	v_lshlrev_b32_e32 v7, 1, v7
	v_add_lshl_u32 v3, v7, v4, 2
	ds_bpermute_b32 v7, v3, v6
	v_cmp_ne_u32_e64 s[6:7], 63, v5
	s_waitcnt lgkmcnt(0)
	v_add_f32_e32 v5, v6, v7
	v_addc_co_u32_e64 v4, s[6:7], 0, v4, s[6:7]
	v_lshlrev_b32_e32 v4, 2, v4
	ds_bpermute_b32 v6, v4, v5
	v_cmp_eq_u32_e64 s[6:7], 0, v1
	s_and_saveexec_b64 s[8:9], s[6:7]
	s_cbranch_execz .LBB558_10
; %bb.9:
	v_lshrrev_b32_e32 v1, 4, v0
	v_and_b32_e32 v1, 12, v1
	s_waitcnt lgkmcnt(0)
	v_add_f32_e32 v5, v5, v6
	ds_write_b32 v1, v5
.LBB558_10:
	s_or_b64 exec, exec, s[8:9]
	v_cmp_gt_u32_e64 s[6:7], 4, v0
	v_mov_b32_e32 v1, 0
	s_waitcnt lgkmcnt(0)
	s_barrier
	s_and_saveexec_b64 s[8:9], s[6:7]
	s_cbranch_execnz .LBB558_14
; %bb.11:
	s_or_b64 exec, exec, s[8:9]
	s_and_saveexec_b64 s[6:7], vcc
	s_cbranch_execnz .LBB558_15
.LBB558_12:
	s_or_b64 exec, exec, s[6:7]
	v_cmp_eq_u32_e32 vcc, 0, v0
	s_and_saveexec_b64 s[6:7], vcc
	s_cbranch_execnz .LBB558_16
.LBB558_13:
	s_endpgm
.LBB558_14:
	ds_read_b32 v1, v2
	s_or_b64 exec, exec, s[8:9]
	s_and_saveexec_b64 s[6:7], vcc
	s_cbranch_execz .LBB558_12
.LBB558_15:
	s_waitcnt lgkmcnt(0)
	ds_bpermute_b32 v2, v3, v1
	s_waitcnt lgkmcnt(0)
	v_add_f32_e32 v1, v1, v2
	ds_bpermute_b32 v2, v4, v1
	s_waitcnt lgkmcnt(0)
	v_add_f32_e32 v1, v1, v2
	s_or_b64 exec, exec, s[6:7]
	v_cmp_eq_u32_e32 vcc, 0, v0
	s_and_saveexec_b64 s[6:7], vcc
	s_cbranch_execz .LBB558_13
.LBB558_16:
	s_load_dwordx2 s[8:9], s[0:1], 0x30
	s_load_dword s6, s[0:1], 0x28
	s_waitcnt lgkmcnt(0)
	s_mul_i32 s1, s4, s9
	s_mul_hi_u32 s5, s4, s8
	s_mul_i32 s0, s4, s8
	s_add_i32 s1, s5, s1
	s_lshl_b64 s[0:1], s[0:1], 1
	s_add_u32 s4, s12, s0
	s_addc_u32 s5, s13, s1
	s_lshl_b64 s[0:1], s[14:15], 1
	s_add_u32 s7, s4, s0
	s_addc_u32 s8, s5, s1
	v_cmp_eq_f32_e64 s[0:1], s2, 0
	s_and_b64 vcc, exec, s[0:1]
	s_cbranch_vccz .LBB558_22
; %bb.17:
	s_mov_b32 s0, 0x7f800000
	v_and_b32_e32 v0, 0x7f800000, v1
	v_cmp_ne_u32_e32 vcc, s0, v0
                                        ; implicit-def: $vgpr0
	s_and_saveexec_b64 s[0:1], vcc
	s_xor_b64 s[0:1], exec, s[0:1]
; %bb.18:
	v_bfe_u32 v0, v1, 16, 1
	s_movk_i32 s4, 0x7fff
	v_add3_u32 v0, v1, v0, s4
; %bb.19:
	s_andn2_saveexec_b64 s[0:1], s[0:1]
; %bb.20:
	v_mov_b32_e32 v0, 0
	v_or_b32_e32 v2, 0x10000, v1
	v_cmp_eq_u32_sdwa vcc, v1, v0 src0_sel:WORD_0 src1_sel:DWORD
	s_nop 1
	v_cndmask_b32_e32 v0, v2, v1, vcc
; %bb.21:
	s_or_b64 exec, exec, s[0:1]
	s_mul_hi_u32 s9, s6, s3
	s_mul_i32 s0, s6, s3
	s_cbranch_execz .LBB558_23
	s_branch .LBB558_28
.LBB558_22:
                                        ; implicit-def: $vgpr0
	s_mul_hi_u32 s9, s6, s3
	s_mul_i32 s0, s6, s3
.LBB558_23:
	s_ashr_i32 s1, s6, 31
	s_mul_i32 s1, s1, s3
	s_add_i32 s1, s9, s1
	s_lshl_b64 s[4:5], s[0:1], 1
	s_add_u32 s4, s7, s4
	s_addc_u32 s5, s8, s5
	v_mov_b32_e32 v0, 0
	global_load_ushort v0, v0, s[4:5]
	s_mov_b32 s1, 0x7f800000
	s_waitcnt vmcnt(0)
	v_lshlrev_b32_e32 v0, 16, v0
	v_fmac_f32_e32 v1, s2, v0
	v_and_b32_e32 v0, 0x7f800000, v1
	v_cmp_ne_u32_e32 vcc, s1, v0
                                        ; implicit-def: $vgpr0
	s_and_saveexec_b64 s[4:5], vcc
	s_xor_b64 s[4:5], exec, s[4:5]
; %bb.24:
	v_bfe_u32 v0, v1, 16, 1
	s_movk_i32 s1, 0x7fff
	v_add3_u32 v0, v1, v0, s1
                                        ; implicit-def: $vgpr1
; %bb.25:
	s_andn2_saveexec_b64 s[4:5], s[4:5]
; %bb.26:
	v_mov_b32_e32 v0, 0
	v_or_b32_e32 v2, 0x10000, v1
	v_cmp_eq_u32_sdwa vcc, v1, v0 src0_sel:WORD_0 src1_sel:DWORD
	s_nop 1
	v_cndmask_b32_e32 v0, v2, v1, vcc
; %bb.27:
	s_or_b64 exec, exec, s[4:5]
.LBB558_28:
	s_ashr_i32 s1, s6, 31
	s_mul_i32 s1, s1, s3
	s_add_i32 s1, s9, s1
	s_lshl_b64 s[0:1], s[0:1], 1
	s_add_u32 s0, s7, s0
	s_addc_u32 s1, s8, s1
	v_mov_b32_e32 v1, 0
	global_store_short_d16_hi v1, v0, s[0:1]
	s_endpgm
	.section	.rodata,"a",@progbits
	.p2align	6, 0x0
	.amdhsa_kernel _ZL23rocblas_gemvt_sn_reduceILi256ELi8EfPKf16rocblas_bfloat16EviT2_lPT3_lilPT1_i
		.amdhsa_group_segment_fixed_size 256
		.amdhsa_private_segment_fixed_size 0
		.amdhsa_kernarg_size 328
		.amdhsa_user_sgpr_count 2
		.amdhsa_user_sgpr_dispatch_ptr 0
		.amdhsa_user_sgpr_queue_ptr 0
		.amdhsa_user_sgpr_kernarg_segment_ptr 1
		.amdhsa_user_sgpr_dispatch_id 0
		.amdhsa_user_sgpr_kernarg_preload_length 0
		.amdhsa_user_sgpr_kernarg_preload_offset 0
		.amdhsa_user_sgpr_private_segment_size 0
		.amdhsa_uses_dynamic_stack 0
		.amdhsa_enable_private_segment 0
		.amdhsa_system_sgpr_workgroup_id_x 1
		.amdhsa_system_sgpr_workgroup_id_y 1
		.amdhsa_system_sgpr_workgroup_id_z 1
		.amdhsa_system_sgpr_workgroup_info 0
		.amdhsa_system_vgpr_workitem_id 0
		.amdhsa_next_free_vgpr 14
		.amdhsa_next_free_sgpr 22
		.amdhsa_accum_offset 16
		.amdhsa_reserve_vcc 1
		.amdhsa_float_round_mode_32 0
		.amdhsa_float_round_mode_16_64 0
		.amdhsa_float_denorm_mode_32 3
		.amdhsa_float_denorm_mode_16_64 3
		.amdhsa_dx10_clamp 1
		.amdhsa_ieee_mode 1
		.amdhsa_fp16_overflow 0
		.amdhsa_tg_split 0
		.amdhsa_exception_fp_ieee_invalid_op 0
		.amdhsa_exception_fp_denorm_src 0
		.amdhsa_exception_fp_ieee_div_zero 0
		.amdhsa_exception_fp_ieee_overflow 0
		.amdhsa_exception_fp_ieee_underflow 0
		.amdhsa_exception_fp_ieee_inexact 0
		.amdhsa_exception_int_div_zero 0
	.end_amdhsa_kernel
	.section	.text._ZL23rocblas_gemvt_sn_reduceILi256ELi8EfPKf16rocblas_bfloat16EviT2_lPT3_lilPT1_i,"axG",@progbits,_ZL23rocblas_gemvt_sn_reduceILi256ELi8EfPKf16rocblas_bfloat16EviT2_lPT3_lilPT1_i,comdat
.Lfunc_end558:
	.size	_ZL23rocblas_gemvt_sn_reduceILi256ELi8EfPKf16rocblas_bfloat16EviT2_lPT3_lilPT1_i, .Lfunc_end558-_ZL23rocblas_gemvt_sn_reduceILi256ELi8EfPKf16rocblas_bfloat16EviT2_lPT3_lilPT1_i
                                        ; -- End function
	.section	.AMDGPU.csdata,"",@progbits
; Kernel info:
; codeLenInByte = 1224
; NumSgprs: 28
; NumVgprs: 14
; NumAgprs: 0
; TotalNumVgprs: 14
; ScratchSize: 0
; MemoryBound: 0
; FloatMode: 240
; IeeeMode: 1
; LDSByteSize: 256 bytes/workgroup (compile time only)
; SGPRBlocks: 3
; VGPRBlocks: 1
; NumSGPRsForWavesPerEU: 28
; NumVGPRsForWavesPerEU: 14
; AccumOffset: 16
; Occupancy: 8
; WaveLimiterHint : 0
; COMPUTE_PGM_RSRC2:SCRATCH_EN: 0
; COMPUTE_PGM_RSRC2:USER_SGPR: 2
; COMPUTE_PGM_RSRC2:TRAP_HANDLER: 0
; COMPUTE_PGM_RSRC2:TGID_X_EN: 1
; COMPUTE_PGM_RSRC2:TGID_Y_EN: 1
; COMPUTE_PGM_RSRC2:TGID_Z_EN: 1
; COMPUTE_PGM_RSRC2:TIDIG_COMP_CNT: 0
; COMPUTE_PGM_RSRC3_GFX90A:ACCUM_OFFSET: 3
; COMPUTE_PGM_RSRC3_GFX90A:TG_SPLIT: 0
	.section	.text._ZL23rocblas_gemvt_sn_kernelILb0ELi256ELi4Ei16rocblas_bfloat16ffEviiT4_lPKT3_lilS4_lilPT5_i,"axG",@progbits,_ZL23rocblas_gemvt_sn_kernelILb0ELi256ELi4Ei16rocblas_bfloat16ffEviiT4_lPKT3_lilS4_lilPT5_i,comdat
	.globl	_ZL23rocblas_gemvt_sn_kernelILb0ELi256ELi4Ei16rocblas_bfloat16ffEviiT4_lPKT3_lilS4_lilPT5_i ; -- Begin function _ZL23rocblas_gemvt_sn_kernelILb0ELi256ELi4Ei16rocblas_bfloat16ffEviiT4_lPKT3_lilS4_lilPT5_i
	.p2align	8
	.type	_ZL23rocblas_gemvt_sn_kernelILb0ELi256ELi4Ei16rocblas_bfloat16ffEviiT4_lPKT3_lilS4_lilPT5_i,@function
_ZL23rocblas_gemvt_sn_kernelILb0ELi256ELi4Ei16rocblas_bfloat16ffEviiT4_lPKT3_lilS4_lilPT5_i: ; @_ZL23rocblas_gemvt_sn_kernelILb0ELi256ELi4Ei16rocblas_bfloat16ffEviiT4_lPKT3_lilS4_lilPT5_i
; %bb.0:
	s_load_dwordx4 s[16:19], s[0:1], 0x0
	s_load_dwordx4 s[8:11], s[0:1], 0x50
	s_load_dword s24, s[0:1], 0x68
	s_mov_b32 s6, s3
	s_mov_b32 s25, 0
	s_waitcnt lgkmcnt(0)
	s_ashr_i32 s7, s17, 31
	s_mul_hi_u32 s3, s17, s3
	s_mul_i32 s4, s7, s6
	s_add_i32 s13, s3, s4
	s_mul_i32 s12, s17, s6
	s_mul_i32 s3, s13, s24
	s_mul_hi_u32 s4, s12, s24
	s_add_i32 s5, s4, s3
	s_mul_i32 s4, s12, s24
	s_lshl_b64 s[4:5], s[4:5], 2
	s_add_u32 s33, s10, s4
	s_addc_u32 s50, s11, s5
	v_cmp_neq_f32_e64 s[4:5], s18, 0
	s_and_b64 vcc, exec, s[4:5]
	v_cmp_eq_u32_e64 s[4:5], 0, v0
	s_cbranch_vccnz .LBB559_10
; %bb.1:
	s_cmp_gt_i32 s17, 0
	s_cselect_b64 s[14:15], -1, 0
	s_and_b64 s[14:15], s[4:5], s[14:15]
	s_and_saveexec_b64 s[4:5], s[14:15]
	s_cbranch_execz .LBB559_9
; %bb.2:
	s_cmp_gt_u32 s17, 1
	s_cselect_b64 s[14:15], -1, 0
	s_cmp_eq_u32 s24, 1
	s_cselect_b64 s[22:23], -1, 0
	s_mov_b32 s3, 0
	s_and_b64 s[14:15], s[14:15], s[22:23]
	s_mov_b64 s[20:21], -1
	s_andn2_b64 vcc, exec, s[14:15]
	s_mov_b32 s14, s3
	s_cbranch_vccnz .LBB559_6
; %bb.3:
	s_lshl_b64 s[14:15], s[2:3], 2
	s_add_u32 s20, s33, s14
	s_addc_u32 s21, s50, s15
	s_and_b32 s14, s17, 0x7ffffffe
	v_mov_b32_e32 v2, 0
	v_mov_b32_e32 v3, v2
	s_mov_b32 s15, s14
.LBB559_4:                              ; =>This Inner Loop Header: Depth=1
	global_store_dwordx2 v2, v[2:3], s[20:21]
	s_add_u32 s20, s20, 8
	s_addc_u32 s21, s21, 0
	s_add_i32 s15, s15, -2
	s_cmp_lg_u32 s15, 0
	s_cbranch_scc1 .LBB559_4
; %bb.5:
	s_cmp_lg_u32 s14, s17
	s_cselect_b64 s[20:21], -1, 0
.LBB559_6:
	s_and_b64 vcc, exec, s[20:21]
	s_cbranch_vccz .LBB559_9
; %bb.7:
	s_mov_b32 s15, 0
	s_sub_i32 s19, s17, s14
	s_lshl_b64 s[12:13], s[12:13], 2
	s_lshl_b64 s[14:15], s[14:15], 2
	s_add_u32 s12, s12, s14
	s_addc_u32 s13, s13, s15
	s_mul_i32 s13, s13, s24
	s_mul_hi_u32 s14, s12, s24
	s_add_i32 s14, s14, s13
	s_mul_i32 s15, s12, s24
	s_lshl_b64 s[12:13], s[2:3], 2
	s_add_u32 s3, s15, s12
	s_addc_u32 s12, s14, s13
	s_add_u32 s10, s10, s3
	s_addc_u32 s11, s11, s12
	s_lshl_b64 s[12:13], s[24:25], 2
	v_mov_b32_e32 v1, 0
.LBB559_8:                              ; =>This Inner Loop Header: Depth=1
	s_add_i32 s19, s19, -1
	global_store_dword v1, v1, s[10:11]
	s_add_u32 s10, s10, s12
	s_addc_u32 s11, s11, s13
	s_cmp_eq_u32 s19, 0
	s_cbranch_scc0 .LBB559_8
.LBB559_9:
	s_or_b64 exec, exec, s[4:5]
	s_cbranch_execz .LBB559_11
	s_branch .LBB559_84
.LBB559_10:
.LBB559_11:
	s_load_dwordx4 s[20:23], s[0:1], 0x18
	s_load_dword s26, s[0:1], 0x28
	s_load_dwordx4 s[12:15], s[0:1], 0x30
	s_load_dwordx2 s[4:5], s[0:1], 0x40
	s_load_dword s19, s[0:1], 0x48
	s_mul_i32 s0, s6, s9
	s_mul_hi_u32 s1, s6, s8
	s_add_i32 s1, s1, s0
	s_mul_i32 s0, s6, s8
	s_lshl_b64 s[0:1], s[0:1], 1
	s_waitcnt lgkmcnt(0)
	s_add_u32 s3, s14, s0
	s_addc_u32 s8, s15, s1
	s_lshl_b64 s[0:1], s[4:5], 1
	s_add_u32 s28, s3, s0
	s_addc_u32 s29, s8, s1
	s_mul_i32 s0, s6, s13
	s_mul_hi_u32 s1, s6, s12
	s_add_i32 s1, s1, s0
	s_mul_i32 s0, s6, s12
	s_lshl_b64 s[30:31], s[0:1], 1
	s_add_u32 s0, s20, s30
	s_addc_u32 s1, s21, s31
	s_lshl_b64 s[22:23], s[22:23], 1
	s_add_u32 s0, s0, s22
	s_addc_u32 s1, s1, s23
	s_lshl_b32 s3, s2, 10
	v_lshl_or_b32 v10, v0, 2, s3
	v_ashrrev_i32_e32 v11, 31, v10
	v_lshl_add_u64 v[6:7], v[10:11], 1, s[0:1]
	s_lshr_b32 s0, s7, 30
	s_add_i32 s0, s17, s0
	s_and_b32 s3, s0, -4
	s_ashr_i32 s0, s16, 31
	s_lshr_b32 s0, s0, 30
	s_add_i32 s0, s16, s0
	s_and_b32 s0, s0, -4
	s_sub_i32 s25, s16, s0
	s_cmp_lt_i32 s3, 1
	v_add_u32_e32 v31, 4, v10
	v_add_u32_e32 v32, s25, v10
	v_and_b32_e32 v1, 63, v0
	v_cmp_gt_u32_e64 s[0:1], 64, v0
	v_mbcnt_lo_u32_b32 v30, -1, 0
	v_cmp_gt_u32_e64 s[4:5], 4, v0
	v_lshrrev_b32_e32 v9, 4, v0
	v_mul_lo_u32 v8, v10, s19
	s_cbranch_scc1 .LBB559_59
; %bb.12:
	v_mbcnt_hi_u32_b32 v2, -1, v30
	v_and_b32_e32 v3, 63, v2
	v_cmp_gt_u32_e32 vcc, 32, v3
	v_mul_lo_u32 v12, v10, s19
	s_cmp_gt_i32 s25, 0
	v_cndmask_b32_e64 v4, 0, 1, vcc
	v_lshlrev_b32_e32 v4, 5, v4
	v_cmp_gt_u32_e32 vcc, 48, v3
	v_add_lshl_u32 v33, v4, v2, 2
	s_cselect_b64 s[36:37], -1, 0
	v_cndmask_b32_e64 v4, 0, 1, vcc
	v_lshlrev_b32_e32 v4, 4, v4
	v_cmp_gt_u32_e32 vcc, 56, v3
	v_add_lshl_u32 v34, v4, v2, 2
	s_lshl_b32 s51, s26, 2
	v_cndmask_b32_e64 v4, 0, 1, vcc
	v_lshlrev_b32_e32 v4, 3, v4
	v_cmp_gt_u32_e32 vcc, 60, v3
	v_add_lshl_u32 v35, v4, v2, 2
	s_lshl_b32 s34, s26, 1
	v_cndmask_b32_e64 v4, 0, 1, vcc
	v_lshlrev_b32_e32 v4, 2, v4
	v_cmp_gt_u32_e32 vcc, 62, v3
	v_add_lshl_u32 v36, v4, v2, 2
	s_add_u32 s14, s30, s22
	v_cndmask_b32_e64 v4, 0, 1, vcc
	v_lshlrev_b32_e32 v4, 1, v4
	v_cmp_ne_u32_e32 vcc, 63, v3
	v_add_lshl_u32 v37, v4, v2, 2
	s_addc_u32 s15, s31, s23
	v_addc_co_u32_e32 v2, vcc, 0, v2, vcc
	v_lshlrev_b32_e32 v38, 2, v2
	v_add_u32_e32 v2, s19, v12
	v_ashrrev_i32_e32 v3, 31, v2
	v_lshl_add_u64 v[16:17], v[2:3], 1, s[28:29]
	v_add_u32_e32 v2, s19, v2
	v_ashrrev_i32_e32 v3, 31, v2
	s_mov_b32 s35, 0
	v_lshl_add_u64 v[18:19], v[2:3], 1, s[28:29]
	v_add_u32_e32 v2, s19, v2
	s_add_u32 s14, s20, s14
	v_ashrrev_i32_e32 v13, 31, v12
	v_ashrrev_i32_e32 v3, 31, v2
	s_mov_b32 s27, s35
	s_addc_u32 s15, s21, s15
	v_cmp_ge_i32_e64 s[6:7], s16, v31
	v_cmp_ge_i32_e64 s[8:9], s16, v32
	v_cmp_eq_u32_e64 s[10:11], 0, v1
	v_lshlrev_b32_e32 v39, 2, v1
	v_and_b32_e32 v40, 12, v9
	v_cmp_eq_u32_e64 s[12:13], 0, v0
	v_lshl_add_u64 v[14:15], v[12:13], 1, s[28:29]
	v_lshl_add_u64 v[20:21], v[2:3], 1, s[28:29]
	s_mul_i32 s52, s26, 3
	s_mov_b32 s53, s35
	v_lshl_add_u64 v[22:23], v[10:11], 1, s[14:15]
	v_mov_b32_e32 v13, 0
	s_mov_b32 s38, s35
	s_mov_b64 s[40:41], s[34:35]
	s_mov_b64 s[42:43], s[26:27]
	s_mov_b32 s27, 0
                                        ; implicit-def: $vgpr2_vgpr3_vgpr4_vgpr5
	s_branch .LBB559_14
.LBB559_13:                             ;   in Loop: Header=BB559_14 Depth=1
	s_or_b64 exec, exec, s[14:15]
	s_add_i32 s27, s27, 4
	s_add_u32 s42, s42, s51
	s_addc_u32 s43, s43, 0
	s_add_u32 s40, s40, s51
	s_addc_u32 s41, s41, 0
	;; [unrolled: 2-line block ×3, first 2 shown]
	s_add_i32 s38, s38, s51
	s_cmp_ge_i32 s27, s3
	s_cbranch_scc1 .LBB559_60
.LBB559_14:                             ; =>This Loop Header: Depth=1
                                        ;     Child Loop BB559_45 Depth 2
                                        ;     Child Loop BB559_48 Depth 2
                                        ; implicit-def: $vgpr25
                                        ; implicit-def: $vgpr27
	s_and_saveexec_b64 s[14:15], s[6:7]
	s_xor_b64 s[14:15], exec, s[14:15]
	s_cbranch_execnz .LBB559_41
; %bb.15:                               ;   in Loop: Header=BB559_14 Depth=1
	s_andn2_saveexec_b64 s[44:45], s[14:15]
	s_cbranch_execnz .LBB559_42
.LBB559_16:                             ;   in Loop: Header=BB559_14 Depth=1
	s_or_b64 exec, exec, s[44:45]
	s_and_saveexec_b64 s[14:15], s[0:1]
	s_cbranch_execz .LBB559_18
.LBB559_17:                             ;   in Loop: Header=BB559_14 Depth=1
	ds_write_b32 v39, v13
.LBB559_18:                             ;   in Loop: Header=BB559_14 Depth=1
	s_or_b64 exec, exec, s[14:15]
	ds_bpermute_b32 v28, v33, v26
	s_waitcnt lgkmcnt(0)
	s_barrier
	v_add_f32_e32 v26, v26, v28
	ds_bpermute_b32 v28, v34, v26
	s_waitcnt lgkmcnt(0)
	v_add_f32_e32 v26, v26, v28
	ds_bpermute_b32 v28, v35, v26
	s_waitcnt lgkmcnt(0)
	;; [unrolled: 3-line block ×4, first 2 shown]
	v_add_f32_e32 v26, v26, v28
	ds_bpermute_b32 v28, v38, v26
	s_and_saveexec_b64 s[14:15], s[10:11]
	s_cbranch_execz .LBB559_20
; %bb.19:                               ;   in Loop: Header=BB559_14 Depth=1
	s_waitcnt lgkmcnt(0)
	v_add_f32_e32 v26, v26, v28
	ds_write_b32 v40, v26
.LBB559_20:                             ;   in Loop: Header=BB559_14 Depth=1
	s_or_b64 exec, exec, s[14:15]
	v_mov_b32_e32 v26, 0
	s_waitcnt lgkmcnt(0)
	s_barrier
	s_and_saveexec_b64 s[14:15], s[4:5]
	s_cbranch_execnz .LBB559_50
; %bb.21:                               ;   in Loop: Header=BB559_14 Depth=1
	s_or_b64 exec, exec, s[14:15]
	s_and_saveexec_b64 s[14:15], s[0:1]
	s_cbranch_execnz .LBB559_51
.LBB559_22:                             ;   in Loop: Header=BB559_14 Depth=1
	s_or_b64 exec, exec, s[14:15]
	s_and_saveexec_b64 s[14:15], s[0:1]
	s_cbranch_execz .LBB559_24
.LBB559_23:                             ;   in Loop: Header=BB559_14 Depth=1
	ds_write_b32 v39, v13
.LBB559_24:                             ;   in Loop: Header=BB559_14 Depth=1
	s_or_b64 exec, exec, s[14:15]
	ds_bpermute_b32 v28, v33, v27
	s_waitcnt lgkmcnt(0)
	s_barrier
	v_add_f32_e32 v27, v27, v28
	ds_bpermute_b32 v28, v34, v27
	s_waitcnt lgkmcnt(0)
	v_add_f32_e32 v27, v27, v28
	ds_bpermute_b32 v28, v35, v27
	s_waitcnt lgkmcnt(0)
	;; [unrolled: 3-line block ×4, first 2 shown]
	v_add_f32_e32 v27, v27, v28
	ds_bpermute_b32 v28, v38, v27
	s_and_saveexec_b64 s[14:15], s[10:11]
	s_cbranch_execz .LBB559_26
; %bb.25:                               ;   in Loop: Header=BB559_14 Depth=1
	s_waitcnt lgkmcnt(0)
	v_add_f32_e32 v27, v27, v28
	ds_write_b32 v40, v27
.LBB559_26:                             ;   in Loop: Header=BB559_14 Depth=1
	s_or_b64 exec, exec, s[14:15]
	v_mov_b32_e32 v27, 0
	s_waitcnt lgkmcnt(0)
	s_barrier
	s_and_saveexec_b64 s[14:15], s[4:5]
	s_cbranch_execnz .LBB559_52
; %bb.27:                               ;   in Loop: Header=BB559_14 Depth=1
	s_or_b64 exec, exec, s[14:15]
	s_and_saveexec_b64 s[14:15], s[0:1]
	s_cbranch_execnz .LBB559_53
.LBB559_28:                             ;   in Loop: Header=BB559_14 Depth=1
	s_or_b64 exec, exec, s[14:15]
	s_and_saveexec_b64 s[14:15], s[0:1]
	s_cbranch_execz .LBB559_30
.LBB559_29:                             ;   in Loop: Header=BB559_14 Depth=1
	ds_write_b32 v39, v13
.LBB559_30:                             ;   in Loop: Header=BB559_14 Depth=1
	s_or_b64 exec, exec, s[14:15]
	ds_bpermute_b32 v28, v33, v24
	s_waitcnt lgkmcnt(0)
	s_barrier
	v_add_f32_e32 v24, v24, v28
	ds_bpermute_b32 v28, v34, v24
	s_waitcnt lgkmcnt(0)
	v_add_f32_e32 v24, v24, v28
	ds_bpermute_b32 v28, v35, v24
	s_waitcnt lgkmcnt(0)
	;; [unrolled: 3-line block ×4, first 2 shown]
	v_add_f32_e32 v24, v24, v28
	ds_bpermute_b32 v28, v38, v24
	s_and_saveexec_b64 s[14:15], s[10:11]
	s_cbranch_execz .LBB559_32
; %bb.31:                               ;   in Loop: Header=BB559_14 Depth=1
	s_waitcnt lgkmcnt(0)
	v_add_f32_e32 v24, v24, v28
	ds_write_b32 v40, v24
.LBB559_32:                             ;   in Loop: Header=BB559_14 Depth=1
	s_or_b64 exec, exec, s[14:15]
	v_mov_b32_e32 v24, 0
	s_waitcnt lgkmcnt(0)
	s_barrier
	s_and_saveexec_b64 s[14:15], s[4:5]
	s_cbranch_execnz .LBB559_54
; %bb.33:                               ;   in Loop: Header=BB559_14 Depth=1
	s_or_b64 exec, exec, s[14:15]
	s_and_saveexec_b64 s[14:15], s[0:1]
	s_cbranch_execnz .LBB559_55
.LBB559_34:                             ;   in Loop: Header=BB559_14 Depth=1
	s_or_b64 exec, exec, s[14:15]
	s_and_saveexec_b64 s[14:15], s[0:1]
	s_cbranch_execz .LBB559_36
.LBB559_35:                             ;   in Loop: Header=BB559_14 Depth=1
	ds_write_b32 v39, v13
.LBB559_36:                             ;   in Loop: Header=BB559_14 Depth=1
	s_or_b64 exec, exec, s[14:15]
	ds_bpermute_b32 v28, v33, v25
	s_waitcnt lgkmcnt(0)
	s_barrier
	v_add_f32_e32 v25, v25, v28
	ds_bpermute_b32 v28, v34, v25
	s_waitcnt lgkmcnt(0)
	v_add_f32_e32 v25, v25, v28
	ds_bpermute_b32 v28, v35, v25
	s_waitcnt lgkmcnt(0)
	;; [unrolled: 3-line block ×4, first 2 shown]
	v_add_f32_e32 v25, v25, v28
	ds_bpermute_b32 v28, v38, v25
	s_and_saveexec_b64 s[14:15], s[10:11]
	s_cbranch_execz .LBB559_38
; %bb.37:                               ;   in Loop: Header=BB559_14 Depth=1
	s_waitcnt lgkmcnt(0)
	v_add_f32_e32 v25, v25, v28
	ds_write_b32 v40, v25
.LBB559_38:                             ;   in Loop: Header=BB559_14 Depth=1
	s_or_b64 exec, exec, s[14:15]
	v_mov_b32_e32 v25, 0
	s_waitcnt lgkmcnt(0)
	s_barrier
	s_and_saveexec_b64 s[14:15], s[4:5]
	s_cbranch_execnz .LBB559_56
; %bb.39:                               ;   in Loop: Header=BB559_14 Depth=1
	s_or_b64 exec, exec, s[14:15]
	s_and_saveexec_b64 s[14:15], s[0:1]
	s_cbranch_execnz .LBB559_57
.LBB559_40:                             ;   in Loop: Header=BB559_14 Depth=1
	s_or_b64 exec, exec, s[14:15]
	s_and_saveexec_b64 s[14:15], s[12:13]
	s_cbranch_execz .LBB559_13
	s_branch .LBB559_58
.LBB559_41:                             ;   in Loop: Header=BB559_14 Depth=1
	s_mul_i32 s44, s27, s26
	s_ashr_i32 s45, s44, 31
	v_lshl_add_u64 v[2:3], s[44:45], 1, v[6:7]
	s_add_i32 s44, s44, s26
	s_ashr_i32 s45, s44, 31
	global_load_ushort v4, v[14:15], off
	global_load_ushort v5, v[16:17], off
	;; [unrolled: 1-line block ×4, first 2 shown]
	s_waitcnt lgkmcnt(0)
	global_load_dwordx2 v[24:25], v[2:3], off
	v_lshl_add_u64 v[2:3], s[44:45], 1, v[6:7]
	s_add_i32 s44, s44, s26
	s_ashr_i32 s45, s44, 31
	global_load_dwordx2 v[26:27], v[2:3], off
	v_lshl_add_u64 v[2:3], s[44:45], 1, v[6:7]
	s_add_i32 s44, s44, s26
	s_ashr_i32 s45, s44, 31
	global_load_dwordx2 v[28:29], v[2:3], off
	v_lshl_add_u64 v[2:3], s[44:45], 1, v[6:7]
	global_load_dwordx2 v[42:43], v[2:3], off
	s_waitcnt vmcnt(7)
	v_lshlrev_b32_e32 v2, 16, v4
	s_waitcnt vmcnt(6)
	v_lshlrev_b32_e32 v45, 16, v5
	;; [unrolled: 2-line block ×5, first 2 shown]
	v_and_b32_e32 v58, 0xffff0000, v25
	v_mov_b32_e32 v50, v45
	v_lshlrev_b32_e32 v54, 16, v24
	s_waitcnt vmcnt(2)
	v_lshlrev_b32_e32 v55, 16, v26
	v_and_b32_e32 v25, 0xffff0000, v26
	v_lshlrev_b32_e32 v57, 16, v27
	v_and_b32_e32 v59, 0xffff0000, v27
	s_waitcnt vmcnt(1)
	v_lshlrev_b32_e32 v26, 16, v28
	v_and_b32_e32 v27, 0xffff0000, v28
	s_waitcnt vmcnt(0)
	v_and_b32_e32 v3, 0xffff0000, v42
	v_lshlrev_b32_e32 v44, 16, v42
	v_and_b32_e32 v47, 0xffff0000, v43
	v_lshlrev_b32_e32 v48, 16, v43
	v_pk_mul_f32 v[62:63], v[44:45], v[2:3]
	v_lshlrev_b32_e32 v41, 16, v29
	v_and_b32_e32 v29, 0xffff0000, v29
	v_mul_f32_e32 v26, v2, v26
	v_mul_f32_e32 v28, v45, v27
	v_mov_b32_e32 v3, v45
	v_pk_mul_f32 v[44:45], v[48:49], v[46:47]
	v_mov_b32_e32 v27, v62
	v_and_b32_e32 v24, 0xffff0000, v24
	v_mul_f32_e32 v60, v49, v29
	v_mov_b32_e32 v29, v63
	v_mov_b32_e32 v43, v44
	;; [unrolled: 1-line block ×3, first 2 shown]
	v_pk_fma_f32 v[44:45], v[2:3], v[54:55], 0 op_sel_hi:[0,1,0]
	v_pk_add_f32 v[26:27], v[26:27], 0 op_sel_hi:[1,0]
	v_mul_f32_e32 v42, v46, v41
	v_pk_fma_f32 v[24:25], v[50:51], v[24:25], v[44:45] op_sel_hi:[0,1,1]
	v_pk_add_f32 v[26:27], v[26:27], v[28:29]
	v_mov_b32_e32 v52, v49
	v_pk_fma_f32 v[28:29], v[46:47], v[56:57], v[24:25] op_sel_hi:[0,1,1]
	v_pk_add_f32 v[24:25], v[26:27], v[42:43]
	v_mov_b32_e32 v4, v46
	v_mov_b32_e32 v5, v49
	v_pk_add_f32 v[24:25], v[24:25], v[60:61]
	v_pk_fma_f32 v[26:27], v[52:53], v[58:59], v[28:29] op_sel_hi:[0,1,1]
	s_andn2_saveexec_b64 s[44:45], s[14:15]
	s_cbranch_execz .LBB559_16
.LBB559_42:                             ;   in Loop: Header=BB559_14 Depth=1
	s_waitcnt lgkmcnt(0)
	v_mov_b32_e32 v25, 0
	v_mov_b32_e32 v24, 0
	;; [unrolled: 1-line block ×4, first 2 shown]
	s_and_saveexec_b64 s[46:47], s[8:9]
	s_cbranch_execz .LBB559_49
; %bb.43:                               ;   in Loop: Header=BB559_14 Depth=1
	v_cndmask_b32_e64 v24, 0, 1, s[36:37]
	v_cmp_ne_u32_e64 s[14:15], 1, v24
	s_andn2_b64 vcc, exec, s[36:37]
	s_cbranch_vccnz .LBB559_46
; %bb.44:                               ;   in Loop: Header=BB559_14 Depth=1
	s_mov_b64 s[48:49], 0
	v_mov_b32_e32 v24, v12
.LBB559_45:                             ;   Parent Loop BB559_14 Depth=1
                                        ; =>  This Inner Loop Header: Depth=2
	v_ashrrev_i32_e32 v25, 31, v24
	v_lshl_add_u64 v[26:27], v[24:25], 1, s[28:29]
	global_load_ushort v25, v[26:27], off
	s_cmp_eq_u32 s48, 3
	s_cselect_b64 vcc, -1, 0
	s_cmp_eq_u32 s48, 2
	v_add_u32_e32 v24, s19, v24
	s_waitcnt vmcnt(0)
	v_lshlrev_b32_e32 v25, 16, v25
	v_cndmask_b32_e32 v5, v5, v25, vcc
	s_cselect_b64 vcc, -1, 0
	s_cmp_eq_u32 s48, 1
	v_cndmask_b32_e32 v4, v4, v25, vcc
	s_cselect_b64 vcc, -1, 0
	s_cmp_eq_u32 s48, 0
	v_cndmask_b32_e32 v3, v3, v25, vcc
	s_cselect_b64 vcc, -1, 0
	s_add_u32 s48, s48, 1
	s_addc_u32 s49, s49, 0
	s_cmp_eq_u32 s25, s48
	v_cndmask_b32_e32 v2, v2, v25, vcc
	s_cbranch_scc0 .LBB559_45
.LBB559_46:                             ;   in Loop: Header=BB559_14 Depth=1
	v_mov_b32_e32 v25, 0
	s_and_b64 vcc, exec, s[14:15]
	v_mov_b32_e32 v24, v25
	v_mov_b32_e32 v27, v25
	;; [unrolled: 1-line block ×3, first 2 shown]
	s_cbranch_vccnz .LBB559_49
; %bb.47:                               ;   in Loop: Header=BB559_14 Depth=1
	s_ashr_i32 s39, s38, 31
	v_mov_b32_e32 v26, 0
	v_lshl_add_u64 v[28:29], s[38:39], 1, v[22:23]
	s_mov_b64 s[14:15], 0
	v_mov_b32_e32 v27, v26
	v_mov_b32_e32 v24, v26
	;; [unrolled: 1-line block ×3, first 2 shown]
.LBB559_48:                             ;   Parent Loop BB559_14 Depth=1
                                        ; =>  This Inner Loop Header: Depth=2
	s_cmp_eq_u32 s14, 1
	s_cselect_b64 vcc, -1, 0
	s_cmp_eq_u32 s14, 2
	v_cndmask_b32_e32 v42, v2, v3, vcc
	s_cselect_b64 vcc, -1, 0
	s_cmp_eq_u32 s14, 3
	v_cndmask_b32_e32 v48, v42, v4, vcc
	s_cselect_b64 vcc, -1, 0
	s_add_i32 s48, s42, s14
	s_add_i32 s56, s52, s14
	;; [unrolled: 1-line block ×3, first 2 shown]
	s_ashr_i32 s49, s48, 31
	s_ashr_i32 s57, s56, 31
	;; [unrolled: 1-line block ×3, first 2 shown]
	v_lshl_add_u64 v[42:43], s[48:49], 1, v[6:7]
	v_lshl_add_u64 v[46:47], s[56:57], 1, v[6:7]
	global_load_ushort v41, v[28:29], off
	v_lshl_add_u64 v[44:45], s[54:55], 1, v[6:7]
	global_load_ushort v43, v[42:43], off
	s_nop 0
	global_load_ushort v46, v[46:47], off
	s_nop 0
	global_load_ushort v49, v[44:45], off
	s_add_u32 s14, s14, 1
	v_cndmask_b32_e32 v42, v48, v5, vcc
	s_addc_u32 s15, s15, 0
	v_lshl_add_u64 v[28:29], v[28:29], 0, 2
	s_cmp_lg_u32 s25, s14
	s_waitcnt vmcnt(3)
	v_lshlrev_b32_e32 v44, 16, v41
	s_waitcnt vmcnt(2)
	v_lshlrev_b32_e32 v45, 16, v43
	;; [unrolled: 2-line block ×4, first 2 shown]
	v_pk_fma_f32 v[26:27], v[42:43], v[44:45], v[26:27] op_sel_hi:[0,1,1]
	v_pk_fma_f32 v[24:25], v[42:43], v[46:47], v[24:25] op_sel_hi:[0,1,1]
	s_cbranch_scc1 .LBB559_48
.LBB559_49:                             ;   in Loop: Header=BB559_14 Depth=1
	s_or_b64 exec, exec, s[46:47]
	s_or_b64 exec, exec, s[44:45]
	s_and_saveexec_b64 s[14:15], s[0:1]
	s_cbranch_execnz .LBB559_17
	s_branch .LBB559_18
.LBB559_50:                             ;   in Loop: Header=BB559_14 Depth=1
	ds_read_b32 v26, v39
	s_or_b64 exec, exec, s[14:15]
	s_and_saveexec_b64 s[14:15], s[0:1]
	s_cbranch_execz .LBB559_22
.LBB559_51:                             ;   in Loop: Header=BB559_14 Depth=1
	s_waitcnt lgkmcnt(0)
	ds_bpermute_b32 v28, v37, v26
	s_waitcnt lgkmcnt(0)
	v_add_f32_e32 v26, v26, v28
	ds_bpermute_b32 v28, v38, v26
	s_waitcnt lgkmcnt(0)
	v_add_f32_e32 v26, v26, v28
	s_or_b64 exec, exec, s[14:15]
	s_and_saveexec_b64 s[14:15], s[0:1]
	s_cbranch_execnz .LBB559_23
	s_branch .LBB559_24
.LBB559_52:                             ;   in Loop: Header=BB559_14 Depth=1
	ds_read_b32 v27, v39
	s_or_b64 exec, exec, s[14:15]
	s_and_saveexec_b64 s[14:15], s[0:1]
	s_cbranch_execz .LBB559_28
.LBB559_53:                             ;   in Loop: Header=BB559_14 Depth=1
	s_waitcnt lgkmcnt(0)
	ds_bpermute_b32 v28, v37, v27
	s_waitcnt lgkmcnt(0)
	v_add_f32_e32 v27, v27, v28
	ds_bpermute_b32 v28, v38, v27
	s_waitcnt lgkmcnt(0)
	v_add_f32_e32 v27, v27, v28
	s_or_b64 exec, exec, s[14:15]
	s_and_saveexec_b64 s[14:15], s[0:1]
	s_cbranch_execnz .LBB559_29
	s_branch .LBB559_30
.LBB559_54:                             ;   in Loop: Header=BB559_14 Depth=1
	ds_read_b32 v24, v39
	s_or_b64 exec, exec, s[14:15]
	s_and_saveexec_b64 s[14:15], s[0:1]
	s_cbranch_execz .LBB559_34
.LBB559_55:                             ;   in Loop: Header=BB559_14 Depth=1
	s_waitcnt lgkmcnt(0)
	ds_bpermute_b32 v28, v37, v24
	s_waitcnt lgkmcnt(0)
	v_add_f32_e32 v24, v24, v28
	ds_bpermute_b32 v28, v38, v24
	s_waitcnt lgkmcnt(0)
	v_add_f32_e32 v24, v24, v28
	s_or_b64 exec, exec, s[14:15]
	s_and_saveexec_b64 s[14:15], s[0:1]
	s_cbranch_execnz .LBB559_35
	s_branch .LBB559_36
.LBB559_56:                             ;   in Loop: Header=BB559_14 Depth=1
	ds_read_b32 v25, v39
	s_or_b64 exec, exec, s[14:15]
	s_and_saveexec_b64 s[14:15], s[0:1]
	s_cbranch_execz .LBB559_40
.LBB559_57:                             ;   in Loop: Header=BB559_14 Depth=1
	s_waitcnt lgkmcnt(0)
	ds_bpermute_b32 v28, v37, v25
	s_waitcnt lgkmcnt(0)
	v_add_f32_e32 v25, v25, v28
	ds_bpermute_b32 v28, v38, v25
	s_waitcnt lgkmcnt(0)
	v_add_f32_e32 v25, v25, v28
	s_or_b64 exec, exec, s[14:15]
	s_and_saveexec_b64 s[14:15], s[12:13]
	s_cbranch_execz .LBB559_13
.LBB559_58:                             ;   in Loop: Header=BB559_14 Depth=1
	s_mul_i32 s34, s27, s24
	s_add_i32 s34, s34, s2
	s_lshl_b64 s[44:45], s[34:35], 2
	s_add_u32 s44, s33, s44
	v_mul_f32_e32 v26, s18, v26
	s_addc_u32 s45, s50, s45
	s_add_i32 s34, s34, s24
	global_store_dword v13, v26, s[44:45]
	s_lshl_b64 s[44:45], s[34:35], 2
	s_add_u32 s44, s33, s44
	v_mul_f32_e32 v26, s18, v27
	s_addc_u32 s45, s50, s45
	s_add_i32 s34, s34, s24
	global_store_dword v13, v26, s[44:45]
	s_lshl_b64 s[44:45], s[34:35], 2
	s_add_u32 s44, s33, s44
	v_mul_f32_e32 v24, s18, v24
	s_addc_u32 s45, s50, s45
	s_add_i32 s34, s34, s24
	global_store_dword v13, v24, s[44:45]
	s_lshl_b64 s[44:45], s[34:35], 2
	s_add_u32 s44, s33, s44
	s_waitcnt lgkmcnt(0)
	v_mul_f32_e32 v24, s18, v25
	s_addc_u32 s45, s50, s45
	global_store_dword v13, v24, s[44:45]
	s_branch .LBB559_13
.LBB559_59:
	s_mov_b32 s27, 0
                                        ; implicit-def: $vgpr2_vgpr3_vgpr4_vgpr5
.LBB559_60:
	s_cmp_ge_i32 s27, s17
	s_cbranch_scc1 .LBB559_84
; %bb.61:
	v_mbcnt_hi_u32_b32 v12, -1, v30
	v_and_b32_e32 v13, 63, v12
	v_cmp_gt_u32_e32 vcc, 32, v13
	s_mov_b32 s3, 0
	s_cmp_gt_i32 s25, 0
	v_cndmask_b32_e64 v14, 0, 1, vcc
	v_lshlrev_b32_e32 v14, 5, v14
	v_cmp_gt_u32_e32 vcc, 48, v13
	v_add_lshl_u32 v23, v14, v12, 2
	s_cselect_b64 s[34:35], -1, 0
	v_cndmask_b32_e64 v14, 0, 1, vcc
	v_lshlrev_b32_e32 v14, 4, v14
	v_cmp_gt_u32_e32 vcc, 56, v13
	v_add_lshl_u32 v24, v14, v12, 2
	s_lshl_b64 s[14:15], s[2:3], 2
	v_cndmask_b32_e64 v14, 0, 1, vcc
	v_lshlrev_b32_e32 v14, 3, v14
	v_cmp_gt_u32_e32 vcc, 60, v13
	s_waitcnt lgkmcnt(0)
	v_add_lshl_u32 v25, v14, v12, 2
	s_add_u32 s2, s33, s14
	v_cndmask_b32_e64 v14, 0, 1, vcc
	v_cmp_ge_i32_e64 s[0:1], s16, v31
	v_cmp_ge_i32_e64 s[4:5], s16, v32
	v_lshlrev_b32_e32 v14, 2, v14
	v_cmp_gt_u32_e32 vcc, 62, v13
	s_addc_u32 s16, s50, s15
	v_add_u32_e32 v16, s19, v8
	v_add_lshl_u32 v26, v14, v12, 2
	v_cndmask_b32_e64 v14, 0, 1, vcc
	v_add_u32_e32 v18, s19, v16
	s_add_u32 s14, s30, s22
	v_lshlrev_b32_e32 v14, 1, v14
	v_ashrrev_i32_e32 v17, 31, v16
	v_ashrrev_i32_e32 v19, 31, v18
	s_addc_u32 s15, s31, s23
	v_add_lshl_u32 v27, v14, v12, 2
	v_cmp_ne_u32_e32 vcc, 63, v13
	v_lshl_add_u64 v[14:15], v[16:17], 1, s[28:29]
	v_lshl_add_u64 v[16:17], v[18:19], 1, s[28:29]
	v_add_u32_e32 v18, s19, v18
	s_add_u32 s14, s20, s14
	v_lshlrev_b32_e32 v22, 2, v1
	v_addc_co_u32_e32 v12, vcc, 0, v12, vcc
	v_cmp_eq_u32_e64 s[8:9], 0, v1
	v_and_b32_e32 v1, 12, v9
	v_ashrrev_i32_e32 v9, 31, v8
	v_ashrrev_i32_e32 v19, 31, v18
	s_addc_u32 s15, s21, s15
	v_cmp_gt_u32_e64 s[6:7], 64, v0
	v_lshlrev_b32_e32 v28, 2, v12
	v_cmp_gt_u32_e64 s[10:11], 4, v0
	v_cmp_eq_u32_e64 s[12:13], 0, v0
	v_lshl_add_u64 v[12:13], v[8:9], 1, s[28:29]
	v_lshl_add_u64 v[18:19], v[18:19], 1, s[28:29]
	;; [unrolled: 1-line block ×3, first 2 shown]
	s_mul_i32 s20, s27, s26
	v_mov_b32_e32 v9, 0
	s_branch .LBB559_63
.LBB559_62:                             ;   in Loop: Header=BB559_63 Depth=1
	s_or_b64 exec, exec, s[14:15]
	s_add_i32 s27, s27, 1
	s_add_i32 s20, s20, s26
	s_cmp_ge_i32 s27, s17
	s_cbranch_scc1 .LBB559_84
.LBB559_63:                             ; =>This Loop Header: Depth=1
                                        ;     Child Loop BB559_76 Depth 2
                                        ;     Child Loop BB559_79 Depth 2
	s_waitcnt lgkmcnt(0)
	v_mov_b32_e32 v0, s3
	s_and_saveexec_b64 s[14:15], s[0:1]
	s_xor_b64 s[14:15], exec, s[14:15]
	s_cbranch_execnz .LBB559_72
; %bb.64:                               ;   in Loop: Header=BB559_63 Depth=1
	s_andn2_saveexec_b64 s[22:23], s[14:15]
	s_cbranch_execnz .LBB559_73
.LBB559_65:                             ;   in Loop: Header=BB559_63 Depth=1
	s_or_b64 exec, exec, s[22:23]
	s_and_saveexec_b64 s[14:15], s[6:7]
	s_cbranch_execz .LBB559_67
.LBB559_66:                             ;   in Loop: Header=BB559_63 Depth=1
	ds_write_b32 v22, v9
.LBB559_67:                             ;   in Loop: Header=BB559_63 Depth=1
	s_or_b64 exec, exec, s[14:15]
	ds_bpermute_b32 v20, v23, v0
	s_waitcnt lgkmcnt(0)
	s_barrier
	v_add_f32_e32 v0, v0, v20
	ds_bpermute_b32 v20, v24, v0
	s_waitcnt lgkmcnt(0)
	v_add_f32_e32 v0, v0, v20
	ds_bpermute_b32 v20, v25, v0
	s_waitcnt lgkmcnt(0)
	;; [unrolled: 3-line block ×4, first 2 shown]
	v_add_f32_e32 v0, v0, v20
	ds_bpermute_b32 v20, v28, v0
	s_and_saveexec_b64 s[14:15], s[8:9]
	s_cbranch_execz .LBB559_69
; %bb.68:                               ;   in Loop: Header=BB559_63 Depth=1
	s_waitcnt lgkmcnt(0)
	v_add_f32_e32 v0, v0, v20
	ds_write_b32 v1, v0
.LBB559_69:                             ;   in Loop: Header=BB559_63 Depth=1
	s_or_b64 exec, exec, s[14:15]
	v_mov_b32_e32 v0, 0
	s_waitcnt lgkmcnt(0)
	s_barrier
	s_and_saveexec_b64 s[14:15], s[10:11]
	s_cbranch_execnz .LBB559_81
; %bb.70:                               ;   in Loop: Header=BB559_63 Depth=1
	s_or_b64 exec, exec, s[14:15]
	s_and_saveexec_b64 s[14:15], s[6:7]
	s_cbranch_execnz .LBB559_82
.LBB559_71:                             ;   in Loop: Header=BB559_63 Depth=1
	s_or_b64 exec, exec, s[14:15]
	s_and_saveexec_b64 s[14:15], s[12:13]
	s_cbranch_execz .LBB559_62
	s_branch .LBB559_83
.LBB559_72:                             ;   in Loop: Header=BB559_63 Depth=1
	s_mul_i32 s22, s27, s26
	s_ashr_i32 s23, s22, 31
	v_lshl_add_u64 v[2:3], s[22:23], 1, v[6:7]
	global_load_ushort v0, v[12:13], off
	global_load_ushort v4, v[14:15], off
	;; [unrolled: 1-line block ×4, first 2 shown]
	global_load_dwordx2 v[20:21], v[2:3], off
	s_waitcnt vmcnt(4)
	v_lshlrev_b32_e32 v2, 16, v0
	s_waitcnt vmcnt(3)
	v_lshlrev_b32_e32 v3, 16, v4
	;; [unrolled: 2-line block ×4, first 2 shown]
	s_waitcnt vmcnt(0)
	v_and_b32_e32 v31, 0xffff0000, v20
	v_lshlrev_b32_e32 v30, 16, v20
	v_and_b32_e32 v33, 0xffff0000, v21
	v_lshlrev_b32_e32 v32, 16, v21
	v_pk_mul_f32 v[20:21], v[2:3], v[30:31]
	s_nop 0
	v_add_f32_e32 v0, 0, v20
	v_add_f32_e32 v0, v0, v21
	v_pk_mul_f32 v[20:21], v[4:5], v[32:33]
	s_nop 0
	v_add_f32_e32 v0, v0, v20
	v_add_f32_e32 v0, v0, v21
	s_andn2_saveexec_b64 s[22:23], s[14:15]
	s_cbranch_execz .LBB559_65
.LBB559_73:                             ;   in Loop: Header=BB559_63 Depth=1
	s_and_saveexec_b64 s[30:31], s[4:5]
	s_cbranch_execz .LBB559_80
; %bb.74:                               ;   in Loop: Header=BB559_63 Depth=1
	v_cndmask_b32_e64 v20, 0, 1, s[34:35]
	v_cmp_ne_u32_e64 s[14:15], 1, v20
	s_andn2_b64 vcc, exec, s[34:35]
	s_cbranch_vccnz .LBB559_77
; %bb.75:                               ;   in Loop: Header=BB559_63 Depth=1
	s_mov_b64 s[36:37], 0
	v_mov_b32_e32 v20, v8
.LBB559_76:                             ;   Parent Loop BB559_63 Depth=1
                                        ; =>  This Inner Loop Header: Depth=2
	v_ashrrev_i32_e32 v21, 31, v20
	v_lshl_add_u64 v[30:31], v[20:21], 1, s[28:29]
	global_load_ushort v21, v[30:31], off
	s_cmp_eq_u32 s36, 3
	s_cselect_b64 vcc, -1, 0
	s_cmp_eq_u32 s36, 2
	v_add_u32_e32 v20, s19, v20
	s_waitcnt vmcnt(0)
	v_lshlrev_b32_e32 v21, 16, v21
	v_cndmask_b32_e32 v5, v5, v21, vcc
	s_cselect_b64 vcc, -1, 0
	s_cmp_eq_u32 s36, 1
	v_cndmask_b32_e32 v4, v4, v21, vcc
	s_cselect_b64 vcc, -1, 0
	s_cmp_eq_u32 s36, 0
	v_cndmask_b32_e32 v3, v3, v21, vcc
	s_cselect_b64 vcc, -1, 0
	s_add_u32 s36, s36, 1
	s_addc_u32 s37, s37, 0
	s_cmp_eq_u32 s25, s36
	v_cndmask_b32_e32 v2, v2, v21, vcc
	s_cbranch_scc0 .LBB559_76
.LBB559_77:                             ;   in Loop: Header=BB559_63 Depth=1
	s_and_b64 vcc, exec, s[14:15]
	s_cbranch_vccnz .LBB559_80
; %bb.78:                               ;   in Loop: Header=BB559_63 Depth=1
	s_ashr_i32 s21, s20, 31
	v_lshl_add_u64 v[20:21], s[20:21], 1, v[10:11]
	s_mov_b64 s[14:15], 0
.LBB559_79:                             ;   Parent Loop BB559_63 Depth=1
                                        ; =>  This Inner Loop Header: Depth=2
	global_load_ushort v29, v[20:21], off
	s_cmp_eq_u32 s14, 1
	s_cselect_b64 vcc, -1, 0
	s_cmp_eq_u32 s14, 2
	v_cndmask_b32_e32 v30, v2, v3, vcc
	s_cselect_b64 vcc, -1, 0
	s_cmp_eq_u32 s14, 3
	v_cndmask_b32_e32 v30, v30, v4, vcc
	s_cselect_b64 vcc, -1, 0
	s_add_u32 s14, s14, 1
	v_cndmask_b32_e32 v30, v30, v5, vcc
	s_addc_u32 s15, s15, 0
	v_lshl_add_u64 v[20:21], v[20:21], 0, 2
	s_cmp_lg_u32 s25, s14
	s_waitcnt vmcnt(0)
	v_lshlrev_b32_e32 v29, 16, v29
	v_fmac_f32_e32 v0, v30, v29
	s_cbranch_scc1 .LBB559_79
.LBB559_80:                             ;   in Loop: Header=BB559_63 Depth=1
	s_or_b64 exec, exec, s[30:31]
	s_or_b64 exec, exec, s[22:23]
	s_and_saveexec_b64 s[14:15], s[6:7]
	s_cbranch_execnz .LBB559_66
	s_branch .LBB559_67
.LBB559_81:                             ;   in Loop: Header=BB559_63 Depth=1
	ds_read_b32 v0, v22
	s_or_b64 exec, exec, s[14:15]
	s_and_saveexec_b64 s[14:15], s[6:7]
	s_cbranch_execz .LBB559_71
.LBB559_82:                             ;   in Loop: Header=BB559_63 Depth=1
	s_waitcnt lgkmcnt(0)
	ds_bpermute_b32 v20, v27, v0
	s_waitcnt lgkmcnt(0)
	v_add_f32_e32 v0, v0, v20
	ds_bpermute_b32 v20, v28, v0
	s_waitcnt lgkmcnt(0)
	v_add_f32_e32 v0, v0, v20
	s_or_b64 exec, exec, s[14:15]
	s_and_saveexec_b64 s[14:15], s[12:13]
	s_cbranch_execz .LBB559_62
.LBB559_83:                             ;   in Loop: Header=BB559_63 Depth=1
	s_mul_hi_u32 s23, s27, s24
	s_mul_i32 s22, s27, s24
	s_lshl_b64 s[22:23], s[22:23], 2
	s_add_u32 s22, s2, s22
	s_waitcnt lgkmcnt(0)
	v_mul_f32_e32 v0, s18, v0
	s_addc_u32 s23, s16, s23
	global_store_dword v9, v0, s[22:23]
	s_branch .LBB559_62
.LBB559_84:
	s_endpgm
	.section	.rodata,"a",@progbits
	.p2align	6, 0x0
	.amdhsa_kernel _ZL23rocblas_gemvt_sn_kernelILb0ELi256ELi4Ei16rocblas_bfloat16ffEviiT4_lPKT3_lilS4_lilPT5_i
		.amdhsa_group_segment_fixed_size 256
		.amdhsa_private_segment_fixed_size 0
		.amdhsa_kernarg_size 360
		.amdhsa_user_sgpr_count 2
		.amdhsa_user_sgpr_dispatch_ptr 0
		.amdhsa_user_sgpr_queue_ptr 0
		.amdhsa_user_sgpr_kernarg_segment_ptr 1
		.amdhsa_user_sgpr_dispatch_id 0
		.amdhsa_user_sgpr_kernarg_preload_length 0
		.amdhsa_user_sgpr_kernarg_preload_offset 0
		.amdhsa_user_sgpr_private_segment_size 0
		.amdhsa_uses_dynamic_stack 0
		.amdhsa_enable_private_segment 0
		.amdhsa_system_sgpr_workgroup_id_x 1
		.amdhsa_system_sgpr_workgroup_id_y 0
		.amdhsa_system_sgpr_workgroup_id_z 1
		.amdhsa_system_sgpr_workgroup_info 0
		.amdhsa_system_vgpr_workitem_id 0
		.amdhsa_next_free_vgpr 64
		.amdhsa_next_free_sgpr 58
		.amdhsa_accum_offset 64
		.amdhsa_reserve_vcc 1
		.amdhsa_float_round_mode_32 0
		.amdhsa_float_round_mode_16_64 0
		.amdhsa_float_denorm_mode_32 3
		.amdhsa_float_denorm_mode_16_64 3
		.amdhsa_dx10_clamp 1
		.amdhsa_ieee_mode 1
		.amdhsa_fp16_overflow 0
		.amdhsa_tg_split 0
		.amdhsa_exception_fp_ieee_invalid_op 0
		.amdhsa_exception_fp_denorm_src 0
		.amdhsa_exception_fp_ieee_div_zero 0
		.amdhsa_exception_fp_ieee_overflow 0
		.amdhsa_exception_fp_ieee_underflow 0
		.amdhsa_exception_fp_ieee_inexact 0
		.amdhsa_exception_int_div_zero 0
	.end_amdhsa_kernel
	.section	.text._ZL23rocblas_gemvt_sn_kernelILb0ELi256ELi4Ei16rocblas_bfloat16ffEviiT4_lPKT3_lilS4_lilPT5_i,"axG",@progbits,_ZL23rocblas_gemvt_sn_kernelILb0ELi256ELi4Ei16rocblas_bfloat16ffEviiT4_lPKT3_lilS4_lilPT5_i,comdat
.Lfunc_end559:
	.size	_ZL23rocblas_gemvt_sn_kernelILb0ELi256ELi4Ei16rocblas_bfloat16ffEviiT4_lPKT3_lilS4_lilPT5_i, .Lfunc_end559-_ZL23rocblas_gemvt_sn_kernelILb0ELi256ELi4Ei16rocblas_bfloat16ffEviiT4_lPKT3_lilS4_lilPT5_i
                                        ; -- End function
	.section	.AMDGPU.csdata,"",@progbits
; Kernel info:
; codeLenInByte = 4068
; NumSgprs: 64
; NumVgprs: 64
; NumAgprs: 0
; TotalNumVgprs: 64
; ScratchSize: 0
; MemoryBound: 0
; FloatMode: 240
; IeeeMode: 1
; LDSByteSize: 256 bytes/workgroup (compile time only)
; SGPRBlocks: 7
; VGPRBlocks: 7
; NumSGPRsForWavesPerEU: 64
; NumVGPRsForWavesPerEU: 64
; AccumOffset: 64
; Occupancy: 8
; WaveLimiterHint : 1
; COMPUTE_PGM_RSRC2:SCRATCH_EN: 0
; COMPUTE_PGM_RSRC2:USER_SGPR: 2
; COMPUTE_PGM_RSRC2:TRAP_HANDLER: 0
; COMPUTE_PGM_RSRC2:TGID_X_EN: 1
; COMPUTE_PGM_RSRC2:TGID_Y_EN: 0
; COMPUTE_PGM_RSRC2:TGID_Z_EN: 1
; COMPUTE_PGM_RSRC2:TIDIG_COMP_CNT: 0
; COMPUTE_PGM_RSRC3_GFX90A:ACCUM_OFFSET: 15
; COMPUTE_PGM_RSRC3_GFX90A:TG_SPLIT: 0
	.section	.text._ZL23rocblas_gemvt_sn_kernelILb0ELi256ELi4El16rocblas_bfloat16ffEviiT4_lPKT3_lilS4_lilPT5_i,"axG",@progbits,_ZL23rocblas_gemvt_sn_kernelILb0ELi256ELi4El16rocblas_bfloat16ffEviiT4_lPKT3_lilS4_lilPT5_i,comdat
	.globl	_ZL23rocblas_gemvt_sn_kernelILb0ELi256ELi4El16rocblas_bfloat16ffEviiT4_lPKT3_lilS4_lilPT5_i ; -- Begin function _ZL23rocblas_gemvt_sn_kernelILb0ELi256ELi4El16rocblas_bfloat16ffEviiT4_lPKT3_lilS4_lilPT5_i
	.p2align	8
	.type	_ZL23rocblas_gemvt_sn_kernelILb0ELi256ELi4El16rocblas_bfloat16ffEviiT4_lPKT3_lilS4_lilPT5_i,@function
_ZL23rocblas_gemvt_sn_kernelILb0ELi256ELi4El16rocblas_bfloat16ffEviiT4_lPKT3_lilS4_lilPT5_i: ; @_ZL23rocblas_gemvt_sn_kernelILb0ELi256ELi4El16rocblas_bfloat16ffEviiT4_lPKT3_lilS4_lilPT5_i
; %bb.0:
	s_load_dwordx4 s[16:19], s[0:1], 0x0
	s_load_dwordx4 s[8:11], s[0:1], 0x50
	s_load_dword s28, s[0:1], 0x68
	s_mov_b32 s6, s3
	s_mov_b32 s29, 0
	s_waitcnt lgkmcnt(0)
	s_ashr_i32 s7, s17, 31
	s_mul_hi_u32 s3, s17, s3
	s_mul_i32 s4, s7, s6
	s_add_i32 s13, s3, s4
	s_mul_i32 s12, s17, s6
	s_mul_i32 s3, s13, s28
	s_mul_hi_u32 s4, s12, s28
	s_add_i32 s5, s4, s3
	s_mul_i32 s4, s12, s28
	s_lshl_b64 s[4:5], s[4:5], 2
	s_add_u32 s33, s10, s4
	s_addc_u32 s60, s11, s5
	v_cmp_neq_f32_e64 s[4:5], s18, 0
	s_and_b64 vcc, exec, s[4:5]
	v_cmp_eq_u32_e64 s[4:5], 0, v0
	s_cbranch_vccnz .LBB560_10
; %bb.1:
	s_cmp_gt_i32 s17, 0
	s_cselect_b64 s[14:15], -1, 0
	s_and_b64 s[14:15], s[4:5], s[14:15]
	s_and_saveexec_b64 s[4:5], s[14:15]
	s_cbranch_execz .LBB560_9
; %bb.2:
	s_cmp_gt_u32 s17, 1
	s_cselect_b64 s[14:15], -1, 0
	s_cmp_eq_u32 s28, 1
	s_cselect_b64 s[22:23], -1, 0
	s_mov_b32 s3, 0
	s_and_b64 s[14:15], s[14:15], s[22:23]
	s_mov_b64 s[20:21], -1
	s_andn2_b64 vcc, exec, s[14:15]
	s_mov_b32 s14, s3
	s_cbranch_vccnz .LBB560_6
; %bb.3:
	s_lshl_b64 s[14:15], s[2:3], 2
	s_add_u32 s20, s33, s14
	s_addc_u32 s21, s60, s15
	s_and_b32 s14, s17, 0x7ffffffe
	v_mov_b32_e32 v2, 0
	v_mov_b32_e32 v3, v2
	s_mov_b32 s15, s14
.LBB560_4:                              ; =>This Inner Loop Header: Depth=1
	global_store_dwordx2 v2, v[2:3], s[20:21]
	s_add_u32 s20, s20, 8
	s_addc_u32 s21, s21, 0
	s_add_i32 s15, s15, -2
	s_cmp_lg_u32 s15, 0
	s_cbranch_scc1 .LBB560_4
; %bb.5:
	s_cmp_lg_u32 s14, s17
	s_cselect_b64 s[20:21], -1, 0
.LBB560_6:
	s_and_b64 vcc, exec, s[20:21]
	s_cbranch_vccz .LBB560_9
; %bb.7:
	s_mov_b32 s15, 0
	s_sub_i32 s19, s17, s14
	s_lshl_b64 s[12:13], s[12:13], 2
	s_lshl_b64 s[14:15], s[14:15], 2
	s_add_u32 s12, s12, s14
	s_addc_u32 s13, s13, s15
	s_mul_i32 s13, s13, s28
	s_mul_hi_u32 s14, s12, s28
	s_add_i32 s14, s14, s13
	s_mul_i32 s15, s12, s28
	s_lshl_b64 s[12:13], s[2:3], 2
	s_add_u32 s3, s15, s12
	s_addc_u32 s12, s14, s13
	s_add_u32 s10, s10, s3
	s_addc_u32 s11, s11, s12
	s_lshl_b64 s[12:13], s[28:29], 2
	v_mov_b32_e32 v1, 0
.LBB560_8:                              ; =>This Inner Loop Header: Depth=1
	s_add_i32 s19, s19, -1
	global_store_dword v1, v1, s[10:11]
	s_add_u32 s10, s10, s12
	s_addc_u32 s11, s11, s13
	s_cmp_eq_u32 s19, 0
	s_cbranch_scc0 .LBB560_8
.LBB560_9:
	s_or_b64 exec, exec, s[4:5]
	s_cbranch_execz .LBB560_11
	s_branch .LBB560_84
.LBB560_10:
.LBB560_11:
	s_load_dword s30, s[0:1], 0x28
	s_load_dword s34, s[0:1], 0x48
	s_load_dwordx4 s[20:23], s[0:1], 0x18
	s_load_dwordx4 s[24:27], s[0:1], 0x30
	s_load_dwordx2 s[4:5], s[0:1], 0x40
	s_mul_i32 s0, s6, s9
	s_mul_hi_u32 s1, s6, s8
	s_add_i32 s1, s1, s0
	s_mul_i32 s0, s6, s8
	s_waitcnt lgkmcnt(0)
	s_ashr_i32 s31, s30, 31
	s_ashr_i32 s35, s34, 31
	s_lshl_b64 s[36:37], s[0:1], 1
	s_add_u32 s0, s26, s36
	s_addc_u32 s1, s27, s37
	s_lshl_b64 s[38:39], s[4:5], 1
	s_add_u32 s40, s0, s38
	s_addc_u32 s41, s1, s39
	s_mul_i32 s0, s6, s25
	s_mul_hi_u32 s1, s6, s24
	s_add_i32 s1, s1, s0
	s_mul_i32 s0, s6, s24
	s_lshl_b64 s[24:25], s[0:1], 1
	s_add_u32 s0, s20, s24
	s_addc_u32 s1, s21, s25
	s_lshl_b64 s[22:23], s[22:23], 1
	s_add_u32 s0, s0, s22
	s_addc_u32 s1, s1, s23
	s_lshl_b32 s3, s2, 10
	v_lshl_or_b32 v8, v0, 2, s3
	v_ashrrev_i32_e32 v9, 31, v8
	v_lshl_add_u64 v[6:7], v[8:9], 1, s[0:1]
	s_lshr_b32 s0, s7, 30
	s_add_i32 s0, s17, s0
	s_and_b32 s29, s0, -4
	s_ashr_i32 s0, s16, 31
	s_lshr_b32 s0, s0, 30
	s_add_i32 s0, s16, s0
	s_and_b32 s0, s0, -4
	s_sub_i32 s19, s16, s0
	s_cmp_lt_i32 s29, 1
	v_add_u32_e32 v33, 4, v8
	v_add_u32_e32 v34, s19, v8
	v_and_b32_e32 v30, 63, v0
	v_cmp_gt_u32_e64 s[0:1], 64, v0
	v_mbcnt_lo_u32_b32 v32, -1, 0
	v_cmp_gt_u32_e64 s[4:5], 4, v0
	v_lshrrev_b32_e32 v31, 4, v0
	v_or_b32_e32 v29, 1, v8
	v_or_b32_e32 v28, 2, v8
	;; [unrolled: 1-line block ×3, first 2 shown]
	s_cbranch_scc1 .LBB560_59
; %bb.12:
	v_mbcnt_hi_u32_b32 v2, -1, v32
	v_and_b32_e32 v3, 63, v2
	v_cmp_gt_u32_e32 vcc, 32, v3
	s_mov_b32 s3, 0
	s_cmp_gt_i32 s19, 0
	v_cndmask_b32_e64 v4, 0, 1, vcc
	v_lshlrev_b32_e32 v4, 5, v4
	v_cmp_gt_u32_e32 vcc, 48, v3
	v_add_lshl_u32 v35, v4, v2, 2
	s_cselect_b64 s[42:43], -1, 0
	v_cndmask_b32_e64 v4, 0, 1, vcc
	v_lshlrev_b32_e32 v4, 4, v4
	v_cmp_gt_u32_e32 vcc, 56, v3
	v_add_lshl_u32 v36, v4, v2, 2
	s_lshl_b64 s[14:15], s[2:3], 2
	v_cndmask_b32_e64 v4, 0, 1, vcc
	v_lshlrev_b32_e32 v4, 3, v4
	v_cmp_gt_u32_e32 vcc, 60, v3
	v_add_lshl_u32 v37, v4, v2, 2
	s_add_u32 s61, s33, s14
	v_cndmask_b32_e64 v4, 0, 1, vcc
	v_lshlrev_b32_e32 v4, 2, v4
	v_cmp_gt_u32_e32 vcc, 62, v3
	v_add_lshl_u32 v38, v4, v2, 2
	s_addc_u32 s62, s60, s15
	v_cndmask_b32_e64 v4, 0, 1, vcc
	v_lshlrev_b32_e32 v4, 1, v4
	v_add_lshl_u32 v39, v4, v2, 2
	v_cmp_ne_u32_e32 vcc, 63, v3
	v_mad_i64_i32 v[4:5], s[14:15], s34, v29, 0
	s_nop 0
	v_addc_co_u32_e32 v2, vcc, 0, v2, vcc
	v_lshl_add_u64 v[12:13], v[4:5], 1, s[40:41]
	v_mad_i64_i32 v[4:5], s[14:15], s34, v28, 0
	v_lshlrev_b32_e32 v40, 2, v2
	v_mad_i64_i32 v[2:3], s[14:15], s34, v8, 0
	v_lshl_add_u64 v[14:15], v[4:5], 1, s[40:41]
	v_mad_i64_i32 v[4:5], s[14:15], s34, v1, 0
	s_add_u32 s14, s26, s38
	s_addc_u32 s15, s27, s39
	s_add_u32 s14, s14, s36
	v_lshlrev_b64 v[2:3], 1, v[2:3]
	s_addc_u32 s15, s15, s37
	v_cmp_ge_i32_e64 s[6:7], s16, v33
	v_cmp_ge_i32_e64 s[8:9], s16, v34
	v_cmp_eq_u32_e64 s[10:11], 0, v30
	v_lshlrev_b32_e32 v41, 2, v30
	v_and_b32_e32 v42, 12, v31
	v_cmp_eq_u32_e64 s[12:13], 0, v0
	v_lshl_add_u64 v[10:11], s[40:41], 0, v[2:3]
	v_lshl_add_u64 v[16:17], v[4:5], 1, s[40:41]
	;; [unrolled: 1-line block ×3, first 2 shown]
	s_lshl_b64 s[44:45], s[34:35], 1
	s_lshl_b64 s[46:47], s[30:31], 3
	;; [unrolled: 1-line block ×4, first 2 shown]
	s_mul_hi_i32 s53, s30, 6
	s_mul_i32 s52, s30, 6
	v_mov_b32_e32 v43, 0
	v_mov_b64_e32 v[20:21], v[6:7]
                                        ; implicit-def: $vgpr2_vgpr3_vgpr4_vgpr5
	s_branch .LBB560_14
.LBB560_13:                             ;   in Loop: Header=BB560_14 Depth=1
	s_or_b64 exec, exec, s[14:15]
	s_add_i32 s3, s3, 4
	s_cmp_ge_i32 s3, s29
	v_lshl_add_u64 v[20:21], v[20:21], 0, s[46:47]
	s_cbranch_scc1 .LBB560_60
.LBB560_14:                             ; =>This Loop Header: Depth=1
                                        ;     Child Loop BB560_45 Depth 2
                                        ;     Child Loop BB560_48 Depth 2
                                        ; implicit-def: $vgpr23
                                        ; implicit-def: $vgpr25
	s_and_saveexec_b64 s[14:15], s[6:7]
	s_xor_b64 s[14:15], exec, s[14:15]
	s_cbranch_execnz .LBB560_41
; %bb.15:                               ;   in Loop: Header=BB560_14 Depth=1
	s_andn2_saveexec_b64 s[54:55], s[14:15]
	s_cbranch_execnz .LBB560_42
.LBB560_16:                             ;   in Loop: Header=BB560_14 Depth=1
	s_or_b64 exec, exec, s[54:55]
	s_and_saveexec_b64 s[14:15], s[0:1]
	s_cbranch_execz .LBB560_18
.LBB560_17:                             ;   in Loop: Header=BB560_14 Depth=1
	ds_write_b32 v41, v43
.LBB560_18:                             ;   in Loop: Header=BB560_14 Depth=1
	s_or_b64 exec, exec, s[14:15]
	ds_bpermute_b32 v26, v35, v24
	s_waitcnt lgkmcnt(0)
	s_barrier
	v_add_f32_e32 v24, v24, v26
	ds_bpermute_b32 v26, v36, v24
	s_waitcnt lgkmcnt(0)
	v_add_f32_e32 v24, v24, v26
	ds_bpermute_b32 v26, v37, v24
	s_waitcnt lgkmcnt(0)
	;; [unrolled: 3-line block ×4, first 2 shown]
	v_add_f32_e32 v24, v24, v26
	ds_bpermute_b32 v26, v40, v24
	s_and_saveexec_b64 s[14:15], s[10:11]
	s_cbranch_execz .LBB560_20
; %bb.19:                               ;   in Loop: Header=BB560_14 Depth=1
	s_waitcnt lgkmcnt(0)
	v_add_f32_e32 v24, v24, v26
	ds_write_b32 v42, v24
.LBB560_20:                             ;   in Loop: Header=BB560_14 Depth=1
	s_or_b64 exec, exec, s[14:15]
	v_mov_b32_e32 v24, 0
	s_waitcnt lgkmcnt(0)
	s_barrier
	s_and_saveexec_b64 s[14:15], s[4:5]
	s_cbranch_execnz .LBB560_50
; %bb.21:                               ;   in Loop: Header=BB560_14 Depth=1
	s_or_b64 exec, exec, s[14:15]
	s_and_saveexec_b64 s[14:15], s[0:1]
	s_cbranch_execnz .LBB560_51
.LBB560_22:                             ;   in Loop: Header=BB560_14 Depth=1
	s_or_b64 exec, exec, s[14:15]
	s_and_saveexec_b64 s[14:15], s[0:1]
	s_cbranch_execz .LBB560_24
.LBB560_23:                             ;   in Loop: Header=BB560_14 Depth=1
	ds_write_b32 v41, v43
.LBB560_24:                             ;   in Loop: Header=BB560_14 Depth=1
	s_or_b64 exec, exec, s[14:15]
	ds_bpermute_b32 v26, v35, v25
	s_waitcnt lgkmcnt(0)
	s_barrier
	v_add_f32_e32 v25, v25, v26
	ds_bpermute_b32 v26, v36, v25
	s_waitcnt lgkmcnt(0)
	v_add_f32_e32 v25, v25, v26
	ds_bpermute_b32 v26, v37, v25
	s_waitcnt lgkmcnt(0)
	;; [unrolled: 3-line block ×4, first 2 shown]
	v_add_f32_e32 v25, v25, v26
	ds_bpermute_b32 v26, v40, v25
	s_and_saveexec_b64 s[14:15], s[10:11]
	s_cbranch_execz .LBB560_26
; %bb.25:                               ;   in Loop: Header=BB560_14 Depth=1
	s_waitcnt lgkmcnt(0)
	v_add_f32_e32 v25, v25, v26
	ds_write_b32 v42, v25
.LBB560_26:                             ;   in Loop: Header=BB560_14 Depth=1
	s_or_b64 exec, exec, s[14:15]
	v_mov_b32_e32 v25, 0
	s_waitcnt lgkmcnt(0)
	s_barrier
	s_and_saveexec_b64 s[14:15], s[4:5]
	s_cbranch_execnz .LBB560_52
; %bb.27:                               ;   in Loop: Header=BB560_14 Depth=1
	s_or_b64 exec, exec, s[14:15]
	s_and_saveexec_b64 s[14:15], s[0:1]
	s_cbranch_execnz .LBB560_53
.LBB560_28:                             ;   in Loop: Header=BB560_14 Depth=1
	s_or_b64 exec, exec, s[14:15]
	s_and_saveexec_b64 s[14:15], s[0:1]
	s_cbranch_execz .LBB560_30
.LBB560_29:                             ;   in Loop: Header=BB560_14 Depth=1
	ds_write_b32 v41, v43
.LBB560_30:                             ;   in Loop: Header=BB560_14 Depth=1
	s_or_b64 exec, exec, s[14:15]
	ds_bpermute_b32 v26, v35, v22
	s_waitcnt lgkmcnt(0)
	s_barrier
	v_add_f32_e32 v22, v22, v26
	ds_bpermute_b32 v26, v36, v22
	s_waitcnt lgkmcnt(0)
	v_add_f32_e32 v22, v22, v26
	ds_bpermute_b32 v26, v37, v22
	s_waitcnt lgkmcnt(0)
	;; [unrolled: 3-line block ×4, first 2 shown]
	v_add_f32_e32 v22, v22, v26
	ds_bpermute_b32 v26, v40, v22
	s_and_saveexec_b64 s[14:15], s[10:11]
	s_cbranch_execz .LBB560_32
; %bb.31:                               ;   in Loop: Header=BB560_14 Depth=1
	s_waitcnt lgkmcnt(0)
	v_add_f32_e32 v22, v22, v26
	ds_write_b32 v42, v22
.LBB560_32:                             ;   in Loop: Header=BB560_14 Depth=1
	s_or_b64 exec, exec, s[14:15]
	v_mov_b32_e32 v22, 0
	s_waitcnt lgkmcnt(0)
	s_barrier
	s_and_saveexec_b64 s[14:15], s[4:5]
	s_cbranch_execnz .LBB560_54
; %bb.33:                               ;   in Loop: Header=BB560_14 Depth=1
	s_or_b64 exec, exec, s[14:15]
	s_and_saveexec_b64 s[14:15], s[0:1]
	s_cbranch_execnz .LBB560_55
.LBB560_34:                             ;   in Loop: Header=BB560_14 Depth=1
	s_or_b64 exec, exec, s[14:15]
	s_and_saveexec_b64 s[14:15], s[0:1]
	s_cbranch_execz .LBB560_36
.LBB560_35:                             ;   in Loop: Header=BB560_14 Depth=1
	ds_write_b32 v41, v43
.LBB560_36:                             ;   in Loop: Header=BB560_14 Depth=1
	s_or_b64 exec, exec, s[14:15]
	ds_bpermute_b32 v26, v35, v23
	s_waitcnt lgkmcnt(0)
	s_barrier
	v_add_f32_e32 v23, v23, v26
	ds_bpermute_b32 v26, v36, v23
	s_waitcnt lgkmcnt(0)
	v_add_f32_e32 v23, v23, v26
	ds_bpermute_b32 v26, v37, v23
	s_waitcnt lgkmcnt(0)
	;; [unrolled: 3-line block ×4, first 2 shown]
	v_add_f32_e32 v23, v23, v26
	ds_bpermute_b32 v26, v40, v23
	s_and_saveexec_b64 s[14:15], s[10:11]
	s_cbranch_execz .LBB560_38
; %bb.37:                               ;   in Loop: Header=BB560_14 Depth=1
	s_waitcnt lgkmcnt(0)
	v_add_f32_e32 v23, v23, v26
	ds_write_b32 v42, v23
.LBB560_38:                             ;   in Loop: Header=BB560_14 Depth=1
	s_or_b64 exec, exec, s[14:15]
	v_mov_b32_e32 v23, 0
	s_waitcnt lgkmcnt(0)
	s_barrier
	s_and_saveexec_b64 s[14:15], s[4:5]
	s_cbranch_execnz .LBB560_56
; %bb.39:                               ;   in Loop: Header=BB560_14 Depth=1
	s_or_b64 exec, exec, s[14:15]
	s_and_saveexec_b64 s[14:15], s[0:1]
	s_cbranch_execnz .LBB560_57
.LBB560_40:                             ;   in Loop: Header=BB560_14 Depth=1
	s_or_b64 exec, exec, s[14:15]
	s_and_saveexec_b64 s[14:15], s[12:13]
	s_cbranch_execz .LBB560_13
	s_branch .LBB560_58
.LBB560_41:                             ;   in Loop: Header=BB560_14 Depth=1
	s_mul_i32 s54, s3, s31
	s_mul_hi_u32 s55, s3, s30
	s_add_i32 s55, s55, s54
	s_mul_i32 s54, s3, s30
	v_lshl_add_u64 v[2:3], s[54:55], 1, v[6:7]
	s_or_b32 s54, s3, 2
	s_mul_i32 s55, s54, s31
	s_mul_hi_u32 s57, s54, s30
	s_add_i32 s55, s57, s55
	s_mul_i32 s54, s54, s30
	s_waitcnt lgkmcnt(0)
	global_load_dwordx2 v[22:23], v[2:3], off
	v_lshl_add_u64 v[2:3], s[54:55], 1, v[6:7]
	s_or_b32 s54, s3, 3
	s_mul_i32 s55, s54, s31
	s_mul_hi_u32 s57, s54, s30
	s_or_b32 s56, s3, 1
	s_add_i32 s55, s57, s55
	s_mul_i32 s54, s54, s30
	global_load_ushort v4, v[10:11], off
	global_load_ushort v5, v[12:13], off
	;; [unrolled: 1-line block ×4, first 2 shown]
	global_load_dwordx2 v[24:25], v[2:3], off
	v_lshl_add_u64 v[2:3], s[54:55], 1, v[6:7]
	s_mul_i32 s54, s56, s31
	s_mul_hi_u32 s55, s56, s30
	global_load_dwordx2 v[26:27], v[2:3], off
	s_add_i32 s55, s55, s54
	s_mul_i32 s54, s56, s30
	v_lshl_add_u64 v[2:3], s[54:55], 1, v[6:7]
	global_load_dwordx2 v[44:45], v[2:3], off
	s_waitcnt vmcnt(7)
	v_lshlrev_b32_e32 v56, 16, v22
	v_and_b32_e32 v22, 0xffff0000, v22
	v_lshlrev_b32_e32 v58, 16, v23
	v_and_b32_e32 v60, 0xffff0000, v23
	s_waitcnt vmcnt(6)
	v_lshlrev_b32_e32 v2, 16, v4
	s_waitcnt vmcnt(5)
	v_lshlrev_b32_e32 v47, 16, v5
	;; [unrolled: 2-line block ×5, first 2 shown]
	v_lshlrev_b32_e32 v62, 16, v25
	v_and_b32_e32 v25, 0xffff0000, v25
	v_and_b32_e32 v55, 0xffff0000, v24
	s_waitcnt vmcnt(1)
	v_and_b32_e32 v3, 0xffff0000, v26
	v_lshlrev_b32_e32 v46, 16, v26
	v_and_b32_e32 v49, 0xffff0000, v27
	v_lshlrev_b32_e32 v50, 16, v27
	v_pk_mul_f32 v[26:27], v[46:47], v[2:3]
	s_waitcnt vmcnt(0)
	v_lshlrev_b32_e32 v57, 16, v44
	v_mul_f32_e32 v24, v2, v53
	v_mov_b32_e32 v3, v47
	v_mul_f32_e32 v46, v48, v62
	v_pk_mul_f32 v[62:63], v[50:51], v[48:49]
	v_mul_f32_e32 v50, v51, v25
	v_mov_b32_e32 v25, v26
	v_mov_b32_e32 v52, v47
	v_and_b32_e32 v23, 0xffff0000, v44
	v_lshlrev_b32_e32 v59, 16, v45
	v_and_b32_e32 v61, 0xffff0000, v45
	v_mul_f32_e32 v44, v47, v55
	v_mov_b32_e32 v45, v27
	v_pk_fma_f32 v[26:27], v[2:3], v[56:57], 0 op_sel_hi:[0,1,0]
	v_pk_add_f32 v[24:25], v[24:25], 0 op_sel_hi:[1,0]
	v_mov_b32_e32 v47, v62
	v_pk_fma_f32 v[22:23], v[52:53], v[22:23], v[26:27] op_sel_hi:[0,1,1]
	v_pk_add_f32 v[24:25], v[24:25], v[44:45]
	v_mov_b32_e32 v5, v51
	v_mov_b32_e32 v54, v51
	;; [unrolled: 1-line block ×3, first 2 shown]
	v_pk_fma_f32 v[26:27], v[48:49], v[58:59], v[22:23] op_sel_hi:[0,1,1]
	v_pk_add_f32 v[22:23], v[24:25], v[46:47]
	v_mov_b32_e32 v4, v48
	v_pk_add_f32 v[22:23], v[22:23], v[50:51]
	v_pk_fma_f32 v[24:25], v[54:55], v[60:61], v[26:27] op_sel_hi:[0,1,1]
	s_andn2_saveexec_b64 s[54:55], s[14:15]
	s_cbranch_execz .LBB560_16
.LBB560_42:                             ;   in Loop: Header=BB560_14 Depth=1
	s_waitcnt lgkmcnt(0)
	v_mov_b32_e32 v23, 0
	v_mov_b32_e32 v22, 0
	v_mov_b32_e32 v25, 0
	v_mov_b32_e32 v24, 0
	s_and_saveexec_b64 s[56:57], s[8:9]
	s_cbranch_execz .LBB560_49
; %bb.43:                               ;   in Loop: Header=BB560_14 Depth=1
	v_cndmask_b32_e64 v22, 0, 1, s[42:43]
	v_cmp_ne_u32_e64 s[14:15], 1, v22
	s_andn2_b64 vcc, exec, s[42:43]
	s_cbranch_vccnz .LBB560_46
; %bb.44:                               ;   in Loop: Header=BB560_14 Depth=1
	s_mov_b64 s[58:59], 0
	v_mov_b64_e32 v[22:23], v[18:19]
.LBB560_45:                             ;   Parent Loop BB560_14 Depth=1
                                        ; =>  This Inner Loop Header: Depth=2
	global_load_ushort v24, v[22:23], off
	s_cmp_eq_u32 s58, 3
	s_cselect_b64 vcc, -1, 0
	s_cmp_eq_u32 s58, 2
	v_lshl_add_u64 v[22:23], v[22:23], 0, s[44:45]
	s_waitcnt vmcnt(0)
	v_lshlrev_b32_e32 v24, 16, v24
	v_cndmask_b32_e32 v5, v5, v24, vcc
	s_cselect_b64 vcc, -1, 0
	s_cmp_eq_u32 s58, 1
	v_cndmask_b32_e32 v4, v4, v24, vcc
	s_cselect_b64 vcc, -1, 0
	s_cmp_eq_u32 s58, 0
	v_cndmask_b32_e32 v3, v3, v24, vcc
	s_cselect_b64 vcc, -1, 0
	s_add_u32 s58, s58, 1
	s_addc_u32 s59, s59, 0
	s_cmp_eq_u32 s19, s58
	v_cndmask_b32_e32 v2, v2, v24, vcc
	s_cbranch_scc0 .LBB560_45
.LBB560_46:                             ;   in Loop: Header=BB560_14 Depth=1
	v_mov_b32_e32 v23, 0
	s_and_b64 vcc, exec, s[14:15]
	v_mov_b32_e32 v22, v23
	v_mov_b32_e32 v25, v23
	;; [unrolled: 1-line block ×3, first 2 shown]
	s_cbranch_vccnz .LBB560_49
; %bb.47:                               ;   in Loop: Header=BB560_14 Depth=1
	v_mov_b32_e32 v24, 0
	s_mov_b64 s[14:15], 0
	v_mov_b64_e32 v[26:27], v[20:21]
	v_mov_b32_e32 v25, v24
	v_mov_b32_e32 v22, v24
	;; [unrolled: 1-line block ×3, first 2 shown]
.LBB560_48:                             ;   Parent Loop BB560_14 Depth=1
                                        ; =>  This Inner Loop Header: Depth=2
	v_lshl_add_u64 v[44:45], v[26:27], 0, s[48:49]
	v_lshl_add_u64 v[48:49], v[26:27], 0, s[52:53]
	;; [unrolled: 1-line block ×3, first 2 shown]
	global_load_ushort v50, v[26:27], off
	s_nop 0
	global_load_ushort v45, v[44:45], off
	s_nop 0
	global_load_ushort v48, v[48:49], off
	s_nop 0
	global_load_ushort v51, v[46:47], off
	s_cmp_eq_u32 s14, 1
	s_cselect_b64 vcc, -1, 0
	s_cmp_eq_u32 s14, 2
	v_cndmask_b32_e32 v44, v2, v3, vcc
	s_cselect_b64 vcc, -1, 0
	s_cmp_eq_u32 s14, 3
	v_cndmask_b32_e32 v44, v44, v4, vcc
	s_cselect_b64 vcc, -1, 0
	s_add_u32 s14, s14, 1
	v_cndmask_b32_e32 v44, v44, v5, vcc
	s_addc_u32 s15, s15, 0
	v_lshl_add_u64 v[26:27], v[26:27], 0, 2
	s_cmp_lg_u32 s19, s14
	s_waitcnt vmcnt(3)
	v_lshlrev_b32_e32 v46, 16, v50
	s_waitcnt vmcnt(2)
	v_lshlrev_b32_e32 v47, 16, v45
	;; [unrolled: 2-line block ×4, first 2 shown]
	v_pk_fma_f32 v[24:25], v[44:45], v[46:47], v[24:25] op_sel_hi:[0,1,1]
	v_pk_fma_f32 v[22:23], v[44:45], v[48:49], v[22:23] op_sel_hi:[0,1,1]
	s_cbranch_scc1 .LBB560_48
.LBB560_49:                             ;   in Loop: Header=BB560_14 Depth=1
	s_or_b64 exec, exec, s[56:57]
	s_or_b64 exec, exec, s[54:55]
	s_and_saveexec_b64 s[14:15], s[0:1]
	s_cbranch_execnz .LBB560_17
	s_branch .LBB560_18
.LBB560_50:                             ;   in Loop: Header=BB560_14 Depth=1
	ds_read_b32 v24, v41
	s_or_b64 exec, exec, s[14:15]
	s_and_saveexec_b64 s[14:15], s[0:1]
	s_cbranch_execz .LBB560_22
.LBB560_51:                             ;   in Loop: Header=BB560_14 Depth=1
	s_waitcnt lgkmcnt(0)
	ds_bpermute_b32 v26, v39, v24
	s_waitcnt lgkmcnt(0)
	v_add_f32_e32 v24, v24, v26
	ds_bpermute_b32 v26, v40, v24
	s_waitcnt lgkmcnt(0)
	v_add_f32_e32 v24, v24, v26
	s_or_b64 exec, exec, s[14:15]
	s_and_saveexec_b64 s[14:15], s[0:1]
	s_cbranch_execnz .LBB560_23
	s_branch .LBB560_24
.LBB560_52:                             ;   in Loop: Header=BB560_14 Depth=1
	ds_read_b32 v25, v41
	s_or_b64 exec, exec, s[14:15]
	s_and_saveexec_b64 s[14:15], s[0:1]
	s_cbranch_execz .LBB560_28
.LBB560_53:                             ;   in Loop: Header=BB560_14 Depth=1
	s_waitcnt lgkmcnt(0)
	ds_bpermute_b32 v26, v39, v25
	s_waitcnt lgkmcnt(0)
	v_add_f32_e32 v25, v25, v26
	ds_bpermute_b32 v26, v40, v25
	s_waitcnt lgkmcnt(0)
	v_add_f32_e32 v25, v25, v26
	s_or_b64 exec, exec, s[14:15]
	s_and_saveexec_b64 s[14:15], s[0:1]
	s_cbranch_execnz .LBB560_29
	s_branch .LBB560_30
.LBB560_54:                             ;   in Loop: Header=BB560_14 Depth=1
	ds_read_b32 v22, v41
	s_or_b64 exec, exec, s[14:15]
	s_and_saveexec_b64 s[14:15], s[0:1]
	s_cbranch_execz .LBB560_34
.LBB560_55:                             ;   in Loop: Header=BB560_14 Depth=1
	s_waitcnt lgkmcnt(0)
	ds_bpermute_b32 v26, v39, v22
	s_waitcnt lgkmcnt(0)
	v_add_f32_e32 v22, v22, v26
	ds_bpermute_b32 v26, v40, v22
	s_waitcnt lgkmcnt(0)
	v_add_f32_e32 v22, v22, v26
	s_or_b64 exec, exec, s[14:15]
	s_and_saveexec_b64 s[14:15], s[0:1]
	s_cbranch_execnz .LBB560_35
	s_branch .LBB560_36
.LBB560_56:                             ;   in Loop: Header=BB560_14 Depth=1
	ds_read_b32 v23, v41
	s_or_b64 exec, exec, s[14:15]
	s_and_saveexec_b64 s[14:15], s[0:1]
	s_cbranch_execz .LBB560_40
.LBB560_57:                             ;   in Loop: Header=BB560_14 Depth=1
	s_waitcnt lgkmcnt(0)
	ds_bpermute_b32 v26, v39, v23
	s_waitcnt lgkmcnt(0)
	v_add_f32_e32 v23, v23, v26
	ds_bpermute_b32 v26, v40, v23
	s_waitcnt lgkmcnt(0)
	v_add_f32_e32 v23, v23, v26
	s_or_b64 exec, exec, s[14:15]
	s_and_saveexec_b64 s[14:15], s[12:13]
	s_cbranch_execz .LBB560_13
.LBB560_58:                             ;   in Loop: Header=BB560_14 Depth=1
	s_mul_hi_u32 s55, s3, s28
	s_mul_i32 s54, s3, s28
	s_lshl_b64 s[54:55], s[54:55], 2
	s_add_u32 s54, s61, s54
	v_mul_f32_e32 v24, s18, v24
	s_addc_u32 s55, s62, s55
	global_store_dword v43, v24, s[54:55]
	s_or_b32 s54, s3, 1
	s_mul_hi_u32 s55, s54, s28
	s_mul_i32 s54, s54, s28
	s_lshl_b64 s[54:55], s[54:55], 2
	s_add_u32 s54, s61, s54
	v_mul_f32_e32 v24, s18, v25
	s_addc_u32 s55, s62, s55
	global_store_dword v43, v24, s[54:55]
	s_or_b32 s54, s3, 2
	;; [unrolled: 8-line block ×3, first 2 shown]
	s_mul_hi_u32 s55, s54, s28
	s_mul_i32 s54, s54, s28
	s_lshl_b64 s[54:55], s[54:55], 2
	s_add_u32 s54, s61, s54
	s_waitcnt lgkmcnt(0)
	v_mul_f32_e32 v22, s18, v23
	s_addc_u32 s55, s62, s55
	global_store_dword v43, v22, s[54:55]
	s_branch .LBB560_13
.LBB560_59:
	s_mov_b32 s3, 0
                                        ; implicit-def: $vgpr2_vgpr3_vgpr4_vgpr5
.LBB560_60:
	s_cmp_ge_i32 s3, s17
	s_cbranch_scc1 .LBB560_84
; %bb.61:
	v_mbcnt_hi_u32_b32 v10, -1, v32
	v_and_b32_e32 v11, 63, v10
	v_cmp_gt_u32_e32 vcc, 32, v11
	s_mov_b32 s43, 0
	s_cmp_gt_i32 s19, 0
	v_cndmask_b32_e64 v12, 0, 1, vcc
	v_lshlrev_b32_e32 v12, 5, v12
	v_cmp_gt_u32_e32 vcc, 48, v11
	s_waitcnt lgkmcnt(0)
	v_add_lshl_u32 v23, v12, v10, 2
	s_mov_b32 s42, s2
	v_cndmask_b32_e64 v12, 0, 1, vcc
	v_lshlrev_b32_e32 v12, 4, v12
	v_cmp_gt_u32_e32 vcc, 56, v11
	v_add_lshl_u32 v24, v12, v10, 2
	s_cselect_b64 s[44:45], -1, 0
	v_cndmask_b32_e64 v12, 0, 1, vcc
	v_lshlrev_b32_e32 v12, 3, v12
	v_cmp_gt_u32_e32 vcc, 60, v11
	v_add_lshl_u32 v25, v12, v10, 2
	s_lshl_b64 s[14:15], s[42:43], 2
	v_cndmask_b32_e64 v12, 0, 1, vcc
	v_lshlrev_b32_e32 v12, 2, v12
	v_cmp_gt_u32_e32 vcc, 62, v11
	v_add_lshl_u32 v26, v12, v10, 2
	s_add_u32 s2, s33, s14
	v_cndmask_b32_e64 v12, 0, 1, vcc
	v_lshlrev_b32_e32 v12, 1, v12
	v_cmp_ne_u32_e32 vcc, 63, v11
	v_add_lshl_u32 v27, v12, v10, 2
	v_cmp_ge_i32_e64 s[0:1], s16, v33
	v_addc_co_u32_e32 v10, vcc, 0, v10, vcc
	v_cmp_ge_i32_e64 s[4:5], s16, v34
	v_cmp_gt_u32_e64 s[6:7], 64, v0
	v_lshlrev_b32_e32 v32, 2, v10
	v_cmp_gt_u32_e64 s[10:11], 4, v0
	v_cmp_eq_u32_e64 s[12:13], 0, v0
	s_addc_u32 s16, s60, s15
	v_mad_i64_i32 v[10:11], s[14:15], s34, v8, 0
	v_mad_i64_i32 v[12:13], s[14:15], s34, v29, 0
	v_mad_i64_i32 v[14:15], s[14:15], s34, v28, 0
	v_mad_i64_i32 v[0:1], s[14:15], s34, v1, 0
	s_add_u32 s14, s26, s38
	s_addc_u32 s15, s27, s39
	s_add_u32 s14, s14, s36
	v_lshlrev_b64 v[18:19], 1, v[10:11]
	s_addc_u32 s15, s15, s37
	v_lshl_add_u64 v[10:11], s[40:41], 0, v[18:19]
	v_lshl_add_u64 v[18:19], s[14:15], 0, v[18:19]
	s_mul_i32 s14, s31, s3
	s_mul_hi_u32 s15, s30, s3
	s_add_i32 s15, s15, s14
	s_mul_i32 s14, s30, s3
	s_lshl_b64 s[26:27], s[34:35], 1
	s_lshl_b64 s[14:15], s[14:15], 1
	s_add_u32 s14, s24, s14
	s_addc_u32 s15, s25, s15
	s_add_u32 s14, s14, s22
	s_addc_u32 s15, s15, s23
	;; [unrolled: 2-line block ×3, first 2 shown]
	v_lshlrev_b32_e32 v22, 2, v30
	v_cmp_eq_u32_e64 s[8:9], 0, v30
	v_and_b32_e32 v30, 12, v31
	v_lshl_add_u64 v[12:13], v[12:13], 1, s[40:41]
	v_lshl_add_u64 v[14:15], v[14:15], 1, s[40:41]
	v_lshl_add_u64 v[16:17], v[0:1], 1, s[40:41]
	v_lshl_add_u64 v[8:9], v[8:9], 1, s[14:15]
	s_lshl_b64 s[20:21], s[30:31], 1
	v_mov_b32_e32 v1, 0
	s_branch .LBB560_63
.LBB560_62:                             ;   in Loop: Header=BB560_63 Depth=1
	s_or_b64 exec, exec, s[14:15]
	s_add_i32 s3, s3, 1
	s_cmp_ge_i32 s3, s17
	v_lshl_add_u64 v[8:9], v[8:9], 0, s[20:21]
	s_cbranch_scc1 .LBB560_84
.LBB560_63:                             ; =>This Loop Header: Depth=1
                                        ;     Child Loop BB560_76 Depth 2
                                        ;     Child Loop BB560_79 Depth 2
	s_waitcnt lgkmcnt(0)
	v_mov_b32_e32 v0, s43
	s_and_saveexec_b64 s[14:15], s[0:1]
	s_xor_b64 s[14:15], exec, s[14:15]
	s_cbranch_execnz .LBB560_72
; %bb.64:                               ;   in Loop: Header=BB560_63 Depth=1
	s_andn2_saveexec_b64 s[22:23], s[14:15]
	s_cbranch_execnz .LBB560_73
.LBB560_65:                             ;   in Loop: Header=BB560_63 Depth=1
	s_or_b64 exec, exec, s[22:23]
	s_and_saveexec_b64 s[14:15], s[6:7]
	s_cbranch_execz .LBB560_67
.LBB560_66:                             ;   in Loop: Header=BB560_63 Depth=1
	ds_write_b32 v22, v1
.LBB560_67:                             ;   in Loop: Header=BB560_63 Depth=1
	s_or_b64 exec, exec, s[14:15]
	ds_bpermute_b32 v20, v23, v0
	s_waitcnt lgkmcnt(0)
	s_barrier
	v_add_f32_e32 v0, v0, v20
	ds_bpermute_b32 v20, v24, v0
	s_waitcnt lgkmcnt(0)
	v_add_f32_e32 v0, v0, v20
	ds_bpermute_b32 v20, v25, v0
	s_waitcnt lgkmcnt(0)
	;; [unrolled: 3-line block ×4, first 2 shown]
	v_add_f32_e32 v0, v0, v20
	ds_bpermute_b32 v20, v32, v0
	s_and_saveexec_b64 s[14:15], s[8:9]
	s_cbranch_execz .LBB560_69
; %bb.68:                               ;   in Loop: Header=BB560_63 Depth=1
	s_waitcnt lgkmcnt(0)
	v_add_f32_e32 v0, v0, v20
	ds_write_b32 v30, v0
.LBB560_69:                             ;   in Loop: Header=BB560_63 Depth=1
	s_or_b64 exec, exec, s[14:15]
	v_mov_b32_e32 v0, 0
	s_waitcnt lgkmcnt(0)
	s_barrier
	s_and_saveexec_b64 s[14:15], s[10:11]
	s_cbranch_execnz .LBB560_81
; %bb.70:                               ;   in Loop: Header=BB560_63 Depth=1
	s_or_b64 exec, exec, s[14:15]
	s_and_saveexec_b64 s[14:15], s[6:7]
	s_cbranch_execnz .LBB560_82
.LBB560_71:                             ;   in Loop: Header=BB560_63 Depth=1
	s_or_b64 exec, exec, s[14:15]
	s_and_saveexec_b64 s[14:15], s[12:13]
	s_cbranch_execz .LBB560_62
	s_branch .LBB560_83
.LBB560_72:                             ;   in Loop: Header=BB560_63 Depth=1
	s_mul_i32 s22, s3, s31
	s_mul_hi_u32 s23, s3, s30
	s_add_i32 s23, s23, s22
	s_mul_i32 s22, s3, s30
	v_lshl_add_u64 v[2:3], s[22:23], 1, v[6:7]
	global_load_ushort v0, v[10:11], off
	global_load_ushort v4, v[12:13], off
	;; [unrolled: 1-line block ×4, first 2 shown]
	global_load_dwordx2 v[20:21], v[2:3], off
	s_waitcnt vmcnt(4)
	v_lshlrev_b32_e32 v2, 16, v0
	s_waitcnt vmcnt(3)
	v_lshlrev_b32_e32 v3, 16, v4
	;; [unrolled: 2-line block ×4, first 2 shown]
	s_waitcnt vmcnt(0)
	v_and_b32_e32 v29, 0xffff0000, v20
	v_lshlrev_b32_e32 v28, 16, v20
	v_and_b32_e32 v35, 0xffff0000, v21
	v_lshlrev_b32_e32 v34, 16, v21
	v_pk_mul_f32 v[20:21], v[2:3], v[28:29]
	s_nop 0
	v_add_f32_e32 v0, 0, v20
	v_add_f32_e32 v0, v0, v21
	v_pk_mul_f32 v[20:21], v[4:5], v[34:35]
	s_nop 0
	v_add_f32_e32 v0, v0, v20
	v_add_f32_e32 v0, v0, v21
	s_andn2_saveexec_b64 s[22:23], s[14:15]
	s_cbranch_execz .LBB560_65
.LBB560_73:                             ;   in Loop: Header=BB560_63 Depth=1
	s_and_saveexec_b64 s[24:25], s[4:5]
	s_cbranch_execz .LBB560_80
; %bb.74:                               ;   in Loop: Header=BB560_63 Depth=1
	v_cndmask_b32_e64 v20, 0, 1, s[44:45]
	v_cmp_ne_u32_e64 s[14:15], 1, v20
	s_andn2_b64 vcc, exec, s[44:45]
	s_cbranch_vccnz .LBB560_77
; %bb.75:                               ;   in Loop: Header=BB560_63 Depth=1
	s_mov_b64 s[34:35], 0
	v_mov_b64_e32 v[20:21], v[18:19]
.LBB560_76:                             ;   Parent Loop BB560_63 Depth=1
                                        ; =>  This Inner Loop Header: Depth=2
	global_load_ushort v28, v[20:21], off
	s_cmp_eq_u32 s34, 3
	s_cselect_b64 vcc, -1, 0
	s_cmp_eq_u32 s34, 2
	v_lshl_add_u64 v[20:21], v[20:21], 0, s[26:27]
	s_waitcnt vmcnt(0)
	v_lshlrev_b32_e32 v28, 16, v28
	v_cndmask_b32_e32 v5, v5, v28, vcc
	s_cselect_b64 vcc, -1, 0
	s_cmp_eq_u32 s34, 1
	v_cndmask_b32_e32 v4, v4, v28, vcc
	s_cselect_b64 vcc, -1, 0
	s_cmp_eq_u32 s34, 0
	v_cndmask_b32_e32 v3, v3, v28, vcc
	s_cselect_b64 vcc, -1, 0
	s_add_u32 s34, s34, 1
	s_addc_u32 s35, s35, 0
	s_cmp_eq_u32 s19, s34
	v_cndmask_b32_e32 v2, v2, v28, vcc
	s_cbranch_scc0 .LBB560_76
.LBB560_77:                             ;   in Loop: Header=BB560_63 Depth=1
	s_and_b64 vcc, exec, s[14:15]
	s_cbranch_vccnz .LBB560_80
; %bb.78:                               ;   in Loop: Header=BB560_63 Depth=1
	s_mov_b64 s[14:15], 0
	v_mov_b64_e32 v[20:21], v[8:9]
.LBB560_79:                             ;   Parent Loop BB560_63 Depth=1
                                        ; =>  This Inner Loop Header: Depth=2
	global_load_ushort v28, v[20:21], off
	s_cmp_eq_u32 s14, 1
	s_cselect_b64 vcc, -1, 0
	s_cmp_eq_u32 s14, 2
	v_cndmask_b32_e32 v29, v2, v3, vcc
	s_cselect_b64 vcc, -1, 0
	s_cmp_eq_u32 s14, 3
	v_cndmask_b32_e32 v29, v29, v4, vcc
	s_cselect_b64 vcc, -1, 0
	s_add_u32 s14, s14, 1
	v_cndmask_b32_e32 v29, v29, v5, vcc
	s_addc_u32 s15, s15, 0
	v_lshl_add_u64 v[20:21], v[20:21], 0, 2
	s_cmp_lg_u32 s19, s14
	s_waitcnt vmcnt(0)
	v_lshlrev_b32_e32 v28, 16, v28
	v_fmac_f32_e32 v0, v29, v28
	s_cbranch_scc1 .LBB560_79
.LBB560_80:                             ;   in Loop: Header=BB560_63 Depth=1
	s_or_b64 exec, exec, s[24:25]
	s_or_b64 exec, exec, s[22:23]
	s_and_saveexec_b64 s[14:15], s[6:7]
	s_cbranch_execnz .LBB560_66
	s_branch .LBB560_67
.LBB560_81:                             ;   in Loop: Header=BB560_63 Depth=1
	ds_read_b32 v0, v22
	s_or_b64 exec, exec, s[14:15]
	s_and_saveexec_b64 s[14:15], s[6:7]
	s_cbranch_execz .LBB560_71
.LBB560_82:                             ;   in Loop: Header=BB560_63 Depth=1
	s_waitcnt lgkmcnt(0)
	ds_bpermute_b32 v20, v27, v0
	s_waitcnt lgkmcnt(0)
	v_add_f32_e32 v0, v0, v20
	ds_bpermute_b32 v20, v32, v0
	s_waitcnt lgkmcnt(0)
	v_add_f32_e32 v0, v0, v20
	s_or_b64 exec, exec, s[14:15]
	s_and_saveexec_b64 s[14:15], s[12:13]
	s_cbranch_execz .LBB560_62
.LBB560_83:                             ;   in Loop: Header=BB560_63 Depth=1
	s_mul_hi_u32 s23, s3, s28
	s_mul_i32 s22, s3, s28
	s_lshl_b64 s[22:23], s[22:23], 2
	s_add_u32 s22, s2, s22
	s_waitcnt lgkmcnt(0)
	v_mul_f32_e32 v0, s18, v0
	s_addc_u32 s23, s16, s23
	global_store_dword v1, v0, s[22:23]
	s_branch .LBB560_62
.LBB560_84:
	s_endpgm
	.section	.rodata,"a",@progbits
	.p2align	6, 0x0
	.amdhsa_kernel _ZL23rocblas_gemvt_sn_kernelILb0ELi256ELi4El16rocblas_bfloat16ffEviiT4_lPKT3_lilS4_lilPT5_i
		.amdhsa_group_segment_fixed_size 256
		.amdhsa_private_segment_fixed_size 0
		.amdhsa_kernarg_size 360
		.amdhsa_user_sgpr_count 2
		.amdhsa_user_sgpr_dispatch_ptr 0
		.amdhsa_user_sgpr_queue_ptr 0
		.amdhsa_user_sgpr_kernarg_segment_ptr 1
		.amdhsa_user_sgpr_dispatch_id 0
		.amdhsa_user_sgpr_kernarg_preload_length 0
		.amdhsa_user_sgpr_kernarg_preload_offset 0
		.amdhsa_user_sgpr_private_segment_size 0
		.amdhsa_uses_dynamic_stack 0
		.amdhsa_enable_private_segment 0
		.amdhsa_system_sgpr_workgroup_id_x 1
		.amdhsa_system_sgpr_workgroup_id_y 0
		.amdhsa_system_sgpr_workgroup_id_z 1
		.amdhsa_system_sgpr_workgroup_info 0
		.amdhsa_system_vgpr_workitem_id 0
		.amdhsa_next_free_vgpr 64
		.amdhsa_next_free_sgpr 63
		.amdhsa_accum_offset 64
		.amdhsa_reserve_vcc 1
		.amdhsa_float_round_mode_32 0
		.amdhsa_float_round_mode_16_64 0
		.amdhsa_float_denorm_mode_32 3
		.amdhsa_float_denorm_mode_16_64 3
		.amdhsa_dx10_clamp 1
		.amdhsa_ieee_mode 1
		.amdhsa_fp16_overflow 0
		.amdhsa_tg_split 0
		.amdhsa_exception_fp_ieee_invalid_op 0
		.amdhsa_exception_fp_denorm_src 0
		.amdhsa_exception_fp_ieee_div_zero 0
		.amdhsa_exception_fp_ieee_overflow 0
		.amdhsa_exception_fp_ieee_underflow 0
		.amdhsa_exception_fp_ieee_inexact 0
		.amdhsa_exception_int_div_zero 0
	.end_amdhsa_kernel
	.section	.text._ZL23rocblas_gemvt_sn_kernelILb0ELi256ELi4El16rocblas_bfloat16ffEviiT4_lPKT3_lilS4_lilPT5_i,"axG",@progbits,_ZL23rocblas_gemvt_sn_kernelILb0ELi256ELi4El16rocblas_bfloat16ffEviiT4_lPKT3_lilS4_lilPT5_i,comdat
.Lfunc_end560:
	.size	_ZL23rocblas_gemvt_sn_kernelILb0ELi256ELi4El16rocblas_bfloat16ffEviiT4_lPKT3_lilS4_lilPT5_i, .Lfunc_end560-_ZL23rocblas_gemvt_sn_kernelILb0ELi256ELi4El16rocblas_bfloat16ffEviiT4_lPKT3_lilS4_lilPT5_i
                                        ; -- End function
	.section	.AMDGPU.csdata,"",@progbits
; Kernel info:
; codeLenInByte = 4172
; NumSgprs: 69
; NumVgprs: 64
; NumAgprs: 0
; TotalNumVgprs: 64
; ScratchSize: 0
; MemoryBound: 0
; FloatMode: 240
; IeeeMode: 1
; LDSByteSize: 256 bytes/workgroup (compile time only)
; SGPRBlocks: 8
; VGPRBlocks: 7
; NumSGPRsForWavesPerEU: 69
; NumVGPRsForWavesPerEU: 64
; AccumOffset: 64
; Occupancy: 8
; WaveLimiterHint : 1
; COMPUTE_PGM_RSRC2:SCRATCH_EN: 0
; COMPUTE_PGM_RSRC2:USER_SGPR: 2
; COMPUTE_PGM_RSRC2:TRAP_HANDLER: 0
; COMPUTE_PGM_RSRC2:TGID_X_EN: 1
; COMPUTE_PGM_RSRC2:TGID_Y_EN: 0
; COMPUTE_PGM_RSRC2:TGID_Z_EN: 1
; COMPUTE_PGM_RSRC2:TIDIG_COMP_CNT: 0
; COMPUTE_PGM_RSRC3_GFX90A:ACCUM_OFFSET: 15
; COMPUTE_PGM_RSRC3_GFX90A:TG_SPLIT: 0
	.section	.text._ZL23rocblas_gemvt_sn_reduceILi256ELi8Eff16rocblas_bfloat16EviT2_lPT3_lilPT1_i,"axG",@progbits,_ZL23rocblas_gemvt_sn_reduceILi256ELi8Eff16rocblas_bfloat16EviT2_lPT3_lilPT1_i,comdat
	.globl	_ZL23rocblas_gemvt_sn_reduceILi256ELi8Eff16rocblas_bfloat16EviT2_lPT3_lilPT1_i ; -- Begin function _ZL23rocblas_gemvt_sn_reduceILi256ELi8Eff16rocblas_bfloat16EviT2_lPT3_lilPT1_i
	.p2align	8
	.type	_ZL23rocblas_gemvt_sn_reduceILi256ELi8Eff16rocblas_bfloat16EviT2_lPT3_lilPT1_i,@function
_ZL23rocblas_gemvt_sn_reduceILi256ELi8Eff16rocblas_bfloat16EviT2_lPT3_lilPT1_i: ; @_ZL23rocblas_gemvt_sn_reduceILi256ELi8Eff16rocblas_bfloat16EviT2_lPT3_lilPT1_i
; %bb.0:
	s_load_dwordx2 s[8:9], s[0:1], 0x0
	s_load_dword s2, s[0:1], 0x44
	s_load_dwordx2 s[6:7], s[0:1], 0x30
	v_lshlrev_b32_e32 v1, 3, v0
	v_mov_b32_e32 v3, 0
	s_waitcnt lgkmcnt(0)
	s_ashr_i32 s5, s8, 31
	s_add_u32 s14, s0, 64
	s_mul_i32 s2, s2, s4
	s_addc_u32 s15, s1, 0
	s_add_i32 s2, s2, s3
	s_mul_i32 s10, s2, s5
	s_mul_hi_u32 s11, s2, s8
	s_add_i32 s11, s11, s10
	s_mul_i32 s10, s2, s8
	s_lshr_b32 s2, s5, 29
	s_add_i32 s2, s8, s2
	s_and_b32 s2, s2, -8
	v_cmp_gt_i32_e32 vcc, s2, v1
	s_and_saveexec_b64 s[12:13], vcc
	s_cbranch_execz .LBB561_4
; %bb.1:
	s_load_dword s5, s[14:15], 0xc
	s_lshl_b64 s[16:17], s[10:11], 2
	v_lshlrev_b32_e32 v2, 5, v0
	v_mov_b32_e32 v3, 0
	s_mov_b32 s15, 0
	s_waitcnt lgkmcnt(0)
	s_and_b32 s14, s5, 0xffff
	s_lshl_b32 s5, s14, 3
	s_add_u32 s16, s6, s16
	s_addc_u32 s17, s7, s17
	v_lshl_add_u64 v[4:5], s[16:17], 0, v[2:3]
	v_lshl_add_u64 v[4:5], v[4:5], 0, 28
	s_lshl_b32 s14, s14, 5
	s_mov_b64 s[16:17], 0
.LBB561_2:                              ; =>This Inner Loop Header: Depth=1
	global_load_dwordx4 v[6:9], v[4:5], off offset:-28
	global_load_dwordx4 v[10:13], v[4:5], off offset:-12
	v_add_u32_e32 v1, s5, v1
	v_cmp_le_i32_e32 vcc, s2, v1
	v_lshl_add_u64 v[4:5], v[4:5], 0, s[14:15]
	s_or_b64 s[16:17], vcc, s[16:17]
	s_waitcnt vmcnt(1)
	v_add_f32_e32 v2, v3, v6
	v_add_f32_e32 v2, v2, v7
	;; [unrolled: 1-line block ×4, first 2 shown]
	s_waitcnt vmcnt(0)
	v_add_f32_e32 v2, v2, v10
	v_add_f32_e32 v2, v2, v11
	;; [unrolled: 1-line block ×4, first 2 shown]
	s_andn2_b64 exec, exec, s[16:17]
	s_cbranch_execnz .LBB561_2
; %bb.3:
	s_or_b64 exec, exec, s[16:17]
.LBB561_4:
	s_or_b64 exec, exec, s[12:13]
	s_sub_i32 s2, s8, s2
	v_cmp_gt_u32_e32 vcc, s2, v0
	s_and_saveexec_b64 s[12:13], vcc
	s_cbranch_execz .LBB561_6
; %bb.5:
	s_lshl_b64 s[10:11], s[10:11], 2
	s_add_u32 s6, s6, s10
	s_addc_u32 s7, s7, s11
	v_xad_u32 v4, v0, -1, s8
	v_mov_b32_e32 v5, 0
	v_lshl_add_u64 v[4:5], v[4:5], 2, s[6:7]
	global_load_dword v1, v[4:5], off
	s_waitcnt vmcnt(0)
	v_add_f32_e32 v3, v3, v1
.LBB561_6:
	s_or_b64 exec, exec, s[12:13]
	v_and_b32_e32 v1, 63, v0
	v_cmp_gt_u32_e32 vcc, 64, v0
	v_lshlrev_b32_e32 v2, 2, v1
	s_and_saveexec_b64 s[6:7], vcc
	s_cbranch_execz .LBB561_8
; %bb.7:
	v_mov_b32_e32 v4, 0
	ds_write_b32 v2, v4
.LBB561_8:
	s_or_b64 exec, exec, s[6:7]
	v_mbcnt_lo_u32_b32 v4, -1, 0
	v_mbcnt_hi_u32_b32 v4, -1, v4
	v_and_b32_e32 v5, 63, v4
	v_cmp_gt_u32_e64 s[6:7], 32, v5
	s_waitcnt lgkmcnt(0)
	s_barrier
	v_cndmask_b32_e64 v6, 0, 1, s[6:7]
	v_lshlrev_b32_e32 v6, 5, v6
	v_add_lshl_u32 v6, v6, v4, 2
	ds_bpermute_b32 v6, v6, v3
	v_cmp_gt_u32_e64 s[6:7], 48, v5
	s_waitcnt lgkmcnt(0)
	v_add_f32_e32 v3, v3, v6
	v_cndmask_b32_e64 v7, 0, 1, s[6:7]
	v_lshlrev_b32_e32 v7, 4, v7
	v_add_lshl_u32 v6, v7, v4, 2
	ds_bpermute_b32 v6, v6, v3
	v_cmp_gt_u32_e64 s[6:7], 56, v5
	s_waitcnt lgkmcnt(0)
	v_add_f32_e32 v3, v3, v6
	;; [unrolled: 7-line block ×4, first 2 shown]
	v_cndmask_b32_e64 v7, 0, 1, s[6:7]
	v_lshlrev_b32_e32 v7, 1, v7
	v_add_lshl_u32 v3, v7, v4, 2
	ds_bpermute_b32 v7, v3, v6
	v_cmp_ne_u32_e64 s[6:7], 63, v5
	s_waitcnt lgkmcnt(0)
	v_add_f32_e32 v5, v6, v7
	v_addc_co_u32_e64 v4, s[6:7], 0, v4, s[6:7]
	v_lshlrev_b32_e32 v4, 2, v4
	ds_bpermute_b32 v6, v4, v5
	v_cmp_eq_u32_e64 s[6:7], 0, v1
	s_and_saveexec_b64 s[10:11], s[6:7]
	s_cbranch_execz .LBB561_10
; %bb.9:
	v_lshrrev_b32_e32 v1, 4, v0
	v_and_b32_e32 v1, 12, v1
	s_waitcnt lgkmcnt(0)
	v_add_f32_e32 v5, v5, v6
	ds_write_b32 v1, v5
.LBB561_10:
	s_or_b64 exec, exec, s[10:11]
	v_cmp_gt_u32_e64 s[6:7], 4, v0
	v_mov_b32_e32 v1, 0
	s_waitcnt lgkmcnt(0)
	s_barrier
	s_and_saveexec_b64 s[10:11], s[6:7]
	s_cbranch_execnz .LBB561_14
; %bb.11:
	s_or_b64 exec, exec, s[10:11]
	s_and_saveexec_b64 s[6:7], vcc
	s_cbranch_execnz .LBB561_15
.LBB561_12:
	s_or_b64 exec, exec, s[6:7]
	v_cmp_eq_u32_e32 vcc, 0, v0
	s_and_saveexec_b64 s[6:7], vcc
	s_cbranch_execnz .LBB561_16
.LBB561_13:
	s_endpgm
.LBB561_14:
	ds_read_b32 v1, v2
	s_or_b64 exec, exec, s[10:11]
	s_and_saveexec_b64 s[6:7], vcc
	s_cbranch_execz .LBB561_12
.LBB561_15:
	s_waitcnt lgkmcnt(0)
	ds_bpermute_b32 v2, v3, v1
	s_waitcnt lgkmcnt(0)
	v_add_f32_e32 v1, v1, v2
	ds_bpermute_b32 v2, v4, v1
	s_waitcnt lgkmcnt(0)
	v_add_f32_e32 v1, v1, v2
	s_or_b64 exec, exec, s[6:7]
	v_cmp_eq_u32_e32 vcc, 0, v0
	s_and_saveexec_b64 s[6:7], vcc
	s_cbranch_execz .LBB561_13
.LBB561_16:
	s_load_dwordx2 s[6:7], s[0:1], 0x28
	s_load_dwordx4 s[12:15], s[0:1], 0x10
	s_load_dword s2, s[0:1], 0x20
	s_waitcnt lgkmcnt(0)
	s_mul_i32 s1, s4, s7
	s_mul_hi_u32 s5, s4, s6
	s_mul_i32 s0, s4, s6
	s_add_i32 s1, s5, s1
	s_lshl_b64 s[0:1], s[0:1], 1
	s_add_u32 s4, s12, s0
	s_addc_u32 s5, s13, s1
	s_lshl_b64 s[0:1], s[14:15], 1
	s_add_u32 s6, s4, s0
	s_addc_u32 s7, s5, s1
	v_cmp_eq_f32_e64 s[0:1], s9, 0
	s_and_b64 vcc, exec, s[0:1]
	s_cbranch_vccz .LBB561_22
; %bb.17:
	s_mov_b32 s0, 0x7f800000
	v_and_b32_e32 v0, 0x7f800000, v1
	v_cmp_ne_u32_e32 vcc, s0, v0
                                        ; implicit-def: $vgpr0
	s_and_saveexec_b64 s[0:1], vcc
	s_xor_b64 s[0:1], exec, s[0:1]
; %bb.18:
	v_bfe_u32 v0, v1, 16, 1
	s_movk_i32 s4, 0x7fff
	v_add3_u32 v0, v1, v0, s4
; %bb.19:
	s_andn2_saveexec_b64 s[0:1], s[0:1]
; %bb.20:
	v_mov_b32_e32 v0, 0
	v_or_b32_e32 v2, 0x10000, v1
	v_cmp_eq_u32_sdwa vcc, v1, v0 src0_sel:WORD_0 src1_sel:DWORD
	s_nop 1
	v_cndmask_b32_e32 v0, v2, v1, vcc
; %bb.21:
	s_or_b64 exec, exec, s[0:1]
	s_mul_hi_u32 s8, s2, s3
	s_mul_i32 s0, s2, s3
	s_cbranch_execz .LBB561_23
	s_branch .LBB561_28
.LBB561_22:
                                        ; implicit-def: $vgpr0
	s_mul_hi_u32 s8, s2, s3
	s_mul_i32 s0, s2, s3
.LBB561_23:
	s_ashr_i32 s1, s2, 31
	s_mul_i32 s1, s1, s3
	s_add_i32 s1, s8, s1
	s_lshl_b64 s[4:5], s[0:1], 1
	s_add_u32 s4, s6, s4
	s_addc_u32 s5, s7, s5
	v_mov_b32_e32 v0, 0
	global_load_ushort v0, v0, s[4:5]
	s_mov_b32 s1, 0x7f800000
	s_waitcnt vmcnt(0)
	v_lshlrev_b32_e32 v0, 16, v0
	v_fmac_f32_e32 v1, s9, v0
	v_and_b32_e32 v0, 0x7f800000, v1
	v_cmp_ne_u32_e32 vcc, s1, v0
                                        ; implicit-def: $vgpr0
	s_and_saveexec_b64 s[4:5], vcc
	s_xor_b64 s[4:5], exec, s[4:5]
; %bb.24:
	v_bfe_u32 v0, v1, 16, 1
	s_movk_i32 s1, 0x7fff
	v_add3_u32 v0, v1, v0, s1
                                        ; implicit-def: $vgpr1
; %bb.25:
	s_andn2_saveexec_b64 s[4:5], s[4:5]
; %bb.26:
	v_mov_b32_e32 v0, 0
	v_or_b32_e32 v2, 0x10000, v1
	v_cmp_eq_u32_sdwa vcc, v1, v0 src0_sel:WORD_0 src1_sel:DWORD
	s_nop 1
	v_cndmask_b32_e32 v0, v2, v1, vcc
; %bb.27:
	s_or_b64 exec, exec, s[4:5]
.LBB561_28:
	s_ashr_i32 s1, s2, 31
	s_mul_i32 s1, s1, s3
	s_add_i32 s1, s8, s1
	s_lshl_b64 s[0:1], s[0:1], 1
	s_add_u32 s0, s6, s0
	s_addc_u32 s1, s7, s1
	v_mov_b32_e32 v1, 0
	global_store_short_d16_hi v1, v0, s[0:1]
	s_endpgm
	.section	.rodata,"a",@progbits
	.p2align	6, 0x0
	.amdhsa_kernel _ZL23rocblas_gemvt_sn_reduceILi256ELi8Eff16rocblas_bfloat16EviT2_lPT3_lilPT1_i
		.amdhsa_group_segment_fixed_size 256
		.amdhsa_private_segment_fixed_size 0
		.amdhsa_kernarg_size 320
		.amdhsa_user_sgpr_count 2
		.amdhsa_user_sgpr_dispatch_ptr 0
		.amdhsa_user_sgpr_queue_ptr 0
		.amdhsa_user_sgpr_kernarg_segment_ptr 1
		.amdhsa_user_sgpr_dispatch_id 0
		.amdhsa_user_sgpr_kernarg_preload_length 0
		.amdhsa_user_sgpr_kernarg_preload_offset 0
		.amdhsa_user_sgpr_private_segment_size 0
		.amdhsa_uses_dynamic_stack 0
		.amdhsa_enable_private_segment 0
		.amdhsa_system_sgpr_workgroup_id_x 1
		.amdhsa_system_sgpr_workgroup_id_y 1
		.amdhsa_system_sgpr_workgroup_id_z 1
		.amdhsa_system_sgpr_workgroup_info 0
		.amdhsa_system_vgpr_workitem_id 0
		.amdhsa_next_free_vgpr 14
		.amdhsa_next_free_sgpr 18
		.amdhsa_accum_offset 16
		.amdhsa_reserve_vcc 1
		.amdhsa_float_round_mode_32 0
		.amdhsa_float_round_mode_16_64 0
		.amdhsa_float_denorm_mode_32 3
		.amdhsa_float_denorm_mode_16_64 3
		.amdhsa_dx10_clamp 1
		.amdhsa_ieee_mode 1
		.amdhsa_fp16_overflow 0
		.amdhsa_tg_split 0
		.amdhsa_exception_fp_ieee_invalid_op 0
		.amdhsa_exception_fp_denorm_src 0
		.amdhsa_exception_fp_ieee_div_zero 0
		.amdhsa_exception_fp_ieee_overflow 0
		.amdhsa_exception_fp_ieee_underflow 0
		.amdhsa_exception_fp_ieee_inexact 0
		.amdhsa_exception_int_div_zero 0
	.end_amdhsa_kernel
	.section	.text._ZL23rocblas_gemvt_sn_reduceILi256ELi8Eff16rocblas_bfloat16EviT2_lPT3_lilPT1_i,"axG",@progbits,_ZL23rocblas_gemvt_sn_reduceILi256ELi8Eff16rocblas_bfloat16EviT2_lPT3_lilPT1_i,comdat
.Lfunc_end561:
	.size	_ZL23rocblas_gemvt_sn_reduceILi256ELi8Eff16rocblas_bfloat16EviT2_lPT3_lilPT1_i, .Lfunc_end561-_ZL23rocblas_gemvt_sn_reduceILi256ELi8Eff16rocblas_bfloat16EviT2_lPT3_lilPT1_i
                                        ; -- End function
	.section	.AMDGPU.csdata,"",@progbits
; Kernel info:
; codeLenInByte = 1180
; NumSgprs: 24
; NumVgprs: 14
; NumAgprs: 0
; TotalNumVgprs: 14
; ScratchSize: 0
; MemoryBound: 0
; FloatMode: 240
; IeeeMode: 1
; LDSByteSize: 256 bytes/workgroup (compile time only)
; SGPRBlocks: 2
; VGPRBlocks: 1
; NumSGPRsForWavesPerEU: 24
; NumVGPRsForWavesPerEU: 14
; AccumOffset: 16
; Occupancy: 8
; WaveLimiterHint : 0
; COMPUTE_PGM_RSRC2:SCRATCH_EN: 0
; COMPUTE_PGM_RSRC2:USER_SGPR: 2
; COMPUTE_PGM_RSRC2:TRAP_HANDLER: 0
; COMPUTE_PGM_RSRC2:TGID_X_EN: 1
; COMPUTE_PGM_RSRC2:TGID_Y_EN: 1
; COMPUTE_PGM_RSRC2:TGID_Z_EN: 1
; COMPUTE_PGM_RSRC2:TIDIG_COMP_CNT: 0
; COMPUTE_PGM_RSRC3_GFX90A:ACCUM_OFFSET: 3
; COMPUTE_PGM_RSRC3_GFX90A:TG_SPLIT: 0
	.section	.text._ZL32rocblas_gemvt_warp_reduce_kernelILb0ELi256Ei16rocblas_bfloat16PKfS0_EviiT3_lPKT2_lT1_lS6_lS7_lS3_lPT4_lS7_li,"axG",@progbits,_ZL32rocblas_gemvt_warp_reduce_kernelILb0ELi256Ei16rocblas_bfloat16PKfS0_EviiT3_lPKT2_lT1_lS6_lS7_lS3_lPT4_lS7_li,comdat
	.globl	_ZL32rocblas_gemvt_warp_reduce_kernelILb0ELi256Ei16rocblas_bfloat16PKfS0_EviiT3_lPKT2_lT1_lS6_lS7_lS3_lPT4_lS7_li ; -- Begin function _ZL32rocblas_gemvt_warp_reduce_kernelILb0ELi256Ei16rocblas_bfloat16PKfS0_EviiT3_lPKT2_lT1_lS6_lS7_lS3_lPT4_lS7_li
	.p2align	8
	.type	_ZL32rocblas_gemvt_warp_reduce_kernelILb0ELi256Ei16rocblas_bfloat16PKfS0_EviiT3_lPKT2_lT1_lS6_lS7_lS3_lPT4_lS7_li,@function
_ZL32rocblas_gemvt_warp_reduce_kernelILb0ELi256Ei16rocblas_bfloat16PKfS0_EviiT3_lPKT2_lT1_lS6_lS7_lS3_lPT4_lS7_li: ; @_ZL32rocblas_gemvt_warp_reduce_kernelILb0ELi256Ei16rocblas_bfloat16PKfS0_EviiT3_lPKT2_lT1_lS6_lS7_lS3_lPT4_lS7_li
; %bb.0:
	s_load_dwordx8 s[4:11], s[0:1], 0x8
	s_load_dwordx8 s[12:19], s[0:1], 0x50
	s_waitcnt lgkmcnt(0)
	s_mul_i32 s7, s3, s7
	s_mul_hi_u32 s20, s3, s6
	s_add_i32 s7, s20, s7
	s_mul_i32 s6, s3, s6
	s_lshl_b64 s[6:7], s[6:7], 2
	s_add_u32 s4, s4, s6
	s_addc_u32 s5, s5, s7
	s_load_dword s24, s[4:5], 0x0
	s_mul_i32 s4, s3, s17
	s_mul_hi_u32 s5, s3, s16
	s_add_i32 s5, s5, s4
	s_mul_i32 s4, s3, s16
	s_lshl_b64 s[4:5], s[4:5], 2
	s_add_u32 s4, s14, s4
	s_addc_u32 s5, s15, s5
	s_load_dword s22, s[4:5], 0x0
	s_waitcnt lgkmcnt(0)
	v_cmp_eq_f32_e64 s[4:5], s24, 0
	v_cmp_eq_f32_e64 s[6:7], s22, 1.0
	s_and_b64 s[4:5], s[4:5], s[6:7]
	s_and_b64 vcc, exec, s[4:5]
	s_cbranch_vccnz .LBB562_39
; %bb.1:
	s_load_dwordx2 s[4:5], s[0:1], 0x80
	s_load_dwordx2 s[6:7], s[0:1], 0x70
	s_load_dword s23, s[0:1], 0x78
	s_waitcnt lgkmcnt(0)
	s_mul_i32 s5, s3, s5
	s_mul_hi_u32 s14, s3, s4
	s_mul_i32 s4, s3, s4
	s_add_i32 s5, s14, s5
	s_lshl_b64 s[4:5], s[4:5], 1
	s_add_u32 s14, s18, s4
	s_addc_u32 s15, s19, s5
	s_lshl_b64 s[4:5], s[6:7], 1
	s_add_u32 s20, s14, s4
	s_addc_u32 s21, s15, s5
	v_cmp_neq_f32_e64 s[4:5], s24, 0
	s_and_b64 vcc, exec, s[4:5]
	v_cmp_eq_u32_e64 s[4:5], 0, v0
	s_cbranch_vccnz .LBB562_6
; %bb.2:
	s_mov_b64 s[16:17], 0
	s_mov_b64 s[6:7], 0
                                        ; implicit-def: $sgpr25
                                        ; implicit-def: $sgpr14_sgpr15
	s_and_saveexec_b64 s[18:19], s[4:5]
	s_cbranch_execz .LBB562_14
; %bb.3:
	v_cmp_eq_f32_e64 s[4:5], s22, 0
	s_mul_i32 s14, s2, s23
	s_mov_b32 s25, 0
	s_ashr_i32 s15, s14, 31
	s_and_b64 vcc, exec, s[4:5]
	s_cbranch_vccnz .LBB562_43
; %bb.4:
	s_lshl_b64 s[4:5], s[14:15], 1
	s_add_u32 s4, s20, s4
	s_addc_u32 s5, s21, s5
	v_mov_b32_e32 v1, 0
	global_load_ushort v1, v1, s[4:5]
	s_mov_b32 s4, 0x7f800000
	s_waitcnt vmcnt(0)
	v_lshlrev_b32_e32 v1, 16, v1
	v_mul_f32_e32 v1, s22, v1
	v_and_b32_e32 v2, 0x7f800000, v1
	v_cmp_eq_u32_e32 vcc, s4, v2
	v_readfirstlane_b32 s6, v1
	s_cbranch_vccnz .LBB562_40
; %bb.5:
	s_bfe_u32 s4, s6, 0x10010
	s_add_i32 s4, s6, s4
	s_add_i32 s7, s4, 0x7fff
	s_cbranch_execz .LBB562_41
	s_branch .LBB562_42
.LBB562_6:
	s_mov_b64 s[6:7], 0
                                        ; implicit-def: $sgpr25
                                        ; implicit-def: $sgpr14_sgpr15
	s_cbranch_execz .LBB562_44
.LBB562_7:
	s_load_dword s16, s[0:1], 0x0
	s_load_dword s14, s[0:1], 0x28
	s_load_dwordx4 s[28:31], s[0:1], 0x30
	s_load_dwordx2 s[4:5], s[0:1], 0x40
	s_mul_i32 s13, s3, s13
	s_mul_hi_u32 s15, s3, s12
	s_add_i32 s13, s15, s13
	s_mul_i32 s12, s3, s12
	s_lshl_b64 s[12:13], s[12:13], 1
	s_waitcnt lgkmcnt(0)
	s_add_u32 s12, s30, s12
	s_addc_u32 s13, s31, s13
	s_lshl_b64 s[4:5], s[4:5], 1
	s_add_u32 s4, s12, s4
	s_load_dword s17, s[0:1], 0x48
	s_mul_i32 s0, s3, s29
	s_mul_hi_u32 s1, s3, s28
	s_addc_u32 s5, s13, s5
	s_add_i32 s1, s1, s0
	s_mul_i32 s0, s3, s28
	s_lshl_b64 s[0:1], s[0:1], 1
	s_add_u32 s3, s8, s0
	s_addc_u32 s8, s9, s1
	s_lshl_b64 s[0:1], s[10:11], 1
	s_add_u32 s3, s3, s0
	s_mul_i32 s0, s2, s14
	s_addc_u32 s8, s8, s1
	s_ashr_i32 s1, s0, 31
	v_cmp_gt_i32_e32 vcc, s16, v0
	s_lshl_b64 s[0:1], s[0:1], 1
	s_add_u32 s0, s0, s3
	v_cndmask_b32_e32 v1, 0, v0, vcc
	v_lshlrev_b32_e32 v2, 1, v1
	v_mov_b32_e32 v3, 0
	s_addc_u32 s1, s1, s8
	v_lshl_add_u64 v[4:5], s[0:1], 0, v[2:3]
	s_ashr_i32 s0, s16, 31
	s_lshr_b32 s0, s0, 24
	s_add_i32 s0, s16, s0
	s_and_b32 s0, s0, 0xffffff00
	v_cmp_gt_i32_e32 vcc, s0, v0
	s_and_saveexec_b64 s[8:9], vcc
	s_cbranch_execz .LBB562_16
; %bb.8:
	s_waitcnt lgkmcnt(0)
	v_mul_lo_u32 v6, v0, s17
	s_lshl_b32 s1, s17, 8
	s_mov_b64 s[10:11], 0
	v_mov_b32_e32 v1, 0
	s_mov_b32 s3, 0x7f800000
	s_movk_i32 s18, 0x7fff
	s_mov_b64 s[12:13], 0x200
	v_mov_b64_e32 v[8:9], v[4:5]
	v_mov_b32_e32 v2, v0
	v_mov_b32_e32 v3, 0
	s_branch .LBB562_10
.LBB562_9:                              ;   in Loop: Header=BB562_10 Depth=1
	s_or_b64 exec, exec, s[14:15]
	v_add_u32_e32 v2, 0x100, v2
	v_and_b32_e32 v7, 0xffff0000, v7
	v_cmp_le_i32_e32 vcc, s0, v2
	v_add_f32_e32 v3, v3, v7
	v_lshl_add_u64 v[8:9], v[8:9], 0, s[12:13]
	s_or_b64 s[10:11], vcc, s[10:11]
	v_add_u32_e32 v6, s1, v6
	s_andn2_b64 exec, exec, s[10:11]
	s_cbranch_execz .LBB562_15
.LBB562_10:                             ; =>This Inner Loop Header: Depth=1
	v_ashrrev_i32_e32 v7, 31, v6
	v_lshl_add_u64 v[10:11], v[6:7], 1, s[4:5]
	global_load_ushort v7, v[10:11], off
	global_load_ushort v12, v[8:9], off
	s_waitcnt vmcnt(1)
	v_lshlrev_b32_e32 v10, 16, v7
	s_waitcnt vmcnt(0)
	v_lshlrev_b32_e32 v12, 16, v12
	v_pk_mul_f32 v[10:11], v[10:11], v[12:13] op_sel_hi:[0,1]
	v_and_b32_e32 v7, 0x7f800000, v10
	v_cmp_ne_u32_e32 vcc, s3, v7
                                        ; implicit-def: $vgpr7
	s_and_saveexec_b64 s[14:15], vcc
	s_xor_b64 s[14:15], exec, s[14:15]
; %bb.11:                               ;   in Loop: Header=BB562_10 Depth=1
	v_bfe_u32 v7, v10, 16, 1
	v_add3_u32 v7, v10, v7, s18
                                        ; implicit-def: $vgpr10_vgpr11
; %bb.12:                               ;   in Loop: Header=BB562_10 Depth=1
	s_andn2_saveexec_b64 s[14:15], s[14:15]
	s_cbranch_execz .LBB562_9
; %bb.13:                               ;   in Loop: Header=BB562_10 Depth=1
	v_or_b32_e32 v7, 0x10000, v10
	v_cmp_eq_u32_sdwa vcc, v10, v1 src0_sel:WORD_0 src1_sel:DWORD
	s_nop 1
	v_cndmask_b32_e32 v7, v7, v10, vcc
	s_branch .LBB562_9
.LBB562_14:
	s_or_b64 exec, exec, s[18:19]
	s_and_b64 vcc, exec, s[16:17]
	s_cbranch_vccnz .LBB562_7
	s_branch .LBB562_44
.LBB562_15:
	s_or_b64 exec, exec, s[10:11]
.LBB562_16:
	s_or_b64 exec, exec, s[8:9]
	v_add_u32_e32 v1, s0, v0
	v_cmp_gt_i32_e32 vcc, s16, v1
	s_and_saveexec_b64 s[8:9], vcc
	s_cbranch_execz .LBB562_22
; %bb.17:
	s_ashr_i32 s1, s0, 31
	s_waitcnt lgkmcnt(0)
	v_mul_lo_u32 v6, v1, s17
	v_lshl_add_u64 v[4:5], s[0:1], 1, v[4:5]
	v_ashrrev_i32_e32 v7, 31, v6
	v_lshl_add_u64 v[6:7], v[6:7], 1, s[4:5]
	global_load_ushort v1, v[4:5], off
	global_load_ushort v8, v[6:7], off
	s_mov_b32 s0, 0x7f800000
	s_waitcnt vmcnt(1)
	v_lshlrev_b32_e32 v2, 16, v1
	s_waitcnt vmcnt(0)
	v_lshlrev_b32_e32 v4, 16, v8
	v_pk_mul_f32 v[4:5], v[4:5], v[2:3] op_sel_hi:[0,1]
	v_and_b32_e32 v1, 0x7f800000, v4
	v_cmp_ne_u32_e32 vcc, s0, v1
                                        ; implicit-def: $vgpr1
	s_and_saveexec_b64 s[0:1], vcc
	s_xor_b64 s[0:1], exec, s[0:1]
; %bb.18:
	v_bfe_u32 v1, v4, 16, 1
	s_movk_i32 s3, 0x7fff
	v_add3_u32 v1, v4, v1, s3
                                        ; implicit-def: $vgpr4_vgpr5
; %bb.19:
	s_andn2_saveexec_b64 s[0:1], s[0:1]
; %bb.20:
	v_mov_b32_e32 v1, 0
	v_or_b32_e32 v2, 0x10000, v4
	v_cmp_eq_u32_sdwa vcc, v4, v1 src0_sel:WORD_0 src1_sel:DWORD
	s_nop 1
	v_cndmask_b32_e32 v1, v2, v4, vcc
; %bb.21:
	s_or_b64 exec, exec, s[0:1]
	v_and_b32_e32 v1, 0xffff0000, v1
	v_add_f32_e32 v3, v3, v1
.LBB562_22:
	s_or_b64 exec, exec, s[8:9]
	v_and_b32_e32 v2, 63, v0
	v_cmp_gt_u32_e32 vcc, 64, v0
	v_lshlrev_b32_e32 v1, 2, v2
	s_and_saveexec_b64 s[0:1], vcc
	s_cbranch_execz .LBB562_24
; %bb.23:
	v_mov_b32_e32 v4, 0
	ds_write_b32 v1, v4
.LBB562_24:
	s_or_b64 exec, exec, s[0:1]
	v_mbcnt_lo_u32_b32 v4, -1, 0
	v_mbcnt_hi_u32_b32 v4, -1, v4
	v_and_b32_e32 v5, 63, v4
	v_cmp_gt_u32_e64 s[0:1], 32, v5
	s_waitcnt lgkmcnt(0)
	s_barrier
	v_cndmask_b32_e64 v6, 0, 1, s[0:1]
	v_lshlrev_b32_e32 v6, 5, v6
	v_add_lshl_u32 v6, v6, v4, 2
	ds_bpermute_b32 v6, v6, v3
	v_cmp_gt_u32_e64 s[0:1], 48, v5
	s_waitcnt lgkmcnt(0)
	v_add_f32_e32 v3, v3, v6
	v_cndmask_b32_e64 v7, 0, 1, s[0:1]
	v_lshlrev_b32_e32 v7, 4, v7
	v_add_lshl_u32 v6, v7, v4, 2
	ds_bpermute_b32 v6, v6, v3
	v_cmp_gt_u32_e64 s[0:1], 56, v5
	s_waitcnt lgkmcnt(0)
	v_add_f32_e32 v3, v3, v6
	;; [unrolled: 7-line block ×4, first 2 shown]
	v_cndmask_b32_e64 v7, 0, 1, s[0:1]
	v_lshlrev_b32_e32 v7, 1, v7
	v_add_lshl_u32 v3, v7, v4, 2
	ds_bpermute_b32 v7, v3, v6
	v_cmp_ne_u32_e64 s[0:1], 63, v5
	s_waitcnt lgkmcnt(0)
	v_add_f32_e32 v5, v6, v7
	v_addc_co_u32_e64 v4, s[0:1], 0, v4, s[0:1]
	v_lshlrev_b32_e32 v4, 2, v4
	ds_bpermute_b32 v6, v4, v5
	v_cmp_eq_u32_e64 s[0:1], 0, v2
	s_and_saveexec_b64 s[4:5], s[0:1]
	s_cbranch_execz .LBB562_26
; %bb.25:
	v_lshrrev_b32_e32 v2, 4, v0
	v_and_b32_e32 v2, 12, v2
	s_waitcnt lgkmcnt(0)
	v_add_f32_e32 v5, v5, v6
	ds_write_b32 v2, v5
.LBB562_26:
	s_or_b64 exec, exec, s[4:5]
	v_cmp_gt_u32_e64 s[0:1], 4, v0
	v_mov_b32_e32 v2, 0
	s_waitcnt lgkmcnt(0)
	s_barrier
	s_and_saveexec_b64 s[4:5], s[0:1]
	s_cbranch_execz .LBB562_28
; %bb.27:
	ds_read_b32 v2, v1
	s_or_b64 exec, exec, s[4:5]
	s_and_saveexec_b64 s[0:1], vcc
	s_cbranch_execz .LBB562_30
	s_branch .LBB562_29
.LBB562_28:
	s_or_b64 exec, exec, s[4:5]
	s_and_saveexec_b64 s[0:1], vcc
	s_cbranch_execz .LBB562_30
.LBB562_29:
	s_waitcnt lgkmcnt(0)
	ds_bpermute_b32 v1, v3, v2
	s_waitcnt lgkmcnt(0)
	v_add_f32_e32 v1, v2, v1
	ds_bpermute_b32 v2, v4, v1
	s_waitcnt lgkmcnt(0)
	v_add_f32_e32 v2, v1, v2
.LBB562_30:
	s_or_b64 exec, exec, s[0:1]
	v_cmp_eq_u32_e32 vcc, 0, v0
                                        ; implicit-def: $vgpr1
                                        ; implicit-def: $sgpr14_sgpr15
	s_and_saveexec_b64 s[0:1], vcc
	s_cbranch_execz .LBB562_37
; %bb.31:
	v_cmp_eq_f32_e64 s[4:5], s22, 0
	s_waitcnt lgkmcnt(0)
	v_mul_f32_e32 v0, s24, v2
	s_and_b64 vcc, exec, s[4:5]
	s_cbranch_vccz .LBB562_45
; %bb.32:
	s_mov_b32 s3, 0x7f800000
	v_and_b32_e32 v1, 0x7f800000, v0
	v_cmp_ne_u32_e32 vcc, s3, v1
                                        ; implicit-def: $vgpr1
	s_and_saveexec_b64 s[4:5], vcc
	s_xor_b64 s[4:5], exec, s[4:5]
; %bb.33:
	v_bfe_u32 v1, v0, 16, 1
	s_movk_i32 s3, 0x7fff
	v_add3_u32 v1, v0, v1, s3
; %bb.34:
	s_andn2_saveexec_b64 s[4:5], s[4:5]
; %bb.35:
	v_mov_b32_e32 v1, 0
	v_or_b32_e32 v2, 0x10000, v0
	v_cmp_eq_u32_sdwa vcc, v0, v1 src0_sel:WORD_0 src1_sel:DWORD
	s_nop 1
	v_cndmask_b32_e32 v1, v2, v0, vcc
; %bb.36:
	s_or_b64 exec, exec, s[4:5]
	s_mul_i32 s14, s2, s23
	s_cbranch_execz .LBB562_46
	s_branch .LBB562_56
.LBB562_37:
	s_or_b64 exec, exec, s[0:1]
	s_and_saveexec_b64 s[0:1], s[6:7]
	s_cbranch_execz .LBB562_39
.LBB562_38:
	s_lshl_b64 s[0:1], s[14:15], 1
	s_add_u32 s0, s20, s0
	s_addc_u32 s1, s21, s1
	v_mov_b32_e32 v0, 0
	global_store_short v0, v1, s[0:1]
.LBB562_39:
	s_endpgm
.LBB562_40:
                                        ; implicit-def: $sgpr7
.LBB562_41:
	s_and_b32 s4, s6, 0xffff
	s_or_b32 s5, s6, 0x10000
	s_cmp_eq_u32 s4, 0
	s_cselect_b32 s7, s6, s5
.LBB562_42:
	s_lshr_b32 s25, s7, 16
.LBB562_43:
	s_mov_b64 s[6:7], exec
	s_or_b64 exec, exec, s[18:19]
	s_and_b64 vcc, exec, s[16:17]
	s_cbranch_vccnz .LBB562_7
.LBB562_44:
	v_mov_b32_e32 v1, s25
	s_and_saveexec_b64 s[0:1], s[6:7]
	s_cbranch_execnz .LBB562_38
	s_branch .LBB562_39
.LBB562_45:
                                        ; implicit-def: $vgpr1
	s_mul_i32 s14, s2, s23
.LBB562_46:
	s_ashr_i32 s15, s14, 31
	s_lshl_b64 s[2:3], s[14:15], 1
	s_add_u32 s2, s20, s2
	s_addc_u32 s3, s21, s3
	v_mov_b32_e32 v1, 0
	global_load_ushort v1, v1, s[2:3]
	s_mov_b32 s2, 0x7f800000
	s_waitcnt vmcnt(0)
	v_lshlrev_b32_e32 v1, 16, v1
	v_mul_f32_e32 v1, s22, v1
	v_and_b32_e32 v2, 0x7f800000, v1
	v_cmp_eq_u32_e32 vcc, s2, v2
	v_readfirstlane_b32 s4, v1
	s_cbranch_vccnz .LBB562_48
; %bb.47:
	s_bfe_u32 s2, s4, 0x10010
	s_add_i32 s2, s4, s2
	s_add_i32 s5, s2, 0x7fff
	s_mov_b64 s[2:3], 0
	s_branch .LBB562_49
.LBB562_48:
	s_mov_b64 s[2:3], -1
                                        ; implicit-def: $sgpr5
.LBB562_49:
	s_andn2_b64 vcc, exec, s[2:3]
	s_cbranch_vccnz .LBB562_51
; %bb.50:
	s_and_b32 s2, s4, 0xffff
	s_or_b32 s3, s4, 0x10000
	s_cmp_eq_u32 s2, 0
	s_cselect_b32 s5, s4, s3
.LBB562_51:
	s_and_b32 s2, s5, 0xffff0000
	v_add_f32_e32 v0, s2, v0
	s_mov_b32 s2, 0x7f800000
	v_and_b32_e32 v1, 0x7f800000, v0
	v_cmp_ne_u32_e32 vcc, s2, v1
                                        ; implicit-def: $vgpr1
	s_and_saveexec_b64 s[2:3], vcc
	s_xor_b64 s[2:3], exec, s[2:3]
; %bb.52:
	v_bfe_u32 v1, v0, 16, 1
	s_movk_i32 s4, 0x7fff
	v_add3_u32 v1, v0, v1, s4
                                        ; implicit-def: $vgpr0
; %bb.53:
	s_andn2_saveexec_b64 s[2:3], s[2:3]
; %bb.54:
	v_mov_b32_e32 v1, 0
	v_or_b32_e32 v2, 0x10000, v0
	v_cmp_eq_u32_sdwa vcc, v0, v1 src0_sel:WORD_0 src1_sel:DWORD
	s_nop 1
	v_cndmask_b32_e32 v1, v2, v0, vcc
; %bb.55:
	s_or_b64 exec, exec, s[2:3]
.LBB562_56:
	v_lshrrev_b32_e32 v1, 16, v1
	s_ashr_i32 s15, s14, 31
	s_or_b64 s[6:7], s[6:7], exec
	s_or_b64 exec, exec, s[0:1]
	s_and_saveexec_b64 s[0:1], s[6:7]
	s_cbranch_execnz .LBB562_38
	s_branch .LBB562_39
	.section	.rodata,"a",@progbits
	.p2align	6, 0x0
	.amdhsa_kernel _ZL32rocblas_gemvt_warp_reduce_kernelILb0ELi256Ei16rocblas_bfloat16PKfS0_EviiT3_lPKT2_lT1_lS6_lS7_lS3_lPT4_lS7_li
		.amdhsa_group_segment_fixed_size 256
		.amdhsa_private_segment_fixed_size 0
		.amdhsa_kernarg_size 140
		.amdhsa_user_sgpr_count 2
		.amdhsa_user_sgpr_dispatch_ptr 0
		.amdhsa_user_sgpr_queue_ptr 0
		.amdhsa_user_sgpr_kernarg_segment_ptr 1
		.amdhsa_user_sgpr_dispatch_id 0
		.amdhsa_user_sgpr_kernarg_preload_length 0
		.amdhsa_user_sgpr_kernarg_preload_offset 0
		.amdhsa_user_sgpr_private_segment_size 0
		.amdhsa_uses_dynamic_stack 0
		.amdhsa_enable_private_segment 0
		.amdhsa_system_sgpr_workgroup_id_x 1
		.amdhsa_system_sgpr_workgroup_id_y 0
		.amdhsa_system_sgpr_workgroup_id_z 1
		.amdhsa_system_sgpr_workgroup_info 0
		.amdhsa_system_vgpr_workitem_id 0
		.amdhsa_next_free_vgpr 14
		.amdhsa_next_free_sgpr 32
		.amdhsa_accum_offset 16
		.amdhsa_reserve_vcc 1
		.amdhsa_float_round_mode_32 0
		.amdhsa_float_round_mode_16_64 0
		.amdhsa_float_denorm_mode_32 3
		.amdhsa_float_denorm_mode_16_64 3
		.amdhsa_dx10_clamp 1
		.amdhsa_ieee_mode 1
		.amdhsa_fp16_overflow 0
		.amdhsa_tg_split 0
		.amdhsa_exception_fp_ieee_invalid_op 0
		.amdhsa_exception_fp_denorm_src 0
		.amdhsa_exception_fp_ieee_div_zero 0
		.amdhsa_exception_fp_ieee_overflow 0
		.amdhsa_exception_fp_ieee_underflow 0
		.amdhsa_exception_fp_ieee_inexact 0
		.amdhsa_exception_int_div_zero 0
	.end_amdhsa_kernel
	.section	.text._ZL32rocblas_gemvt_warp_reduce_kernelILb0ELi256Ei16rocblas_bfloat16PKfS0_EviiT3_lPKT2_lT1_lS6_lS7_lS3_lPT4_lS7_li,"axG",@progbits,_ZL32rocblas_gemvt_warp_reduce_kernelILb0ELi256Ei16rocblas_bfloat16PKfS0_EviiT3_lPKT2_lT1_lS6_lS7_lS3_lPT4_lS7_li,comdat
.Lfunc_end562:
	.size	_ZL32rocblas_gemvt_warp_reduce_kernelILb0ELi256Ei16rocblas_bfloat16PKfS0_EviiT3_lPKT2_lT1_lS6_lS7_lS3_lPT4_lS7_li, .Lfunc_end562-_ZL32rocblas_gemvt_warp_reduce_kernelILb0ELi256Ei16rocblas_bfloat16PKfS0_EviiT3_lPKT2_lT1_lS6_lS7_lS3_lPT4_lS7_li
                                        ; -- End function
	.section	.AMDGPU.csdata,"",@progbits
; Kernel info:
; codeLenInByte = 1964
; NumSgprs: 38
; NumVgprs: 14
; NumAgprs: 0
; TotalNumVgprs: 14
; ScratchSize: 0
; MemoryBound: 0
; FloatMode: 240
; IeeeMode: 1
; LDSByteSize: 256 bytes/workgroup (compile time only)
; SGPRBlocks: 4
; VGPRBlocks: 1
; NumSGPRsForWavesPerEU: 38
; NumVGPRsForWavesPerEU: 14
; AccumOffset: 16
; Occupancy: 8
; WaveLimiterHint : 1
; COMPUTE_PGM_RSRC2:SCRATCH_EN: 0
; COMPUTE_PGM_RSRC2:USER_SGPR: 2
; COMPUTE_PGM_RSRC2:TRAP_HANDLER: 0
; COMPUTE_PGM_RSRC2:TGID_X_EN: 1
; COMPUTE_PGM_RSRC2:TGID_Y_EN: 0
; COMPUTE_PGM_RSRC2:TGID_Z_EN: 1
; COMPUTE_PGM_RSRC2:TIDIG_COMP_CNT: 0
; COMPUTE_PGM_RSRC3_GFX90A:ACCUM_OFFSET: 3
; COMPUTE_PGM_RSRC3_GFX90A:TG_SPLIT: 0
	.section	.text._ZL32rocblas_gemvt_warp_reduce_kernelILb0ELi256El16rocblas_bfloat16PKfS0_EviiT3_lPKT2_lT1_lS6_lS7_lS3_lPT4_lS7_li,"axG",@progbits,_ZL32rocblas_gemvt_warp_reduce_kernelILb0ELi256El16rocblas_bfloat16PKfS0_EviiT3_lPKT2_lT1_lS6_lS7_lS3_lPT4_lS7_li,comdat
	.globl	_ZL32rocblas_gemvt_warp_reduce_kernelILb0ELi256El16rocblas_bfloat16PKfS0_EviiT3_lPKT2_lT1_lS6_lS7_lS3_lPT4_lS7_li ; -- Begin function _ZL32rocblas_gemvt_warp_reduce_kernelILb0ELi256El16rocblas_bfloat16PKfS0_EviiT3_lPKT2_lT1_lS6_lS7_lS3_lPT4_lS7_li
	.p2align	8
	.type	_ZL32rocblas_gemvt_warp_reduce_kernelILb0ELi256El16rocblas_bfloat16PKfS0_EviiT3_lPKT2_lT1_lS6_lS7_lS3_lPT4_lS7_li,@function
_ZL32rocblas_gemvt_warp_reduce_kernelILb0ELi256El16rocblas_bfloat16PKfS0_EviiT3_lPKT2_lT1_lS6_lS7_lS3_lPT4_lS7_li: ; @_ZL32rocblas_gemvt_warp_reduce_kernelILb0ELi256El16rocblas_bfloat16PKfS0_EviiT3_lPKT2_lT1_lS6_lS7_lS3_lPT4_lS7_li
; %bb.0:
	s_load_dwordx16 s[36:51], s[0:1], 0x8
	s_load_dwordx16 s[8:23], s[0:1], 0x48
	s_waitcnt lgkmcnt(0)
	s_mul_i32 s4, s3, s39
	s_mul_hi_u32 s5, s3, s38
	s_add_i32 s5, s5, s4
	s_mul_i32 s4, s3, s38
	s_lshl_b64 s[4:5], s[4:5], 2
	s_add_u32 s4, s36, s4
	s_addc_u32 s5, s37, s5
	s_load_dword s25, s[4:5], 0x0
	s_mul_i32 s4, s3, s15
	s_mul_hi_u32 s5, s3, s14
	s_add_i32 s5, s5, s4
	s_mul_i32 s4, s3, s14
	s_lshl_b64 s[4:5], s[4:5], 2
	s_add_u32 s4, s12, s4
	s_addc_u32 s5, s13, s5
	s_load_dword s24, s[4:5], 0x0
	s_waitcnt lgkmcnt(0)
	v_cmp_eq_f32_e64 s[4:5], s25, 0
	v_cmp_eq_f32_e64 s[6:7], s24, 1.0
	s_and_b64 s[4:5], s[4:5], s[6:7]
	s_and_b64 vcc, exec, s[4:5]
	s_cbranch_vccnz .LBB563_39
; %bb.1:
	s_mul_i32 s4, s3, s23
	s_mul_hi_u32 s5, s3, s22
	s_add_i32 s5, s5, s4
	s_mul_i32 s4, s3, s22
	s_lshl_b64 s[4:5], s[4:5], 1
	s_add_u32 s6, s16, s4
	s_addc_u32 s7, s17, s5
	s_lshl_b64 s[4:5], s[18:19], 1
	s_add_u32 s22, s6, s4
	s_addc_u32 s23, s7, s5
	v_cmp_neq_f32_e64 s[4:5], s25, 0
	s_and_b64 vcc, exec, s[4:5]
	v_cmp_eq_u32_e64 s[4:5], 0, v0
	s_cbranch_vccnz .LBB563_6
; %bb.2:
	s_mov_b64 s[14:15], 0
	s_mov_b64 s[6:7], 0
                                        ; implicit-def: $sgpr18
                                        ; implicit-def: $sgpr12_sgpr13
	s_and_saveexec_b64 s[16:17], s[4:5]
	s_cbranch_execz .LBB563_14
; %bb.3:
	s_ashr_i32 s6, s2, 31
	s_mul_i32 s7, s2, s21
	s_mul_hi_u32 s12, s2, s20
	v_cmp_eq_f32_e64 s[4:5], s24, 0
	s_add_i32 s7, s12, s7
	s_mul_i32 s6, s6, s20
	s_mov_b32 s18, 0
	s_add_i32 s13, s7, s6
	s_mul_i32 s12, s2, s20
	s_and_b64 vcc, exec, s[4:5]
	s_cbranch_vccnz .LBB563_43
; %bb.4:
	s_lshl_b64 s[4:5], s[12:13], 1
	s_add_u32 s4, s22, s4
	s_addc_u32 s5, s23, s5
	v_mov_b32_e32 v1, 0
	global_load_ushort v1, v1, s[4:5]
	s_mov_b32 s4, 0x7f800000
	s_waitcnt vmcnt(0)
	v_lshlrev_b32_e32 v1, 16, v1
	v_mul_f32_e32 v1, s24, v1
	v_and_b32_e32 v2, 0x7f800000, v1
	v_cmp_eq_u32_e32 vcc, s4, v2
	v_readfirstlane_b32 s6, v1
	s_cbranch_vccnz .LBB563_40
; %bb.5:
	s_bfe_u32 s4, s6, 0x10010
	s_add_i32 s4, s6, s4
	s_add_i32 s7, s4, 0x7fff
	s_cbranch_execz .LBB563_41
	s_branch .LBB563_42
.LBB563_6:
	s_mov_b64 s[6:7], 0
                                        ; implicit-def: $sgpr18
                                        ; implicit-def: $sgpr12_sgpr13
	s_cbranch_execz .LBB563_44
.LBB563_7:
	s_mul_i32 s4, s3, s11
	s_mul_hi_u32 s5, s3, s10
	s_add_i32 s5, s5, s4
	s_mul_i32 s4, s3, s10
	s_load_dword s1, s[0:1], 0x0
	s_mul_i32 s0, s3, s47
	s_mul_hi_u32 s10, s3, s46
	s_add_i32 s11, s10, s0
	s_mul_i32 s10, s3, s46
	s_lshl_b64 s[10:11], s[10:11], 1
	s_add_u32 s0, s40, s10
	s_addc_u32 s3, s41, s11
	s_lshl_b64 s[10:11], s[42:43], 1
	s_add_u32 s0, s0, s10
	s_addc_u32 s12, s3, s11
	s_ashr_i32 s3, s2, 31
	s_mul_i32 s10, s2, s45
	s_mul_hi_u32 s11, s2, s44
	s_add_i32 s10, s11, s10
	s_mul_i32 s11, s3, s44
	s_add_i32 s11, s10, s11
	s_mul_i32 s10, s2, s44
	s_lshl_b64 s[10:11], s[10:11], 1
	s_add_u32 s10, s10, s0
	s_addc_u32 s11, s11, s12
	s_waitcnt lgkmcnt(0)
	s_ashr_i32 s0, s1, 31
	v_cmp_gt_i32_e32 vcc, s1, v0
	s_lshr_b32 s0, s0, 24
	s_add_i32 s0, s1, s0
	v_cndmask_b32_e32 v1, 0, v0, vcc
	v_lshlrev_b32_e32 v2, 1, v1
	v_mov_b32_e32 v3, 0
	s_and_b32 s0, s0, 0xffffff00
	v_lshl_add_u64 v[4:5], s[10:11], 0, v[2:3]
	v_cmp_gt_i32_e32 vcc, s0, v0
	s_and_saveexec_b64 s[10:11], vcc
	s_cbranch_execz .LBB563_16
; %bb.8:
	v_mad_u64_u32 v[2:3], s[14:15], s8, v0, 0
	v_mov_b32_e32 v6, v3
	v_mad_u64_u32 v[6:7], s[14:15], s9, v0, v[6:7]
	s_lshl_b64 s[12:13], s[4:5], 1
	s_lshl_b64 s[14:15], s[50:51], 1
	s_add_u32 s14, s48, s14
	s_addc_u32 s15, s49, s15
	s_add_u32 s12, s14, s12
	v_mov_b32_e32 v3, v6
	s_addc_u32 s13, s15, s13
	v_lshl_add_u64 v[6:7], v[2:3], 1, s[12:13]
	s_lshl_b64 s[14:15], s[8:9], 9
	s_mov_b64 s[12:13], 0
	v_mov_b32_e32 v1, 0
	s_mov_b32 s26, 0x7f800000
	s_movk_i32 s27, 0x7fff
	s_mov_b64 s[16:17], 0x200
	v_mov_b64_e32 v[8:9], v[4:5]
	v_mov_b32_e32 v2, v0
	v_mov_b32_e32 v3, 0
	s_branch .LBB563_10
.LBB563_9:                              ;   in Loop: Header=BB563_10 Depth=1
	s_or_b64 exec, exec, s[18:19]
	v_add_u32_e32 v2, 0x100, v2
	v_and_b32_e32 v10, 0xffff0000, v12
	v_cmp_le_i32_e32 vcc, s0, v2
	v_add_f32_e32 v3, v3, v10
	v_lshl_add_u64 v[8:9], v[8:9], 0, s[16:17]
	s_or_b64 s[12:13], vcc, s[12:13]
	v_lshl_add_u64 v[6:7], v[6:7], 0, s[14:15]
	s_andn2_b64 exec, exec, s[12:13]
	s_cbranch_execz .LBB563_15
.LBB563_10:                             ; =>This Inner Loop Header: Depth=1
	global_load_ushort v10, v[6:7], off
	global_load_ushort v11, v[8:9], off
	s_waitcnt vmcnt(1)
	v_lshlrev_b32_e32 v10, 16, v10
	s_waitcnt vmcnt(0)
	v_lshlrev_b32_e32 v12, 16, v11
	v_pk_mul_f32 v[10:11], v[10:11], v[12:13] op_sel_hi:[0,1]
	v_and_b32_e32 v11, 0x7f800000, v10
	v_cmp_ne_u32_e32 vcc, s26, v11
                                        ; implicit-def: $vgpr12
	s_and_saveexec_b64 s[18:19], vcc
	s_xor_b64 s[18:19], exec, s[18:19]
; %bb.11:                               ;   in Loop: Header=BB563_10 Depth=1
	v_bfe_u32 v11, v10, 16, 1
	v_add3_u32 v12, v10, v11, s27
                                        ; implicit-def: $vgpr10_vgpr11
; %bb.12:                               ;   in Loop: Header=BB563_10 Depth=1
	s_andn2_saveexec_b64 s[18:19], s[18:19]
	s_cbranch_execz .LBB563_9
; %bb.13:                               ;   in Loop: Header=BB563_10 Depth=1
	v_or_b32_e32 v11, 0x10000, v10
	v_cmp_eq_u32_sdwa vcc, v10, v1 src0_sel:WORD_0 src1_sel:DWORD
	s_nop 1
	v_cndmask_b32_e32 v12, v11, v10, vcc
	s_branch .LBB563_9
.LBB563_14:
	s_or_b64 exec, exec, s[16:17]
	s_and_b64 vcc, exec, s[14:15]
	s_cbranch_vccnz .LBB563_7
	s_branch .LBB563_44
.LBB563_15:
	s_or_b64 exec, exec, s[12:13]
.LBB563_16:
	s_or_b64 exec, exec, s[10:11]
	v_add_u32_e32 v1, s0, v0
	v_cmp_gt_i32_e32 vcc, s1, v1
	s_and_saveexec_b64 s[10:11], vcc
	s_cbranch_execz .LBB563_22
; %bb.17:
	s_lshl_b64 s[4:5], s[4:5], 1
	s_add_u32 s1, s48, s4
	s_addc_u32 s12, s49, s5
	s_lshl_b64 s[4:5], s[50:51], 1
	s_add_u32 s4, s1, s4
	s_addc_u32 s5, s12, s5
	s_ashr_i32 s1, s0, 31
	v_ashrrev_i32_e32 v2, 31, v1
	v_lshl_add_u64 v[4:5], s[0:1], 1, v[4:5]
	v_mul_lo_u32 v8, v1, s9
	v_mul_lo_u32 v2, v2, s8
	v_mad_u64_u32 v[6:7], s[0:1], v1, s8, 0
	v_add3_u32 v7, v7, v8, v2
	v_lshl_add_u64 v[6:7], v[6:7], 1, s[4:5]
	global_load_ushort v1, v[6:7], off
	global_load_ushort v8, v[4:5], off
	s_mov_b32 s0, 0x7f800000
	s_waitcnt vmcnt(1)
	v_lshlrev_b32_e32 v2, 16, v1
	s_waitcnt vmcnt(0)
	v_lshlrev_b32_e32 v4, 16, v8
	v_pk_mul_f32 v[4:5], v[2:3], v[4:5] op_sel_hi:[0,1]
	v_and_b32_e32 v1, 0x7f800000, v4
	v_cmp_ne_u32_e32 vcc, s0, v1
                                        ; implicit-def: $vgpr1
	s_and_saveexec_b64 s[0:1], vcc
	s_xor_b64 s[0:1], exec, s[0:1]
; %bb.18:
	v_bfe_u32 v1, v4, 16, 1
	s_movk_i32 s4, 0x7fff
	v_add3_u32 v1, v4, v1, s4
                                        ; implicit-def: $vgpr4_vgpr5
; %bb.19:
	s_andn2_saveexec_b64 s[0:1], s[0:1]
; %bb.20:
	v_mov_b32_e32 v1, 0
	v_or_b32_e32 v2, 0x10000, v4
	v_cmp_eq_u32_sdwa vcc, v4, v1 src0_sel:WORD_0 src1_sel:DWORD
	s_nop 1
	v_cndmask_b32_e32 v1, v2, v4, vcc
; %bb.21:
	s_or_b64 exec, exec, s[0:1]
	v_and_b32_e32 v1, 0xffff0000, v1
	v_add_f32_e32 v3, v3, v1
.LBB563_22:
	s_or_b64 exec, exec, s[10:11]
	v_and_b32_e32 v2, 63, v0
	v_cmp_gt_u32_e32 vcc, 64, v0
	v_lshlrev_b32_e32 v1, 2, v2
	s_and_saveexec_b64 s[0:1], vcc
	s_cbranch_execz .LBB563_24
; %bb.23:
	v_mov_b32_e32 v4, 0
	ds_write_b32 v1, v4
.LBB563_24:
	s_or_b64 exec, exec, s[0:1]
	v_mbcnt_lo_u32_b32 v4, -1, 0
	v_mbcnt_hi_u32_b32 v4, -1, v4
	v_and_b32_e32 v5, 63, v4
	v_cmp_gt_u32_e64 s[0:1], 32, v5
	s_waitcnt lgkmcnt(0)
	s_barrier
	v_cndmask_b32_e64 v6, 0, 1, s[0:1]
	v_lshlrev_b32_e32 v6, 5, v6
	v_add_lshl_u32 v6, v6, v4, 2
	ds_bpermute_b32 v6, v6, v3
	v_cmp_gt_u32_e64 s[0:1], 48, v5
	s_waitcnt lgkmcnt(0)
	v_add_f32_e32 v3, v3, v6
	v_cndmask_b32_e64 v7, 0, 1, s[0:1]
	v_lshlrev_b32_e32 v7, 4, v7
	v_add_lshl_u32 v6, v7, v4, 2
	ds_bpermute_b32 v6, v6, v3
	v_cmp_gt_u32_e64 s[0:1], 56, v5
	s_waitcnt lgkmcnt(0)
	v_add_f32_e32 v3, v3, v6
	;; [unrolled: 7-line block ×4, first 2 shown]
	v_cndmask_b32_e64 v7, 0, 1, s[0:1]
	v_lshlrev_b32_e32 v7, 1, v7
	v_add_lshl_u32 v3, v7, v4, 2
	ds_bpermute_b32 v7, v3, v6
	v_cmp_ne_u32_e64 s[0:1], 63, v5
	s_waitcnt lgkmcnt(0)
	v_add_f32_e32 v5, v6, v7
	v_addc_co_u32_e64 v4, s[0:1], 0, v4, s[0:1]
	v_lshlrev_b32_e32 v4, 2, v4
	ds_bpermute_b32 v6, v4, v5
	v_cmp_eq_u32_e64 s[0:1], 0, v2
	s_and_saveexec_b64 s[4:5], s[0:1]
	s_cbranch_execz .LBB563_26
; %bb.25:
	v_lshrrev_b32_e32 v2, 4, v0
	v_and_b32_e32 v2, 12, v2
	s_waitcnt lgkmcnt(0)
	v_add_f32_e32 v5, v5, v6
	ds_write_b32 v2, v5
.LBB563_26:
	s_or_b64 exec, exec, s[4:5]
	v_cmp_gt_u32_e64 s[0:1], 4, v0
	v_mov_b32_e32 v2, 0
	s_waitcnt lgkmcnt(0)
	s_barrier
	s_and_saveexec_b64 s[4:5], s[0:1]
	s_cbranch_execz .LBB563_28
; %bb.27:
	ds_read_b32 v2, v1
	s_or_b64 exec, exec, s[4:5]
	s_and_saveexec_b64 s[0:1], vcc
	s_cbranch_execz .LBB563_30
	s_branch .LBB563_29
.LBB563_28:
	s_or_b64 exec, exec, s[4:5]
	s_and_saveexec_b64 s[0:1], vcc
	s_cbranch_execz .LBB563_30
.LBB563_29:
	s_waitcnt lgkmcnt(0)
	ds_bpermute_b32 v1, v3, v2
	s_waitcnt lgkmcnt(0)
	v_add_f32_e32 v1, v2, v1
	ds_bpermute_b32 v2, v4, v1
	s_waitcnt lgkmcnt(0)
	v_add_f32_e32 v2, v1, v2
.LBB563_30:
	s_or_b64 exec, exec, s[0:1]
	v_cmp_eq_u32_e32 vcc, 0, v0
                                        ; implicit-def: $vgpr1
                                        ; implicit-def: $sgpr12_sgpr13
	s_and_saveexec_b64 s[0:1], vcc
	s_cbranch_execz .LBB563_37
; %bb.31:
	v_cmp_eq_f32_e64 s[4:5], s24, 0
	s_waitcnt lgkmcnt(0)
	v_mul_f32_e32 v0, s25, v2
	s_and_b64 vcc, exec, s[4:5]
	s_cbranch_vccz .LBB563_45
; %bb.32:
	s_mov_b32 s4, 0x7f800000
	v_and_b32_e32 v1, 0x7f800000, v0
	v_cmp_ne_u32_e32 vcc, s4, v1
                                        ; implicit-def: $vgpr1
	s_and_saveexec_b64 s[4:5], vcc
	s_xor_b64 s[4:5], exec, s[4:5]
; %bb.33:
	v_bfe_u32 v1, v0, 16, 1
	s_movk_i32 s8, 0x7fff
	v_add3_u32 v1, v0, v1, s8
; %bb.34:
	s_andn2_saveexec_b64 s[4:5], s[4:5]
; %bb.35:
	v_mov_b32_e32 v1, 0
	v_or_b32_e32 v2, 0x10000, v0
	v_cmp_eq_u32_sdwa vcc, v0, v1 src0_sel:WORD_0 src1_sel:DWORD
	s_nop 1
	v_cndmask_b32_e32 v1, v2, v0, vcc
; %bb.36:
	s_or_b64 exec, exec, s[4:5]
	s_mov_b64 s[4:5], 0
	s_branch .LBB563_46
.LBB563_37:
	s_or_b64 exec, exec, s[0:1]
	s_and_saveexec_b64 s[0:1], s[6:7]
	s_cbranch_execz .LBB563_39
.LBB563_38:
	s_lshl_b64 s[0:1], s[12:13], 1
	s_add_u32 s0, s22, s0
	s_addc_u32 s1, s23, s1
	v_mov_b32_e32 v0, 0
	global_store_short v0, v1, s[0:1]
.LBB563_39:
	s_endpgm
.LBB563_40:
                                        ; implicit-def: $sgpr7
.LBB563_41:
	s_and_b32 s4, s6, 0xffff
	s_or_b32 s5, s6, 0x10000
	s_cmp_eq_u32 s4, 0
	s_cselect_b32 s7, s6, s5
.LBB563_42:
	s_lshr_b32 s18, s7, 16
.LBB563_43:
	s_mov_b64 s[6:7], exec
	s_or_b64 exec, exec, s[16:17]
	s_and_b64 vcc, exec, s[14:15]
	s_cbranch_vccnz .LBB563_7
.LBB563_44:
	v_mov_b32_e32 v1, s18
	s_and_saveexec_b64 s[0:1], s[6:7]
	s_cbranch_execnz .LBB563_38
	s_branch .LBB563_39
.LBB563_45:
	s_mov_b64 s[4:5], -1
                                        ; implicit-def: $vgpr1
.LBB563_46:
	s_andn2_b64 vcc, exec, s[4:5]
	s_mul_i32 s4, s2, s21
	s_mul_hi_u32 s5, s2, s20
	s_mul_i32 s8, s3, s20
	s_mul_i32 s12, s2, s20
	s_cbranch_vccnz .LBB563_57
; %bb.47:
	s_add_i32 s2, s5, s4
	s_add_i32 s13, s2, s8
	s_lshl_b64 s[2:3], s[12:13], 1
	s_add_u32 s2, s22, s2
	s_addc_u32 s3, s23, s3
	v_mov_b32_e32 v1, 0
	global_load_ushort v1, v1, s[2:3]
	s_mov_b32 s2, 0x7f800000
	s_waitcnt vmcnt(0)
	v_lshlrev_b32_e32 v1, 16, v1
	v_mul_f32_e32 v1, s24, v1
	v_and_b32_e32 v2, 0x7f800000, v1
	v_cmp_eq_u32_e32 vcc, s2, v2
	v_readfirstlane_b32 s9, v1
	s_cbranch_vccnz .LBB563_49
; %bb.48:
	s_bfe_u32 s2, s9, 0x10010
	s_add_i32 s2, s9, s2
	s_add_i32 s10, s2, 0x7fff
	s_mov_b64 s[2:3], 0
	s_branch .LBB563_50
.LBB563_49:
	s_mov_b64 s[2:3], -1
                                        ; implicit-def: $sgpr10
.LBB563_50:
	s_andn2_b64 vcc, exec, s[2:3]
	s_cbranch_vccnz .LBB563_52
; %bb.51:
	s_and_b32 s2, s9, 0xffff
	s_or_b32 s3, s9, 0x10000
	s_cmp_eq_u32 s2, 0
	s_cselect_b32 s10, s9, s3
.LBB563_52:
	s_and_b32 s2, s10, 0xffff0000
	v_add_f32_e32 v0, s2, v0
	s_mov_b32 s2, 0x7f800000
	v_and_b32_e32 v1, 0x7f800000, v0
	v_cmp_ne_u32_e32 vcc, s2, v1
                                        ; implicit-def: $vgpr1
	s_and_saveexec_b64 s[2:3], vcc
	s_xor_b64 s[2:3], exec, s[2:3]
; %bb.53:
	v_bfe_u32 v1, v0, 16, 1
	s_movk_i32 s9, 0x7fff
	v_add3_u32 v1, v0, v1, s9
                                        ; implicit-def: $vgpr0
; %bb.54:
	s_andn2_saveexec_b64 s[2:3], s[2:3]
; %bb.55:
	v_mov_b32_e32 v1, 0
	v_or_b32_e32 v2, 0x10000, v0
	v_cmp_eq_u32_sdwa vcc, v0, v1 src0_sel:WORD_0 src1_sel:DWORD
	s_nop 1
	v_cndmask_b32_e32 v1, v2, v0, vcc
; %bb.56:
	s_or_b64 exec, exec, s[2:3]
.LBB563_57:
	s_add_i32 s2, s5, s4
	v_lshrrev_b32_e32 v1, 16, v1
	s_add_i32 s13, s2, s8
	s_or_b64 s[6:7], s[6:7], exec
	s_or_b64 exec, exec, s[0:1]
	s_and_saveexec_b64 s[0:1], s[6:7]
	s_cbranch_execnz .LBB563_38
	s_branch .LBB563_39
	.section	.rodata,"a",@progbits
	.p2align	6, 0x0
	.amdhsa_kernel _ZL32rocblas_gemvt_warp_reduce_kernelILb0ELi256El16rocblas_bfloat16PKfS0_EviiT3_lPKT2_lT1_lS6_lS7_lS3_lPT4_lS7_li
		.amdhsa_group_segment_fixed_size 256
		.amdhsa_private_segment_fixed_size 0
		.amdhsa_kernarg_size 140
		.amdhsa_user_sgpr_count 2
		.amdhsa_user_sgpr_dispatch_ptr 0
		.amdhsa_user_sgpr_queue_ptr 0
		.amdhsa_user_sgpr_kernarg_segment_ptr 1
		.amdhsa_user_sgpr_dispatch_id 0
		.amdhsa_user_sgpr_kernarg_preload_length 0
		.amdhsa_user_sgpr_kernarg_preload_offset 0
		.amdhsa_user_sgpr_private_segment_size 0
		.amdhsa_uses_dynamic_stack 0
		.amdhsa_enable_private_segment 0
		.amdhsa_system_sgpr_workgroup_id_x 1
		.amdhsa_system_sgpr_workgroup_id_y 0
		.amdhsa_system_sgpr_workgroup_id_z 1
		.amdhsa_system_sgpr_workgroup_info 0
		.amdhsa_system_vgpr_workitem_id 0
		.amdhsa_next_free_vgpr 14
		.amdhsa_next_free_sgpr 52
		.amdhsa_accum_offset 16
		.amdhsa_reserve_vcc 1
		.amdhsa_float_round_mode_32 0
		.amdhsa_float_round_mode_16_64 0
		.amdhsa_float_denorm_mode_32 3
		.amdhsa_float_denorm_mode_16_64 3
		.amdhsa_dx10_clamp 1
		.amdhsa_ieee_mode 1
		.amdhsa_fp16_overflow 0
		.amdhsa_tg_split 0
		.amdhsa_exception_fp_ieee_invalid_op 0
		.amdhsa_exception_fp_denorm_src 0
		.amdhsa_exception_fp_ieee_div_zero 0
		.amdhsa_exception_fp_ieee_overflow 0
		.amdhsa_exception_fp_ieee_underflow 0
		.amdhsa_exception_fp_ieee_inexact 0
		.amdhsa_exception_int_div_zero 0
	.end_amdhsa_kernel
	.section	.text._ZL32rocblas_gemvt_warp_reduce_kernelILb0ELi256El16rocblas_bfloat16PKfS0_EviiT3_lPKT2_lT1_lS6_lS7_lS3_lPT4_lS7_li,"axG",@progbits,_ZL32rocblas_gemvt_warp_reduce_kernelILb0ELi256El16rocblas_bfloat16PKfS0_EviiT3_lPKT2_lT1_lS6_lS7_lS3_lPT4_lS7_li,comdat
.Lfunc_end563:
	.size	_ZL32rocblas_gemvt_warp_reduce_kernelILb0ELi256El16rocblas_bfloat16PKfS0_EviiT3_lPKT2_lT1_lS6_lS7_lS3_lPT4_lS7_li, .Lfunc_end563-_ZL32rocblas_gemvt_warp_reduce_kernelILb0ELi256El16rocblas_bfloat16PKfS0_EviiT3_lPKT2_lT1_lS6_lS7_lS3_lPT4_lS7_li
                                        ; -- End function
	.section	.AMDGPU.csdata,"",@progbits
; Kernel info:
; codeLenInByte = 2028
; NumSgprs: 58
; NumVgprs: 14
; NumAgprs: 0
; TotalNumVgprs: 14
; ScratchSize: 0
; MemoryBound: 0
; FloatMode: 240
; IeeeMode: 1
; LDSByteSize: 256 bytes/workgroup (compile time only)
; SGPRBlocks: 7
; VGPRBlocks: 1
; NumSGPRsForWavesPerEU: 58
; NumVGPRsForWavesPerEU: 14
; AccumOffset: 16
; Occupancy: 8
; WaveLimiterHint : 0
; COMPUTE_PGM_RSRC2:SCRATCH_EN: 0
; COMPUTE_PGM_RSRC2:USER_SGPR: 2
; COMPUTE_PGM_RSRC2:TRAP_HANDLER: 0
; COMPUTE_PGM_RSRC2:TGID_X_EN: 1
; COMPUTE_PGM_RSRC2:TGID_Y_EN: 0
; COMPUTE_PGM_RSRC2:TGID_Z_EN: 1
; COMPUTE_PGM_RSRC2:TIDIG_COMP_CNT: 0
; COMPUTE_PGM_RSRC3_GFX90A:ACCUM_OFFSET: 3
; COMPUTE_PGM_RSRC3_GFX90A:TG_SPLIT: 0
	.section	.text._ZL32rocblas_gemvt_warp_reduce_kernelILb0ELi256Ei16rocblas_bfloat16fS0_EviiT3_lPKT2_lT1_lS4_lS5_lS1_lPT4_lS5_li,"axG",@progbits,_ZL32rocblas_gemvt_warp_reduce_kernelILb0ELi256Ei16rocblas_bfloat16fS0_EviiT3_lPKT2_lT1_lS4_lS5_lS1_lPT4_lS5_li,comdat
	.globl	_ZL32rocblas_gemvt_warp_reduce_kernelILb0ELi256Ei16rocblas_bfloat16fS0_EviiT3_lPKT2_lT1_lS4_lS5_lS1_lPT4_lS5_li ; -- Begin function _ZL32rocblas_gemvt_warp_reduce_kernelILb0ELi256Ei16rocblas_bfloat16fS0_EviiT3_lPKT2_lT1_lS4_lS5_lS1_lPT4_lS5_li
	.p2align	8
	.type	_ZL32rocblas_gemvt_warp_reduce_kernelILb0ELi256Ei16rocblas_bfloat16fS0_EviiT3_lPKT2_lT1_lS4_lS5_lS1_lPT4_lS5_li,@function
_ZL32rocblas_gemvt_warp_reduce_kernelILb0ELi256Ei16rocblas_bfloat16fS0_EviiT3_lPKT2_lT1_lS4_lS5_lS1_lPT4_lS5_li: ; @_ZL32rocblas_gemvt_warp_reduce_kernelILb0ELi256Ei16rocblas_bfloat16fS0_EviiT3_lPKT2_lT1_lS4_lS5_lS1_lPT4_lS5_li
; %bb.0:
	s_load_dword s20, s[0:1], 0x8
	s_load_dword s18, s[0:1], 0x58
	s_waitcnt lgkmcnt(0)
	v_cmp_eq_f32_e64 s[4:5], s20, 0
	v_cmp_eq_f32_e64 s[6:7], s18, 1.0
	s_and_b64 s[4:5], s[4:5], s[6:7]
	s_and_b64 vcc, exec, s[4:5]
	s_cbranch_vccnz .LBB564_39
; %bb.1:
	s_load_dwordx2 s[8:9], s[0:1], 0x80
	s_load_dwordx4 s[4:7], s[0:1], 0x68
	s_load_dword s19, s[0:1], 0x78
	s_waitcnt lgkmcnt(0)
	s_mul_i32 s9, s3, s9
	s_mul_hi_u32 s10, s3, s8
	s_mul_i32 s8, s3, s8
	s_add_i32 s9, s10, s9
	s_lshl_b64 s[8:9], s[8:9], 1
	s_add_u32 s8, s4, s8
	s_addc_u32 s9, s5, s9
	s_lshl_b64 s[4:5], s[6:7], 1
	s_add_u32 s16, s8, s4
	s_addc_u32 s17, s9, s5
	v_cmp_neq_f32_e64 s[4:5], s20, 0
	s_and_b64 vcc, exec, s[4:5]
	v_cmp_eq_u32_e64 s[4:5], 0, v0
	s_cbranch_vccnz .LBB564_6
; %bb.2:
	s_mov_b64 s[10:11], 0
	s_mov_b64 s[6:7], 0
                                        ; implicit-def: $sgpr14
                                        ; implicit-def: $sgpr8_sgpr9
	s_and_saveexec_b64 s[12:13], s[4:5]
	s_cbranch_execz .LBB564_14
; %bb.3:
	v_cmp_eq_f32_e64 s[4:5], s18, 0
	s_mul_i32 s8, s2, s19
	s_mov_b32 s14, 0
	s_ashr_i32 s9, s8, 31
	s_and_b64 vcc, exec, s[4:5]
	s_cbranch_vccnz .LBB564_43
; %bb.4:
	s_lshl_b64 s[4:5], s[8:9], 1
	s_add_u32 s4, s16, s4
	s_addc_u32 s5, s17, s5
	v_mov_b32_e32 v1, 0
	global_load_ushort v1, v1, s[4:5]
	s_mov_b32 s4, 0x7f800000
	s_waitcnt vmcnt(0)
	v_lshlrev_b32_e32 v1, 16, v1
	v_mul_f32_e32 v1, s18, v1
	v_and_b32_e32 v2, 0x7f800000, v1
	v_cmp_eq_u32_e32 vcc, s4, v2
	v_readfirstlane_b32 s6, v1
	s_cbranch_vccnz .LBB564_40
; %bb.5:
	s_bfe_u32 s4, s6, 0x10010
	s_add_i32 s4, s6, s4
	s_add_i32 s7, s4, 0x7fff
	s_cbranch_execz .LBB564_41
	s_branch .LBB564_42
.LBB564_6:
	s_mov_b64 s[6:7], 0
                                        ; implicit-def: $sgpr14
                                        ; implicit-def: $sgpr8_sgpr9
	s_cbranch_execz .LBB564_44
.LBB564_7:
	s_load_dwordx2 s[22:23], s[0:1], 0x50
	s_load_dword s5, s[0:1], 0x0
	s_load_dwordx4 s[8:11], s[0:1], 0x18
	s_load_dword s4, s[0:1], 0x28
	s_load_dwordx4 s[12:15], s[0:1], 0x30
	s_load_dwordx2 s[24:25], s[0:1], 0x40
	s_load_dword s21, s[0:1], 0x48
	s_waitcnt lgkmcnt(0)
	s_mul_i32 s0, s3, s23
	s_mul_hi_u32 s1, s3, s22
	s_add_i32 s1, s1, s0
	s_mul_i32 s0, s3, s22
	s_lshl_b64 s[0:1], s[0:1], 1
	s_add_u32 s14, s14, s0
	s_addc_u32 s15, s15, s1
	s_lshl_b64 s[0:1], s[24:25], 1
	s_add_u32 s0, s14, s0
	s_mul_i32 s13, s3, s13
	s_mul_hi_u32 s14, s3, s12
	s_addc_u32 s1, s15, s1
	s_add_i32 s13, s14, s13
	s_mul_i32 s12, s3, s12
	s_lshl_b64 s[12:13], s[12:13], 1
	s_add_u32 s3, s8, s12
	s_addc_u32 s12, s9, s13
	s_lshl_b64 s[8:9], s[10:11], 1
	s_add_u32 s3, s3, s8
	s_mul_i32 s8, s2, s4
	s_addc_u32 s10, s12, s9
	s_ashr_i32 s9, s8, 31
	s_lshl_b64 s[8:9], s[8:9], 1
	s_add_u32 s8, s8, s3
	s_addc_u32 s9, s9, s10
	s_ashr_i32 s3, s5, 31
	v_cmp_gt_i32_e32 vcc, s5, v0
	s_lshr_b32 s3, s3, 24
	s_add_i32 s3, s5, s3
	v_cndmask_b32_e32 v1, 0, v0, vcc
	v_lshlrev_b32_e32 v2, 1, v1
	v_mov_b32_e32 v3, 0
	s_and_b32 s4, s3, 0xffffff00
	v_lshl_add_u64 v[4:5], s[8:9], 0, v[2:3]
	v_cmp_gt_i32_e32 vcc, s4, v0
	s_and_saveexec_b64 s[8:9], vcc
	s_cbranch_execz .LBB564_16
; %bb.8:
	v_mul_lo_u32 v6, v0, s21
	s_lshl_b32 s3, s21, 8
	s_mov_b64 s[10:11], 0
	v_mov_b32_e32 v1, 0
	s_mov_b32 s22, 0x7f800000
	s_movk_i32 s23, 0x7fff
	s_mov_b64 s[12:13], 0x200
	v_mov_b64_e32 v[8:9], v[4:5]
	v_mov_b32_e32 v2, v0
	v_mov_b32_e32 v3, 0
	s_branch .LBB564_10
.LBB564_9:                              ;   in Loop: Header=BB564_10 Depth=1
	s_or_b64 exec, exec, s[14:15]
	v_add_u32_e32 v2, 0x100, v2
	v_and_b32_e32 v7, 0xffff0000, v7
	v_cmp_le_i32_e32 vcc, s4, v2
	v_add_f32_e32 v3, v3, v7
	v_lshl_add_u64 v[8:9], v[8:9], 0, s[12:13]
	s_or_b64 s[10:11], vcc, s[10:11]
	v_add_u32_e32 v6, s3, v6
	s_andn2_b64 exec, exec, s[10:11]
	s_cbranch_execz .LBB564_15
.LBB564_10:                             ; =>This Inner Loop Header: Depth=1
	v_ashrrev_i32_e32 v7, 31, v6
	v_lshl_add_u64 v[10:11], v[6:7], 1, s[0:1]
	global_load_ushort v7, v[10:11], off
	global_load_ushort v12, v[8:9], off
	s_waitcnt vmcnt(1)
	v_lshlrev_b32_e32 v10, 16, v7
	s_waitcnt vmcnt(0)
	v_lshlrev_b32_e32 v12, 16, v12
	v_pk_mul_f32 v[10:11], v[10:11], v[12:13] op_sel_hi:[0,1]
	v_and_b32_e32 v7, 0x7f800000, v10
	v_cmp_ne_u32_e32 vcc, s22, v7
                                        ; implicit-def: $vgpr7
	s_and_saveexec_b64 s[14:15], vcc
	s_xor_b64 s[14:15], exec, s[14:15]
; %bb.11:                               ;   in Loop: Header=BB564_10 Depth=1
	v_bfe_u32 v7, v10, 16, 1
	v_add3_u32 v7, v10, v7, s23
                                        ; implicit-def: $vgpr10_vgpr11
; %bb.12:                               ;   in Loop: Header=BB564_10 Depth=1
	s_andn2_saveexec_b64 s[14:15], s[14:15]
	s_cbranch_execz .LBB564_9
; %bb.13:                               ;   in Loop: Header=BB564_10 Depth=1
	v_or_b32_e32 v7, 0x10000, v10
	v_cmp_eq_u32_sdwa vcc, v10, v1 src0_sel:WORD_0 src1_sel:DWORD
	s_nop 1
	v_cndmask_b32_e32 v7, v7, v10, vcc
	s_branch .LBB564_9
.LBB564_14:
	s_or_b64 exec, exec, s[12:13]
	s_and_b64 vcc, exec, s[10:11]
	s_cbranch_vccnz .LBB564_7
	s_branch .LBB564_44
.LBB564_15:
	s_or_b64 exec, exec, s[10:11]
.LBB564_16:
	s_or_b64 exec, exec, s[8:9]
	v_add_u32_e32 v1, s4, v0
	v_cmp_gt_i32_e32 vcc, s5, v1
	s_and_saveexec_b64 s[8:9], vcc
	s_cbranch_execz .LBB564_22
; %bb.17:
	s_ashr_i32 s5, s4, 31
	v_mul_lo_u32 v6, v1, s21
	v_lshl_add_u64 v[4:5], s[4:5], 1, v[4:5]
	v_ashrrev_i32_e32 v7, 31, v6
	v_lshl_add_u64 v[6:7], v[6:7], 1, s[0:1]
	global_load_ushort v1, v[4:5], off
	global_load_ushort v8, v[6:7], off
	s_mov_b32 s0, 0x7f800000
	s_waitcnt vmcnt(1)
	v_lshlrev_b32_e32 v2, 16, v1
	s_waitcnt vmcnt(0)
	v_lshlrev_b32_e32 v4, 16, v8
	v_pk_mul_f32 v[4:5], v[4:5], v[2:3] op_sel_hi:[0,1]
	v_and_b32_e32 v1, 0x7f800000, v4
	v_cmp_ne_u32_e32 vcc, s0, v1
                                        ; implicit-def: $vgpr1
	s_and_saveexec_b64 s[0:1], vcc
	s_xor_b64 s[0:1], exec, s[0:1]
; %bb.18:
	v_bfe_u32 v1, v4, 16, 1
	s_movk_i32 s3, 0x7fff
	v_add3_u32 v1, v4, v1, s3
                                        ; implicit-def: $vgpr4_vgpr5
; %bb.19:
	s_andn2_saveexec_b64 s[0:1], s[0:1]
; %bb.20:
	v_mov_b32_e32 v1, 0
	v_or_b32_e32 v2, 0x10000, v4
	v_cmp_eq_u32_sdwa vcc, v4, v1 src0_sel:WORD_0 src1_sel:DWORD
	s_nop 1
	v_cndmask_b32_e32 v1, v2, v4, vcc
; %bb.21:
	s_or_b64 exec, exec, s[0:1]
	v_and_b32_e32 v1, 0xffff0000, v1
	v_add_f32_e32 v3, v3, v1
.LBB564_22:
	s_or_b64 exec, exec, s[8:9]
	v_and_b32_e32 v2, 63, v0
	v_cmp_gt_u32_e32 vcc, 64, v0
	v_lshlrev_b32_e32 v1, 2, v2
	s_and_saveexec_b64 s[0:1], vcc
	s_cbranch_execz .LBB564_24
; %bb.23:
	v_mov_b32_e32 v4, 0
	ds_write_b32 v1, v4
.LBB564_24:
	s_or_b64 exec, exec, s[0:1]
	v_mbcnt_lo_u32_b32 v4, -1, 0
	v_mbcnt_hi_u32_b32 v4, -1, v4
	v_and_b32_e32 v5, 63, v4
	v_cmp_gt_u32_e64 s[0:1], 32, v5
	s_waitcnt lgkmcnt(0)
	s_barrier
	v_cndmask_b32_e64 v6, 0, 1, s[0:1]
	v_lshlrev_b32_e32 v6, 5, v6
	v_add_lshl_u32 v6, v6, v4, 2
	ds_bpermute_b32 v6, v6, v3
	v_cmp_gt_u32_e64 s[0:1], 48, v5
	s_waitcnt lgkmcnt(0)
	v_add_f32_e32 v3, v3, v6
	v_cndmask_b32_e64 v7, 0, 1, s[0:1]
	v_lshlrev_b32_e32 v7, 4, v7
	v_add_lshl_u32 v6, v7, v4, 2
	ds_bpermute_b32 v6, v6, v3
	v_cmp_gt_u32_e64 s[0:1], 56, v5
	s_waitcnt lgkmcnt(0)
	v_add_f32_e32 v3, v3, v6
	;; [unrolled: 7-line block ×4, first 2 shown]
	v_cndmask_b32_e64 v7, 0, 1, s[0:1]
	v_lshlrev_b32_e32 v7, 1, v7
	v_add_lshl_u32 v3, v7, v4, 2
	ds_bpermute_b32 v7, v3, v6
	v_cmp_ne_u32_e64 s[0:1], 63, v5
	s_waitcnt lgkmcnt(0)
	v_add_f32_e32 v5, v6, v7
	v_addc_co_u32_e64 v4, s[0:1], 0, v4, s[0:1]
	v_lshlrev_b32_e32 v4, 2, v4
	ds_bpermute_b32 v6, v4, v5
	v_cmp_eq_u32_e64 s[0:1], 0, v2
	s_and_saveexec_b64 s[4:5], s[0:1]
	s_cbranch_execz .LBB564_26
; %bb.25:
	v_lshrrev_b32_e32 v2, 4, v0
	v_and_b32_e32 v2, 12, v2
	s_waitcnt lgkmcnt(0)
	v_add_f32_e32 v5, v5, v6
	ds_write_b32 v2, v5
.LBB564_26:
	s_or_b64 exec, exec, s[4:5]
	v_cmp_gt_u32_e64 s[0:1], 4, v0
	v_mov_b32_e32 v2, 0
	s_waitcnt lgkmcnt(0)
	s_barrier
	s_and_saveexec_b64 s[4:5], s[0:1]
	s_cbranch_execz .LBB564_28
; %bb.27:
	ds_read_b32 v2, v1
	s_or_b64 exec, exec, s[4:5]
	s_and_saveexec_b64 s[0:1], vcc
	s_cbranch_execz .LBB564_30
	s_branch .LBB564_29
.LBB564_28:
	s_or_b64 exec, exec, s[4:5]
	s_and_saveexec_b64 s[0:1], vcc
	s_cbranch_execz .LBB564_30
.LBB564_29:
	s_waitcnt lgkmcnt(0)
	ds_bpermute_b32 v1, v3, v2
	s_waitcnt lgkmcnt(0)
	v_add_f32_e32 v1, v2, v1
	ds_bpermute_b32 v2, v4, v1
	s_waitcnt lgkmcnt(0)
	v_add_f32_e32 v2, v1, v2
.LBB564_30:
	s_or_b64 exec, exec, s[0:1]
	v_cmp_eq_u32_e32 vcc, 0, v0
                                        ; implicit-def: $vgpr1
                                        ; implicit-def: $sgpr8_sgpr9
	s_and_saveexec_b64 s[0:1], vcc
	s_cbranch_execz .LBB564_37
; %bb.31:
	v_cmp_eq_f32_e64 s[4:5], s18, 0
	s_waitcnt lgkmcnt(0)
	v_mul_f32_e32 v0, s20, v2
	s_and_b64 vcc, exec, s[4:5]
	s_cbranch_vccz .LBB564_45
; %bb.32:
	s_mov_b32 s3, 0x7f800000
	v_and_b32_e32 v1, 0x7f800000, v0
	v_cmp_ne_u32_e32 vcc, s3, v1
                                        ; implicit-def: $vgpr1
	s_and_saveexec_b64 s[4:5], vcc
	s_xor_b64 s[4:5], exec, s[4:5]
; %bb.33:
	v_bfe_u32 v1, v0, 16, 1
	s_movk_i32 s3, 0x7fff
	v_add3_u32 v1, v0, v1, s3
; %bb.34:
	s_andn2_saveexec_b64 s[4:5], s[4:5]
; %bb.35:
	v_mov_b32_e32 v1, 0
	v_or_b32_e32 v2, 0x10000, v0
	v_cmp_eq_u32_sdwa vcc, v0, v1 src0_sel:WORD_0 src1_sel:DWORD
	s_nop 1
	v_cndmask_b32_e32 v1, v2, v0, vcc
; %bb.36:
	s_or_b64 exec, exec, s[4:5]
	s_mul_i32 s8, s2, s19
	s_cbranch_execz .LBB564_46
	s_branch .LBB564_56
.LBB564_37:
	s_or_b64 exec, exec, s[0:1]
	s_and_saveexec_b64 s[0:1], s[6:7]
	s_cbranch_execz .LBB564_39
.LBB564_38:
	s_lshl_b64 s[0:1], s[8:9], 1
	s_add_u32 s0, s16, s0
	s_addc_u32 s1, s17, s1
	v_mov_b32_e32 v0, 0
	global_store_short v0, v1, s[0:1]
.LBB564_39:
	s_endpgm
.LBB564_40:
                                        ; implicit-def: $sgpr7
.LBB564_41:
	s_and_b32 s4, s6, 0xffff
	s_or_b32 s5, s6, 0x10000
	s_cmp_eq_u32 s4, 0
	s_cselect_b32 s7, s6, s5
.LBB564_42:
	s_lshr_b32 s14, s7, 16
.LBB564_43:
	s_mov_b64 s[6:7], exec
	s_or_b64 exec, exec, s[12:13]
	s_and_b64 vcc, exec, s[10:11]
	s_cbranch_vccnz .LBB564_7
.LBB564_44:
	v_mov_b32_e32 v1, s14
	s_and_saveexec_b64 s[0:1], s[6:7]
	s_cbranch_execnz .LBB564_38
	s_branch .LBB564_39
.LBB564_45:
                                        ; implicit-def: $vgpr1
	s_mul_i32 s8, s2, s19
.LBB564_46:
	s_ashr_i32 s9, s8, 31
	s_lshl_b64 s[2:3], s[8:9], 1
	s_add_u32 s2, s16, s2
	s_addc_u32 s3, s17, s3
	v_mov_b32_e32 v1, 0
	global_load_ushort v1, v1, s[2:3]
	s_mov_b32 s2, 0x7f800000
	s_waitcnt vmcnt(0)
	v_lshlrev_b32_e32 v1, 16, v1
	v_mul_f32_e32 v1, s18, v1
	v_and_b32_e32 v2, 0x7f800000, v1
	v_cmp_eq_u32_e32 vcc, s2, v2
	v_readfirstlane_b32 s4, v1
	s_cbranch_vccnz .LBB564_48
; %bb.47:
	s_bfe_u32 s2, s4, 0x10010
	s_add_i32 s2, s4, s2
	s_add_i32 s5, s2, 0x7fff
	s_mov_b64 s[2:3], 0
	s_branch .LBB564_49
.LBB564_48:
	s_mov_b64 s[2:3], -1
                                        ; implicit-def: $sgpr5
.LBB564_49:
	s_andn2_b64 vcc, exec, s[2:3]
	s_cbranch_vccnz .LBB564_51
; %bb.50:
	s_and_b32 s2, s4, 0xffff
	s_or_b32 s3, s4, 0x10000
	s_cmp_eq_u32 s2, 0
	s_cselect_b32 s5, s4, s3
.LBB564_51:
	s_and_b32 s2, s5, 0xffff0000
	v_add_f32_e32 v0, s2, v0
	s_mov_b32 s2, 0x7f800000
	v_and_b32_e32 v1, 0x7f800000, v0
	v_cmp_ne_u32_e32 vcc, s2, v1
                                        ; implicit-def: $vgpr1
	s_and_saveexec_b64 s[2:3], vcc
	s_xor_b64 s[2:3], exec, s[2:3]
; %bb.52:
	v_bfe_u32 v1, v0, 16, 1
	s_movk_i32 s4, 0x7fff
	v_add3_u32 v1, v0, v1, s4
                                        ; implicit-def: $vgpr0
; %bb.53:
	s_andn2_saveexec_b64 s[2:3], s[2:3]
; %bb.54:
	v_mov_b32_e32 v1, 0
	v_or_b32_e32 v2, 0x10000, v0
	v_cmp_eq_u32_sdwa vcc, v0, v1 src0_sel:WORD_0 src1_sel:DWORD
	s_nop 1
	v_cndmask_b32_e32 v1, v2, v0, vcc
; %bb.55:
	s_or_b64 exec, exec, s[2:3]
.LBB564_56:
	v_lshrrev_b32_e32 v1, 16, v1
	s_ashr_i32 s9, s8, 31
	s_or_b64 s[6:7], s[6:7], exec
	s_or_b64 exec, exec, s[0:1]
	s_and_saveexec_b64 s[0:1], s[6:7]
	s_cbranch_execnz .LBB564_38
	s_branch .LBB564_39
	.section	.rodata,"a",@progbits
	.p2align	6, 0x0
	.amdhsa_kernel _ZL32rocblas_gemvt_warp_reduce_kernelILb0ELi256Ei16rocblas_bfloat16fS0_EviiT3_lPKT2_lT1_lS4_lS5_lS1_lPT4_lS5_li
		.amdhsa_group_segment_fixed_size 256
		.amdhsa_private_segment_fixed_size 0
		.amdhsa_kernarg_size 140
		.amdhsa_user_sgpr_count 2
		.amdhsa_user_sgpr_dispatch_ptr 0
		.amdhsa_user_sgpr_queue_ptr 0
		.amdhsa_user_sgpr_kernarg_segment_ptr 1
		.amdhsa_user_sgpr_dispatch_id 0
		.amdhsa_user_sgpr_kernarg_preload_length 0
		.amdhsa_user_sgpr_kernarg_preload_offset 0
		.amdhsa_user_sgpr_private_segment_size 0
		.amdhsa_uses_dynamic_stack 0
		.amdhsa_enable_private_segment 0
		.amdhsa_system_sgpr_workgroup_id_x 1
		.amdhsa_system_sgpr_workgroup_id_y 0
		.amdhsa_system_sgpr_workgroup_id_z 1
		.amdhsa_system_sgpr_workgroup_info 0
		.amdhsa_system_vgpr_workitem_id 0
		.amdhsa_next_free_vgpr 14
		.amdhsa_next_free_sgpr 26
		.amdhsa_accum_offset 16
		.amdhsa_reserve_vcc 1
		.amdhsa_float_round_mode_32 0
		.amdhsa_float_round_mode_16_64 0
		.amdhsa_float_denorm_mode_32 3
		.amdhsa_float_denorm_mode_16_64 3
		.amdhsa_dx10_clamp 1
		.amdhsa_ieee_mode 1
		.amdhsa_fp16_overflow 0
		.amdhsa_tg_split 0
		.amdhsa_exception_fp_ieee_invalid_op 0
		.amdhsa_exception_fp_denorm_src 0
		.amdhsa_exception_fp_ieee_div_zero 0
		.amdhsa_exception_fp_ieee_overflow 0
		.amdhsa_exception_fp_ieee_underflow 0
		.amdhsa_exception_fp_ieee_inexact 0
		.amdhsa_exception_int_div_zero 0
	.end_amdhsa_kernel
	.section	.text._ZL32rocblas_gemvt_warp_reduce_kernelILb0ELi256Ei16rocblas_bfloat16fS0_EviiT3_lPKT2_lT1_lS4_lS5_lS1_lPT4_lS5_li,"axG",@progbits,_ZL32rocblas_gemvt_warp_reduce_kernelILb0ELi256Ei16rocblas_bfloat16fS0_EviiT3_lPKT2_lT1_lS4_lS5_lS1_lPT4_lS5_li,comdat
.Lfunc_end564:
	.size	_ZL32rocblas_gemvt_warp_reduce_kernelILb0ELi256Ei16rocblas_bfloat16fS0_EviiT3_lPKT2_lT1_lS4_lS5_lS1_lPT4_lS5_li, .Lfunc_end564-_ZL32rocblas_gemvt_warp_reduce_kernelILb0ELi256Ei16rocblas_bfloat16fS0_EviiT3_lPKT2_lT1_lS4_lS5_lS1_lPT4_lS5_li
                                        ; -- End function
	.section	.AMDGPU.csdata,"",@progbits
; Kernel info:
; codeLenInByte = 1896
; NumSgprs: 32
; NumVgprs: 14
; NumAgprs: 0
; TotalNumVgprs: 14
; ScratchSize: 0
; MemoryBound: 0
; FloatMode: 240
; IeeeMode: 1
; LDSByteSize: 256 bytes/workgroup (compile time only)
; SGPRBlocks: 3
; VGPRBlocks: 1
; NumSGPRsForWavesPerEU: 32
; NumVGPRsForWavesPerEU: 14
; AccumOffset: 16
; Occupancy: 8
; WaveLimiterHint : 1
; COMPUTE_PGM_RSRC2:SCRATCH_EN: 0
; COMPUTE_PGM_RSRC2:USER_SGPR: 2
; COMPUTE_PGM_RSRC2:TRAP_HANDLER: 0
; COMPUTE_PGM_RSRC2:TGID_X_EN: 1
; COMPUTE_PGM_RSRC2:TGID_Y_EN: 0
; COMPUTE_PGM_RSRC2:TGID_Z_EN: 1
; COMPUTE_PGM_RSRC2:TIDIG_COMP_CNT: 0
; COMPUTE_PGM_RSRC3_GFX90A:ACCUM_OFFSET: 3
; COMPUTE_PGM_RSRC3_GFX90A:TG_SPLIT: 0
	.section	.text._ZL32rocblas_gemvt_warp_reduce_kernelILb0ELi256El16rocblas_bfloat16fS0_EviiT3_lPKT2_lT1_lS4_lS5_lS1_lPT4_lS5_li,"axG",@progbits,_ZL32rocblas_gemvt_warp_reduce_kernelILb0ELi256El16rocblas_bfloat16fS0_EviiT3_lPKT2_lT1_lS4_lS5_lS1_lPT4_lS5_li,comdat
	.globl	_ZL32rocblas_gemvt_warp_reduce_kernelILb0ELi256El16rocblas_bfloat16fS0_EviiT3_lPKT2_lT1_lS4_lS5_lS1_lPT4_lS5_li ; -- Begin function _ZL32rocblas_gemvt_warp_reduce_kernelILb0ELi256El16rocblas_bfloat16fS0_EviiT3_lPKT2_lT1_lS4_lS5_lS1_lPT4_lS5_li
	.p2align	8
	.type	_ZL32rocblas_gemvt_warp_reduce_kernelILb0ELi256El16rocblas_bfloat16fS0_EviiT3_lPKT2_lT1_lS4_lS5_lS1_lPT4_lS5_li,@function
_ZL32rocblas_gemvt_warp_reduce_kernelILb0ELi256El16rocblas_bfloat16fS0_EviiT3_lPKT2_lT1_lS4_lS5_lS1_lPT4_lS5_li: ; @_ZL32rocblas_gemvt_warp_reduce_kernelILb0ELi256El16rocblas_bfloat16fS0_EviiT3_lPKT2_lT1_lS4_lS5_lS1_lPT4_lS5_li
; %bb.0:
	s_load_dword s29, s[0:1], 0x8
	s_load_dword s28, s[0:1], 0x58
	s_waitcnt lgkmcnt(0)
	v_cmp_eq_f32_e64 s[4:5], s29, 0
	v_cmp_eq_f32_e64 s[6:7], s28, 1.0
	s_and_b64 s[4:5], s[4:5], s[6:7]
	s_and_b64 vcc, exec, s[4:5]
	s_cbranch_vccnz .LBB565_39
; %bb.1:
	s_load_dwordx8 s[16:23], s[0:1], 0x68
	v_cmp_neq_f32_e64 s[4:5], s29, 0
	s_waitcnt lgkmcnt(0)
	s_mul_i32 s7, s3, s23
	s_mul_hi_u32 s8, s3, s22
	s_mul_i32 s6, s3, s22
	s_add_i32 s7, s8, s7
	s_lshl_b64 s[6:7], s[6:7], 1
	s_add_u32 s8, s16, s6
	s_addc_u32 s9, s17, s7
	s_lshl_b64 s[6:7], s[18:19], 1
	s_add_u32 s26, s8, s6
	s_addc_u32 s27, s9, s7
	s_and_b64 vcc, exec, s[4:5]
	v_cmp_eq_u32_e64 s[4:5], 0, v0
	s_cbranch_vccnz .LBB565_6
; %bb.2:
	s_mov_b64 s[8:9], 0
	s_mov_b64 s[22:23], 0
                                        ; implicit-def: $sgpr12
                                        ; implicit-def: $sgpr6_sgpr7
	s_and_saveexec_b64 s[10:11], s[4:5]
	s_cbranch_execz .LBB565_14
; %bb.3:
	s_ashr_i32 s6, s2, 31
	s_mul_i32 s7, s2, s21
	s_mul_hi_u32 s13, s2, s20
	v_cmp_eq_f32_e64 s[4:5], s28, 0
	s_add_i32 s7, s13, s7
	s_mul_i32 s6, s6, s20
	s_mov_b32 s12, 0
	s_add_i32 s7, s7, s6
	s_mul_i32 s6, s2, s20
	s_and_b64 vcc, exec, s[4:5]
	s_cbranch_vccnz .LBB565_43
; %bb.4:
	s_lshl_b64 s[4:5], s[6:7], 1
	s_add_u32 s4, s26, s4
	s_addc_u32 s5, s27, s5
	v_mov_b32_e32 v1, 0
	global_load_ushort v1, v1, s[4:5]
	s_mov_b32 s4, 0x7f800000
	s_waitcnt vmcnt(0)
	v_lshlrev_b32_e32 v1, 16, v1
	v_mul_f32_e32 v1, s28, v1
	v_and_b32_e32 v2, 0x7f800000, v1
	v_cmp_eq_u32_e32 vcc, s4, v2
	v_readfirstlane_b32 s12, v1
	s_cbranch_vccnz .LBB565_40
; %bb.5:
	s_bfe_u32 s4, s12, 0x10010
	s_add_i32 s4, s12, s4
	s_add_i32 s13, s4, 0x7fff
	s_cbranch_execz .LBB565_41
	s_branch .LBB565_42
.LBB565_6:
	s_mov_b64 s[22:23], 0
                                        ; implicit-def: $sgpr12
                                        ; implicit-def: $sgpr6_sgpr7
	s_cbranch_execz .LBB565_44
.LBB565_7:
	s_load_dwordx16 s[4:19], s[0:1], 0x18
	s_load_dword s30, s[0:1], 0x0
	v_mov_b32_e32 v3, 0
	s_waitcnt lgkmcnt(0)
	s_mul_i32 s1, s3, s19
	s_mul_hi_u32 s19, s3, s18
	s_mul_i32 s0, s3, s18
	s_mul_i32 s11, s3, s11
	s_mul_hi_u32 s18, s3, s10
	s_add_i32 s11, s18, s11
	s_mul_i32 s10, s3, s10
	s_add_i32 s1, s19, s1
	s_lshl_b64 s[10:11], s[10:11], 1
	s_add_u32 s3, s4, s10
	s_addc_u32 s10, s5, s11
	s_lshl_b64 s[4:5], s[6:7], 1
	s_add_u32 s6, s3, s4
	s_addc_u32 s7, s10, s5
	s_ashr_i32 s3, s2, 31
	s_mul_i32 s4, s2, s9
	s_mul_hi_u32 s5, s2, s8
	s_add_i32 s4, s5, s4
	s_mul_i32 s5, s3, s8
	s_add_i32 s5, s4, s5
	s_mul_i32 s4, s2, s8
	v_cmp_gt_i32_e32 vcc, s30, v0
	s_lshl_b64 s[4:5], s[4:5], 1
	s_add_u32 s4, s4, s6
	v_cndmask_b32_e32 v1, 0, v0, vcc
	v_lshlrev_b32_e32 v2, 1, v1
	s_addc_u32 s5, s5, s7
	v_lshl_add_u64 v[4:5], s[4:5], 0, v[2:3]
	s_ashr_i32 s4, s30, 31
	s_lshr_b32 s4, s4, 24
	s_add_i32 s4, s30, s4
	s_and_b32 s4, s4, 0xffffff00
	v_cmp_gt_i32_e32 vcc, s4, v0
	s_and_saveexec_b64 s[6:7], vcc
	s_cbranch_execz .LBB565_16
; %bb.8:
	v_mad_u64_u32 v[2:3], s[10:11], s16, v0, 0
	v_mov_b32_e32 v6, v3
	v_mad_u64_u32 v[6:7], s[10:11], s17, v0, v[6:7]
	s_lshl_b64 s[8:9], s[0:1], 1
	s_lshl_b64 s[10:11], s[14:15], 1
	s_add_u32 s5, s12, s10
	s_addc_u32 s10, s13, s11
	s_add_u32 s8, s5, s8
	v_mov_b32_e32 v3, v6
	s_addc_u32 s9, s10, s9
	v_lshl_add_u64 v[6:7], v[2:3], 1, s[8:9]
	s_lshl_b64 s[10:11], s[16:17], 9
	s_mov_b64 s[8:9], 0
	v_mov_b32_e32 v1, 0
	s_mov_b32 s5, 0x7f800000
	s_movk_i32 s31, 0x7fff
	s_mov_b64 s[18:19], 0x200
	v_mov_b64_e32 v[8:9], v[4:5]
	v_mov_b32_e32 v2, v0
	v_mov_b32_e32 v3, 0
	s_branch .LBB565_10
.LBB565_9:                              ;   in Loop: Header=BB565_10 Depth=1
	s_or_b64 exec, exec, s[24:25]
	v_add_u32_e32 v2, 0x100, v2
	v_and_b32_e32 v10, 0xffff0000, v12
	v_cmp_le_i32_e32 vcc, s4, v2
	v_add_f32_e32 v3, v3, v10
	v_lshl_add_u64 v[8:9], v[8:9], 0, s[18:19]
	s_or_b64 s[8:9], vcc, s[8:9]
	v_lshl_add_u64 v[6:7], v[6:7], 0, s[10:11]
	s_andn2_b64 exec, exec, s[8:9]
	s_cbranch_execz .LBB565_15
.LBB565_10:                             ; =>This Inner Loop Header: Depth=1
	global_load_ushort v10, v[6:7], off
	global_load_ushort v11, v[8:9], off
	s_waitcnt vmcnt(1)
	v_lshlrev_b32_e32 v10, 16, v10
	s_waitcnt vmcnt(0)
	v_lshlrev_b32_e32 v12, 16, v11
	v_pk_mul_f32 v[10:11], v[10:11], v[12:13] op_sel_hi:[0,1]
	v_and_b32_e32 v11, 0x7f800000, v10
	v_cmp_ne_u32_e32 vcc, s5, v11
                                        ; implicit-def: $vgpr12
	s_and_saveexec_b64 s[24:25], vcc
	s_xor_b64 s[24:25], exec, s[24:25]
; %bb.11:                               ;   in Loop: Header=BB565_10 Depth=1
	v_bfe_u32 v11, v10, 16, 1
	v_add3_u32 v12, v10, v11, s31
                                        ; implicit-def: $vgpr10_vgpr11
; %bb.12:                               ;   in Loop: Header=BB565_10 Depth=1
	s_andn2_saveexec_b64 s[24:25], s[24:25]
	s_cbranch_execz .LBB565_9
; %bb.13:                               ;   in Loop: Header=BB565_10 Depth=1
	v_or_b32_e32 v11, 0x10000, v10
	v_cmp_eq_u32_sdwa vcc, v10, v1 src0_sel:WORD_0 src1_sel:DWORD
	s_nop 1
	v_cndmask_b32_e32 v12, v11, v10, vcc
	s_branch .LBB565_9
.LBB565_14:
	s_or_b64 exec, exec, s[10:11]
	s_and_b64 vcc, exec, s[8:9]
	s_cbranch_vccnz .LBB565_7
	s_branch .LBB565_44
.LBB565_15:
	s_or_b64 exec, exec, s[8:9]
.LBB565_16:
	s_or_b64 exec, exec, s[6:7]
	v_add_u32_e32 v1, s4, v0
	v_cmp_gt_i32_e32 vcc, s30, v1
	s_and_saveexec_b64 s[6:7], vcc
	s_cbranch_execz .LBB565_22
; %bb.17:
	s_lshl_b64 s[0:1], s[0:1], 1
	s_add_u32 s5, s12, s0
	s_addc_u32 s8, s13, s1
	s_lshl_b64 s[0:1], s[14:15], 1
	s_add_u32 s0, s5, s0
	s_addc_u32 s1, s8, s1
	s_ashr_i32 s5, s4, 31
	v_ashrrev_i32_e32 v2, 31, v1
	v_lshl_add_u64 v[4:5], s[4:5], 1, v[4:5]
	v_mul_lo_u32 v8, v1, s17
	v_mul_lo_u32 v2, v2, s16
	v_mad_u64_u32 v[6:7], s[4:5], v1, s16, 0
	v_add3_u32 v7, v7, v8, v2
	v_lshl_add_u64 v[6:7], v[6:7], 1, s[0:1]
	global_load_ushort v1, v[6:7], off
	global_load_ushort v8, v[4:5], off
	s_mov_b32 s0, 0x7f800000
	s_waitcnt vmcnt(1)
	v_lshlrev_b32_e32 v2, 16, v1
	s_waitcnt vmcnt(0)
	v_lshlrev_b32_e32 v4, 16, v8
	v_pk_mul_f32 v[4:5], v[2:3], v[4:5] op_sel_hi:[0,1]
	v_and_b32_e32 v1, 0x7f800000, v4
	v_cmp_ne_u32_e32 vcc, s0, v1
                                        ; implicit-def: $vgpr1
	s_and_saveexec_b64 s[0:1], vcc
	s_xor_b64 s[0:1], exec, s[0:1]
; %bb.18:
	v_bfe_u32 v1, v4, 16, 1
	s_movk_i32 s4, 0x7fff
	v_add3_u32 v1, v4, v1, s4
                                        ; implicit-def: $vgpr4_vgpr5
; %bb.19:
	s_andn2_saveexec_b64 s[0:1], s[0:1]
; %bb.20:
	v_mov_b32_e32 v1, 0
	v_or_b32_e32 v2, 0x10000, v4
	v_cmp_eq_u32_sdwa vcc, v4, v1 src0_sel:WORD_0 src1_sel:DWORD
	s_nop 1
	v_cndmask_b32_e32 v1, v2, v4, vcc
; %bb.21:
	s_or_b64 exec, exec, s[0:1]
	v_and_b32_e32 v1, 0xffff0000, v1
	v_add_f32_e32 v3, v3, v1
.LBB565_22:
	s_or_b64 exec, exec, s[6:7]
	v_and_b32_e32 v2, 63, v0
	v_cmp_gt_u32_e32 vcc, 64, v0
	v_lshlrev_b32_e32 v1, 2, v2
	s_and_saveexec_b64 s[0:1], vcc
	s_cbranch_execz .LBB565_24
; %bb.23:
	v_mov_b32_e32 v4, 0
	ds_write_b32 v1, v4
.LBB565_24:
	s_or_b64 exec, exec, s[0:1]
	v_mbcnt_lo_u32_b32 v4, -1, 0
	v_mbcnt_hi_u32_b32 v4, -1, v4
	v_and_b32_e32 v5, 63, v4
	v_cmp_gt_u32_e64 s[0:1], 32, v5
	s_waitcnt lgkmcnt(0)
	s_barrier
	v_cndmask_b32_e64 v6, 0, 1, s[0:1]
	v_lshlrev_b32_e32 v6, 5, v6
	v_add_lshl_u32 v6, v6, v4, 2
	ds_bpermute_b32 v6, v6, v3
	v_cmp_gt_u32_e64 s[0:1], 48, v5
	s_waitcnt lgkmcnt(0)
	v_add_f32_e32 v3, v3, v6
	v_cndmask_b32_e64 v7, 0, 1, s[0:1]
	v_lshlrev_b32_e32 v7, 4, v7
	v_add_lshl_u32 v6, v7, v4, 2
	ds_bpermute_b32 v6, v6, v3
	v_cmp_gt_u32_e64 s[0:1], 56, v5
	s_waitcnt lgkmcnt(0)
	v_add_f32_e32 v3, v3, v6
	v_cndmask_b32_e64 v7, 0, 1, s[0:1]
	v_lshlrev_b32_e32 v7, 3, v7
	v_add_lshl_u32 v6, v7, v4, 2
	ds_bpermute_b32 v6, v6, v3
	v_cmp_gt_u32_e64 s[0:1], 60, v5
	s_waitcnt lgkmcnt(0)
	v_add_f32_e32 v3, v3, v6
	v_cndmask_b32_e64 v7, 0, 1, s[0:1]
	v_lshlrev_b32_e32 v7, 2, v7
	v_add_lshl_u32 v6, v7, v4, 2
	ds_bpermute_b32 v6, v6, v3
	v_cmp_gt_u32_e64 s[0:1], 62, v5
	s_waitcnt lgkmcnt(0)
	v_add_f32_e32 v6, v3, v6
	v_cndmask_b32_e64 v7, 0, 1, s[0:1]
	v_lshlrev_b32_e32 v7, 1, v7
	v_add_lshl_u32 v3, v7, v4, 2
	ds_bpermute_b32 v7, v3, v6
	v_cmp_ne_u32_e64 s[0:1], 63, v5
	s_waitcnt lgkmcnt(0)
	v_add_f32_e32 v5, v6, v7
	v_addc_co_u32_e64 v4, s[0:1], 0, v4, s[0:1]
	v_lshlrev_b32_e32 v4, 2, v4
	ds_bpermute_b32 v6, v4, v5
	v_cmp_eq_u32_e64 s[0:1], 0, v2
	s_and_saveexec_b64 s[4:5], s[0:1]
	s_cbranch_execz .LBB565_26
; %bb.25:
	v_lshrrev_b32_e32 v2, 4, v0
	v_and_b32_e32 v2, 12, v2
	s_waitcnt lgkmcnt(0)
	v_add_f32_e32 v5, v5, v6
	ds_write_b32 v2, v5
.LBB565_26:
	s_or_b64 exec, exec, s[4:5]
	v_cmp_gt_u32_e64 s[0:1], 4, v0
	v_mov_b32_e32 v2, 0
	s_waitcnt lgkmcnt(0)
	s_barrier
	s_and_saveexec_b64 s[4:5], s[0:1]
	s_cbranch_execz .LBB565_28
; %bb.27:
	ds_read_b32 v2, v1
	s_or_b64 exec, exec, s[4:5]
	s_and_saveexec_b64 s[0:1], vcc
	s_cbranch_execz .LBB565_30
	s_branch .LBB565_29
.LBB565_28:
	s_or_b64 exec, exec, s[4:5]
	s_and_saveexec_b64 s[0:1], vcc
	s_cbranch_execz .LBB565_30
.LBB565_29:
	s_waitcnt lgkmcnt(0)
	ds_bpermute_b32 v1, v3, v2
	s_waitcnt lgkmcnt(0)
	v_add_f32_e32 v1, v2, v1
	ds_bpermute_b32 v2, v4, v1
	s_waitcnt lgkmcnt(0)
	v_add_f32_e32 v2, v1, v2
.LBB565_30:
	s_or_b64 exec, exec, s[0:1]
	v_cmp_eq_u32_e32 vcc, 0, v0
                                        ; implicit-def: $vgpr1
                                        ; implicit-def: $sgpr6_sgpr7
	s_and_saveexec_b64 s[0:1], vcc
	s_cbranch_execz .LBB565_37
; %bb.31:
	v_cmp_eq_f32_e64 s[4:5], s28, 0
	s_waitcnt lgkmcnt(0)
	v_mul_f32_e32 v0, s29, v2
	s_and_b64 vcc, exec, s[4:5]
	s_cbranch_vccz .LBB565_45
; %bb.32:
	s_mov_b32 s4, 0x7f800000
	v_and_b32_e32 v1, 0x7f800000, v0
	v_cmp_ne_u32_e32 vcc, s4, v1
                                        ; implicit-def: $vgpr1
	s_and_saveexec_b64 s[4:5], vcc
	s_xor_b64 s[4:5], exec, s[4:5]
; %bb.33:
	v_bfe_u32 v1, v0, 16, 1
	s_movk_i32 s6, 0x7fff
	v_add3_u32 v1, v0, v1, s6
; %bb.34:
	s_andn2_saveexec_b64 s[4:5], s[4:5]
; %bb.35:
	v_mov_b32_e32 v1, 0
	v_or_b32_e32 v2, 0x10000, v0
	v_cmp_eq_u32_sdwa vcc, v0, v1 src0_sel:WORD_0 src1_sel:DWORD
	s_nop 1
	v_cndmask_b32_e32 v1, v2, v0, vcc
; %bb.36:
	s_or_b64 exec, exec, s[4:5]
	s_mov_b64 s[4:5], 0
	s_branch .LBB565_46
.LBB565_37:
	s_or_b64 exec, exec, s[0:1]
	s_and_saveexec_b64 s[0:1], s[22:23]
	s_cbranch_execz .LBB565_39
.LBB565_38:
	s_lshl_b64 s[0:1], s[6:7], 1
	s_add_u32 s0, s26, s0
	s_addc_u32 s1, s27, s1
	v_mov_b32_e32 v0, 0
	global_store_short v0, v1, s[0:1]
.LBB565_39:
	s_endpgm
.LBB565_40:
                                        ; implicit-def: $sgpr13
.LBB565_41:
	s_and_b32 s4, s12, 0xffff
	s_or_b32 s5, s12, 0x10000
	s_cmp_eq_u32 s4, 0
	s_cselect_b32 s13, s12, s5
.LBB565_42:
	s_lshr_b32 s12, s13, 16
.LBB565_43:
	s_mov_b64 s[22:23], exec
	s_or_b64 exec, exec, s[10:11]
	s_and_b64 vcc, exec, s[8:9]
	s_cbranch_vccnz .LBB565_7
.LBB565_44:
	v_mov_b32_e32 v1, s12
	s_and_saveexec_b64 s[0:1], s[22:23]
	s_cbranch_execnz .LBB565_38
	s_branch .LBB565_39
.LBB565_45:
	s_mov_b64 s[4:5], -1
                                        ; implicit-def: $vgpr1
.LBB565_46:
	s_andn2_b64 vcc, exec, s[4:5]
	s_mul_i32 s4, s2, s21
	s_mul_hi_u32 s5, s2, s20
	s_mul_i32 s8, s3, s20
	s_mul_i32 s6, s2, s20
	s_cbranch_vccnz .LBB565_57
; %bb.47:
	s_add_i32 s2, s5, s4
	s_add_i32 s7, s2, s8
	s_lshl_b64 s[2:3], s[6:7], 1
	s_add_u32 s2, s26, s2
	s_addc_u32 s3, s27, s3
	v_mov_b32_e32 v1, 0
	global_load_ushort v1, v1, s[2:3]
	s_mov_b32 s2, 0x7f800000
	s_waitcnt vmcnt(0)
	v_lshlrev_b32_e32 v1, 16, v1
	v_mul_f32_e32 v1, s28, v1
	v_and_b32_e32 v2, 0x7f800000, v1
	v_cmp_eq_u32_e32 vcc, s2, v2
	v_readfirstlane_b32 s7, v1
	s_cbranch_vccnz .LBB565_49
; %bb.48:
	s_bfe_u32 s2, s7, 0x10010
	s_add_i32 s2, s7, s2
	s_add_i32 s9, s2, 0x7fff
	s_mov_b64 s[2:3], 0
	s_branch .LBB565_50
.LBB565_49:
	s_mov_b64 s[2:3], -1
                                        ; implicit-def: $sgpr9
.LBB565_50:
	s_andn2_b64 vcc, exec, s[2:3]
	s_cbranch_vccnz .LBB565_52
; %bb.51:
	s_and_b32 s2, s7, 0xffff
	s_or_b32 s3, s7, 0x10000
	s_cmp_eq_u32 s2, 0
	s_cselect_b32 s9, s7, s3
.LBB565_52:
	s_and_b32 s2, s9, 0xffff0000
	v_add_f32_e32 v0, s2, v0
	s_mov_b32 s2, 0x7f800000
	v_and_b32_e32 v1, 0x7f800000, v0
	v_cmp_ne_u32_e32 vcc, s2, v1
                                        ; implicit-def: $vgpr1
	s_and_saveexec_b64 s[2:3], vcc
	s_xor_b64 s[2:3], exec, s[2:3]
; %bb.53:
	v_bfe_u32 v1, v0, 16, 1
	s_movk_i32 s7, 0x7fff
	v_add3_u32 v1, v0, v1, s7
                                        ; implicit-def: $vgpr0
; %bb.54:
	s_andn2_saveexec_b64 s[2:3], s[2:3]
; %bb.55:
	v_mov_b32_e32 v1, 0
	v_or_b32_e32 v2, 0x10000, v0
	v_cmp_eq_u32_sdwa vcc, v0, v1 src0_sel:WORD_0 src1_sel:DWORD
	s_nop 1
	v_cndmask_b32_e32 v1, v2, v0, vcc
; %bb.56:
	s_or_b64 exec, exec, s[2:3]
.LBB565_57:
	s_add_i32 s2, s5, s4
	v_lshrrev_b32_e32 v1, 16, v1
	s_add_i32 s7, s2, s8
	s_or_b64 s[22:23], s[22:23], exec
	s_or_b64 exec, exec, s[0:1]
	s_and_saveexec_b64 s[0:1], s[22:23]
	s_cbranch_execnz .LBB565_38
	s_branch .LBB565_39
	.section	.rodata,"a",@progbits
	.p2align	6, 0x0
	.amdhsa_kernel _ZL32rocblas_gemvt_warp_reduce_kernelILb0ELi256El16rocblas_bfloat16fS0_EviiT3_lPKT2_lT1_lS4_lS5_lS1_lPT4_lS5_li
		.amdhsa_group_segment_fixed_size 256
		.amdhsa_private_segment_fixed_size 0
		.amdhsa_kernarg_size 140
		.amdhsa_user_sgpr_count 2
		.amdhsa_user_sgpr_dispatch_ptr 0
		.amdhsa_user_sgpr_queue_ptr 0
		.amdhsa_user_sgpr_kernarg_segment_ptr 1
		.amdhsa_user_sgpr_dispatch_id 0
		.amdhsa_user_sgpr_kernarg_preload_length 0
		.amdhsa_user_sgpr_kernarg_preload_offset 0
		.amdhsa_user_sgpr_private_segment_size 0
		.amdhsa_uses_dynamic_stack 0
		.amdhsa_enable_private_segment 0
		.amdhsa_system_sgpr_workgroup_id_x 1
		.amdhsa_system_sgpr_workgroup_id_y 0
		.amdhsa_system_sgpr_workgroup_id_z 1
		.amdhsa_system_sgpr_workgroup_info 0
		.amdhsa_system_vgpr_workitem_id 0
		.amdhsa_next_free_vgpr 14
		.amdhsa_next_free_sgpr 32
		.amdhsa_accum_offset 16
		.amdhsa_reserve_vcc 1
		.amdhsa_float_round_mode_32 0
		.amdhsa_float_round_mode_16_64 0
		.amdhsa_float_denorm_mode_32 3
		.amdhsa_float_denorm_mode_16_64 3
		.amdhsa_dx10_clamp 1
		.amdhsa_ieee_mode 1
		.amdhsa_fp16_overflow 0
		.amdhsa_tg_split 0
		.amdhsa_exception_fp_ieee_invalid_op 0
		.amdhsa_exception_fp_denorm_src 0
		.amdhsa_exception_fp_ieee_div_zero 0
		.amdhsa_exception_fp_ieee_overflow 0
		.amdhsa_exception_fp_ieee_underflow 0
		.amdhsa_exception_fp_ieee_inexact 0
		.amdhsa_exception_int_div_zero 0
	.end_amdhsa_kernel
	.section	.text._ZL32rocblas_gemvt_warp_reduce_kernelILb0ELi256El16rocblas_bfloat16fS0_EviiT3_lPKT2_lT1_lS4_lS5_lS1_lPT4_lS5_li,"axG",@progbits,_ZL32rocblas_gemvt_warp_reduce_kernelILb0ELi256El16rocblas_bfloat16fS0_EviiT3_lPKT2_lT1_lS4_lS5_lS1_lPT4_lS5_li,comdat
.Lfunc_end565:
	.size	_ZL32rocblas_gemvt_warp_reduce_kernelILb0ELi256El16rocblas_bfloat16fS0_EviiT3_lPKT2_lT1_lS4_lS5_lS1_lPT4_lS5_li, .Lfunc_end565-_ZL32rocblas_gemvt_warp_reduce_kernelILb0ELi256El16rocblas_bfloat16fS0_EviiT3_lPKT2_lT1_lS4_lS5_lS1_lPT4_lS5_li
                                        ; -- End function
	.section	.AMDGPU.csdata,"",@progbits
; Kernel info:
; codeLenInByte = 1972
; NumSgprs: 38
; NumVgprs: 14
; NumAgprs: 0
; TotalNumVgprs: 14
; ScratchSize: 0
; MemoryBound: 0
; FloatMode: 240
; IeeeMode: 1
; LDSByteSize: 256 bytes/workgroup (compile time only)
; SGPRBlocks: 4
; VGPRBlocks: 1
; NumSGPRsForWavesPerEU: 38
; NumVGPRsForWavesPerEU: 14
; AccumOffset: 16
; Occupancy: 8
; WaveLimiterHint : 1
; COMPUTE_PGM_RSRC2:SCRATCH_EN: 0
; COMPUTE_PGM_RSRC2:USER_SGPR: 2
; COMPUTE_PGM_RSRC2:TRAP_HANDLER: 0
; COMPUTE_PGM_RSRC2:TGID_X_EN: 1
; COMPUTE_PGM_RSRC2:TGID_Y_EN: 0
; COMPUTE_PGM_RSRC2:TGID_Z_EN: 1
; COMPUTE_PGM_RSRC2:TIDIG_COMP_CNT: 0
; COMPUTE_PGM_RSRC3_GFX90A:ACCUM_OFFSET: 3
; COMPUTE_PGM_RSRC3_GFX90A:TG_SPLIT: 0
	.section	.text._ZL20rocblas_gemvt_kernelILb0ELi256E16rocblas_bfloat16PKfS0_EviiT2_lPKT1_lilS6_lilS3_lPT3_lili,"axG",@progbits,_ZL20rocblas_gemvt_kernelILb0ELi256E16rocblas_bfloat16PKfS0_EviiT2_lPKT1_lilS6_lilS3_lPT3_lili,comdat
	.globl	_ZL20rocblas_gemvt_kernelILb0ELi256E16rocblas_bfloat16PKfS0_EviiT2_lPKT1_lilS6_lilS3_lPT3_lili ; -- Begin function _ZL20rocblas_gemvt_kernelILb0ELi256E16rocblas_bfloat16PKfS0_EviiT2_lPKT1_lilS6_lilS3_lPT3_lili
	.p2align	8
	.type	_ZL20rocblas_gemvt_kernelILb0ELi256E16rocblas_bfloat16PKfS0_EviiT2_lPKT1_lilS6_lilS3_lPT3_lili,@function
_ZL20rocblas_gemvt_kernelILb0ELi256E16rocblas_bfloat16PKfS0_EviiT2_lPKT1_lilS6_lilS3_lPT3_lili: ; @_ZL20rocblas_gemvt_kernelILb0ELi256E16rocblas_bfloat16PKfS0_EviiT2_lPKT1_lilS6_lilS3_lPT3_lili
; %bb.0:
	s_load_dwordx8 s[4:11], s[0:1], 0x8
	s_load_dwordx8 s[12:19], s[0:1], 0x50
	s_waitcnt lgkmcnt(0)
	s_mul_i32 s7, s3, s7
	s_mul_hi_u32 s20, s3, s6
	s_add_i32 s7, s20, s7
	s_mul_i32 s6, s3, s6
	s_lshl_b64 s[6:7], s[6:7], 2
	s_add_u32 s4, s4, s6
	s_addc_u32 s5, s5, s7
	s_load_dword s24, s[4:5], 0x0
	s_mul_i32 s4, s3, s17
	s_mul_hi_u32 s5, s3, s16
	s_add_i32 s5, s5, s4
	s_mul_i32 s4, s3, s16
	s_lshl_b64 s[4:5], s[4:5], 2
	s_add_u32 s4, s14, s4
	s_addc_u32 s5, s15, s5
	s_load_dword s22, s[4:5], 0x0
	s_waitcnt lgkmcnt(0)
	v_cmp_eq_f32_e64 s[4:5], s24, 0
	v_cmp_eq_f32_e64 s[6:7], s22, 1.0
	s_and_b64 s[4:5], s[4:5], s[6:7]
	s_and_b64 vcc, exec, s[4:5]
	s_cbranch_vccnz .LBB566_64
; %bb.1:
	s_load_dwordx2 s[4:5], s[0:1], 0x80
	s_load_dwordx2 s[6:7], s[0:1], 0x70
	s_load_dword s23, s[0:1], 0x78
	s_waitcnt lgkmcnt(0)
	s_mul_i32 s5, s3, s5
	s_mul_hi_u32 s14, s3, s4
	s_mul_i32 s4, s3, s4
	s_add_i32 s5, s14, s5
	s_lshl_b64 s[4:5], s[4:5], 1
	s_add_u32 s14, s18, s4
	s_addc_u32 s15, s19, s5
	s_lshl_b64 s[4:5], s[6:7], 1
	s_add_u32 s20, s14, s4
	s_addc_u32 s21, s15, s5
	v_cmp_neq_f32_e64 s[4:5], s24, 0
	s_and_b64 vcc, exec, s[4:5]
	v_cmp_eq_u32_e64 s[4:5], 0, v0
	s_cbranch_vccnz .LBB566_6
; %bb.2:
	s_mov_b64 s[16:17], 0
	s_mov_b64 s[14:15], 0
                                        ; implicit-def: $sgpr25
                                        ; implicit-def: $sgpr6_sgpr7
	s_and_saveexec_b64 s[18:19], s[4:5]
	s_cbranch_execz .LBB566_7
; %bb.3:
	v_cmp_eq_f32_e64 s[4:5], s22, 0
	s_mov_b32 s25, 0
	s_mul_hi_i32 s7, s23, s2
	s_mul_i32 s6, s23, s2
	s_and_b64 vcc, exec, s[4:5]
	s_cbranch_vccnz .LBB566_11
; %bb.4:
	s_lshl_b64 s[4:5], s[6:7], 1
	s_add_u32 s4, s20, s4
	s_addc_u32 s5, s21, s5
	v_mov_b32_e32 v1, 0
	global_load_ushort v1, v1, s[4:5]
	s_mov_b32 s4, 0x7f800000
	s_waitcnt vmcnt(0)
	v_lshlrev_b32_e32 v1, 16, v1
	v_mul_f32_e32 v1, s22, v1
	v_and_b32_e32 v2, 0x7f800000, v1
	v_cmp_eq_u32_e32 vcc, s4, v2
	v_readfirstlane_b32 s14, v1
	s_cbranch_vccnz .LBB566_8
; %bb.5:
	s_bfe_u32 s4, s14, 0x10010
	s_add_i32 s4, s14, s4
	s_add_i32 s15, s4, 0x7fff
	s_cbranch_execz .LBB566_9
	s_branch .LBB566_10
.LBB566_6:
	s_mov_b64 s[14:15], 0
                                        ; implicit-def: $sgpr25
                                        ; implicit-def: $sgpr6_sgpr7
	s_cbranch_execnz .LBB566_12
	s_branch .LBB566_62
.LBB566_7:
	s_or_b64 exec, exec, s[18:19]
	s_and_b64 vcc, exec, s[16:17]
	s_cbranch_vccnz .LBB566_12
	s_branch .LBB566_62
.LBB566_8:
                                        ; implicit-def: $sgpr15
.LBB566_9:
	s_and_b32 s4, s14, 0xffff
	s_or_b32 s5, s14, 0x10000
	s_cmp_eq_u32 s4, 0
	s_cselect_b32 s15, s14, s5
.LBB566_10:
	s_lshr_b32 s25, s15, 16
.LBB566_11:
	s_mov_b64 s[14:15], exec
	s_or_b64 exec, exec, s[18:19]
	s_and_b64 vcc, exec, s[16:17]
	s_cbranch_vccz .LBB566_62
.LBB566_12:
	s_load_dword s25, s[0:1], 0x0
	s_load_dword s18, s[0:1], 0x28
	s_load_dwordx4 s[4:7], s[0:1], 0x30
	s_load_dwordx2 s[16:17], s[0:1], 0x40
	s_mul_i32 s13, s3, s13
	s_load_dword s0, s[0:1], 0x48
	s_mul_hi_u32 s19, s3, s12
	s_waitcnt lgkmcnt(0)
	s_mul_i32 s1, s3, s5
	s_mul_hi_u32 s5, s3, s4
	s_add_i32 s5, s5, s1
	s_mul_i32 s4, s3, s4
	s_add_i32 s13, s19, s13
	s_lshl_b64 s[4:5], s[4:5], 1
	s_add_u32 s1, s8, s4
	s_mul_i32 s12, s3, s12
	s_addc_u32 s3, s9, s5
	s_lshl_b64 s[4:5], s[10:11], 1
	s_add_u32 s1, s1, s4
	s_addc_u32 s9, s3, s5
	s_mul_hi_i32 s5, s18, s2
	s_mul_i32 s4, s18, s2
	s_lshl_b64 s[4:5], s[4:5], 1
	s_add_u32 s8, s4, s1
	s_addc_u32 s9, s5, s9
	s_ashr_i32 s1, s25, 31
	v_cmp_gt_i32_e32 vcc, s25, v0
	s_lshr_b32 s1, s1, 24
	s_add_i32 s1, s25, s1
	v_cndmask_b32_e32 v1, 0, v0, vcc
	v_lshlrev_b32_e32 v2, 1, v1
	v_mov_b32_e32 v3, 0
	s_and_b32 s4, s1, 0xffffff00
	s_mov_b32 s3, 0
	s_cmpk_lt_i32 s25, 0x100
	v_lshl_add_u64 v[4:5], s[8:9], 0, v[2:3]
	s_cbranch_scc1 .LBB566_19
; %bb.13:
	v_mad_i64_i32 v[2:3], s[10:11], s0, v0, 0
	s_ashr_i32 s1, s0, 31
	s_lshl_b64 s[8:9], s[12:13], 1
	s_lshl_b64 s[10:11], s[16:17], 1
	s_add_u32 s5, s6, s10
	s_addc_u32 s10, s7, s11
	s_add_u32 s8, s5, s8
	s_addc_u32 s9, s10, s9
	v_lshl_add_u64 v[6:7], v[2:3], 1, s[8:9]
	s_lshl_b64 s[8:9], s[0:1], 9
	v_mov_b32_e32 v1, 0
	s_mov_b32 s1, 0x7f800000
	s_movk_i32 s5, 0x7fff
	s_mov_b64 s[10:11], 0x200
	v_mov_b64_e32 v[8:9], v[4:5]
	v_mov_b32_e32 v3, 0
	s_branch .LBB566_15
.LBB566_14:                             ;   in Loop: Header=BB566_15 Depth=1
	s_or_b64 exec, exec, s[18:19]
	v_and_b32_e32 v2, 0xffff0000, v2
	s_addk_i32 s3, 0x100
	v_add_f32_e32 v3, v3, v2
	v_lshl_add_u64 v[6:7], v[6:7], 0, s[8:9]
	s_cmp_ge_i32 s3, s4
	v_lshl_add_u64 v[8:9], v[8:9], 0, s[10:11]
	s_cbranch_scc1 .LBB566_19
.LBB566_15:                             ; =>This Inner Loop Header: Depth=1
	global_load_ushort v2, v[6:7], off
	global_load_ushort v10, v[8:9], off
	s_waitcnt vmcnt(1)
	v_lshlrev_b32_e32 v2, 16, v2
	s_waitcnt vmcnt(0)
	v_lshlrev_b32_e32 v10, 16, v10
	v_pk_mul_f32 v[10:11], v[2:3], v[10:11] op_sel_hi:[0,1]
	v_and_b32_e32 v2, 0x7f800000, v10
	v_cmp_ne_u32_e32 vcc, s1, v2
                                        ; implicit-def: $vgpr2
	s_and_saveexec_b64 s[18:19], vcc
	s_xor_b64 s[18:19], exec, s[18:19]
; %bb.16:                               ;   in Loop: Header=BB566_15 Depth=1
	v_bfe_u32 v2, v10, 16, 1
	v_add3_u32 v2, v10, v2, s5
                                        ; implicit-def: $vgpr10_vgpr11
; %bb.17:                               ;   in Loop: Header=BB566_15 Depth=1
	s_andn2_saveexec_b64 s[18:19], s[18:19]
	s_cbranch_execz .LBB566_14
; %bb.18:                               ;   in Loop: Header=BB566_15 Depth=1
	v_or_b32_e32 v2, 0x10000, v10
	v_cmp_eq_u32_sdwa vcc, v10, v1 src0_sel:WORD_0 src1_sel:DWORD
	s_nop 1
	v_cndmask_b32_e32 v2, v2, v10, vcc
	s_branch .LBB566_14
.LBB566_19:
	v_add_u32_e32 v1, s4, v0
	v_cmp_gt_i32_e32 vcc, s25, v1
	s_and_saveexec_b64 s[8:9], vcc
	s_cbranch_execz .LBB566_25
; %bb.20:
	s_lshl_b64 s[10:11], s[12:13], 1
	s_add_u32 s1, s6, s10
	s_addc_u32 s3, s7, s11
	s_lshl_b64 s[6:7], s[16:17], 1
	s_add_u32 s6, s1, s6
	s_addc_u32 s7, s3, s7
	v_mad_i64_i32 v[6:7], s[0:1], s0, v1, 0
	s_ashr_i32 s5, s4, 31
	v_lshl_add_u64 v[6:7], v[6:7], 1, s[6:7]
	v_lshl_add_u64 v[4:5], s[4:5], 1, v[4:5]
	global_load_ushort v1, v[6:7], off
	global_load_ushort v8, v[4:5], off
	s_mov_b32 s0, 0x7f800000
	s_waitcnt vmcnt(1)
	v_lshlrev_b32_e32 v2, 16, v1
	s_waitcnt vmcnt(0)
	v_lshlrev_b32_e32 v4, 16, v8
	v_pk_mul_f32 v[4:5], v[2:3], v[4:5] op_sel_hi:[0,1]
	v_and_b32_e32 v1, 0x7f800000, v4
	v_cmp_ne_u32_e32 vcc, s0, v1
                                        ; implicit-def: $vgpr1
	s_and_saveexec_b64 s[0:1], vcc
	s_xor_b64 s[0:1], exec, s[0:1]
; %bb.21:
	v_bfe_u32 v1, v4, 16, 1
	s_movk_i32 s3, 0x7fff
	v_add3_u32 v1, v4, v1, s3
                                        ; implicit-def: $vgpr4_vgpr5
; %bb.22:
	s_andn2_saveexec_b64 s[0:1], s[0:1]
; %bb.23:
	v_mov_b32_e32 v1, 0
	v_or_b32_e32 v2, 0x10000, v4
	v_cmp_eq_u32_sdwa vcc, v4, v1 src0_sel:WORD_0 src1_sel:DWORD
	s_nop 1
	v_cndmask_b32_e32 v1, v2, v4, vcc
; %bb.24:
	s_or_b64 exec, exec, s[0:1]
	v_and_b32_e32 v1, 0xffff0000, v1
	v_add_f32_e32 v3, v3, v1
.LBB566_25:
	s_or_b64 exec, exec, s[8:9]
	s_movk_i32 s0, 0x80
	v_lshlrev_b32_e32 v1, 2, v0
	v_cmp_gt_u32_e32 vcc, s0, v0
	ds_write_b32 v1, v3
	s_waitcnt lgkmcnt(0)
	s_barrier
	s_and_saveexec_b64 s[0:1], vcc
	s_cbranch_execz .LBB566_27
; %bb.26:
	ds_read2st64_b32 v[2:3], v1 offset1:2
	s_waitcnt lgkmcnt(0)
	v_add_f32_e32 v2, v3, v2
	ds_write_b32 v1, v2
.LBB566_27:
	s_or_b64 exec, exec, s[0:1]
	v_cmp_gt_u32_e32 vcc, 64, v0
	s_waitcnt lgkmcnt(0)
	s_barrier
	s_and_saveexec_b64 s[0:1], vcc
	s_cbranch_execz .LBB566_29
; %bb.28:
	ds_read2st64_b32 v[2:3], v1 offset1:1
	s_waitcnt lgkmcnt(0)
	v_add_f32_e32 v2, v3, v2
	ds_write_b32 v1, v2
.LBB566_29:
	s_or_b64 exec, exec, s[0:1]
	v_cmp_gt_u32_e32 vcc, 32, v0
	s_waitcnt lgkmcnt(0)
	s_barrier
	s_and_saveexec_b64 s[0:1], vcc
	s_cbranch_execz .LBB566_31
; %bb.30:
	ds_read2_b32 v[2:3], v1 offset1:32
	s_waitcnt lgkmcnt(0)
	v_add_f32_e32 v2, v3, v2
	ds_write_b32 v1, v2
.LBB566_31:
	s_or_b64 exec, exec, s[0:1]
	v_cmp_gt_u32_e32 vcc, 16, v0
	s_waitcnt lgkmcnt(0)
	s_barrier
	s_and_saveexec_b64 s[0:1], vcc
	s_cbranch_execz .LBB566_33
; %bb.32:
	ds_read2_b32 v[2:3], v1 offset1:16
	s_waitcnt lgkmcnt(0)
	v_add_f32_e32 v2, v3, v2
	ds_write_b32 v1, v2
.LBB566_33:
	;; [unrolled: 12-line block ×5, first 2 shown]
	s_or_b64 exec, exec, s[0:1]
	v_cmp_eq_u32_e32 vcc, 0, v0
	s_waitcnt lgkmcnt(0)
	s_barrier
	s_and_saveexec_b64 s[0:1], vcc
	s_cbranch_execz .LBB566_41
; %bb.40:
	v_mov_b32_e32 v2, 0
	ds_read_b64 v[0:1], v2
	s_waitcnt lgkmcnt(0)
	v_add_f32_e32 v0, v1, v0
	ds_write_b32 v2, v0
.LBB566_41:
	s_or_b64 exec, exec, s[0:1]
	s_waitcnt lgkmcnt(0)
	s_barrier
	s_waitcnt lgkmcnt(0)
                                        ; implicit-def: $sgpr25
                                        ; implicit-def: $sgpr6_sgpr7
	s_and_saveexec_b64 s[0:1], vcc
	s_cbranch_execz .LBB566_61
; %bb.42:
	v_mov_b32_e32 v0, 0
	ds_read_b32 v0, v0
	v_cmp_eq_f32_e64 s[4:5], s22, 0
	s_and_b64 vcc, exec, s[4:5]
	s_waitcnt lgkmcnt(0)
	v_mul_f32_e32 v0, s24, v0
	s_nop 0
	v_readfirstlane_b32 s8, v0
	s_cbranch_vccz .LBB566_45
; %bb.43:
	s_and_b32 s3, s8, 0x7f800000
	s_cmp_eq_u32 s3, 0x7f800000
	s_cbranch_scc1 .LBB566_46
; %bb.44:
	s_bfe_u32 s3, s8, 0x10010
	s_add_i32 s3, s8, s3
	s_add_i32 s9, s3, 0x7fff
	s_mov_b64 s[4:5], 0
	s_branch .LBB566_47
.LBB566_45:
                                        ; implicit-def: $sgpr9
	s_mul_hi_i32 s7, s23, s2
	s_mul_i32 s6, s23, s2
	s_branch .LBB566_50
.LBB566_46:
	s_mov_b64 s[4:5], -1
                                        ; implicit-def: $sgpr9
.LBB566_47:
	s_andn2_b64 vcc, exec, s[4:5]
	s_cbranch_vccnz .LBB566_49
; %bb.48:
	s_and_b32 s3, s8, 0xffff
	s_or_b32 s4, s8, 0x10000
	s_cmp_eq_u32 s3, 0
	s_cselect_b32 s9, s8, s4
.LBB566_49:
	s_mul_hi_i32 s7, s23, s2
	s_mul_i32 s6, s23, s2
	s_cbranch_execnz .LBB566_60
.LBB566_50:
	s_lshl_b64 s[2:3], s[6:7], 1
	s_add_u32 s2, s20, s2
	s_addc_u32 s3, s21, s3
	v_mov_b32_e32 v0, 0
	global_load_ushort v0, v0, s[2:3]
	s_mov_b32 s2, 0x7f800000
	s_waitcnt vmcnt(0)
	v_lshlrev_b32_e32 v0, 16, v0
	v_mul_f32_e32 v0, s22, v0
	v_and_b32_e32 v1, 0x7f800000, v0
	v_cmp_eq_u32_e32 vcc, s2, v1
	v_readfirstlane_b32 s4, v0
	s_cbranch_vccnz .LBB566_52
; %bb.51:
	s_bfe_u32 s2, s4, 0x10010
	s_add_i32 s2, s4, s2
	s_add_i32 s5, s2, 0x7fff
	s_mov_b64 s[2:3], 0
	s_branch .LBB566_53
.LBB566_52:
	s_mov_b64 s[2:3], -1
                                        ; implicit-def: $sgpr5
.LBB566_53:
	s_andn2_b64 vcc, exec, s[2:3]
	s_cbranch_vccnz .LBB566_55
; %bb.54:
	s_and_b32 s2, s4, 0xffff
	s_or_b32 s3, s4, 0x10000
	s_cmp_eq_u32 s2, 0
	s_cselect_b32 s5, s4, s3
.LBB566_55:
	s_and_b32 s2, s5, 0xffff0000
	v_mov_b32_e32 v0, s2
	v_add_f32_e32 v0, s8, v0
	s_mov_b32 s2, 0x7f800000
	v_and_b32_e32 v1, 0x7f800000, v0
	v_cmp_eq_u32_e32 vcc, s2, v1
	v_readfirstlane_b32 s4, v0
	s_cbranch_vccnz .LBB566_57
; %bb.56:
	s_bfe_u32 s2, s4, 0x10010
	s_add_i32 s2, s4, s2
	s_add_i32 s9, s2, 0x7fff
	s_mov_b64 s[2:3], 0
	s_branch .LBB566_58
.LBB566_57:
	s_mov_b64 s[2:3], -1
                                        ; implicit-def: $sgpr9
.LBB566_58:
	s_andn2_b64 vcc, exec, s[2:3]
	s_cbranch_vccnz .LBB566_60
; %bb.59:
	s_and_b32 s2, s4, 0xffff
	s_or_b32 s3, s4, 0x10000
	s_cmp_eq_u32 s2, 0
	s_cselect_b32 s9, s4, s3
.LBB566_60:
	s_lshr_b32 s25, s9, 16
	s_or_b64 s[14:15], s[14:15], exec
.LBB566_61:
	s_or_b64 exec, exec, s[0:1]
.LBB566_62:
	s_and_saveexec_b64 s[0:1], s[14:15]
	s_cbranch_execz .LBB566_64
; %bb.63:
	s_lshl_b64 s[0:1], s[6:7], 1
	s_add_u32 s0, s20, s0
	s_addc_u32 s1, s21, s1
	v_mov_b32_e32 v0, 0
	v_mov_b32_e32 v1, s25
	global_store_short v0, v1, s[0:1]
.LBB566_64:
	s_endpgm
	.section	.rodata,"a",@progbits
	.p2align	6, 0x0
	.amdhsa_kernel _ZL20rocblas_gemvt_kernelILb0ELi256E16rocblas_bfloat16PKfS0_EviiT2_lPKT1_lilS6_lilS3_lPT3_lili
		.amdhsa_group_segment_fixed_size 1024
		.amdhsa_private_segment_fixed_size 0
		.amdhsa_kernarg_size 140
		.amdhsa_user_sgpr_count 2
		.amdhsa_user_sgpr_dispatch_ptr 0
		.amdhsa_user_sgpr_queue_ptr 0
		.amdhsa_user_sgpr_kernarg_segment_ptr 1
		.amdhsa_user_sgpr_dispatch_id 0
		.amdhsa_user_sgpr_kernarg_preload_length 0
		.amdhsa_user_sgpr_kernarg_preload_offset 0
		.amdhsa_user_sgpr_private_segment_size 0
		.amdhsa_uses_dynamic_stack 0
		.amdhsa_enable_private_segment 0
		.amdhsa_system_sgpr_workgroup_id_x 1
		.amdhsa_system_sgpr_workgroup_id_y 0
		.amdhsa_system_sgpr_workgroup_id_z 1
		.amdhsa_system_sgpr_workgroup_info 0
		.amdhsa_system_vgpr_workitem_id 0
		.amdhsa_next_free_vgpr 12
		.amdhsa_next_free_sgpr 26
		.amdhsa_accum_offset 12
		.amdhsa_reserve_vcc 1
		.amdhsa_float_round_mode_32 0
		.amdhsa_float_round_mode_16_64 0
		.amdhsa_float_denorm_mode_32 3
		.amdhsa_float_denorm_mode_16_64 3
		.amdhsa_dx10_clamp 1
		.amdhsa_ieee_mode 1
		.amdhsa_fp16_overflow 0
		.amdhsa_tg_split 0
		.amdhsa_exception_fp_ieee_invalid_op 0
		.amdhsa_exception_fp_denorm_src 0
		.amdhsa_exception_fp_ieee_div_zero 0
		.amdhsa_exception_fp_ieee_overflow 0
		.amdhsa_exception_fp_ieee_underflow 0
		.amdhsa_exception_fp_ieee_inexact 0
		.amdhsa_exception_int_div_zero 0
	.end_amdhsa_kernel
	.section	.text._ZL20rocblas_gemvt_kernelILb0ELi256E16rocblas_bfloat16PKfS0_EviiT2_lPKT1_lilS6_lilS3_lPT3_lili,"axG",@progbits,_ZL20rocblas_gemvt_kernelILb0ELi256E16rocblas_bfloat16PKfS0_EviiT2_lPKT1_lilS6_lilS3_lPT3_lili,comdat
.Lfunc_end566:
	.size	_ZL20rocblas_gemvt_kernelILb0ELi256E16rocblas_bfloat16PKfS0_EviiT2_lPKT1_lilS6_lilS3_lPT3_lili, .Lfunc_end566-_ZL20rocblas_gemvt_kernelILb0ELi256E16rocblas_bfloat16PKfS0_EviiT2_lPKT1_lilS6_lilS3_lPT3_lili
                                        ; -- End function
	.section	.AMDGPU.csdata,"",@progbits
; Kernel info:
; codeLenInByte = 1912
; NumSgprs: 32
; NumVgprs: 12
; NumAgprs: 0
; TotalNumVgprs: 12
; ScratchSize: 0
; MemoryBound: 0
; FloatMode: 240
; IeeeMode: 1
; LDSByteSize: 1024 bytes/workgroup (compile time only)
; SGPRBlocks: 3
; VGPRBlocks: 1
; NumSGPRsForWavesPerEU: 32
; NumVGPRsForWavesPerEU: 12
; AccumOffset: 12
; Occupancy: 8
; WaveLimiterHint : 1
; COMPUTE_PGM_RSRC2:SCRATCH_EN: 0
; COMPUTE_PGM_RSRC2:USER_SGPR: 2
; COMPUTE_PGM_RSRC2:TRAP_HANDLER: 0
; COMPUTE_PGM_RSRC2:TGID_X_EN: 1
; COMPUTE_PGM_RSRC2:TGID_Y_EN: 0
; COMPUTE_PGM_RSRC2:TGID_Z_EN: 1
; COMPUTE_PGM_RSRC2:TIDIG_COMP_CNT: 0
; COMPUTE_PGM_RSRC3_GFX90A:ACCUM_OFFSET: 2
; COMPUTE_PGM_RSRC3_GFX90A:TG_SPLIT: 0
	.section	.text._ZL20rocblas_gemvt_kernelILb0ELi256E16rocblas_bfloat16fS0_EviiT2_lPKT1_lilS4_lilS1_lPT3_lili,"axG",@progbits,_ZL20rocblas_gemvt_kernelILb0ELi256E16rocblas_bfloat16fS0_EviiT2_lPKT1_lilS4_lilS1_lPT3_lili,comdat
	.globl	_ZL20rocblas_gemvt_kernelILb0ELi256E16rocblas_bfloat16fS0_EviiT2_lPKT1_lilS4_lilS1_lPT3_lili ; -- Begin function _ZL20rocblas_gemvt_kernelILb0ELi256E16rocblas_bfloat16fS0_EviiT2_lPKT1_lilS4_lilS1_lPT3_lili
	.p2align	8
	.type	_ZL20rocblas_gemvt_kernelILb0ELi256E16rocblas_bfloat16fS0_EviiT2_lPKT1_lilS4_lilS1_lPT3_lili,@function
_ZL20rocblas_gemvt_kernelILb0ELi256E16rocblas_bfloat16fS0_EviiT2_lPKT1_lilS4_lilS1_lPT3_lili: ; @_ZL20rocblas_gemvt_kernelILb0ELi256E16rocblas_bfloat16fS0_EviiT2_lPKT1_lilS4_lilS1_lPT3_lili
; %bb.0:
	s_load_dword s24, s[0:1], 0x8
	s_load_dword s22, s[0:1], 0x58
	s_waitcnt lgkmcnt(0)
	v_cmp_eq_f32_e64 s[4:5], s24, 0
	v_cmp_eq_f32_e64 s[6:7], s22, 1.0
	s_and_b64 s[4:5], s[4:5], s[6:7]
	s_and_b64 vcc, exec, s[4:5]
	s_cbranch_vccnz .LBB567_64
; %bb.1:
	s_load_dwordx2 s[8:9], s[0:1], 0x80
	s_load_dwordx4 s[4:7], s[0:1], 0x68
	s_load_dword s23, s[0:1], 0x78
	s_waitcnt lgkmcnt(0)
	s_mul_i32 s9, s3, s9
	s_mul_hi_u32 s10, s3, s8
	s_mul_i32 s8, s3, s8
	s_add_i32 s9, s10, s9
	s_lshl_b64 s[8:9], s[8:9], 1
	s_add_u32 s8, s4, s8
	s_addc_u32 s9, s5, s9
	s_lshl_b64 s[4:5], s[6:7], 1
	s_add_u32 s20, s8, s4
	s_addc_u32 s21, s9, s5
	v_cmp_neq_f32_e64 s[4:5], s24, 0
	s_and_b64 vcc, exec, s[4:5]
	v_cmp_eq_u32_e64 s[4:5], 0, v0
	s_cbranch_vccnz .LBB567_6
; %bb.2:
	s_mov_b64 s[10:11], 0
	s_mov_b64 s[8:9], 0
                                        ; implicit-def: $sgpr14
                                        ; implicit-def: $sgpr6_sgpr7
	s_and_saveexec_b64 s[12:13], s[4:5]
	s_cbranch_execz .LBB567_7
; %bb.3:
	v_cmp_eq_f32_e64 s[4:5], s22, 0
	s_mov_b32 s14, 0
	s_mul_hi_i32 s7, s23, s2
	s_mul_i32 s6, s23, s2
	s_and_b64 vcc, exec, s[4:5]
	s_cbranch_vccnz .LBB567_11
; %bb.4:
	s_lshl_b64 s[4:5], s[6:7], 1
	s_add_u32 s4, s20, s4
	s_addc_u32 s5, s21, s5
	v_mov_b32_e32 v1, 0
	global_load_ushort v1, v1, s[4:5]
	s_mov_b32 s4, 0x7f800000
	s_waitcnt vmcnt(0)
	v_lshlrev_b32_e32 v1, 16, v1
	v_mul_f32_e32 v1, s22, v1
	v_and_b32_e32 v2, 0x7f800000, v1
	v_cmp_eq_u32_e32 vcc, s4, v2
	v_readfirstlane_b32 s8, v1
	s_cbranch_vccnz .LBB567_8
; %bb.5:
	s_bfe_u32 s4, s8, 0x10010
	s_add_i32 s4, s8, s4
	s_add_i32 s9, s4, 0x7fff
	s_cbranch_execz .LBB567_9
	s_branch .LBB567_10
.LBB567_6:
	s_mov_b64 s[8:9], 0
                                        ; implicit-def: $sgpr14
                                        ; implicit-def: $sgpr6_sgpr7
	s_cbranch_execnz .LBB567_12
	s_branch .LBB567_62
.LBB567_7:
	s_or_b64 exec, exec, s[12:13]
	s_and_b64 vcc, exec, s[10:11]
	s_cbranch_vccnz .LBB567_12
	s_branch .LBB567_62
.LBB567_8:
                                        ; implicit-def: $sgpr9
.LBB567_9:
	s_and_b32 s4, s8, 0xffff
	s_or_b32 s5, s8, 0x10000
	s_cmp_eq_u32 s4, 0
	s_cselect_b32 s9, s8, s5
.LBB567_10:
	s_lshr_b32 s14, s9, 16
.LBB567_11:
	s_mov_b64 s[8:9], exec
	s_or_b64 exec, exec, s[12:13]
	s_and_b64 vcc, exec, s[10:11]
	s_cbranch_vccz .LBB567_62
.LBB567_12:
	s_load_dwordx2 s[14:15], s[0:1], 0x50
	s_load_dword s25, s[0:1], 0x0
	s_load_dwordx4 s[16:19], s[0:1], 0x18
	s_load_dword s13, s[0:1], 0x28
	s_load_dwordx4 s[4:7], s[0:1], 0x30
	s_load_dwordx2 s[10:11], s[0:1], 0x40
	s_load_dword s12, s[0:1], 0x48
	s_waitcnt lgkmcnt(0)
	s_mul_i32 s0, s3, s15
	s_mul_hi_u32 s1, s3, s14
	s_add_i32 s1, s1, s0
	s_mul_i32 s0, s3, s14
	s_mul_i32 s5, s3, s5
	s_mul_hi_u32 s14, s3, s4
	s_add_i32 s5, s14, s5
	s_mul_i32 s4, s3, s4
	s_lshl_b64 s[4:5], s[4:5], 1
	s_add_u32 s3, s16, s4
	s_addc_u32 s14, s17, s5
	s_lshl_b64 s[4:5], s[18:19], 1
	s_add_u32 s15, s3, s4
	s_addc_u32 s16, s14, s5
	s_mul_hi_i32 s5, s13, s2
	s_mul_i32 s4, s13, s2
	s_lshl_b64 s[4:5], s[4:5], 1
	s_add_u32 s14, s4, s15
	s_addc_u32 s15, s5, s16
	s_ashr_i32 s4, s25, 31
	v_cmp_gt_i32_e32 vcc, s25, v0
	s_lshr_b32 s4, s4, 24
	s_add_i32 s4, s25, s4
	v_cndmask_b32_e32 v1, 0, v0, vcc
	v_lshlrev_b32_e32 v2, 1, v1
	v_mov_b32_e32 v3, 0
	s_and_b32 s4, s4, 0xffffff00
	s_mov_b32 s3, 0
	s_cmpk_lt_i32 s25, 0x100
	v_lshl_add_u64 v[4:5], s[14:15], 0, v[2:3]
	s_cbranch_scc1 .LBB567_19
; %bb.13:
	v_mad_i64_i32 v[2:3], s[16:17], s12, v0, 0
	s_ashr_i32 s13, s12, 31
	s_lshl_b64 s[14:15], s[0:1], 1
	s_lshl_b64 s[16:17], s[10:11], 1
	s_add_u32 s5, s6, s16
	s_addc_u32 s16, s7, s17
	s_add_u32 s14, s5, s14
	s_addc_u32 s15, s16, s15
	v_lshl_add_u64 v[6:7], v[2:3], 1, s[14:15]
	s_lshl_b64 s[14:15], s[12:13], 9
	v_mov_b32_e32 v1, 0
	s_mov_b32 s5, 0x7f800000
	s_movk_i32 s13, 0x7fff
	s_mov_b64 s[16:17], 0x200
	v_mov_b64_e32 v[8:9], v[4:5]
	v_mov_b32_e32 v3, 0
	s_branch .LBB567_15
.LBB567_14:                             ;   in Loop: Header=BB567_15 Depth=1
	s_or_b64 exec, exec, s[18:19]
	v_and_b32_e32 v2, 0xffff0000, v2
	s_addk_i32 s3, 0x100
	v_add_f32_e32 v3, v3, v2
	v_lshl_add_u64 v[6:7], v[6:7], 0, s[14:15]
	s_cmp_ge_i32 s3, s4
	v_lshl_add_u64 v[8:9], v[8:9], 0, s[16:17]
	s_cbranch_scc1 .LBB567_19
.LBB567_15:                             ; =>This Inner Loop Header: Depth=1
	global_load_ushort v2, v[6:7], off
	global_load_ushort v10, v[8:9], off
	s_waitcnt vmcnt(1)
	v_lshlrev_b32_e32 v2, 16, v2
	s_waitcnt vmcnt(0)
	v_lshlrev_b32_e32 v10, 16, v10
	v_pk_mul_f32 v[10:11], v[2:3], v[10:11] op_sel_hi:[0,1]
	v_and_b32_e32 v2, 0x7f800000, v10
	v_cmp_ne_u32_e32 vcc, s5, v2
                                        ; implicit-def: $vgpr2
	s_and_saveexec_b64 s[18:19], vcc
	s_xor_b64 s[18:19], exec, s[18:19]
; %bb.16:                               ;   in Loop: Header=BB567_15 Depth=1
	v_bfe_u32 v2, v10, 16, 1
	v_add3_u32 v2, v10, v2, s13
                                        ; implicit-def: $vgpr10_vgpr11
; %bb.17:                               ;   in Loop: Header=BB567_15 Depth=1
	s_andn2_saveexec_b64 s[18:19], s[18:19]
	s_cbranch_execz .LBB567_14
; %bb.18:                               ;   in Loop: Header=BB567_15 Depth=1
	v_or_b32_e32 v2, 0x10000, v10
	v_cmp_eq_u32_sdwa vcc, v10, v1 src0_sel:WORD_0 src1_sel:DWORD
	s_nop 1
	v_cndmask_b32_e32 v2, v2, v10, vcc
	s_branch .LBB567_14
.LBB567_19:
	v_add_u32_e32 v1, s4, v0
	v_cmp_gt_i32_e32 vcc, s25, v1
	s_and_saveexec_b64 s[14:15], vcc
	s_cbranch_execz .LBB567_25
; %bb.20:
	s_lshl_b64 s[0:1], s[0:1], 1
	s_add_u32 s3, s6, s0
	s_addc_u32 s5, s7, s1
	s_lshl_b64 s[0:1], s[10:11], 1
	s_add_u32 s0, s3, s0
	s_addc_u32 s1, s5, s1
	s_ashr_i32 s5, s4, 31
	v_lshl_add_u64 v[4:5], s[4:5], 1, v[4:5]
	v_mad_i64_i32 v[6:7], s[4:5], s12, v1, 0
	v_lshl_add_u64 v[6:7], v[6:7], 1, s[0:1]
	global_load_ushort v1, v[6:7], off
	global_load_ushort v8, v[4:5], off
	s_mov_b32 s0, 0x7f800000
	s_waitcnt vmcnt(1)
	v_lshlrev_b32_e32 v2, 16, v1
	s_waitcnt vmcnt(0)
	v_lshlrev_b32_e32 v4, 16, v8
	v_pk_mul_f32 v[4:5], v[2:3], v[4:5] op_sel_hi:[0,1]
	v_and_b32_e32 v1, 0x7f800000, v4
	v_cmp_ne_u32_e32 vcc, s0, v1
                                        ; implicit-def: $vgpr1
	s_and_saveexec_b64 s[0:1], vcc
	s_xor_b64 s[0:1], exec, s[0:1]
; %bb.21:
	v_bfe_u32 v1, v4, 16, 1
	s_movk_i32 s3, 0x7fff
	v_add3_u32 v1, v4, v1, s3
                                        ; implicit-def: $vgpr4_vgpr5
; %bb.22:
	s_andn2_saveexec_b64 s[0:1], s[0:1]
; %bb.23:
	v_mov_b32_e32 v1, 0
	v_or_b32_e32 v2, 0x10000, v4
	v_cmp_eq_u32_sdwa vcc, v4, v1 src0_sel:WORD_0 src1_sel:DWORD
	s_nop 1
	v_cndmask_b32_e32 v1, v2, v4, vcc
; %bb.24:
	s_or_b64 exec, exec, s[0:1]
	v_and_b32_e32 v1, 0xffff0000, v1
	v_add_f32_e32 v3, v3, v1
.LBB567_25:
	s_or_b64 exec, exec, s[14:15]
	s_movk_i32 s0, 0x80
	v_lshlrev_b32_e32 v1, 2, v0
	v_cmp_gt_u32_e32 vcc, s0, v0
	ds_write_b32 v1, v3
	s_waitcnt lgkmcnt(0)
	s_barrier
	s_and_saveexec_b64 s[0:1], vcc
	s_cbranch_execz .LBB567_27
; %bb.26:
	ds_read2st64_b32 v[2:3], v1 offset1:2
	s_waitcnt lgkmcnt(0)
	v_add_f32_e32 v2, v3, v2
	ds_write_b32 v1, v2
.LBB567_27:
	s_or_b64 exec, exec, s[0:1]
	v_cmp_gt_u32_e32 vcc, 64, v0
	s_waitcnt lgkmcnt(0)
	s_barrier
	s_and_saveexec_b64 s[0:1], vcc
	s_cbranch_execz .LBB567_29
; %bb.28:
	ds_read2st64_b32 v[2:3], v1 offset1:1
	s_waitcnt lgkmcnt(0)
	v_add_f32_e32 v2, v3, v2
	ds_write_b32 v1, v2
.LBB567_29:
	s_or_b64 exec, exec, s[0:1]
	v_cmp_gt_u32_e32 vcc, 32, v0
	s_waitcnt lgkmcnt(0)
	s_barrier
	s_and_saveexec_b64 s[0:1], vcc
	s_cbranch_execz .LBB567_31
; %bb.30:
	ds_read2_b32 v[2:3], v1 offset1:32
	s_waitcnt lgkmcnt(0)
	v_add_f32_e32 v2, v3, v2
	ds_write_b32 v1, v2
.LBB567_31:
	s_or_b64 exec, exec, s[0:1]
	v_cmp_gt_u32_e32 vcc, 16, v0
	s_waitcnt lgkmcnt(0)
	s_barrier
	s_and_saveexec_b64 s[0:1], vcc
	s_cbranch_execz .LBB567_33
; %bb.32:
	ds_read2_b32 v[2:3], v1 offset1:16
	s_waitcnt lgkmcnt(0)
	v_add_f32_e32 v2, v3, v2
	ds_write_b32 v1, v2
.LBB567_33:
	;; [unrolled: 12-line block ×5, first 2 shown]
	s_or_b64 exec, exec, s[0:1]
	v_cmp_eq_u32_e32 vcc, 0, v0
	s_waitcnt lgkmcnt(0)
	s_barrier
	s_and_saveexec_b64 s[0:1], vcc
	s_cbranch_execz .LBB567_41
; %bb.40:
	v_mov_b32_e32 v2, 0
	ds_read_b64 v[0:1], v2
	s_waitcnt lgkmcnt(0)
	v_add_f32_e32 v0, v1, v0
	ds_write_b32 v2, v0
.LBB567_41:
	s_or_b64 exec, exec, s[0:1]
	s_waitcnt lgkmcnt(0)
	s_barrier
	s_waitcnt lgkmcnt(0)
                                        ; implicit-def: $sgpr14
                                        ; implicit-def: $sgpr6_sgpr7
	s_and_saveexec_b64 s[0:1], vcc
	s_cbranch_execz .LBB567_61
; %bb.42:
	v_mov_b32_e32 v0, 0
	ds_read_b32 v0, v0
	v_cmp_eq_f32_e64 s[4:5], s22, 0
	s_and_b64 vcc, exec, s[4:5]
	s_waitcnt lgkmcnt(0)
	v_mul_f32_e32 v0, s24, v0
	s_nop 0
	v_readfirstlane_b32 s10, v0
	s_cbranch_vccz .LBB567_45
; %bb.43:
	s_and_b32 s3, s10, 0x7f800000
	s_cmp_eq_u32 s3, 0x7f800000
	s_cbranch_scc1 .LBB567_46
; %bb.44:
	s_bfe_u32 s3, s10, 0x10010
	s_add_i32 s3, s10, s3
	s_add_i32 s11, s3, 0x7fff
	s_mov_b64 s[4:5], 0
	s_branch .LBB567_47
.LBB567_45:
                                        ; implicit-def: $sgpr11
	s_mul_hi_i32 s7, s23, s2
	s_mul_i32 s6, s23, s2
	s_branch .LBB567_50
.LBB567_46:
	s_mov_b64 s[4:5], -1
                                        ; implicit-def: $sgpr11
.LBB567_47:
	s_andn2_b64 vcc, exec, s[4:5]
	s_cbranch_vccnz .LBB567_49
; %bb.48:
	s_and_b32 s3, s10, 0xffff
	s_or_b32 s4, s10, 0x10000
	s_cmp_eq_u32 s3, 0
	s_cselect_b32 s11, s10, s4
.LBB567_49:
	s_mul_hi_i32 s7, s23, s2
	s_mul_i32 s6, s23, s2
	s_cbranch_execnz .LBB567_60
.LBB567_50:
	s_lshl_b64 s[2:3], s[6:7], 1
	s_add_u32 s2, s20, s2
	s_addc_u32 s3, s21, s3
	v_mov_b32_e32 v0, 0
	global_load_ushort v0, v0, s[2:3]
	s_mov_b32 s2, 0x7f800000
	s_waitcnt vmcnt(0)
	v_lshlrev_b32_e32 v0, 16, v0
	v_mul_f32_e32 v0, s22, v0
	v_and_b32_e32 v1, 0x7f800000, v0
	v_cmp_eq_u32_e32 vcc, s2, v1
	v_readfirstlane_b32 s4, v0
	s_cbranch_vccnz .LBB567_52
; %bb.51:
	s_bfe_u32 s2, s4, 0x10010
	s_add_i32 s2, s4, s2
	s_add_i32 s5, s2, 0x7fff
	s_mov_b64 s[2:3], 0
	s_branch .LBB567_53
.LBB567_52:
	s_mov_b64 s[2:3], -1
                                        ; implicit-def: $sgpr5
.LBB567_53:
	s_andn2_b64 vcc, exec, s[2:3]
	s_cbranch_vccnz .LBB567_55
; %bb.54:
	s_and_b32 s2, s4, 0xffff
	s_or_b32 s3, s4, 0x10000
	s_cmp_eq_u32 s2, 0
	s_cselect_b32 s5, s4, s3
.LBB567_55:
	s_and_b32 s2, s5, 0xffff0000
	v_mov_b32_e32 v0, s2
	v_add_f32_e32 v0, s10, v0
	s_mov_b32 s2, 0x7f800000
	v_and_b32_e32 v1, 0x7f800000, v0
	v_cmp_eq_u32_e32 vcc, s2, v1
	v_readfirstlane_b32 s4, v0
	s_cbranch_vccnz .LBB567_57
; %bb.56:
	s_bfe_u32 s2, s4, 0x10010
	s_add_i32 s2, s4, s2
	s_add_i32 s11, s2, 0x7fff
	s_mov_b64 s[2:3], 0
	s_branch .LBB567_58
.LBB567_57:
	s_mov_b64 s[2:3], -1
                                        ; implicit-def: $sgpr11
.LBB567_58:
	s_andn2_b64 vcc, exec, s[2:3]
	s_cbranch_vccnz .LBB567_60
; %bb.59:
	s_and_b32 s2, s4, 0xffff
	s_or_b32 s3, s4, 0x10000
	s_cmp_eq_u32 s2, 0
	s_cselect_b32 s11, s4, s3
.LBB567_60:
	s_lshr_b32 s14, s11, 16
	s_or_b64 s[8:9], s[8:9], exec
.LBB567_61:
	s_or_b64 exec, exec, s[0:1]
.LBB567_62:
	s_and_saveexec_b64 s[0:1], s[8:9]
	s_cbranch_execz .LBB567_64
; %bb.63:
	s_lshl_b64 s[0:1], s[6:7], 1
	s_add_u32 s0, s20, s0
	s_addc_u32 s1, s21, s1
	v_mov_b32_e32 v0, 0
	v_mov_b32_e32 v1, s14
	global_store_short v0, v1, s[0:1]
.LBB567_64:
	s_endpgm
	.section	.rodata,"a",@progbits
	.p2align	6, 0x0
	.amdhsa_kernel _ZL20rocblas_gemvt_kernelILb0ELi256E16rocblas_bfloat16fS0_EviiT2_lPKT1_lilS4_lilS1_lPT3_lili
		.amdhsa_group_segment_fixed_size 1024
		.amdhsa_private_segment_fixed_size 0
		.amdhsa_kernarg_size 140
		.amdhsa_user_sgpr_count 2
		.amdhsa_user_sgpr_dispatch_ptr 0
		.amdhsa_user_sgpr_queue_ptr 0
		.amdhsa_user_sgpr_kernarg_segment_ptr 1
		.amdhsa_user_sgpr_dispatch_id 0
		.amdhsa_user_sgpr_kernarg_preload_length 0
		.amdhsa_user_sgpr_kernarg_preload_offset 0
		.amdhsa_user_sgpr_private_segment_size 0
		.amdhsa_uses_dynamic_stack 0
		.amdhsa_enable_private_segment 0
		.amdhsa_system_sgpr_workgroup_id_x 1
		.amdhsa_system_sgpr_workgroup_id_y 0
		.amdhsa_system_sgpr_workgroup_id_z 1
		.amdhsa_system_sgpr_workgroup_info 0
		.amdhsa_system_vgpr_workitem_id 0
		.amdhsa_next_free_vgpr 12
		.amdhsa_next_free_sgpr 26
		.amdhsa_accum_offset 12
		.amdhsa_reserve_vcc 1
		.amdhsa_float_round_mode_32 0
		.amdhsa_float_round_mode_16_64 0
		.amdhsa_float_denorm_mode_32 3
		.amdhsa_float_denorm_mode_16_64 3
		.amdhsa_dx10_clamp 1
		.amdhsa_ieee_mode 1
		.amdhsa_fp16_overflow 0
		.amdhsa_tg_split 0
		.amdhsa_exception_fp_ieee_invalid_op 0
		.amdhsa_exception_fp_denorm_src 0
		.amdhsa_exception_fp_ieee_div_zero 0
		.amdhsa_exception_fp_ieee_overflow 0
		.amdhsa_exception_fp_ieee_underflow 0
		.amdhsa_exception_fp_ieee_inexact 0
		.amdhsa_exception_int_div_zero 0
	.end_amdhsa_kernel
	.section	.text._ZL20rocblas_gemvt_kernelILb0ELi256E16rocblas_bfloat16fS0_EviiT2_lPKT1_lilS4_lilS1_lPT3_lili,"axG",@progbits,_ZL20rocblas_gemvt_kernelILb0ELi256E16rocblas_bfloat16fS0_EviiT2_lPKT1_lilS4_lilS1_lPT3_lili,comdat
.Lfunc_end567:
	.size	_ZL20rocblas_gemvt_kernelILb0ELi256E16rocblas_bfloat16fS0_EviiT2_lPKT1_lilS4_lilS1_lPT3_lili, .Lfunc_end567-_ZL20rocblas_gemvt_kernelILb0ELi256E16rocblas_bfloat16fS0_EviiT2_lPKT1_lilS4_lilS1_lPT3_lili
                                        ; -- End function
	.section	.AMDGPU.csdata,"",@progbits
; Kernel info:
; codeLenInByte = 1852
; NumSgprs: 32
; NumVgprs: 12
; NumAgprs: 0
; TotalNumVgprs: 12
; ScratchSize: 0
; MemoryBound: 0
; FloatMode: 240
; IeeeMode: 1
; LDSByteSize: 1024 bytes/workgroup (compile time only)
; SGPRBlocks: 3
; VGPRBlocks: 1
; NumSGPRsForWavesPerEU: 32
; NumVGPRsForWavesPerEU: 12
; AccumOffset: 12
; Occupancy: 8
; WaveLimiterHint : 1
; COMPUTE_PGM_RSRC2:SCRATCH_EN: 0
; COMPUTE_PGM_RSRC2:USER_SGPR: 2
; COMPUTE_PGM_RSRC2:TRAP_HANDLER: 0
; COMPUTE_PGM_RSRC2:TGID_X_EN: 1
; COMPUTE_PGM_RSRC2:TGID_Y_EN: 0
; COMPUTE_PGM_RSRC2:TGID_Z_EN: 1
; COMPUTE_PGM_RSRC2:TIDIG_COMP_CNT: 0
; COMPUTE_PGM_RSRC3_GFX90A:ACCUM_OFFSET: 2
; COMPUTE_PGM_RSRC3_GFX90A:TG_SPLIT: 0
	.section	.text._ZL32rocblas_gemvt_warp_reduce_kernelILb0ELi1024Ei16rocblas_bfloat16PKfS0_EviiT3_lPKT2_lT1_lS6_lS7_lS3_lPT4_lS7_li,"axG",@progbits,_ZL32rocblas_gemvt_warp_reduce_kernelILb0ELi1024Ei16rocblas_bfloat16PKfS0_EviiT3_lPKT2_lT1_lS6_lS7_lS3_lPT4_lS7_li,comdat
	.globl	_ZL32rocblas_gemvt_warp_reduce_kernelILb0ELi1024Ei16rocblas_bfloat16PKfS0_EviiT3_lPKT2_lT1_lS6_lS7_lS3_lPT4_lS7_li ; -- Begin function _ZL32rocblas_gemvt_warp_reduce_kernelILb0ELi1024Ei16rocblas_bfloat16PKfS0_EviiT3_lPKT2_lT1_lS6_lS7_lS3_lPT4_lS7_li
	.p2align	8
	.type	_ZL32rocblas_gemvt_warp_reduce_kernelILb0ELi1024Ei16rocblas_bfloat16PKfS0_EviiT3_lPKT2_lT1_lS6_lS7_lS3_lPT4_lS7_li,@function
_ZL32rocblas_gemvt_warp_reduce_kernelILb0ELi1024Ei16rocblas_bfloat16PKfS0_EviiT3_lPKT2_lT1_lS6_lS7_lS3_lPT4_lS7_li: ; @_ZL32rocblas_gemvt_warp_reduce_kernelILb0ELi1024Ei16rocblas_bfloat16PKfS0_EviiT3_lPKT2_lT1_lS6_lS7_lS3_lPT4_lS7_li
; %bb.0:
	s_load_dwordx8 s[4:11], s[0:1], 0x8
	s_load_dwordx8 s[12:19], s[0:1], 0x50
	s_waitcnt lgkmcnt(0)
	s_mul_i32 s7, s3, s7
	s_mul_hi_u32 s20, s3, s6
	s_add_i32 s7, s20, s7
	s_mul_i32 s6, s3, s6
	s_lshl_b64 s[6:7], s[6:7], 2
	s_add_u32 s4, s4, s6
	s_addc_u32 s5, s5, s7
	s_load_dword s24, s[4:5], 0x0
	s_mul_i32 s4, s3, s17
	s_mul_hi_u32 s5, s3, s16
	s_add_i32 s5, s5, s4
	s_mul_i32 s4, s3, s16
	s_lshl_b64 s[4:5], s[4:5], 2
	s_add_u32 s4, s14, s4
	s_addc_u32 s5, s15, s5
	s_load_dword s22, s[4:5], 0x0
	s_waitcnt lgkmcnt(0)
	v_cmp_eq_f32_e64 s[4:5], s24, 0
	v_cmp_eq_f32_e64 s[6:7], s22, 1.0
	s_and_b64 s[4:5], s[4:5], s[6:7]
	s_and_b64 vcc, exec, s[4:5]
	s_cbranch_vccnz .LBB568_39
; %bb.1:
	s_load_dwordx2 s[4:5], s[0:1], 0x80
	s_load_dwordx2 s[6:7], s[0:1], 0x70
	s_load_dword s23, s[0:1], 0x78
	s_waitcnt lgkmcnt(0)
	s_mul_i32 s5, s3, s5
	s_mul_hi_u32 s14, s3, s4
	s_mul_i32 s4, s3, s4
	s_add_i32 s5, s14, s5
	s_lshl_b64 s[4:5], s[4:5], 1
	s_add_u32 s14, s18, s4
	s_addc_u32 s15, s19, s5
	s_lshl_b64 s[4:5], s[6:7], 1
	s_add_u32 s20, s14, s4
	s_addc_u32 s21, s15, s5
	v_cmp_neq_f32_e64 s[4:5], s24, 0
	s_and_b64 vcc, exec, s[4:5]
	v_cmp_eq_u32_e64 s[4:5], 0, v0
	s_cbranch_vccnz .LBB568_6
; %bb.2:
	s_mov_b64 s[16:17], 0
	s_mov_b64 s[6:7], 0
                                        ; implicit-def: $sgpr25
                                        ; implicit-def: $sgpr14_sgpr15
	s_and_saveexec_b64 s[18:19], s[4:5]
	s_cbranch_execz .LBB568_14
; %bb.3:
	v_cmp_eq_f32_e64 s[4:5], s22, 0
	s_mul_i32 s14, s2, s23
	s_mov_b32 s25, 0
	s_ashr_i32 s15, s14, 31
	s_and_b64 vcc, exec, s[4:5]
	s_cbranch_vccnz .LBB568_43
; %bb.4:
	s_lshl_b64 s[4:5], s[14:15], 1
	s_add_u32 s4, s20, s4
	s_addc_u32 s5, s21, s5
	v_mov_b32_e32 v1, 0
	global_load_ushort v1, v1, s[4:5]
	s_mov_b32 s4, 0x7f800000
	s_waitcnt vmcnt(0)
	v_lshlrev_b32_e32 v1, 16, v1
	v_mul_f32_e32 v1, s22, v1
	v_and_b32_e32 v2, 0x7f800000, v1
	v_cmp_eq_u32_e32 vcc, s4, v2
	v_readfirstlane_b32 s6, v1
	s_cbranch_vccnz .LBB568_40
; %bb.5:
	s_bfe_u32 s4, s6, 0x10010
	s_add_i32 s4, s6, s4
	s_add_i32 s7, s4, 0x7fff
	s_cbranch_execz .LBB568_41
	s_branch .LBB568_42
.LBB568_6:
	s_mov_b64 s[6:7], 0
                                        ; implicit-def: $sgpr25
                                        ; implicit-def: $sgpr14_sgpr15
	s_cbranch_execz .LBB568_44
.LBB568_7:
	s_load_dword s16, s[0:1], 0x0
	s_load_dword s14, s[0:1], 0x28
	s_load_dwordx4 s[28:31], s[0:1], 0x30
	s_load_dwordx2 s[4:5], s[0:1], 0x40
	s_mul_i32 s13, s3, s13
	s_mul_hi_u32 s15, s3, s12
	s_add_i32 s13, s15, s13
	s_mul_i32 s12, s3, s12
	s_lshl_b64 s[12:13], s[12:13], 1
	s_waitcnt lgkmcnt(0)
	s_add_u32 s12, s30, s12
	s_addc_u32 s13, s31, s13
	s_lshl_b64 s[4:5], s[4:5], 1
	s_add_u32 s4, s12, s4
	s_load_dword s17, s[0:1], 0x48
	s_mul_i32 s0, s3, s29
	s_mul_hi_u32 s1, s3, s28
	s_addc_u32 s5, s13, s5
	s_add_i32 s1, s1, s0
	s_mul_i32 s0, s3, s28
	s_lshl_b64 s[0:1], s[0:1], 1
	s_add_u32 s3, s8, s0
	s_addc_u32 s8, s9, s1
	s_lshl_b64 s[0:1], s[10:11], 1
	s_add_u32 s3, s3, s0
	s_mul_i32 s0, s2, s14
	s_addc_u32 s8, s8, s1
	s_ashr_i32 s1, s0, 31
	v_cmp_gt_i32_e32 vcc, s16, v0
	s_lshl_b64 s[0:1], s[0:1], 1
	s_add_u32 s0, s0, s3
	v_cndmask_b32_e32 v1, 0, v0, vcc
	v_lshlrev_b32_e32 v2, 1, v1
	v_mov_b32_e32 v3, 0
	s_addc_u32 s1, s1, s8
	v_lshl_add_u64 v[4:5], s[0:1], 0, v[2:3]
	s_ashr_i32 s0, s16, 31
	s_lshr_b32 s0, s0, 22
	s_add_i32 s0, s16, s0
	s_and_b32 s0, s0, 0xfffffc00
	v_cmp_gt_i32_e32 vcc, s0, v0
	s_and_saveexec_b64 s[8:9], vcc
	s_cbranch_execz .LBB568_16
; %bb.8:
	s_waitcnt lgkmcnt(0)
	v_mul_lo_u32 v6, v0, s17
	s_lshl_b32 s1, s17, 10
	s_mov_b64 s[10:11], 0
	v_mov_b32_e32 v1, 0
	s_mov_b32 s3, 0x7f800000
	s_movk_i32 s18, 0x7fff
	s_mov_b64 s[12:13], 0x800
	v_mov_b64_e32 v[8:9], v[4:5]
	v_mov_b32_e32 v2, v0
	v_mov_b32_e32 v3, 0
	s_branch .LBB568_10
.LBB568_9:                              ;   in Loop: Header=BB568_10 Depth=1
	s_or_b64 exec, exec, s[14:15]
	v_add_u32_e32 v2, 0x400, v2
	v_and_b32_e32 v7, 0xffff0000, v7
	v_cmp_le_i32_e32 vcc, s0, v2
	v_add_f32_e32 v3, v3, v7
	v_add_u32_e32 v6, s1, v6
	s_or_b64 s[10:11], vcc, s[10:11]
	v_lshl_add_u64 v[8:9], v[8:9], 0, s[12:13]
	s_andn2_b64 exec, exec, s[10:11]
	s_cbranch_execz .LBB568_15
.LBB568_10:                             ; =>This Inner Loop Header: Depth=1
	v_ashrrev_i32_e32 v7, 31, v6
	v_lshl_add_u64 v[10:11], v[6:7], 1, s[4:5]
	global_load_ushort v7, v[10:11], off
	global_load_ushort v12, v[8:9], off
	s_waitcnt vmcnt(1)
	v_lshlrev_b32_e32 v10, 16, v7
	s_waitcnt vmcnt(0)
	v_lshlrev_b32_e32 v12, 16, v12
	v_pk_mul_f32 v[10:11], v[10:11], v[12:13] op_sel_hi:[0,1]
	v_and_b32_e32 v7, 0x7f800000, v10
	v_cmp_ne_u32_e32 vcc, s3, v7
                                        ; implicit-def: $vgpr7
	s_and_saveexec_b64 s[14:15], vcc
	s_xor_b64 s[14:15], exec, s[14:15]
; %bb.11:                               ;   in Loop: Header=BB568_10 Depth=1
	v_bfe_u32 v7, v10, 16, 1
	v_add3_u32 v7, v10, v7, s18
                                        ; implicit-def: $vgpr10_vgpr11
; %bb.12:                               ;   in Loop: Header=BB568_10 Depth=1
	s_andn2_saveexec_b64 s[14:15], s[14:15]
	s_cbranch_execz .LBB568_9
; %bb.13:                               ;   in Loop: Header=BB568_10 Depth=1
	v_or_b32_e32 v7, 0x10000, v10
	v_cmp_eq_u32_sdwa vcc, v10, v1 src0_sel:WORD_0 src1_sel:DWORD
	s_nop 1
	v_cndmask_b32_e32 v7, v7, v10, vcc
	s_branch .LBB568_9
.LBB568_14:
	s_or_b64 exec, exec, s[18:19]
	s_and_b64 vcc, exec, s[16:17]
	s_cbranch_vccnz .LBB568_7
	s_branch .LBB568_44
.LBB568_15:
	s_or_b64 exec, exec, s[10:11]
.LBB568_16:
	s_or_b64 exec, exec, s[8:9]
	v_or_b32_e32 v1, s0, v0
	v_cmp_gt_i32_e32 vcc, s16, v1
	s_and_saveexec_b64 s[8:9], vcc
	s_cbranch_execz .LBB568_22
; %bb.17:
	s_ashr_i32 s1, s0, 31
	s_waitcnt lgkmcnt(0)
	v_mul_lo_u32 v6, v1, s17
	v_lshl_add_u64 v[4:5], s[0:1], 1, v[4:5]
	v_ashrrev_i32_e32 v7, 31, v6
	v_lshl_add_u64 v[6:7], v[6:7], 1, s[4:5]
	global_load_ushort v1, v[4:5], off
	global_load_ushort v8, v[6:7], off
	s_mov_b32 s0, 0x7f800000
	s_waitcnt vmcnt(1)
	v_lshlrev_b32_e32 v2, 16, v1
	s_waitcnt vmcnt(0)
	v_lshlrev_b32_e32 v4, 16, v8
	v_pk_mul_f32 v[4:5], v[4:5], v[2:3] op_sel_hi:[0,1]
	v_and_b32_e32 v1, 0x7f800000, v4
	v_cmp_ne_u32_e32 vcc, s0, v1
                                        ; implicit-def: $vgpr1
	s_and_saveexec_b64 s[0:1], vcc
	s_xor_b64 s[0:1], exec, s[0:1]
; %bb.18:
	v_bfe_u32 v1, v4, 16, 1
	s_movk_i32 s3, 0x7fff
	v_add3_u32 v1, v4, v1, s3
                                        ; implicit-def: $vgpr4_vgpr5
; %bb.19:
	s_andn2_saveexec_b64 s[0:1], s[0:1]
; %bb.20:
	v_mov_b32_e32 v1, 0
	v_or_b32_e32 v2, 0x10000, v4
	v_cmp_eq_u32_sdwa vcc, v4, v1 src0_sel:WORD_0 src1_sel:DWORD
	s_nop 1
	v_cndmask_b32_e32 v1, v2, v4, vcc
; %bb.21:
	s_or_b64 exec, exec, s[0:1]
	v_and_b32_e32 v1, 0xffff0000, v1
	v_add_f32_e32 v3, v3, v1
.LBB568_22:
	s_or_b64 exec, exec, s[8:9]
	v_and_b32_e32 v2, 63, v0
	v_cmp_gt_u32_e32 vcc, 64, v0
	v_lshlrev_b32_e32 v1, 2, v2
	s_and_saveexec_b64 s[0:1], vcc
	s_cbranch_execz .LBB568_24
; %bb.23:
	v_mov_b32_e32 v4, 0
	ds_write_b32 v1, v4
.LBB568_24:
	s_or_b64 exec, exec, s[0:1]
	v_mbcnt_lo_u32_b32 v4, -1, 0
	v_mbcnt_hi_u32_b32 v6, -1, v4
	v_and_b32_e32 v7, 63, v6
	v_cmp_gt_u32_e64 s[0:1], 32, v7
	s_waitcnt lgkmcnt(0)
	s_barrier
	v_cndmask_b32_e64 v4, 0, 1, s[0:1]
	v_lshlrev_b32_e32 v4, 5, v4
	v_add_lshl_u32 v4, v4, v6, 2
	ds_bpermute_b32 v4, v4, v3
	v_cmp_gt_u32_e64 s[0:1], 48, v7
	s_waitcnt lgkmcnt(0)
	v_add_f32_e32 v3, v3, v4
	v_cndmask_b32_e64 v5, 0, 1, s[0:1]
	v_lshlrev_b32_e32 v5, 4, v5
	v_add_lshl_u32 v4, v5, v6, 2
	ds_bpermute_b32 v4, v4, v3
	v_cmp_gt_u32_e64 s[0:1], 56, v7
	s_waitcnt lgkmcnt(0)
	v_add_f32_e32 v4, v3, v4
	;; [unrolled: 7-line block ×4, first 2 shown]
	v_cndmask_b32_e64 v9, 0, 1, s[0:1]
	v_lshlrev_b32_e32 v9, 1, v9
	v_add_lshl_u32 v5, v9, v6, 2
	ds_bpermute_b32 v9, v5, v8
	v_cmp_ne_u32_e64 s[0:1], 63, v7
	s_waitcnt lgkmcnt(0)
	v_add_f32_e32 v7, v8, v9
	v_addc_co_u32_e64 v6, s[0:1], 0, v6, s[0:1]
	v_lshlrev_b32_e32 v6, 2, v6
	ds_bpermute_b32 v8, v6, v7
	v_cmp_eq_u32_e64 s[0:1], 0, v2
	s_and_saveexec_b64 s[4:5], s[0:1]
	s_cbranch_execz .LBB568_26
; %bb.25:
	v_lshrrev_b32_e32 v2, 4, v0
	v_and_b32_e32 v2, 60, v2
	s_waitcnt lgkmcnt(0)
	v_add_f32_e32 v7, v7, v8
	ds_write_b32 v2, v7
.LBB568_26:
	s_or_b64 exec, exec, s[4:5]
	v_cmp_gt_u32_e64 s[0:1], 16, v0
	v_mov_b32_e32 v2, 0
	s_waitcnt lgkmcnt(0)
	s_barrier
	s_and_saveexec_b64 s[4:5], s[0:1]
	s_cbranch_execz .LBB568_28
; %bb.27:
	ds_read_b32 v2, v1
	s_or_b64 exec, exec, s[4:5]
	s_and_saveexec_b64 s[0:1], vcc
	s_cbranch_execz .LBB568_30
	s_branch .LBB568_29
.LBB568_28:
	s_or_b64 exec, exec, s[4:5]
	s_and_saveexec_b64 s[0:1], vcc
	s_cbranch_execz .LBB568_30
.LBB568_29:
	s_waitcnt lgkmcnt(0)
	ds_bpermute_b32 v1, v3, v2
	s_waitcnt lgkmcnt(0)
	v_add_f32_e32 v1, v2, v1
	ds_bpermute_b32 v2, v4, v1
	s_waitcnt lgkmcnt(0)
	v_add_f32_e32 v1, v1, v2
	ds_bpermute_b32 v2, v5, v1
	s_waitcnt lgkmcnt(0)
	v_add_f32_e32 v1, v1, v2
	ds_bpermute_b32 v2, v6, v1
	s_waitcnt lgkmcnt(0)
	v_add_f32_e32 v2, v1, v2
.LBB568_30:
	s_or_b64 exec, exec, s[0:1]
	v_cmp_eq_u32_e32 vcc, 0, v0
                                        ; implicit-def: $vgpr1
                                        ; implicit-def: $sgpr14_sgpr15
	s_and_saveexec_b64 s[0:1], vcc
	s_cbranch_execz .LBB568_37
; %bb.31:
	v_cmp_eq_f32_e64 s[4:5], s22, 0
	s_waitcnt lgkmcnt(0)
	v_mul_f32_e32 v0, s24, v2
	s_and_b64 vcc, exec, s[4:5]
	s_cbranch_vccz .LBB568_45
; %bb.32:
	s_mov_b32 s3, 0x7f800000
	v_and_b32_e32 v1, 0x7f800000, v0
	v_cmp_ne_u32_e32 vcc, s3, v1
                                        ; implicit-def: $vgpr1
	s_and_saveexec_b64 s[4:5], vcc
	s_xor_b64 s[4:5], exec, s[4:5]
; %bb.33:
	v_bfe_u32 v1, v0, 16, 1
	s_movk_i32 s3, 0x7fff
	v_add3_u32 v1, v0, v1, s3
; %bb.34:
	s_andn2_saveexec_b64 s[4:5], s[4:5]
; %bb.35:
	v_mov_b32_e32 v1, 0
	v_or_b32_e32 v2, 0x10000, v0
	v_cmp_eq_u32_sdwa vcc, v0, v1 src0_sel:WORD_0 src1_sel:DWORD
	s_nop 1
	v_cndmask_b32_e32 v1, v2, v0, vcc
; %bb.36:
	s_or_b64 exec, exec, s[4:5]
	s_mul_i32 s14, s2, s23
	s_cbranch_execz .LBB568_46
	s_branch .LBB568_56
.LBB568_37:
	s_or_b64 exec, exec, s[0:1]
	s_and_saveexec_b64 s[0:1], s[6:7]
	s_cbranch_execz .LBB568_39
.LBB568_38:
	s_lshl_b64 s[0:1], s[14:15], 1
	s_add_u32 s0, s20, s0
	s_addc_u32 s1, s21, s1
	v_mov_b32_e32 v0, 0
	global_store_short v0, v1, s[0:1]
.LBB568_39:
	s_endpgm
.LBB568_40:
                                        ; implicit-def: $sgpr7
.LBB568_41:
	s_and_b32 s4, s6, 0xffff
	s_or_b32 s5, s6, 0x10000
	s_cmp_eq_u32 s4, 0
	s_cselect_b32 s7, s6, s5
.LBB568_42:
	s_lshr_b32 s25, s7, 16
.LBB568_43:
	s_mov_b64 s[6:7], exec
	s_or_b64 exec, exec, s[18:19]
	s_and_b64 vcc, exec, s[16:17]
	s_cbranch_vccnz .LBB568_7
.LBB568_44:
	v_mov_b32_e32 v1, s25
	s_and_saveexec_b64 s[0:1], s[6:7]
	s_cbranch_execnz .LBB568_38
	s_branch .LBB568_39
.LBB568_45:
                                        ; implicit-def: $vgpr1
	s_mul_i32 s14, s2, s23
.LBB568_46:
	s_ashr_i32 s15, s14, 31
	s_lshl_b64 s[2:3], s[14:15], 1
	s_add_u32 s2, s20, s2
	s_addc_u32 s3, s21, s3
	v_mov_b32_e32 v1, 0
	global_load_ushort v1, v1, s[2:3]
	s_mov_b32 s2, 0x7f800000
	s_waitcnt vmcnt(0)
	v_lshlrev_b32_e32 v1, 16, v1
	v_mul_f32_e32 v1, s22, v1
	v_and_b32_e32 v2, 0x7f800000, v1
	v_cmp_eq_u32_e32 vcc, s2, v2
	v_readfirstlane_b32 s4, v1
	s_cbranch_vccnz .LBB568_48
; %bb.47:
	s_bfe_u32 s2, s4, 0x10010
	s_add_i32 s2, s4, s2
	s_add_i32 s5, s2, 0x7fff
	s_mov_b64 s[2:3], 0
	s_branch .LBB568_49
.LBB568_48:
	s_mov_b64 s[2:3], -1
                                        ; implicit-def: $sgpr5
.LBB568_49:
	s_andn2_b64 vcc, exec, s[2:3]
	s_cbranch_vccnz .LBB568_51
; %bb.50:
	s_and_b32 s2, s4, 0xffff
	s_or_b32 s3, s4, 0x10000
	s_cmp_eq_u32 s2, 0
	s_cselect_b32 s5, s4, s3
.LBB568_51:
	s_and_b32 s2, s5, 0xffff0000
	v_add_f32_e32 v0, s2, v0
	s_mov_b32 s2, 0x7f800000
	v_and_b32_e32 v1, 0x7f800000, v0
	v_cmp_ne_u32_e32 vcc, s2, v1
                                        ; implicit-def: $vgpr1
	s_and_saveexec_b64 s[2:3], vcc
	s_xor_b64 s[2:3], exec, s[2:3]
; %bb.52:
	v_bfe_u32 v1, v0, 16, 1
	s_movk_i32 s4, 0x7fff
	v_add3_u32 v1, v0, v1, s4
                                        ; implicit-def: $vgpr0
; %bb.53:
	s_andn2_saveexec_b64 s[2:3], s[2:3]
; %bb.54:
	v_mov_b32_e32 v1, 0
	v_or_b32_e32 v2, 0x10000, v0
	v_cmp_eq_u32_sdwa vcc, v0, v1 src0_sel:WORD_0 src1_sel:DWORD
	s_nop 1
	v_cndmask_b32_e32 v1, v2, v0, vcc
; %bb.55:
	s_or_b64 exec, exec, s[2:3]
.LBB568_56:
	v_lshrrev_b32_e32 v1, 16, v1
	s_ashr_i32 s15, s14, 31
	s_or_b64 s[6:7], s[6:7], exec
	s_or_b64 exec, exec, s[0:1]
	s_and_saveexec_b64 s[0:1], s[6:7]
	s_cbranch_execnz .LBB568_38
	s_branch .LBB568_39
	.section	.rodata,"a",@progbits
	.p2align	6, 0x0
	.amdhsa_kernel _ZL32rocblas_gemvt_warp_reduce_kernelILb0ELi1024Ei16rocblas_bfloat16PKfS0_EviiT3_lPKT2_lT1_lS6_lS7_lS3_lPT4_lS7_li
		.amdhsa_group_segment_fixed_size 256
		.amdhsa_private_segment_fixed_size 0
		.amdhsa_kernarg_size 140
		.amdhsa_user_sgpr_count 2
		.amdhsa_user_sgpr_dispatch_ptr 0
		.amdhsa_user_sgpr_queue_ptr 0
		.amdhsa_user_sgpr_kernarg_segment_ptr 1
		.amdhsa_user_sgpr_dispatch_id 0
		.amdhsa_user_sgpr_kernarg_preload_length 0
		.amdhsa_user_sgpr_kernarg_preload_offset 0
		.amdhsa_user_sgpr_private_segment_size 0
		.amdhsa_uses_dynamic_stack 0
		.amdhsa_enable_private_segment 0
		.amdhsa_system_sgpr_workgroup_id_x 1
		.amdhsa_system_sgpr_workgroup_id_y 0
		.amdhsa_system_sgpr_workgroup_id_z 1
		.amdhsa_system_sgpr_workgroup_info 0
		.amdhsa_system_vgpr_workitem_id 0
		.amdhsa_next_free_vgpr 14
		.amdhsa_next_free_sgpr 32
		.amdhsa_accum_offset 16
		.amdhsa_reserve_vcc 1
		.amdhsa_float_round_mode_32 0
		.amdhsa_float_round_mode_16_64 0
		.amdhsa_float_denorm_mode_32 3
		.amdhsa_float_denorm_mode_16_64 3
		.amdhsa_dx10_clamp 1
		.amdhsa_ieee_mode 1
		.amdhsa_fp16_overflow 0
		.amdhsa_tg_split 0
		.amdhsa_exception_fp_ieee_invalid_op 0
		.amdhsa_exception_fp_denorm_src 0
		.amdhsa_exception_fp_ieee_div_zero 0
		.amdhsa_exception_fp_ieee_overflow 0
		.amdhsa_exception_fp_ieee_underflow 0
		.amdhsa_exception_fp_ieee_inexact 0
		.amdhsa_exception_int_div_zero 0
	.end_amdhsa_kernel
	.section	.text._ZL32rocblas_gemvt_warp_reduce_kernelILb0ELi1024Ei16rocblas_bfloat16PKfS0_EviiT3_lPKT2_lT1_lS6_lS7_lS3_lPT4_lS7_li,"axG",@progbits,_ZL32rocblas_gemvt_warp_reduce_kernelILb0ELi1024Ei16rocblas_bfloat16PKfS0_EviiT3_lPKT2_lT1_lS6_lS7_lS3_lPT4_lS7_li,comdat
.Lfunc_end568:
	.size	_ZL32rocblas_gemvt_warp_reduce_kernelILb0ELi1024Ei16rocblas_bfloat16PKfS0_EviiT3_lPKT2_lT1_lS6_lS7_lS3_lPT4_lS7_li, .Lfunc_end568-_ZL32rocblas_gemvt_warp_reduce_kernelILb0ELi1024Ei16rocblas_bfloat16PKfS0_EviiT3_lPKT2_lT1_lS6_lS7_lS3_lPT4_lS7_li
                                        ; -- End function
	.section	.AMDGPU.csdata,"",@progbits
; Kernel info:
; codeLenInByte = 1996
; NumSgprs: 38
; NumVgprs: 14
; NumAgprs: 0
; TotalNumVgprs: 14
; ScratchSize: 0
; MemoryBound: 0
; FloatMode: 240
; IeeeMode: 1
; LDSByteSize: 256 bytes/workgroup (compile time only)
; SGPRBlocks: 4
; VGPRBlocks: 1
; NumSGPRsForWavesPerEU: 38
; NumVGPRsForWavesPerEU: 14
; AccumOffset: 16
; Occupancy: 8
; WaveLimiterHint : 1
; COMPUTE_PGM_RSRC2:SCRATCH_EN: 0
; COMPUTE_PGM_RSRC2:USER_SGPR: 2
; COMPUTE_PGM_RSRC2:TRAP_HANDLER: 0
; COMPUTE_PGM_RSRC2:TGID_X_EN: 1
; COMPUTE_PGM_RSRC2:TGID_Y_EN: 0
; COMPUTE_PGM_RSRC2:TGID_Z_EN: 1
; COMPUTE_PGM_RSRC2:TIDIG_COMP_CNT: 0
; COMPUTE_PGM_RSRC3_GFX90A:ACCUM_OFFSET: 3
; COMPUTE_PGM_RSRC3_GFX90A:TG_SPLIT: 0
	.section	.text._ZL32rocblas_gemvt_warp_reduce_kernelILb0ELi1024El16rocblas_bfloat16PKfS0_EviiT3_lPKT2_lT1_lS6_lS7_lS3_lPT4_lS7_li,"axG",@progbits,_ZL32rocblas_gemvt_warp_reduce_kernelILb0ELi1024El16rocblas_bfloat16PKfS0_EviiT3_lPKT2_lT1_lS6_lS7_lS3_lPT4_lS7_li,comdat
	.globl	_ZL32rocblas_gemvt_warp_reduce_kernelILb0ELi1024El16rocblas_bfloat16PKfS0_EviiT3_lPKT2_lT1_lS6_lS7_lS3_lPT4_lS7_li ; -- Begin function _ZL32rocblas_gemvt_warp_reduce_kernelILb0ELi1024El16rocblas_bfloat16PKfS0_EviiT3_lPKT2_lT1_lS6_lS7_lS3_lPT4_lS7_li
	.p2align	8
	.type	_ZL32rocblas_gemvt_warp_reduce_kernelILb0ELi1024El16rocblas_bfloat16PKfS0_EviiT3_lPKT2_lT1_lS6_lS7_lS3_lPT4_lS7_li,@function
_ZL32rocblas_gemvt_warp_reduce_kernelILb0ELi1024El16rocblas_bfloat16PKfS0_EviiT3_lPKT2_lT1_lS6_lS7_lS3_lPT4_lS7_li: ; @_ZL32rocblas_gemvt_warp_reduce_kernelILb0ELi1024El16rocblas_bfloat16PKfS0_EviiT3_lPKT2_lT1_lS6_lS7_lS3_lPT4_lS7_li
; %bb.0:
	s_load_dwordx16 s[36:51], s[0:1], 0x8
	s_load_dwordx16 s[8:23], s[0:1], 0x48
	s_waitcnt lgkmcnt(0)
	s_mul_i32 s4, s3, s39
	s_mul_hi_u32 s5, s3, s38
	s_add_i32 s5, s5, s4
	s_mul_i32 s4, s3, s38
	s_lshl_b64 s[4:5], s[4:5], 2
	s_add_u32 s4, s36, s4
	s_addc_u32 s5, s37, s5
	s_load_dword s25, s[4:5], 0x0
	s_mul_i32 s4, s3, s15
	s_mul_hi_u32 s5, s3, s14
	s_add_i32 s5, s5, s4
	s_mul_i32 s4, s3, s14
	s_lshl_b64 s[4:5], s[4:5], 2
	s_add_u32 s4, s12, s4
	s_addc_u32 s5, s13, s5
	s_load_dword s24, s[4:5], 0x0
	s_waitcnt lgkmcnt(0)
	v_cmp_eq_f32_e64 s[4:5], s25, 0
	v_cmp_eq_f32_e64 s[6:7], s24, 1.0
	s_and_b64 s[4:5], s[4:5], s[6:7]
	s_and_b64 vcc, exec, s[4:5]
	s_cbranch_vccnz .LBB569_39
; %bb.1:
	s_mul_i32 s4, s3, s23
	s_mul_hi_u32 s5, s3, s22
	s_add_i32 s5, s5, s4
	s_mul_i32 s4, s3, s22
	s_lshl_b64 s[4:5], s[4:5], 1
	s_add_u32 s6, s16, s4
	s_addc_u32 s7, s17, s5
	s_lshl_b64 s[4:5], s[18:19], 1
	s_add_u32 s22, s6, s4
	s_addc_u32 s23, s7, s5
	v_cmp_neq_f32_e64 s[4:5], s25, 0
	s_and_b64 vcc, exec, s[4:5]
	v_cmp_eq_u32_e64 s[4:5], 0, v0
	s_cbranch_vccnz .LBB569_6
; %bb.2:
	s_mov_b64 s[14:15], 0
	s_mov_b64 s[6:7], 0
                                        ; implicit-def: $sgpr18
                                        ; implicit-def: $sgpr12_sgpr13
	s_and_saveexec_b64 s[16:17], s[4:5]
	s_cbranch_execz .LBB569_14
; %bb.3:
	s_ashr_i32 s6, s2, 31
	s_mul_i32 s7, s2, s21
	s_mul_hi_u32 s12, s2, s20
	v_cmp_eq_f32_e64 s[4:5], s24, 0
	s_add_i32 s7, s12, s7
	s_mul_i32 s6, s6, s20
	s_mov_b32 s18, 0
	s_add_i32 s13, s7, s6
	s_mul_i32 s12, s2, s20
	s_and_b64 vcc, exec, s[4:5]
	s_cbranch_vccnz .LBB569_43
; %bb.4:
	s_lshl_b64 s[4:5], s[12:13], 1
	s_add_u32 s4, s22, s4
	s_addc_u32 s5, s23, s5
	v_mov_b32_e32 v1, 0
	global_load_ushort v1, v1, s[4:5]
	s_mov_b32 s4, 0x7f800000
	s_waitcnt vmcnt(0)
	v_lshlrev_b32_e32 v1, 16, v1
	v_mul_f32_e32 v1, s24, v1
	v_and_b32_e32 v2, 0x7f800000, v1
	v_cmp_eq_u32_e32 vcc, s4, v2
	v_readfirstlane_b32 s6, v1
	s_cbranch_vccnz .LBB569_40
; %bb.5:
	s_bfe_u32 s4, s6, 0x10010
	s_add_i32 s4, s6, s4
	s_add_i32 s7, s4, 0x7fff
	s_cbranch_execz .LBB569_41
	s_branch .LBB569_42
.LBB569_6:
	s_mov_b64 s[6:7], 0
                                        ; implicit-def: $sgpr18
                                        ; implicit-def: $sgpr12_sgpr13
	s_cbranch_execz .LBB569_44
.LBB569_7:
	s_mul_i32 s4, s3, s11
	s_mul_hi_u32 s5, s3, s10
	s_add_i32 s5, s5, s4
	s_mul_i32 s4, s3, s10
	s_load_dword s1, s[0:1], 0x0
	s_mul_i32 s0, s3, s47
	s_mul_hi_u32 s10, s3, s46
	s_add_i32 s11, s10, s0
	s_mul_i32 s10, s3, s46
	s_lshl_b64 s[10:11], s[10:11], 1
	s_add_u32 s0, s40, s10
	s_addc_u32 s3, s41, s11
	s_lshl_b64 s[10:11], s[42:43], 1
	s_add_u32 s0, s0, s10
	s_addc_u32 s12, s3, s11
	s_ashr_i32 s3, s2, 31
	s_mul_i32 s10, s2, s45
	s_mul_hi_u32 s11, s2, s44
	s_add_i32 s10, s11, s10
	s_mul_i32 s11, s3, s44
	s_add_i32 s11, s10, s11
	s_mul_i32 s10, s2, s44
	s_lshl_b64 s[10:11], s[10:11], 1
	s_add_u32 s10, s10, s0
	s_addc_u32 s11, s11, s12
	s_waitcnt lgkmcnt(0)
	s_ashr_i32 s0, s1, 31
	v_cmp_gt_i32_e32 vcc, s1, v0
	s_lshr_b32 s0, s0, 22
	s_add_i32 s0, s1, s0
	v_cndmask_b32_e32 v1, 0, v0, vcc
	v_lshlrev_b32_e32 v2, 1, v1
	v_mov_b32_e32 v3, 0
	s_and_b32 s0, s0, 0xfffffc00
	v_lshl_add_u64 v[4:5], s[10:11], 0, v[2:3]
	v_cmp_gt_i32_e32 vcc, s0, v0
	s_and_saveexec_b64 s[10:11], vcc
	s_cbranch_execz .LBB569_16
; %bb.8:
	v_mad_u64_u32 v[2:3], s[14:15], s8, v0, 0
	v_mov_b32_e32 v6, v3
	v_mad_u64_u32 v[6:7], s[14:15], s9, v0, v[6:7]
	s_lshl_b64 s[12:13], s[4:5], 1
	s_lshl_b64 s[14:15], s[50:51], 1
	s_add_u32 s14, s48, s14
	s_addc_u32 s15, s49, s15
	s_add_u32 s12, s14, s12
	v_mov_b32_e32 v3, v6
	s_addc_u32 s13, s15, s13
	v_lshl_add_u64 v[6:7], v[2:3], 1, s[12:13]
	s_lshl_b64 s[14:15], s[8:9], 11
	s_mov_b64 s[12:13], 0
	v_mov_b32_e32 v1, 0
	s_mov_b32 s26, 0x7f800000
	s_movk_i32 s27, 0x7fff
	s_mov_b64 s[16:17], 0x800
	v_mov_b64_e32 v[8:9], v[4:5]
	v_mov_b32_e32 v2, v0
	v_mov_b32_e32 v3, 0
	s_branch .LBB569_10
.LBB569_9:                              ;   in Loop: Header=BB569_10 Depth=1
	s_or_b64 exec, exec, s[18:19]
	v_add_u32_e32 v2, 0x400, v2
	v_and_b32_e32 v10, 0xffff0000, v12
	v_cmp_le_i32_e32 vcc, s0, v2
	v_add_f32_e32 v3, v3, v10
	v_lshl_add_u64 v[8:9], v[8:9], 0, s[16:17]
	s_or_b64 s[12:13], vcc, s[12:13]
	v_lshl_add_u64 v[6:7], v[6:7], 0, s[14:15]
	s_andn2_b64 exec, exec, s[12:13]
	s_cbranch_execz .LBB569_15
.LBB569_10:                             ; =>This Inner Loop Header: Depth=1
	global_load_ushort v10, v[6:7], off
	global_load_ushort v11, v[8:9], off
	s_waitcnt vmcnt(1)
	v_lshlrev_b32_e32 v10, 16, v10
	s_waitcnt vmcnt(0)
	v_lshlrev_b32_e32 v12, 16, v11
	v_pk_mul_f32 v[10:11], v[10:11], v[12:13] op_sel_hi:[0,1]
	v_and_b32_e32 v11, 0x7f800000, v10
	v_cmp_ne_u32_e32 vcc, s26, v11
                                        ; implicit-def: $vgpr12
	s_and_saveexec_b64 s[18:19], vcc
	s_xor_b64 s[18:19], exec, s[18:19]
; %bb.11:                               ;   in Loop: Header=BB569_10 Depth=1
	v_bfe_u32 v11, v10, 16, 1
	v_add3_u32 v12, v10, v11, s27
                                        ; implicit-def: $vgpr10_vgpr11
; %bb.12:                               ;   in Loop: Header=BB569_10 Depth=1
	s_andn2_saveexec_b64 s[18:19], s[18:19]
	s_cbranch_execz .LBB569_9
; %bb.13:                               ;   in Loop: Header=BB569_10 Depth=1
	v_or_b32_e32 v11, 0x10000, v10
	v_cmp_eq_u32_sdwa vcc, v10, v1 src0_sel:WORD_0 src1_sel:DWORD
	s_nop 1
	v_cndmask_b32_e32 v12, v11, v10, vcc
	s_branch .LBB569_9
.LBB569_14:
	s_or_b64 exec, exec, s[16:17]
	s_and_b64 vcc, exec, s[14:15]
	s_cbranch_vccnz .LBB569_7
	s_branch .LBB569_44
.LBB569_15:
	s_or_b64 exec, exec, s[12:13]
.LBB569_16:
	s_or_b64 exec, exec, s[10:11]
	v_or_b32_e32 v1, s0, v0
	v_cmp_gt_i32_e32 vcc, s1, v1
	s_and_saveexec_b64 s[10:11], vcc
	s_cbranch_execz .LBB569_22
; %bb.17:
	s_lshl_b64 s[4:5], s[4:5], 1
	s_add_u32 s1, s48, s4
	s_addc_u32 s12, s49, s5
	s_lshl_b64 s[4:5], s[50:51], 1
	s_add_u32 s4, s1, s4
	s_addc_u32 s5, s12, s5
	s_ashr_i32 s1, s0, 31
	v_ashrrev_i32_e32 v2, 31, v1
	v_lshl_add_u64 v[4:5], s[0:1], 1, v[4:5]
	v_mul_lo_u32 v8, v1, s9
	v_mul_lo_u32 v2, v2, s8
	v_mad_u64_u32 v[6:7], s[0:1], v1, s8, 0
	v_add3_u32 v7, v7, v8, v2
	v_lshl_add_u64 v[6:7], v[6:7], 1, s[4:5]
	global_load_ushort v1, v[6:7], off
	global_load_ushort v8, v[4:5], off
	s_mov_b32 s0, 0x7f800000
	s_waitcnt vmcnt(1)
	v_lshlrev_b32_e32 v2, 16, v1
	s_waitcnt vmcnt(0)
	v_lshlrev_b32_e32 v4, 16, v8
	v_pk_mul_f32 v[4:5], v[2:3], v[4:5] op_sel_hi:[0,1]
	v_and_b32_e32 v1, 0x7f800000, v4
	v_cmp_ne_u32_e32 vcc, s0, v1
                                        ; implicit-def: $vgpr1
	s_and_saveexec_b64 s[0:1], vcc
	s_xor_b64 s[0:1], exec, s[0:1]
; %bb.18:
	v_bfe_u32 v1, v4, 16, 1
	s_movk_i32 s4, 0x7fff
	v_add3_u32 v1, v4, v1, s4
                                        ; implicit-def: $vgpr4_vgpr5
; %bb.19:
	s_andn2_saveexec_b64 s[0:1], s[0:1]
; %bb.20:
	v_mov_b32_e32 v1, 0
	v_or_b32_e32 v2, 0x10000, v4
	v_cmp_eq_u32_sdwa vcc, v4, v1 src0_sel:WORD_0 src1_sel:DWORD
	s_nop 1
	v_cndmask_b32_e32 v1, v2, v4, vcc
; %bb.21:
	s_or_b64 exec, exec, s[0:1]
	v_and_b32_e32 v1, 0xffff0000, v1
	v_add_f32_e32 v3, v3, v1
.LBB569_22:
	s_or_b64 exec, exec, s[10:11]
	v_and_b32_e32 v2, 63, v0
	v_cmp_gt_u32_e32 vcc, 64, v0
	v_lshlrev_b32_e32 v1, 2, v2
	s_and_saveexec_b64 s[0:1], vcc
	s_cbranch_execz .LBB569_24
; %bb.23:
	v_mov_b32_e32 v4, 0
	ds_write_b32 v1, v4
.LBB569_24:
	s_or_b64 exec, exec, s[0:1]
	v_mbcnt_lo_u32_b32 v4, -1, 0
	v_mbcnt_hi_u32_b32 v6, -1, v4
	v_and_b32_e32 v7, 63, v6
	v_cmp_gt_u32_e64 s[0:1], 32, v7
	s_waitcnt lgkmcnt(0)
	s_barrier
	v_cndmask_b32_e64 v4, 0, 1, s[0:1]
	v_lshlrev_b32_e32 v4, 5, v4
	v_add_lshl_u32 v4, v4, v6, 2
	ds_bpermute_b32 v4, v4, v3
	v_cmp_gt_u32_e64 s[0:1], 48, v7
	s_waitcnt lgkmcnt(0)
	v_add_f32_e32 v3, v3, v4
	v_cndmask_b32_e64 v5, 0, 1, s[0:1]
	v_lshlrev_b32_e32 v5, 4, v5
	v_add_lshl_u32 v4, v5, v6, 2
	ds_bpermute_b32 v4, v4, v3
	v_cmp_gt_u32_e64 s[0:1], 56, v7
	s_waitcnt lgkmcnt(0)
	v_add_f32_e32 v4, v3, v4
	;; [unrolled: 7-line block ×4, first 2 shown]
	v_cndmask_b32_e64 v9, 0, 1, s[0:1]
	v_lshlrev_b32_e32 v9, 1, v9
	v_add_lshl_u32 v5, v9, v6, 2
	ds_bpermute_b32 v9, v5, v8
	v_cmp_ne_u32_e64 s[0:1], 63, v7
	s_waitcnt lgkmcnt(0)
	v_add_f32_e32 v7, v8, v9
	v_addc_co_u32_e64 v6, s[0:1], 0, v6, s[0:1]
	v_lshlrev_b32_e32 v6, 2, v6
	ds_bpermute_b32 v8, v6, v7
	v_cmp_eq_u32_e64 s[0:1], 0, v2
	s_and_saveexec_b64 s[4:5], s[0:1]
	s_cbranch_execz .LBB569_26
; %bb.25:
	v_lshrrev_b32_e32 v2, 4, v0
	v_and_b32_e32 v2, 60, v2
	s_waitcnt lgkmcnt(0)
	v_add_f32_e32 v7, v7, v8
	ds_write_b32 v2, v7
.LBB569_26:
	s_or_b64 exec, exec, s[4:5]
	v_cmp_gt_u32_e64 s[0:1], 16, v0
	v_mov_b32_e32 v2, 0
	s_waitcnt lgkmcnt(0)
	s_barrier
	s_and_saveexec_b64 s[4:5], s[0:1]
	s_cbranch_execz .LBB569_28
; %bb.27:
	ds_read_b32 v2, v1
	s_or_b64 exec, exec, s[4:5]
	s_and_saveexec_b64 s[0:1], vcc
	s_cbranch_execz .LBB569_30
	s_branch .LBB569_29
.LBB569_28:
	s_or_b64 exec, exec, s[4:5]
	s_and_saveexec_b64 s[0:1], vcc
	s_cbranch_execz .LBB569_30
.LBB569_29:
	s_waitcnt lgkmcnt(0)
	ds_bpermute_b32 v1, v3, v2
	s_waitcnt lgkmcnt(0)
	v_add_f32_e32 v1, v2, v1
	ds_bpermute_b32 v2, v4, v1
	s_waitcnt lgkmcnt(0)
	v_add_f32_e32 v1, v1, v2
	;; [unrolled: 3-line block ×4, first 2 shown]
.LBB569_30:
	s_or_b64 exec, exec, s[0:1]
	v_cmp_eq_u32_e32 vcc, 0, v0
                                        ; implicit-def: $vgpr1
                                        ; implicit-def: $sgpr12_sgpr13
	s_and_saveexec_b64 s[0:1], vcc
	s_cbranch_execz .LBB569_37
; %bb.31:
	v_cmp_eq_f32_e64 s[4:5], s24, 0
	s_waitcnt lgkmcnt(0)
	v_mul_f32_e32 v0, s25, v2
	s_and_b64 vcc, exec, s[4:5]
	s_cbranch_vccz .LBB569_45
; %bb.32:
	s_mov_b32 s4, 0x7f800000
	v_and_b32_e32 v1, 0x7f800000, v0
	v_cmp_ne_u32_e32 vcc, s4, v1
                                        ; implicit-def: $vgpr1
	s_and_saveexec_b64 s[4:5], vcc
	s_xor_b64 s[4:5], exec, s[4:5]
; %bb.33:
	v_bfe_u32 v1, v0, 16, 1
	s_movk_i32 s8, 0x7fff
	v_add3_u32 v1, v0, v1, s8
; %bb.34:
	s_andn2_saveexec_b64 s[4:5], s[4:5]
; %bb.35:
	v_mov_b32_e32 v1, 0
	v_or_b32_e32 v2, 0x10000, v0
	v_cmp_eq_u32_sdwa vcc, v0, v1 src0_sel:WORD_0 src1_sel:DWORD
	s_nop 1
	v_cndmask_b32_e32 v1, v2, v0, vcc
; %bb.36:
	s_or_b64 exec, exec, s[4:5]
	s_mov_b64 s[4:5], 0
	s_branch .LBB569_46
.LBB569_37:
	s_or_b64 exec, exec, s[0:1]
	s_and_saveexec_b64 s[0:1], s[6:7]
	s_cbranch_execz .LBB569_39
.LBB569_38:
	s_lshl_b64 s[0:1], s[12:13], 1
	s_add_u32 s0, s22, s0
	s_addc_u32 s1, s23, s1
	v_mov_b32_e32 v0, 0
	global_store_short v0, v1, s[0:1]
.LBB569_39:
	s_endpgm
.LBB569_40:
                                        ; implicit-def: $sgpr7
.LBB569_41:
	s_and_b32 s4, s6, 0xffff
	s_or_b32 s5, s6, 0x10000
	s_cmp_eq_u32 s4, 0
	s_cselect_b32 s7, s6, s5
.LBB569_42:
	s_lshr_b32 s18, s7, 16
.LBB569_43:
	s_mov_b64 s[6:7], exec
	s_or_b64 exec, exec, s[16:17]
	s_and_b64 vcc, exec, s[14:15]
	s_cbranch_vccnz .LBB569_7
.LBB569_44:
	v_mov_b32_e32 v1, s18
	s_and_saveexec_b64 s[0:1], s[6:7]
	s_cbranch_execnz .LBB569_38
	s_branch .LBB569_39
.LBB569_45:
	s_mov_b64 s[4:5], -1
                                        ; implicit-def: $vgpr1
.LBB569_46:
	s_andn2_b64 vcc, exec, s[4:5]
	s_mul_i32 s4, s2, s21
	s_mul_hi_u32 s5, s2, s20
	s_mul_i32 s8, s3, s20
	s_mul_i32 s12, s2, s20
	s_cbranch_vccnz .LBB569_57
; %bb.47:
	s_add_i32 s2, s5, s4
	s_add_i32 s13, s2, s8
	s_lshl_b64 s[2:3], s[12:13], 1
	s_add_u32 s2, s22, s2
	s_addc_u32 s3, s23, s3
	v_mov_b32_e32 v1, 0
	global_load_ushort v1, v1, s[2:3]
	s_mov_b32 s2, 0x7f800000
	s_waitcnt vmcnt(0)
	v_lshlrev_b32_e32 v1, 16, v1
	v_mul_f32_e32 v1, s24, v1
	v_and_b32_e32 v2, 0x7f800000, v1
	v_cmp_eq_u32_e32 vcc, s2, v2
	v_readfirstlane_b32 s9, v1
	s_cbranch_vccnz .LBB569_49
; %bb.48:
	s_bfe_u32 s2, s9, 0x10010
	s_add_i32 s2, s9, s2
	s_add_i32 s10, s2, 0x7fff
	s_mov_b64 s[2:3], 0
	s_branch .LBB569_50
.LBB569_49:
	s_mov_b64 s[2:3], -1
                                        ; implicit-def: $sgpr10
.LBB569_50:
	s_andn2_b64 vcc, exec, s[2:3]
	s_cbranch_vccnz .LBB569_52
; %bb.51:
	s_and_b32 s2, s9, 0xffff
	s_or_b32 s3, s9, 0x10000
	s_cmp_eq_u32 s2, 0
	s_cselect_b32 s10, s9, s3
.LBB569_52:
	s_and_b32 s2, s10, 0xffff0000
	v_add_f32_e32 v0, s2, v0
	s_mov_b32 s2, 0x7f800000
	v_and_b32_e32 v1, 0x7f800000, v0
	v_cmp_ne_u32_e32 vcc, s2, v1
                                        ; implicit-def: $vgpr1
	s_and_saveexec_b64 s[2:3], vcc
	s_xor_b64 s[2:3], exec, s[2:3]
; %bb.53:
	v_bfe_u32 v1, v0, 16, 1
	s_movk_i32 s9, 0x7fff
	v_add3_u32 v1, v0, v1, s9
                                        ; implicit-def: $vgpr0
; %bb.54:
	s_andn2_saveexec_b64 s[2:3], s[2:3]
; %bb.55:
	v_mov_b32_e32 v1, 0
	v_or_b32_e32 v2, 0x10000, v0
	v_cmp_eq_u32_sdwa vcc, v0, v1 src0_sel:WORD_0 src1_sel:DWORD
	s_nop 1
	v_cndmask_b32_e32 v1, v2, v0, vcc
; %bb.56:
	s_or_b64 exec, exec, s[2:3]
.LBB569_57:
	s_add_i32 s2, s5, s4
	v_lshrrev_b32_e32 v1, 16, v1
	s_add_i32 s13, s2, s8
	s_or_b64 s[6:7], s[6:7], exec
	s_or_b64 exec, exec, s[0:1]
	s_and_saveexec_b64 s[0:1], s[6:7]
	s_cbranch_execnz .LBB569_38
	s_branch .LBB569_39
	.section	.rodata,"a",@progbits
	.p2align	6, 0x0
	.amdhsa_kernel _ZL32rocblas_gemvt_warp_reduce_kernelILb0ELi1024El16rocblas_bfloat16PKfS0_EviiT3_lPKT2_lT1_lS6_lS7_lS3_lPT4_lS7_li
		.amdhsa_group_segment_fixed_size 256
		.amdhsa_private_segment_fixed_size 0
		.amdhsa_kernarg_size 140
		.amdhsa_user_sgpr_count 2
		.amdhsa_user_sgpr_dispatch_ptr 0
		.amdhsa_user_sgpr_queue_ptr 0
		.amdhsa_user_sgpr_kernarg_segment_ptr 1
		.amdhsa_user_sgpr_dispatch_id 0
		.amdhsa_user_sgpr_kernarg_preload_length 0
		.amdhsa_user_sgpr_kernarg_preload_offset 0
		.amdhsa_user_sgpr_private_segment_size 0
		.amdhsa_uses_dynamic_stack 0
		.amdhsa_enable_private_segment 0
		.amdhsa_system_sgpr_workgroup_id_x 1
		.amdhsa_system_sgpr_workgroup_id_y 0
		.amdhsa_system_sgpr_workgroup_id_z 1
		.amdhsa_system_sgpr_workgroup_info 0
		.amdhsa_system_vgpr_workitem_id 0
		.amdhsa_next_free_vgpr 14
		.amdhsa_next_free_sgpr 52
		.amdhsa_accum_offset 16
		.amdhsa_reserve_vcc 1
		.amdhsa_float_round_mode_32 0
		.amdhsa_float_round_mode_16_64 0
		.amdhsa_float_denorm_mode_32 3
		.amdhsa_float_denorm_mode_16_64 3
		.amdhsa_dx10_clamp 1
		.amdhsa_ieee_mode 1
		.amdhsa_fp16_overflow 0
		.amdhsa_tg_split 0
		.amdhsa_exception_fp_ieee_invalid_op 0
		.amdhsa_exception_fp_denorm_src 0
		.amdhsa_exception_fp_ieee_div_zero 0
		.amdhsa_exception_fp_ieee_overflow 0
		.amdhsa_exception_fp_ieee_underflow 0
		.amdhsa_exception_fp_ieee_inexact 0
		.amdhsa_exception_int_div_zero 0
	.end_amdhsa_kernel
	.section	.text._ZL32rocblas_gemvt_warp_reduce_kernelILb0ELi1024El16rocblas_bfloat16PKfS0_EviiT3_lPKT2_lT1_lS6_lS7_lS3_lPT4_lS7_li,"axG",@progbits,_ZL32rocblas_gemvt_warp_reduce_kernelILb0ELi1024El16rocblas_bfloat16PKfS0_EviiT3_lPKT2_lT1_lS6_lS7_lS3_lPT4_lS7_li,comdat
.Lfunc_end569:
	.size	_ZL32rocblas_gemvt_warp_reduce_kernelILb0ELi1024El16rocblas_bfloat16PKfS0_EviiT3_lPKT2_lT1_lS6_lS7_lS3_lPT4_lS7_li, .Lfunc_end569-_ZL32rocblas_gemvt_warp_reduce_kernelILb0ELi1024El16rocblas_bfloat16PKfS0_EviiT3_lPKT2_lT1_lS6_lS7_lS3_lPT4_lS7_li
                                        ; -- End function
	.section	.AMDGPU.csdata,"",@progbits
; Kernel info:
; codeLenInByte = 2060
; NumSgprs: 58
; NumVgprs: 14
; NumAgprs: 0
; TotalNumVgprs: 14
; ScratchSize: 0
; MemoryBound: 0
; FloatMode: 240
; IeeeMode: 1
; LDSByteSize: 256 bytes/workgroup (compile time only)
; SGPRBlocks: 7
; VGPRBlocks: 1
; NumSGPRsForWavesPerEU: 58
; NumVGPRsForWavesPerEU: 14
; AccumOffset: 16
; Occupancy: 8
; WaveLimiterHint : 0
; COMPUTE_PGM_RSRC2:SCRATCH_EN: 0
; COMPUTE_PGM_RSRC2:USER_SGPR: 2
; COMPUTE_PGM_RSRC2:TRAP_HANDLER: 0
; COMPUTE_PGM_RSRC2:TGID_X_EN: 1
; COMPUTE_PGM_RSRC2:TGID_Y_EN: 0
; COMPUTE_PGM_RSRC2:TGID_Z_EN: 1
; COMPUTE_PGM_RSRC2:TIDIG_COMP_CNT: 0
; COMPUTE_PGM_RSRC3_GFX90A:ACCUM_OFFSET: 3
; COMPUTE_PGM_RSRC3_GFX90A:TG_SPLIT: 0
	.section	.text._ZL32rocblas_gemvt_warp_reduce_kernelILb0ELi1024Ei16rocblas_bfloat16fS0_EviiT3_lPKT2_lT1_lS4_lS5_lS1_lPT4_lS5_li,"axG",@progbits,_ZL32rocblas_gemvt_warp_reduce_kernelILb0ELi1024Ei16rocblas_bfloat16fS0_EviiT3_lPKT2_lT1_lS4_lS5_lS1_lPT4_lS5_li,comdat
	.globl	_ZL32rocblas_gemvt_warp_reduce_kernelILb0ELi1024Ei16rocblas_bfloat16fS0_EviiT3_lPKT2_lT1_lS4_lS5_lS1_lPT4_lS5_li ; -- Begin function _ZL32rocblas_gemvt_warp_reduce_kernelILb0ELi1024Ei16rocblas_bfloat16fS0_EviiT3_lPKT2_lT1_lS4_lS5_lS1_lPT4_lS5_li
	.p2align	8
	.type	_ZL32rocblas_gemvt_warp_reduce_kernelILb0ELi1024Ei16rocblas_bfloat16fS0_EviiT3_lPKT2_lT1_lS4_lS5_lS1_lPT4_lS5_li,@function
_ZL32rocblas_gemvt_warp_reduce_kernelILb0ELi1024Ei16rocblas_bfloat16fS0_EviiT3_lPKT2_lT1_lS4_lS5_lS1_lPT4_lS5_li: ; @_ZL32rocblas_gemvt_warp_reduce_kernelILb0ELi1024Ei16rocblas_bfloat16fS0_EviiT3_lPKT2_lT1_lS4_lS5_lS1_lPT4_lS5_li
; %bb.0:
	s_load_dword s20, s[0:1], 0x8
	s_load_dword s18, s[0:1], 0x58
	s_waitcnt lgkmcnt(0)
	v_cmp_eq_f32_e64 s[4:5], s20, 0
	v_cmp_eq_f32_e64 s[6:7], s18, 1.0
	s_and_b64 s[4:5], s[4:5], s[6:7]
	s_and_b64 vcc, exec, s[4:5]
	s_cbranch_vccnz .LBB570_39
; %bb.1:
	s_load_dwordx2 s[8:9], s[0:1], 0x80
	s_load_dwordx4 s[4:7], s[0:1], 0x68
	s_load_dword s19, s[0:1], 0x78
	s_waitcnt lgkmcnt(0)
	s_mul_i32 s9, s3, s9
	s_mul_hi_u32 s10, s3, s8
	s_mul_i32 s8, s3, s8
	s_add_i32 s9, s10, s9
	s_lshl_b64 s[8:9], s[8:9], 1
	s_add_u32 s8, s4, s8
	s_addc_u32 s9, s5, s9
	s_lshl_b64 s[4:5], s[6:7], 1
	s_add_u32 s16, s8, s4
	s_addc_u32 s17, s9, s5
	v_cmp_neq_f32_e64 s[4:5], s20, 0
	s_and_b64 vcc, exec, s[4:5]
	v_cmp_eq_u32_e64 s[4:5], 0, v0
	s_cbranch_vccnz .LBB570_6
; %bb.2:
	s_mov_b64 s[10:11], 0
	s_mov_b64 s[6:7], 0
                                        ; implicit-def: $sgpr14
                                        ; implicit-def: $sgpr8_sgpr9
	s_and_saveexec_b64 s[12:13], s[4:5]
	s_cbranch_execz .LBB570_14
; %bb.3:
	v_cmp_eq_f32_e64 s[4:5], s18, 0
	s_mul_i32 s8, s2, s19
	s_mov_b32 s14, 0
	s_ashr_i32 s9, s8, 31
	s_and_b64 vcc, exec, s[4:5]
	s_cbranch_vccnz .LBB570_43
; %bb.4:
	s_lshl_b64 s[4:5], s[8:9], 1
	s_add_u32 s4, s16, s4
	s_addc_u32 s5, s17, s5
	v_mov_b32_e32 v1, 0
	global_load_ushort v1, v1, s[4:5]
	s_mov_b32 s4, 0x7f800000
	s_waitcnt vmcnt(0)
	v_lshlrev_b32_e32 v1, 16, v1
	v_mul_f32_e32 v1, s18, v1
	v_and_b32_e32 v2, 0x7f800000, v1
	v_cmp_eq_u32_e32 vcc, s4, v2
	v_readfirstlane_b32 s6, v1
	s_cbranch_vccnz .LBB570_40
; %bb.5:
	s_bfe_u32 s4, s6, 0x10010
	s_add_i32 s4, s6, s4
	s_add_i32 s7, s4, 0x7fff
	s_cbranch_execz .LBB570_41
	s_branch .LBB570_42
.LBB570_6:
	s_mov_b64 s[6:7], 0
                                        ; implicit-def: $sgpr14
                                        ; implicit-def: $sgpr8_sgpr9
	s_cbranch_execz .LBB570_44
.LBB570_7:
	s_load_dwordx2 s[22:23], s[0:1], 0x50
	s_load_dword s5, s[0:1], 0x0
	s_load_dwordx4 s[8:11], s[0:1], 0x18
	s_load_dword s4, s[0:1], 0x28
	s_load_dwordx4 s[12:15], s[0:1], 0x30
	s_load_dwordx2 s[24:25], s[0:1], 0x40
	s_load_dword s21, s[0:1], 0x48
	s_waitcnt lgkmcnt(0)
	s_mul_i32 s0, s3, s23
	s_mul_hi_u32 s1, s3, s22
	s_add_i32 s1, s1, s0
	s_mul_i32 s0, s3, s22
	s_lshl_b64 s[0:1], s[0:1], 1
	s_add_u32 s14, s14, s0
	s_addc_u32 s15, s15, s1
	s_lshl_b64 s[0:1], s[24:25], 1
	s_add_u32 s0, s14, s0
	s_mul_i32 s13, s3, s13
	s_mul_hi_u32 s14, s3, s12
	s_addc_u32 s1, s15, s1
	s_add_i32 s13, s14, s13
	s_mul_i32 s12, s3, s12
	s_lshl_b64 s[12:13], s[12:13], 1
	s_add_u32 s3, s8, s12
	s_addc_u32 s12, s9, s13
	s_lshl_b64 s[8:9], s[10:11], 1
	s_add_u32 s3, s3, s8
	s_mul_i32 s8, s2, s4
	s_addc_u32 s10, s12, s9
	s_ashr_i32 s9, s8, 31
	s_lshl_b64 s[8:9], s[8:9], 1
	s_add_u32 s8, s8, s3
	s_addc_u32 s9, s9, s10
	s_ashr_i32 s3, s5, 31
	v_cmp_gt_i32_e32 vcc, s5, v0
	s_lshr_b32 s3, s3, 22
	s_add_i32 s3, s5, s3
	v_cndmask_b32_e32 v1, 0, v0, vcc
	v_lshlrev_b32_e32 v2, 1, v1
	v_mov_b32_e32 v3, 0
	s_and_b32 s4, s3, 0xfffffc00
	v_lshl_add_u64 v[4:5], s[8:9], 0, v[2:3]
	v_cmp_gt_i32_e32 vcc, s4, v0
	s_and_saveexec_b64 s[8:9], vcc
	s_cbranch_execz .LBB570_16
; %bb.8:
	v_mul_lo_u32 v6, v0, s21
	s_lshl_b32 s3, s21, 10
	s_mov_b64 s[10:11], 0
	v_mov_b32_e32 v1, 0
	s_mov_b32 s22, 0x7f800000
	s_movk_i32 s23, 0x7fff
	s_mov_b64 s[12:13], 0x800
	v_mov_b64_e32 v[8:9], v[4:5]
	v_mov_b32_e32 v2, v0
	v_mov_b32_e32 v3, 0
	s_branch .LBB570_10
.LBB570_9:                              ;   in Loop: Header=BB570_10 Depth=1
	s_or_b64 exec, exec, s[14:15]
	v_add_u32_e32 v2, 0x400, v2
	v_and_b32_e32 v7, 0xffff0000, v7
	v_cmp_le_i32_e32 vcc, s4, v2
	v_add_f32_e32 v3, v3, v7
	v_add_u32_e32 v6, s3, v6
	s_or_b64 s[10:11], vcc, s[10:11]
	v_lshl_add_u64 v[8:9], v[8:9], 0, s[12:13]
	s_andn2_b64 exec, exec, s[10:11]
	s_cbranch_execz .LBB570_15
.LBB570_10:                             ; =>This Inner Loop Header: Depth=1
	v_ashrrev_i32_e32 v7, 31, v6
	v_lshl_add_u64 v[10:11], v[6:7], 1, s[0:1]
	global_load_ushort v7, v[10:11], off
	global_load_ushort v12, v[8:9], off
	s_waitcnt vmcnt(1)
	v_lshlrev_b32_e32 v10, 16, v7
	s_waitcnt vmcnt(0)
	v_lshlrev_b32_e32 v12, 16, v12
	v_pk_mul_f32 v[10:11], v[10:11], v[12:13] op_sel_hi:[0,1]
	v_and_b32_e32 v7, 0x7f800000, v10
	v_cmp_ne_u32_e32 vcc, s22, v7
                                        ; implicit-def: $vgpr7
	s_and_saveexec_b64 s[14:15], vcc
	s_xor_b64 s[14:15], exec, s[14:15]
; %bb.11:                               ;   in Loop: Header=BB570_10 Depth=1
	v_bfe_u32 v7, v10, 16, 1
	v_add3_u32 v7, v10, v7, s23
                                        ; implicit-def: $vgpr10_vgpr11
; %bb.12:                               ;   in Loop: Header=BB570_10 Depth=1
	s_andn2_saveexec_b64 s[14:15], s[14:15]
	s_cbranch_execz .LBB570_9
; %bb.13:                               ;   in Loop: Header=BB570_10 Depth=1
	v_or_b32_e32 v7, 0x10000, v10
	v_cmp_eq_u32_sdwa vcc, v10, v1 src0_sel:WORD_0 src1_sel:DWORD
	s_nop 1
	v_cndmask_b32_e32 v7, v7, v10, vcc
	s_branch .LBB570_9
.LBB570_14:
	s_or_b64 exec, exec, s[12:13]
	s_and_b64 vcc, exec, s[10:11]
	s_cbranch_vccnz .LBB570_7
	s_branch .LBB570_44
.LBB570_15:
	s_or_b64 exec, exec, s[10:11]
.LBB570_16:
	s_or_b64 exec, exec, s[8:9]
	v_or_b32_e32 v1, s4, v0
	v_cmp_gt_i32_e32 vcc, s5, v1
	s_and_saveexec_b64 s[8:9], vcc
	s_cbranch_execz .LBB570_22
; %bb.17:
	s_ashr_i32 s5, s4, 31
	v_mul_lo_u32 v6, v1, s21
	v_lshl_add_u64 v[4:5], s[4:5], 1, v[4:5]
	v_ashrrev_i32_e32 v7, 31, v6
	v_lshl_add_u64 v[6:7], v[6:7], 1, s[0:1]
	global_load_ushort v1, v[4:5], off
	global_load_ushort v8, v[6:7], off
	s_mov_b32 s0, 0x7f800000
	s_waitcnt vmcnt(1)
	v_lshlrev_b32_e32 v2, 16, v1
	s_waitcnt vmcnt(0)
	v_lshlrev_b32_e32 v4, 16, v8
	v_pk_mul_f32 v[4:5], v[4:5], v[2:3] op_sel_hi:[0,1]
	v_and_b32_e32 v1, 0x7f800000, v4
	v_cmp_ne_u32_e32 vcc, s0, v1
                                        ; implicit-def: $vgpr1
	s_and_saveexec_b64 s[0:1], vcc
	s_xor_b64 s[0:1], exec, s[0:1]
; %bb.18:
	v_bfe_u32 v1, v4, 16, 1
	s_movk_i32 s3, 0x7fff
	v_add3_u32 v1, v4, v1, s3
                                        ; implicit-def: $vgpr4_vgpr5
; %bb.19:
	s_andn2_saveexec_b64 s[0:1], s[0:1]
; %bb.20:
	v_mov_b32_e32 v1, 0
	v_or_b32_e32 v2, 0x10000, v4
	v_cmp_eq_u32_sdwa vcc, v4, v1 src0_sel:WORD_0 src1_sel:DWORD
	s_nop 1
	v_cndmask_b32_e32 v1, v2, v4, vcc
; %bb.21:
	s_or_b64 exec, exec, s[0:1]
	v_and_b32_e32 v1, 0xffff0000, v1
	v_add_f32_e32 v3, v3, v1
.LBB570_22:
	s_or_b64 exec, exec, s[8:9]
	v_and_b32_e32 v2, 63, v0
	v_cmp_gt_u32_e32 vcc, 64, v0
	v_lshlrev_b32_e32 v1, 2, v2
	s_and_saveexec_b64 s[0:1], vcc
	s_cbranch_execz .LBB570_24
; %bb.23:
	v_mov_b32_e32 v4, 0
	ds_write_b32 v1, v4
.LBB570_24:
	s_or_b64 exec, exec, s[0:1]
	v_mbcnt_lo_u32_b32 v4, -1, 0
	v_mbcnt_hi_u32_b32 v6, -1, v4
	v_and_b32_e32 v7, 63, v6
	v_cmp_gt_u32_e64 s[0:1], 32, v7
	s_waitcnt lgkmcnt(0)
	s_barrier
	v_cndmask_b32_e64 v4, 0, 1, s[0:1]
	v_lshlrev_b32_e32 v4, 5, v4
	v_add_lshl_u32 v4, v4, v6, 2
	ds_bpermute_b32 v4, v4, v3
	v_cmp_gt_u32_e64 s[0:1], 48, v7
	s_waitcnt lgkmcnt(0)
	v_add_f32_e32 v3, v3, v4
	v_cndmask_b32_e64 v5, 0, 1, s[0:1]
	v_lshlrev_b32_e32 v5, 4, v5
	v_add_lshl_u32 v4, v5, v6, 2
	ds_bpermute_b32 v4, v4, v3
	v_cmp_gt_u32_e64 s[0:1], 56, v7
	s_waitcnt lgkmcnt(0)
	v_add_f32_e32 v4, v3, v4
	;; [unrolled: 7-line block ×4, first 2 shown]
	v_cndmask_b32_e64 v9, 0, 1, s[0:1]
	v_lshlrev_b32_e32 v9, 1, v9
	v_add_lshl_u32 v5, v9, v6, 2
	ds_bpermute_b32 v9, v5, v8
	v_cmp_ne_u32_e64 s[0:1], 63, v7
	s_waitcnt lgkmcnt(0)
	v_add_f32_e32 v7, v8, v9
	v_addc_co_u32_e64 v6, s[0:1], 0, v6, s[0:1]
	v_lshlrev_b32_e32 v6, 2, v6
	ds_bpermute_b32 v8, v6, v7
	v_cmp_eq_u32_e64 s[0:1], 0, v2
	s_and_saveexec_b64 s[4:5], s[0:1]
	s_cbranch_execz .LBB570_26
; %bb.25:
	v_lshrrev_b32_e32 v2, 4, v0
	v_and_b32_e32 v2, 60, v2
	s_waitcnt lgkmcnt(0)
	v_add_f32_e32 v7, v7, v8
	ds_write_b32 v2, v7
.LBB570_26:
	s_or_b64 exec, exec, s[4:5]
	v_cmp_gt_u32_e64 s[0:1], 16, v0
	v_mov_b32_e32 v2, 0
	s_waitcnt lgkmcnt(0)
	s_barrier
	s_and_saveexec_b64 s[4:5], s[0:1]
	s_cbranch_execz .LBB570_28
; %bb.27:
	ds_read_b32 v2, v1
	s_or_b64 exec, exec, s[4:5]
	s_and_saveexec_b64 s[0:1], vcc
	s_cbranch_execz .LBB570_30
	s_branch .LBB570_29
.LBB570_28:
	s_or_b64 exec, exec, s[4:5]
	s_and_saveexec_b64 s[0:1], vcc
	s_cbranch_execz .LBB570_30
.LBB570_29:
	s_waitcnt lgkmcnt(0)
	ds_bpermute_b32 v1, v3, v2
	s_waitcnt lgkmcnt(0)
	v_add_f32_e32 v1, v2, v1
	ds_bpermute_b32 v2, v4, v1
	s_waitcnt lgkmcnt(0)
	v_add_f32_e32 v1, v1, v2
	;; [unrolled: 3-line block ×4, first 2 shown]
.LBB570_30:
	s_or_b64 exec, exec, s[0:1]
	v_cmp_eq_u32_e32 vcc, 0, v0
                                        ; implicit-def: $vgpr1
                                        ; implicit-def: $sgpr8_sgpr9
	s_and_saveexec_b64 s[0:1], vcc
	s_cbranch_execz .LBB570_37
; %bb.31:
	v_cmp_eq_f32_e64 s[4:5], s18, 0
	s_waitcnt lgkmcnt(0)
	v_mul_f32_e32 v0, s20, v2
	s_and_b64 vcc, exec, s[4:5]
	s_cbranch_vccz .LBB570_45
; %bb.32:
	s_mov_b32 s3, 0x7f800000
	v_and_b32_e32 v1, 0x7f800000, v0
	v_cmp_ne_u32_e32 vcc, s3, v1
                                        ; implicit-def: $vgpr1
	s_and_saveexec_b64 s[4:5], vcc
	s_xor_b64 s[4:5], exec, s[4:5]
; %bb.33:
	v_bfe_u32 v1, v0, 16, 1
	s_movk_i32 s3, 0x7fff
	v_add3_u32 v1, v0, v1, s3
; %bb.34:
	s_andn2_saveexec_b64 s[4:5], s[4:5]
; %bb.35:
	v_mov_b32_e32 v1, 0
	v_or_b32_e32 v2, 0x10000, v0
	v_cmp_eq_u32_sdwa vcc, v0, v1 src0_sel:WORD_0 src1_sel:DWORD
	s_nop 1
	v_cndmask_b32_e32 v1, v2, v0, vcc
; %bb.36:
	s_or_b64 exec, exec, s[4:5]
	s_mul_i32 s8, s2, s19
	s_cbranch_execz .LBB570_46
	s_branch .LBB570_56
.LBB570_37:
	s_or_b64 exec, exec, s[0:1]
	s_and_saveexec_b64 s[0:1], s[6:7]
	s_cbranch_execz .LBB570_39
.LBB570_38:
	s_lshl_b64 s[0:1], s[8:9], 1
	s_add_u32 s0, s16, s0
	s_addc_u32 s1, s17, s1
	v_mov_b32_e32 v0, 0
	global_store_short v0, v1, s[0:1]
.LBB570_39:
	s_endpgm
.LBB570_40:
                                        ; implicit-def: $sgpr7
.LBB570_41:
	s_and_b32 s4, s6, 0xffff
	s_or_b32 s5, s6, 0x10000
	s_cmp_eq_u32 s4, 0
	s_cselect_b32 s7, s6, s5
.LBB570_42:
	s_lshr_b32 s14, s7, 16
.LBB570_43:
	s_mov_b64 s[6:7], exec
	s_or_b64 exec, exec, s[12:13]
	s_and_b64 vcc, exec, s[10:11]
	s_cbranch_vccnz .LBB570_7
.LBB570_44:
	v_mov_b32_e32 v1, s14
	s_and_saveexec_b64 s[0:1], s[6:7]
	s_cbranch_execnz .LBB570_38
	s_branch .LBB570_39
.LBB570_45:
                                        ; implicit-def: $vgpr1
	s_mul_i32 s8, s2, s19
.LBB570_46:
	s_ashr_i32 s9, s8, 31
	s_lshl_b64 s[2:3], s[8:9], 1
	s_add_u32 s2, s16, s2
	s_addc_u32 s3, s17, s3
	v_mov_b32_e32 v1, 0
	global_load_ushort v1, v1, s[2:3]
	s_mov_b32 s2, 0x7f800000
	s_waitcnt vmcnt(0)
	v_lshlrev_b32_e32 v1, 16, v1
	v_mul_f32_e32 v1, s18, v1
	v_and_b32_e32 v2, 0x7f800000, v1
	v_cmp_eq_u32_e32 vcc, s2, v2
	v_readfirstlane_b32 s4, v1
	s_cbranch_vccnz .LBB570_48
; %bb.47:
	s_bfe_u32 s2, s4, 0x10010
	s_add_i32 s2, s4, s2
	s_add_i32 s5, s2, 0x7fff
	s_mov_b64 s[2:3], 0
	s_branch .LBB570_49
.LBB570_48:
	s_mov_b64 s[2:3], -1
                                        ; implicit-def: $sgpr5
.LBB570_49:
	s_andn2_b64 vcc, exec, s[2:3]
	s_cbranch_vccnz .LBB570_51
; %bb.50:
	s_and_b32 s2, s4, 0xffff
	s_or_b32 s3, s4, 0x10000
	s_cmp_eq_u32 s2, 0
	s_cselect_b32 s5, s4, s3
.LBB570_51:
	s_and_b32 s2, s5, 0xffff0000
	v_add_f32_e32 v0, s2, v0
	s_mov_b32 s2, 0x7f800000
	v_and_b32_e32 v1, 0x7f800000, v0
	v_cmp_ne_u32_e32 vcc, s2, v1
                                        ; implicit-def: $vgpr1
	s_and_saveexec_b64 s[2:3], vcc
	s_xor_b64 s[2:3], exec, s[2:3]
; %bb.52:
	v_bfe_u32 v1, v0, 16, 1
	s_movk_i32 s4, 0x7fff
	v_add3_u32 v1, v0, v1, s4
                                        ; implicit-def: $vgpr0
; %bb.53:
	s_andn2_saveexec_b64 s[2:3], s[2:3]
; %bb.54:
	v_mov_b32_e32 v1, 0
	v_or_b32_e32 v2, 0x10000, v0
	v_cmp_eq_u32_sdwa vcc, v0, v1 src0_sel:WORD_0 src1_sel:DWORD
	s_nop 1
	v_cndmask_b32_e32 v1, v2, v0, vcc
; %bb.55:
	s_or_b64 exec, exec, s[2:3]
.LBB570_56:
	v_lshrrev_b32_e32 v1, 16, v1
	s_ashr_i32 s9, s8, 31
	s_or_b64 s[6:7], s[6:7], exec
	s_or_b64 exec, exec, s[0:1]
	s_and_saveexec_b64 s[0:1], s[6:7]
	s_cbranch_execnz .LBB570_38
	s_branch .LBB570_39
	.section	.rodata,"a",@progbits
	.p2align	6, 0x0
	.amdhsa_kernel _ZL32rocblas_gemvt_warp_reduce_kernelILb0ELi1024Ei16rocblas_bfloat16fS0_EviiT3_lPKT2_lT1_lS4_lS5_lS1_lPT4_lS5_li
		.amdhsa_group_segment_fixed_size 256
		.amdhsa_private_segment_fixed_size 0
		.amdhsa_kernarg_size 140
		.amdhsa_user_sgpr_count 2
		.amdhsa_user_sgpr_dispatch_ptr 0
		.amdhsa_user_sgpr_queue_ptr 0
		.amdhsa_user_sgpr_kernarg_segment_ptr 1
		.amdhsa_user_sgpr_dispatch_id 0
		.amdhsa_user_sgpr_kernarg_preload_length 0
		.amdhsa_user_sgpr_kernarg_preload_offset 0
		.amdhsa_user_sgpr_private_segment_size 0
		.amdhsa_uses_dynamic_stack 0
		.amdhsa_enable_private_segment 0
		.amdhsa_system_sgpr_workgroup_id_x 1
		.amdhsa_system_sgpr_workgroup_id_y 0
		.amdhsa_system_sgpr_workgroup_id_z 1
		.amdhsa_system_sgpr_workgroup_info 0
		.amdhsa_system_vgpr_workitem_id 0
		.amdhsa_next_free_vgpr 14
		.amdhsa_next_free_sgpr 26
		.amdhsa_accum_offset 16
		.amdhsa_reserve_vcc 1
		.amdhsa_float_round_mode_32 0
		.amdhsa_float_round_mode_16_64 0
		.amdhsa_float_denorm_mode_32 3
		.amdhsa_float_denorm_mode_16_64 3
		.amdhsa_dx10_clamp 1
		.amdhsa_ieee_mode 1
		.amdhsa_fp16_overflow 0
		.amdhsa_tg_split 0
		.amdhsa_exception_fp_ieee_invalid_op 0
		.amdhsa_exception_fp_denorm_src 0
		.amdhsa_exception_fp_ieee_div_zero 0
		.amdhsa_exception_fp_ieee_overflow 0
		.amdhsa_exception_fp_ieee_underflow 0
		.amdhsa_exception_fp_ieee_inexact 0
		.amdhsa_exception_int_div_zero 0
	.end_amdhsa_kernel
	.section	.text._ZL32rocblas_gemvt_warp_reduce_kernelILb0ELi1024Ei16rocblas_bfloat16fS0_EviiT3_lPKT2_lT1_lS4_lS5_lS1_lPT4_lS5_li,"axG",@progbits,_ZL32rocblas_gemvt_warp_reduce_kernelILb0ELi1024Ei16rocblas_bfloat16fS0_EviiT3_lPKT2_lT1_lS4_lS5_lS1_lPT4_lS5_li,comdat
.Lfunc_end570:
	.size	_ZL32rocblas_gemvt_warp_reduce_kernelILb0ELi1024Ei16rocblas_bfloat16fS0_EviiT3_lPKT2_lT1_lS4_lS5_lS1_lPT4_lS5_li, .Lfunc_end570-_ZL32rocblas_gemvt_warp_reduce_kernelILb0ELi1024Ei16rocblas_bfloat16fS0_EviiT3_lPKT2_lT1_lS4_lS5_lS1_lPT4_lS5_li
                                        ; -- End function
	.section	.AMDGPU.csdata,"",@progbits
; Kernel info:
; codeLenInByte = 1928
; NumSgprs: 32
; NumVgprs: 14
; NumAgprs: 0
; TotalNumVgprs: 14
; ScratchSize: 0
; MemoryBound: 0
; FloatMode: 240
; IeeeMode: 1
; LDSByteSize: 256 bytes/workgroup (compile time only)
; SGPRBlocks: 3
; VGPRBlocks: 1
; NumSGPRsForWavesPerEU: 32
; NumVGPRsForWavesPerEU: 14
; AccumOffset: 16
; Occupancy: 8
; WaveLimiterHint : 1
; COMPUTE_PGM_RSRC2:SCRATCH_EN: 0
; COMPUTE_PGM_RSRC2:USER_SGPR: 2
; COMPUTE_PGM_RSRC2:TRAP_HANDLER: 0
; COMPUTE_PGM_RSRC2:TGID_X_EN: 1
; COMPUTE_PGM_RSRC2:TGID_Y_EN: 0
; COMPUTE_PGM_RSRC2:TGID_Z_EN: 1
; COMPUTE_PGM_RSRC2:TIDIG_COMP_CNT: 0
; COMPUTE_PGM_RSRC3_GFX90A:ACCUM_OFFSET: 3
; COMPUTE_PGM_RSRC3_GFX90A:TG_SPLIT: 0
	.section	.text._ZL32rocblas_gemvt_warp_reduce_kernelILb0ELi1024El16rocblas_bfloat16fS0_EviiT3_lPKT2_lT1_lS4_lS5_lS1_lPT4_lS5_li,"axG",@progbits,_ZL32rocblas_gemvt_warp_reduce_kernelILb0ELi1024El16rocblas_bfloat16fS0_EviiT3_lPKT2_lT1_lS4_lS5_lS1_lPT4_lS5_li,comdat
	.globl	_ZL32rocblas_gemvt_warp_reduce_kernelILb0ELi1024El16rocblas_bfloat16fS0_EviiT3_lPKT2_lT1_lS4_lS5_lS1_lPT4_lS5_li ; -- Begin function _ZL32rocblas_gemvt_warp_reduce_kernelILb0ELi1024El16rocblas_bfloat16fS0_EviiT3_lPKT2_lT1_lS4_lS5_lS1_lPT4_lS5_li
	.p2align	8
	.type	_ZL32rocblas_gemvt_warp_reduce_kernelILb0ELi1024El16rocblas_bfloat16fS0_EviiT3_lPKT2_lT1_lS4_lS5_lS1_lPT4_lS5_li,@function
_ZL32rocblas_gemvt_warp_reduce_kernelILb0ELi1024El16rocblas_bfloat16fS0_EviiT3_lPKT2_lT1_lS4_lS5_lS1_lPT4_lS5_li: ; @_ZL32rocblas_gemvt_warp_reduce_kernelILb0ELi1024El16rocblas_bfloat16fS0_EviiT3_lPKT2_lT1_lS4_lS5_lS1_lPT4_lS5_li
; %bb.0:
	s_load_dword s29, s[0:1], 0x8
	s_load_dword s28, s[0:1], 0x58
	s_waitcnt lgkmcnt(0)
	v_cmp_eq_f32_e64 s[4:5], s29, 0
	v_cmp_eq_f32_e64 s[6:7], s28, 1.0
	s_and_b64 s[4:5], s[4:5], s[6:7]
	s_and_b64 vcc, exec, s[4:5]
	s_cbranch_vccnz .LBB571_39
; %bb.1:
	s_load_dwordx8 s[16:23], s[0:1], 0x68
	v_cmp_neq_f32_e64 s[4:5], s29, 0
	s_waitcnt lgkmcnt(0)
	s_mul_i32 s7, s3, s23
	s_mul_hi_u32 s8, s3, s22
	s_mul_i32 s6, s3, s22
	s_add_i32 s7, s8, s7
	s_lshl_b64 s[6:7], s[6:7], 1
	s_add_u32 s8, s16, s6
	s_addc_u32 s9, s17, s7
	s_lshl_b64 s[6:7], s[18:19], 1
	s_add_u32 s26, s8, s6
	s_addc_u32 s27, s9, s7
	s_and_b64 vcc, exec, s[4:5]
	v_cmp_eq_u32_e64 s[4:5], 0, v0
	s_cbranch_vccnz .LBB571_6
; %bb.2:
	s_mov_b64 s[8:9], 0
	s_mov_b64 s[22:23], 0
                                        ; implicit-def: $sgpr12
                                        ; implicit-def: $sgpr6_sgpr7
	s_and_saveexec_b64 s[10:11], s[4:5]
	s_cbranch_execz .LBB571_14
; %bb.3:
	s_ashr_i32 s6, s2, 31
	s_mul_i32 s7, s2, s21
	s_mul_hi_u32 s13, s2, s20
	v_cmp_eq_f32_e64 s[4:5], s28, 0
	s_add_i32 s7, s13, s7
	s_mul_i32 s6, s6, s20
	s_mov_b32 s12, 0
	s_add_i32 s7, s7, s6
	s_mul_i32 s6, s2, s20
	s_and_b64 vcc, exec, s[4:5]
	s_cbranch_vccnz .LBB571_43
; %bb.4:
	s_lshl_b64 s[4:5], s[6:7], 1
	s_add_u32 s4, s26, s4
	s_addc_u32 s5, s27, s5
	v_mov_b32_e32 v1, 0
	global_load_ushort v1, v1, s[4:5]
	s_mov_b32 s4, 0x7f800000
	s_waitcnt vmcnt(0)
	v_lshlrev_b32_e32 v1, 16, v1
	v_mul_f32_e32 v1, s28, v1
	v_and_b32_e32 v2, 0x7f800000, v1
	v_cmp_eq_u32_e32 vcc, s4, v2
	v_readfirstlane_b32 s12, v1
	s_cbranch_vccnz .LBB571_40
; %bb.5:
	s_bfe_u32 s4, s12, 0x10010
	s_add_i32 s4, s12, s4
	s_add_i32 s13, s4, 0x7fff
	s_cbranch_execz .LBB571_41
	s_branch .LBB571_42
.LBB571_6:
	s_mov_b64 s[22:23], 0
                                        ; implicit-def: $sgpr12
                                        ; implicit-def: $sgpr6_sgpr7
	s_cbranch_execz .LBB571_44
.LBB571_7:
	s_load_dwordx16 s[4:19], s[0:1], 0x18
	s_load_dword s30, s[0:1], 0x0
	v_mov_b32_e32 v3, 0
	s_waitcnt lgkmcnt(0)
	s_mul_i32 s1, s3, s19
	s_mul_hi_u32 s19, s3, s18
	s_mul_i32 s0, s3, s18
	s_mul_i32 s11, s3, s11
	s_mul_hi_u32 s18, s3, s10
	s_add_i32 s11, s18, s11
	s_mul_i32 s10, s3, s10
	s_add_i32 s1, s19, s1
	s_lshl_b64 s[10:11], s[10:11], 1
	s_add_u32 s3, s4, s10
	s_addc_u32 s10, s5, s11
	s_lshl_b64 s[4:5], s[6:7], 1
	s_add_u32 s6, s3, s4
	s_addc_u32 s7, s10, s5
	s_ashr_i32 s3, s2, 31
	s_mul_i32 s4, s2, s9
	s_mul_hi_u32 s5, s2, s8
	s_add_i32 s4, s5, s4
	s_mul_i32 s5, s3, s8
	s_add_i32 s5, s4, s5
	s_mul_i32 s4, s2, s8
	v_cmp_gt_i32_e32 vcc, s30, v0
	s_lshl_b64 s[4:5], s[4:5], 1
	s_add_u32 s4, s4, s6
	v_cndmask_b32_e32 v1, 0, v0, vcc
	v_lshlrev_b32_e32 v2, 1, v1
	s_addc_u32 s5, s5, s7
	v_lshl_add_u64 v[4:5], s[4:5], 0, v[2:3]
	s_ashr_i32 s4, s30, 31
	s_lshr_b32 s4, s4, 22
	s_add_i32 s4, s30, s4
	s_and_b32 s4, s4, 0xfffffc00
	v_cmp_gt_i32_e32 vcc, s4, v0
	s_and_saveexec_b64 s[6:7], vcc
	s_cbranch_execz .LBB571_16
; %bb.8:
	v_mad_u64_u32 v[2:3], s[10:11], s16, v0, 0
	v_mov_b32_e32 v6, v3
	v_mad_u64_u32 v[6:7], s[10:11], s17, v0, v[6:7]
	s_lshl_b64 s[8:9], s[0:1], 1
	s_lshl_b64 s[10:11], s[14:15], 1
	s_add_u32 s5, s12, s10
	s_addc_u32 s10, s13, s11
	s_add_u32 s8, s5, s8
	v_mov_b32_e32 v3, v6
	s_addc_u32 s9, s10, s9
	v_lshl_add_u64 v[6:7], v[2:3], 1, s[8:9]
	s_lshl_b64 s[10:11], s[16:17], 11
	s_mov_b64 s[8:9], 0
	v_mov_b32_e32 v1, 0
	s_mov_b32 s5, 0x7f800000
	s_movk_i32 s31, 0x7fff
	s_mov_b64 s[18:19], 0x800
	v_mov_b64_e32 v[8:9], v[4:5]
	v_mov_b32_e32 v2, v0
	v_mov_b32_e32 v3, 0
	s_branch .LBB571_10
.LBB571_9:                              ;   in Loop: Header=BB571_10 Depth=1
	s_or_b64 exec, exec, s[24:25]
	v_add_u32_e32 v2, 0x400, v2
	v_and_b32_e32 v10, 0xffff0000, v12
	v_cmp_le_i32_e32 vcc, s4, v2
	v_add_f32_e32 v3, v3, v10
	v_lshl_add_u64 v[8:9], v[8:9], 0, s[18:19]
	s_or_b64 s[8:9], vcc, s[8:9]
	v_lshl_add_u64 v[6:7], v[6:7], 0, s[10:11]
	s_andn2_b64 exec, exec, s[8:9]
	s_cbranch_execz .LBB571_15
.LBB571_10:                             ; =>This Inner Loop Header: Depth=1
	global_load_ushort v10, v[6:7], off
	global_load_ushort v11, v[8:9], off
	s_waitcnt vmcnt(1)
	v_lshlrev_b32_e32 v10, 16, v10
	s_waitcnt vmcnt(0)
	v_lshlrev_b32_e32 v12, 16, v11
	v_pk_mul_f32 v[10:11], v[10:11], v[12:13] op_sel_hi:[0,1]
	v_and_b32_e32 v11, 0x7f800000, v10
	v_cmp_ne_u32_e32 vcc, s5, v11
                                        ; implicit-def: $vgpr12
	s_and_saveexec_b64 s[24:25], vcc
	s_xor_b64 s[24:25], exec, s[24:25]
; %bb.11:                               ;   in Loop: Header=BB571_10 Depth=1
	v_bfe_u32 v11, v10, 16, 1
	v_add3_u32 v12, v10, v11, s31
                                        ; implicit-def: $vgpr10_vgpr11
; %bb.12:                               ;   in Loop: Header=BB571_10 Depth=1
	s_andn2_saveexec_b64 s[24:25], s[24:25]
	s_cbranch_execz .LBB571_9
; %bb.13:                               ;   in Loop: Header=BB571_10 Depth=1
	v_or_b32_e32 v11, 0x10000, v10
	v_cmp_eq_u32_sdwa vcc, v10, v1 src0_sel:WORD_0 src1_sel:DWORD
	s_nop 1
	v_cndmask_b32_e32 v12, v11, v10, vcc
	s_branch .LBB571_9
.LBB571_14:
	s_or_b64 exec, exec, s[10:11]
	s_and_b64 vcc, exec, s[8:9]
	s_cbranch_vccnz .LBB571_7
	s_branch .LBB571_44
.LBB571_15:
	s_or_b64 exec, exec, s[8:9]
.LBB571_16:
	s_or_b64 exec, exec, s[6:7]
	v_or_b32_e32 v1, s4, v0
	v_cmp_gt_i32_e32 vcc, s30, v1
	s_and_saveexec_b64 s[6:7], vcc
	s_cbranch_execz .LBB571_22
; %bb.17:
	s_lshl_b64 s[0:1], s[0:1], 1
	s_add_u32 s5, s12, s0
	s_addc_u32 s8, s13, s1
	s_lshl_b64 s[0:1], s[14:15], 1
	s_add_u32 s0, s5, s0
	s_addc_u32 s1, s8, s1
	s_ashr_i32 s5, s4, 31
	v_ashrrev_i32_e32 v2, 31, v1
	v_lshl_add_u64 v[4:5], s[4:5], 1, v[4:5]
	v_mul_lo_u32 v8, v1, s17
	v_mul_lo_u32 v2, v2, s16
	v_mad_u64_u32 v[6:7], s[4:5], v1, s16, 0
	v_add3_u32 v7, v7, v8, v2
	v_lshl_add_u64 v[6:7], v[6:7], 1, s[0:1]
	global_load_ushort v1, v[6:7], off
	global_load_ushort v8, v[4:5], off
	s_mov_b32 s0, 0x7f800000
	s_waitcnt vmcnt(1)
	v_lshlrev_b32_e32 v2, 16, v1
	s_waitcnt vmcnt(0)
	v_lshlrev_b32_e32 v4, 16, v8
	v_pk_mul_f32 v[4:5], v[2:3], v[4:5] op_sel_hi:[0,1]
	v_and_b32_e32 v1, 0x7f800000, v4
	v_cmp_ne_u32_e32 vcc, s0, v1
                                        ; implicit-def: $vgpr1
	s_and_saveexec_b64 s[0:1], vcc
	s_xor_b64 s[0:1], exec, s[0:1]
; %bb.18:
	v_bfe_u32 v1, v4, 16, 1
	s_movk_i32 s4, 0x7fff
	v_add3_u32 v1, v4, v1, s4
                                        ; implicit-def: $vgpr4_vgpr5
; %bb.19:
	s_andn2_saveexec_b64 s[0:1], s[0:1]
; %bb.20:
	v_mov_b32_e32 v1, 0
	v_or_b32_e32 v2, 0x10000, v4
	v_cmp_eq_u32_sdwa vcc, v4, v1 src0_sel:WORD_0 src1_sel:DWORD
	s_nop 1
	v_cndmask_b32_e32 v1, v2, v4, vcc
; %bb.21:
	s_or_b64 exec, exec, s[0:1]
	v_and_b32_e32 v1, 0xffff0000, v1
	v_add_f32_e32 v3, v3, v1
.LBB571_22:
	s_or_b64 exec, exec, s[6:7]
	v_and_b32_e32 v2, 63, v0
	v_cmp_gt_u32_e32 vcc, 64, v0
	v_lshlrev_b32_e32 v1, 2, v2
	s_and_saveexec_b64 s[0:1], vcc
	s_cbranch_execz .LBB571_24
; %bb.23:
	v_mov_b32_e32 v4, 0
	ds_write_b32 v1, v4
.LBB571_24:
	s_or_b64 exec, exec, s[0:1]
	v_mbcnt_lo_u32_b32 v4, -1, 0
	v_mbcnt_hi_u32_b32 v6, -1, v4
	v_and_b32_e32 v7, 63, v6
	v_cmp_gt_u32_e64 s[0:1], 32, v7
	s_waitcnt lgkmcnt(0)
	s_barrier
	v_cndmask_b32_e64 v4, 0, 1, s[0:1]
	v_lshlrev_b32_e32 v4, 5, v4
	v_add_lshl_u32 v4, v4, v6, 2
	ds_bpermute_b32 v4, v4, v3
	v_cmp_gt_u32_e64 s[0:1], 48, v7
	s_waitcnt lgkmcnt(0)
	v_add_f32_e32 v3, v3, v4
	v_cndmask_b32_e64 v5, 0, 1, s[0:1]
	v_lshlrev_b32_e32 v5, 4, v5
	v_add_lshl_u32 v4, v5, v6, 2
	ds_bpermute_b32 v4, v4, v3
	v_cmp_gt_u32_e64 s[0:1], 56, v7
	s_waitcnt lgkmcnt(0)
	v_add_f32_e32 v4, v3, v4
	;; [unrolled: 7-line block ×4, first 2 shown]
	v_cndmask_b32_e64 v9, 0, 1, s[0:1]
	v_lshlrev_b32_e32 v9, 1, v9
	v_add_lshl_u32 v5, v9, v6, 2
	ds_bpermute_b32 v9, v5, v8
	v_cmp_ne_u32_e64 s[0:1], 63, v7
	s_waitcnt lgkmcnt(0)
	v_add_f32_e32 v7, v8, v9
	v_addc_co_u32_e64 v6, s[0:1], 0, v6, s[0:1]
	v_lshlrev_b32_e32 v6, 2, v6
	ds_bpermute_b32 v8, v6, v7
	v_cmp_eq_u32_e64 s[0:1], 0, v2
	s_and_saveexec_b64 s[4:5], s[0:1]
	s_cbranch_execz .LBB571_26
; %bb.25:
	v_lshrrev_b32_e32 v2, 4, v0
	v_and_b32_e32 v2, 60, v2
	s_waitcnt lgkmcnt(0)
	v_add_f32_e32 v7, v7, v8
	ds_write_b32 v2, v7
.LBB571_26:
	s_or_b64 exec, exec, s[4:5]
	v_cmp_gt_u32_e64 s[0:1], 16, v0
	v_mov_b32_e32 v2, 0
	s_waitcnt lgkmcnt(0)
	s_barrier
	s_and_saveexec_b64 s[4:5], s[0:1]
	s_cbranch_execz .LBB571_28
; %bb.27:
	ds_read_b32 v2, v1
	s_or_b64 exec, exec, s[4:5]
	s_and_saveexec_b64 s[0:1], vcc
	s_cbranch_execz .LBB571_30
	s_branch .LBB571_29
.LBB571_28:
	s_or_b64 exec, exec, s[4:5]
	s_and_saveexec_b64 s[0:1], vcc
	s_cbranch_execz .LBB571_30
.LBB571_29:
	s_waitcnt lgkmcnt(0)
	ds_bpermute_b32 v1, v3, v2
	s_waitcnt lgkmcnt(0)
	v_add_f32_e32 v1, v2, v1
	ds_bpermute_b32 v2, v4, v1
	s_waitcnt lgkmcnt(0)
	v_add_f32_e32 v1, v1, v2
	;; [unrolled: 3-line block ×4, first 2 shown]
.LBB571_30:
	s_or_b64 exec, exec, s[0:1]
	v_cmp_eq_u32_e32 vcc, 0, v0
                                        ; implicit-def: $vgpr1
                                        ; implicit-def: $sgpr6_sgpr7
	s_and_saveexec_b64 s[0:1], vcc
	s_cbranch_execz .LBB571_37
; %bb.31:
	v_cmp_eq_f32_e64 s[4:5], s28, 0
	s_waitcnt lgkmcnt(0)
	v_mul_f32_e32 v0, s29, v2
	s_and_b64 vcc, exec, s[4:5]
	s_cbranch_vccz .LBB571_45
; %bb.32:
	s_mov_b32 s4, 0x7f800000
	v_and_b32_e32 v1, 0x7f800000, v0
	v_cmp_ne_u32_e32 vcc, s4, v1
                                        ; implicit-def: $vgpr1
	s_and_saveexec_b64 s[4:5], vcc
	s_xor_b64 s[4:5], exec, s[4:5]
; %bb.33:
	v_bfe_u32 v1, v0, 16, 1
	s_movk_i32 s6, 0x7fff
	v_add3_u32 v1, v0, v1, s6
; %bb.34:
	s_andn2_saveexec_b64 s[4:5], s[4:5]
; %bb.35:
	v_mov_b32_e32 v1, 0
	v_or_b32_e32 v2, 0x10000, v0
	v_cmp_eq_u32_sdwa vcc, v0, v1 src0_sel:WORD_0 src1_sel:DWORD
	s_nop 1
	v_cndmask_b32_e32 v1, v2, v0, vcc
; %bb.36:
	s_or_b64 exec, exec, s[4:5]
	s_mov_b64 s[4:5], 0
	s_branch .LBB571_46
.LBB571_37:
	s_or_b64 exec, exec, s[0:1]
	s_and_saveexec_b64 s[0:1], s[22:23]
	s_cbranch_execz .LBB571_39
.LBB571_38:
	s_lshl_b64 s[0:1], s[6:7], 1
	s_add_u32 s0, s26, s0
	s_addc_u32 s1, s27, s1
	v_mov_b32_e32 v0, 0
	global_store_short v0, v1, s[0:1]
.LBB571_39:
	s_endpgm
.LBB571_40:
                                        ; implicit-def: $sgpr13
.LBB571_41:
	s_and_b32 s4, s12, 0xffff
	s_or_b32 s5, s12, 0x10000
	s_cmp_eq_u32 s4, 0
	s_cselect_b32 s13, s12, s5
.LBB571_42:
	s_lshr_b32 s12, s13, 16
.LBB571_43:
	s_mov_b64 s[22:23], exec
	s_or_b64 exec, exec, s[10:11]
	s_and_b64 vcc, exec, s[8:9]
	s_cbranch_vccnz .LBB571_7
.LBB571_44:
	v_mov_b32_e32 v1, s12
	s_and_saveexec_b64 s[0:1], s[22:23]
	s_cbranch_execnz .LBB571_38
	s_branch .LBB571_39
.LBB571_45:
	s_mov_b64 s[4:5], -1
                                        ; implicit-def: $vgpr1
.LBB571_46:
	s_andn2_b64 vcc, exec, s[4:5]
	s_mul_i32 s4, s2, s21
	s_mul_hi_u32 s5, s2, s20
	s_mul_i32 s8, s3, s20
	s_mul_i32 s6, s2, s20
	s_cbranch_vccnz .LBB571_57
; %bb.47:
	s_add_i32 s2, s5, s4
	s_add_i32 s7, s2, s8
	s_lshl_b64 s[2:3], s[6:7], 1
	s_add_u32 s2, s26, s2
	s_addc_u32 s3, s27, s3
	v_mov_b32_e32 v1, 0
	global_load_ushort v1, v1, s[2:3]
	s_mov_b32 s2, 0x7f800000
	s_waitcnt vmcnt(0)
	v_lshlrev_b32_e32 v1, 16, v1
	v_mul_f32_e32 v1, s28, v1
	v_and_b32_e32 v2, 0x7f800000, v1
	v_cmp_eq_u32_e32 vcc, s2, v2
	v_readfirstlane_b32 s7, v1
	s_cbranch_vccnz .LBB571_49
; %bb.48:
	s_bfe_u32 s2, s7, 0x10010
	s_add_i32 s2, s7, s2
	s_add_i32 s9, s2, 0x7fff
	s_mov_b64 s[2:3], 0
	s_branch .LBB571_50
.LBB571_49:
	s_mov_b64 s[2:3], -1
                                        ; implicit-def: $sgpr9
.LBB571_50:
	s_andn2_b64 vcc, exec, s[2:3]
	s_cbranch_vccnz .LBB571_52
; %bb.51:
	s_and_b32 s2, s7, 0xffff
	s_or_b32 s3, s7, 0x10000
	s_cmp_eq_u32 s2, 0
	s_cselect_b32 s9, s7, s3
.LBB571_52:
	s_and_b32 s2, s9, 0xffff0000
	v_add_f32_e32 v0, s2, v0
	s_mov_b32 s2, 0x7f800000
	v_and_b32_e32 v1, 0x7f800000, v0
	v_cmp_ne_u32_e32 vcc, s2, v1
                                        ; implicit-def: $vgpr1
	s_and_saveexec_b64 s[2:3], vcc
	s_xor_b64 s[2:3], exec, s[2:3]
; %bb.53:
	v_bfe_u32 v1, v0, 16, 1
	s_movk_i32 s7, 0x7fff
	v_add3_u32 v1, v0, v1, s7
                                        ; implicit-def: $vgpr0
; %bb.54:
	s_andn2_saveexec_b64 s[2:3], s[2:3]
; %bb.55:
	v_mov_b32_e32 v1, 0
	v_or_b32_e32 v2, 0x10000, v0
	v_cmp_eq_u32_sdwa vcc, v0, v1 src0_sel:WORD_0 src1_sel:DWORD
	s_nop 1
	v_cndmask_b32_e32 v1, v2, v0, vcc
; %bb.56:
	s_or_b64 exec, exec, s[2:3]
.LBB571_57:
	s_add_i32 s2, s5, s4
	v_lshrrev_b32_e32 v1, 16, v1
	s_add_i32 s7, s2, s8
	s_or_b64 s[22:23], s[22:23], exec
	s_or_b64 exec, exec, s[0:1]
	s_and_saveexec_b64 s[0:1], s[22:23]
	s_cbranch_execnz .LBB571_38
	s_branch .LBB571_39
	.section	.rodata,"a",@progbits
	.p2align	6, 0x0
	.amdhsa_kernel _ZL32rocblas_gemvt_warp_reduce_kernelILb0ELi1024El16rocblas_bfloat16fS0_EviiT3_lPKT2_lT1_lS4_lS5_lS1_lPT4_lS5_li
		.amdhsa_group_segment_fixed_size 256
		.amdhsa_private_segment_fixed_size 0
		.amdhsa_kernarg_size 140
		.amdhsa_user_sgpr_count 2
		.amdhsa_user_sgpr_dispatch_ptr 0
		.amdhsa_user_sgpr_queue_ptr 0
		.amdhsa_user_sgpr_kernarg_segment_ptr 1
		.amdhsa_user_sgpr_dispatch_id 0
		.amdhsa_user_sgpr_kernarg_preload_length 0
		.amdhsa_user_sgpr_kernarg_preload_offset 0
		.amdhsa_user_sgpr_private_segment_size 0
		.amdhsa_uses_dynamic_stack 0
		.amdhsa_enable_private_segment 0
		.amdhsa_system_sgpr_workgroup_id_x 1
		.amdhsa_system_sgpr_workgroup_id_y 0
		.amdhsa_system_sgpr_workgroup_id_z 1
		.amdhsa_system_sgpr_workgroup_info 0
		.amdhsa_system_vgpr_workitem_id 0
		.amdhsa_next_free_vgpr 14
		.amdhsa_next_free_sgpr 32
		.amdhsa_accum_offset 16
		.amdhsa_reserve_vcc 1
		.amdhsa_float_round_mode_32 0
		.amdhsa_float_round_mode_16_64 0
		.amdhsa_float_denorm_mode_32 3
		.amdhsa_float_denorm_mode_16_64 3
		.amdhsa_dx10_clamp 1
		.amdhsa_ieee_mode 1
		.amdhsa_fp16_overflow 0
		.amdhsa_tg_split 0
		.amdhsa_exception_fp_ieee_invalid_op 0
		.amdhsa_exception_fp_denorm_src 0
		.amdhsa_exception_fp_ieee_div_zero 0
		.amdhsa_exception_fp_ieee_overflow 0
		.amdhsa_exception_fp_ieee_underflow 0
		.amdhsa_exception_fp_ieee_inexact 0
		.amdhsa_exception_int_div_zero 0
	.end_amdhsa_kernel
	.section	.text._ZL32rocblas_gemvt_warp_reduce_kernelILb0ELi1024El16rocblas_bfloat16fS0_EviiT3_lPKT2_lT1_lS4_lS5_lS1_lPT4_lS5_li,"axG",@progbits,_ZL32rocblas_gemvt_warp_reduce_kernelILb0ELi1024El16rocblas_bfloat16fS0_EviiT3_lPKT2_lT1_lS4_lS5_lS1_lPT4_lS5_li,comdat
.Lfunc_end571:
	.size	_ZL32rocblas_gemvt_warp_reduce_kernelILb0ELi1024El16rocblas_bfloat16fS0_EviiT3_lPKT2_lT1_lS4_lS5_lS1_lPT4_lS5_li, .Lfunc_end571-_ZL32rocblas_gemvt_warp_reduce_kernelILb0ELi1024El16rocblas_bfloat16fS0_EviiT3_lPKT2_lT1_lS4_lS5_lS1_lPT4_lS5_li
                                        ; -- End function
	.section	.AMDGPU.csdata,"",@progbits
; Kernel info:
; codeLenInByte = 2004
; NumSgprs: 38
; NumVgprs: 14
; NumAgprs: 0
; TotalNumVgprs: 14
; ScratchSize: 0
; MemoryBound: 0
; FloatMode: 240
; IeeeMode: 1
; LDSByteSize: 256 bytes/workgroup (compile time only)
; SGPRBlocks: 4
; VGPRBlocks: 1
; NumSGPRsForWavesPerEU: 38
; NumVGPRsForWavesPerEU: 14
; AccumOffset: 16
; Occupancy: 8
; WaveLimiterHint : 1
; COMPUTE_PGM_RSRC2:SCRATCH_EN: 0
; COMPUTE_PGM_RSRC2:USER_SGPR: 2
; COMPUTE_PGM_RSRC2:TRAP_HANDLER: 0
; COMPUTE_PGM_RSRC2:TGID_X_EN: 1
; COMPUTE_PGM_RSRC2:TGID_Y_EN: 0
; COMPUTE_PGM_RSRC2:TGID_Z_EN: 1
; COMPUTE_PGM_RSRC2:TIDIG_COMP_CNT: 0
; COMPUTE_PGM_RSRC3_GFX90A:ACCUM_OFFSET: 3
; COMPUTE_PGM_RSRC3_GFX90A:TG_SPLIT: 0
	.section	.text._ZL22rocblas_gemvtsm_kernelILb1ELi256E16rocblas_bfloat16PKfS0_EviiT2_lPKT1_lilS6_lilS3_lPT3_lil,"axG",@progbits,_ZL22rocblas_gemvtsm_kernelILb1ELi256E16rocblas_bfloat16PKfS0_EviiT2_lPKT1_lilS6_lilS3_lPT3_lil,comdat
	.globl	_ZL22rocblas_gemvtsm_kernelILb1ELi256E16rocblas_bfloat16PKfS0_EviiT2_lPKT1_lilS6_lilS3_lPT3_lil ; -- Begin function _ZL22rocblas_gemvtsm_kernelILb1ELi256E16rocblas_bfloat16PKfS0_EviiT2_lPKT1_lilS6_lilS3_lPT3_lil
	.p2align	8
	.type	_ZL22rocblas_gemvtsm_kernelILb1ELi256E16rocblas_bfloat16PKfS0_EviiT2_lPKT1_lilS6_lilS3_lPT3_lil,@function
_ZL22rocblas_gemvtsm_kernelILb1ELi256E16rocblas_bfloat16PKfS0_EviiT2_lPKT1_lilS6_lilS3_lPT3_lil: ; @_ZL22rocblas_gemvtsm_kernelILb1ELi256E16rocblas_bfloat16PKfS0_EviiT2_lPKT1_lilS6_lilS3_lPT3_lil
; %bb.0:
	s_load_dwordx8 s[4:11], s[0:1], 0x8
	s_load_dwordx8 s[12:19], s[0:1], 0x50
	s_waitcnt lgkmcnt(0)
	s_mul_i32 s3, s2, s7
	s_mul_hi_u32 s7, s2, s6
	s_add_i32 s7, s7, s3
	s_mul_i32 s6, s2, s6
	s_lshl_b64 s[6:7], s[6:7], 2
	s_add_u32 s4, s4, s6
	s_addc_u32 s5, s5, s7
	s_load_dword s3, s[4:5], 0x0
	s_mul_i32 s4, s2, s17
	s_mul_hi_u32 s5, s2, s16
	s_add_i32 s5, s5, s4
	s_mul_i32 s4, s2, s16
	s_lshl_b64 s[4:5], s[4:5], 2
	s_add_u32 s4, s14, s4
	s_addc_u32 s5, s15, s5
	s_load_dword s28, s[4:5], 0x0
	s_waitcnt lgkmcnt(0)
	v_cmp_eq_f32_e64 s[4:5], s3, 0
	v_cmp_eq_f32_e64 s[6:7], s28, 1.0
	s_and_b64 s[4:5], s[4:5], s[6:7]
	s_and_b64 vcc, exec, s[4:5]
	s_cbranch_vccnz .LBB572_70
; %bb.1:
	s_load_dwordx2 s[4:5], s[0:1], 0x80
	s_load_dword s14, s[0:1], 0x78
	s_load_dwordx2 s[20:21], s[0:1], 0x70
	s_load_dwordx2 s[16:17], s[0:1], 0x0
	s_waitcnt lgkmcnt(0)
	s_mul_i32 s5, s2, s5
	s_mul_hi_u32 s6, s2, s4
	s_add_i32 s23, s6, s5
	s_mul_i32 s22, s2, s4
	v_cmp_neq_f32_e64 s[4:5], s3, 0
	s_and_b64 vcc, exec, s[4:5]
	s_cbranch_vccnz .LBB572_9
; %bb.2:
	s_cmp_gt_i32 s17, 0
	s_cselect_b64 s[6:7], -1, 0
	v_cmp_neq_f32_e64 s[4:5], s28, 0
	v_cndmask_b32_e64 v1, 0, 1, s[6:7]
	s_and_b64 vcc, exec, s[4:5]
	v_cmp_ne_u32_e64 s[4:5], 1, v1
	s_cbranch_vccnz .LBB572_10
; %bb.3:
	s_and_b64 vcc, exec, s[4:5]
	s_cbranch_vccnz .LBB572_8
; %bb.4:
	v_mad_i64_i32 v[2:3], s[24:25], s14, v0, 0
	s_ashr_i32 s15, s14, 31
	s_lshl_b64 s[6:7], s[22:23], 1
	s_lshl_b64 s[24:25], s[20:21], 1
	s_add_u32 s24, s18, s24
	s_addc_u32 s25, s19, s25
	s_add_u32 s6, s24, s6
	s_addc_u32 s7, s25, s7
	v_lshl_add_u64 v[2:3], v[2:3], 1, s[6:7]
	s_lshl_b64 s[6:7], s[14:15], 9
	s_mov_b32 s15, 0
	v_mov_b32_e32 v1, 0
	s_branch .LBB572_6
.LBB572_5:                              ;   in Loop: Header=BB572_6 Depth=1
	s_or_b64 exec, exec, s[24:25]
	s_addk_i32 s15, 0x100
	s_cmp_ge_i32 s15, s17
	v_lshl_add_u64 v[2:3], v[2:3], 0, s[6:7]
	s_cbranch_scc1 .LBB572_8
.LBB572_6:                              ; =>This Inner Loop Header: Depth=1
	v_add_u32_e32 v4, s15, v0
	v_cmp_gt_i32_e32 vcc, s17, v4
	s_and_saveexec_b64 s[24:25], vcc
	s_cbranch_execz .LBB572_5
; %bb.7:                                ;   in Loop: Header=BB572_6 Depth=1
	global_store_short v[2:3], v1, off
	s_branch .LBB572_5
.LBB572_8:
	s_cbranch_execz .LBB572_11
	s_branch .LBB572_20
.LBB572_9:
	s_branch .LBB572_21
.LBB572_10:
.LBB572_11:
	s_and_b64 vcc, exec, s[4:5]
	s_cbranch_vccnz .LBB572_20
; %bb.12:
	v_mad_i64_i32 v[2:3], s[6:7], s14, v0, 0
	s_ashr_i32 s15, s14, 31
	s_lshl_b64 s[4:5], s[22:23], 1
	s_lshl_b64 s[6:7], s[20:21], 1
	s_add_u32 s6, s18, s6
	s_addc_u32 s7, s19, s7
	s_add_u32 s4, s6, s4
	s_addc_u32 s5, s7, s5
	v_lshl_add_u64 v[2:3], v[2:3], 1, s[4:5]
	s_lshl_b64 s[4:5], s[14:15], 9
	s_mov_b32 s15, 0
	s_mov_b32 s26, 0x7f800000
	s_movk_i32 s27, 0x7fff
	v_mov_b32_e32 v1, 0
	s_branch .LBB572_15
.LBB572_13:                             ;   in Loop: Header=BB572_15 Depth=1
	s_or_b64 exec, exec, s[24:25]
	global_store_short_d16_hi v[2:3], v5, off
.LBB572_14:                             ;   in Loop: Header=BB572_15 Depth=1
	s_or_b64 exec, exec, s[6:7]
	s_addk_i32 s15, 0x100
	s_cmp_ge_i32 s15, s17
	v_lshl_add_u64 v[2:3], v[2:3], 0, s[4:5]
	s_cbranch_scc1 .LBB572_20
.LBB572_15:                             ; =>This Inner Loop Header: Depth=1
	v_add_u32_e32 v4, s15, v0
	v_cmp_gt_i32_e32 vcc, s17, v4
	s_and_saveexec_b64 s[6:7], vcc
	s_cbranch_execz .LBB572_14
; %bb.16:                               ;   in Loop: Header=BB572_15 Depth=1
	global_load_ushort v4, v[2:3], off
	s_waitcnt vmcnt(0)
	v_lshlrev_b32_e32 v4, 16, v4
	v_mul_f32_e32 v4, s28, v4
	v_and_b32_e32 v5, 0x7f800000, v4
	v_cmp_ne_u32_e32 vcc, s26, v5
                                        ; implicit-def: $vgpr5
	s_and_saveexec_b64 s[24:25], vcc
	s_xor_b64 s[24:25], exec, s[24:25]
; %bb.17:                               ;   in Loop: Header=BB572_15 Depth=1
	v_bfe_u32 v5, v4, 16, 1
	v_add3_u32 v5, v4, v5, s27
                                        ; implicit-def: $vgpr4
; %bb.18:                               ;   in Loop: Header=BB572_15 Depth=1
	s_andn2_saveexec_b64 s[24:25], s[24:25]
	s_cbranch_execz .LBB572_13
; %bb.19:                               ;   in Loop: Header=BB572_15 Depth=1
	v_or_b32_e32 v5, 0x10000, v4
	v_cmp_eq_u32_sdwa vcc, v4, v1 src0_sel:WORD_0 src1_sel:DWORD
	s_nop 1
	v_cndmask_b32_e32 v5, v5, v4, vcc
	s_branch .LBB572_13
.LBB572_20:
	s_cbranch_execnz .LBB572_70
.LBB572_21:
	s_load_dwordx4 s[4:7], s[0:1], 0x30
	s_load_dwordx2 s[26:27], s[0:1], 0x40
	v_cmp_gt_i32_e32 vcc, s16, v0
	s_and_saveexec_b64 s[24:25], vcc
	s_cbranch_execz .LBB572_27
; %bb.22:
	s_mul_i32 s13, s2, s13
	s_mul_hi_u32 s15, s2, s12
	s_add_i32 s13, s15, s13
	s_mul_i32 s12, s2, s12
	s_load_dword s15, s[0:1], 0x48
	s_lshl_b64 s[12:13], s[12:13], 1
	s_waitcnt lgkmcnt(0)
	s_add_u32 s12, s6, s12
	s_addc_u32 s13, s7, s13
	s_lshl_b64 s[6:7], s[26:27], 1
	s_add_u32 s6, s12, s6
	s_addc_u32 s7, s13, s7
	v_mad_i64_i32 v[2:3], s[12:13], s15, v0, 0
	v_lshl_add_u64 v[2:3], v[2:3], 1, s[6:7]
	global_load_ushort v1, v[2:3], off
	s_waitcnt vmcnt(0)
	v_lshlrev_b32_e32 v1, 16, v1
	v_mul_f32_e32 v1, s3, v1
	s_mov_b32 s3, 0x7f800000
	v_and_b32_e32 v2, 0x7f800000, v1
	v_cmp_ne_u32_e32 vcc, s3, v2
                                        ; implicit-def: $vgpr2
	s_and_saveexec_b64 s[6:7], vcc
	s_xor_b64 s[6:7], exec, s[6:7]
; %bb.23:
	v_bfe_u32 v2, v1, 16, 1
	s_movk_i32 s3, 0x7fff
	v_add3_u32 v2, v1, v2, s3
                                        ; implicit-def: $vgpr1
; %bb.24:
	s_andn2_saveexec_b64 s[6:7], s[6:7]
; %bb.25:
	v_mov_b32_e32 v2, 0
	v_or_b32_e32 v3, 0x10000, v1
	v_cmp_eq_u32_sdwa vcc, v1, v2 src0_sel:WORD_0 src1_sel:DWORD
	s_nop 1
	v_cndmask_b32_e32 v2, v3, v1, vcc
; %bb.26:
	s_or_b64 exec, exec, s[6:7]
	v_and_b32_e32 v1, 0xffff0000, v2
	v_lshlrev_b32_e32 v2, 2, v0
	ds_write_b32 v2, v1
.LBB572_27:
	s_or_b64 exec, exec, s[24:25]
	s_cmp_lt_i32 s17, 1
	s_waitcnt lgkmcnt(0)
	s_barrier
	s_cbranch_scc1 .LBB572_70
; %bb.28:
	s_load_dword s0, s[0:1], 0x28
	s_lshl_b64 s[6:7], s[22:23], 1
	s_add_u32 s3, s18, s6
	s_addc_u32 s1, s19, s7
	s_lshl_b64 s[6:7], s[20:21], 1
	s_add_u32 s6, s3, s6
	s_addc_u32 s7, s1, s7
	s_waitcnt lgkmcnt(0)
	s_ashr_i32 s1, s0, 31
	s_ashr_i32 s15, s14, 31
	s_cmp_gt_i32 s16, 0
	s_cselect_b64 s[20:21], -1, 0
	s_and_b32 s22, s16, 3
	s_cmp_gt_u32 s16, 3
	s_cselect_b64 s[26:27], -1, 0
	s_and_b32 s16, s16, 0x7ffffffc
	s_cmp_lg_u32 s22, 0
	s_mul_i32 s3, s5, s2
	s_mul_hi_u32 s5, s4, s2
	s_cselect_b64 s[18:19], -1, 0
	s_add_i32 s3, s5, s3
	s_mul_i32 s2, s4, s2
	v_mad_i64_i32 v[2:3], s[4:5], s0, v0, 0
	s_lshl_b64 s[2:3], s[2:3], 1
	s_lshl_b64 s[4:5], s[10:11], 1
	s_add_u32 s4, s8, s4
	s_addc_u32 s5, s9, s5
	s_add_u32 s2, s4, s2
	s_addc_u32 s3, s5, s3
	s_lshl_b64 s[8:9], s[0:1], 9
	v_cmp_neq_f32_e64 s[0:1], s28, 0
	v_lshl_add_u64 v[2:3], v[2:3], 1, s[2:3]
	v_cndmask_b32_e64 v6, 0, 1, s[20:21]
	v_cndmask_b32_e64 v1, 0, 1, s[0:1]
	;; [unrolled: 1-line block ×3, first 2 shown]
	s_mov_b32 s13, 0
	v_lshl_add_u64 v[4:5], v[2:3], 0, 4
	v_cmp_ne_u32_e64 s[0:1], 1, v1
	s_mov_b32 s23, 0x7f800000
	s_movk_i32 s24, 0x7fff
	v_mov_b32_e32 v1, 0
	v_cmp_ne_u32_e64 s[2:3], 1, v6
	v_cmp_ne_u32_e64 s[4:5], 1, v7
	s_mov_b32 s25, 0
	s_branch .LBB572_31
.LBB572_29:                             ;   in Loop: Header=BB572_31 Depth=1
	s_or_b64 exec, exec, s[20:21]
	global_store_short_d16_hi v[6:7], v8, off
.LBB572_30:                             ;   in Loop: Header=BB572_31 Depth=1
	s_or_b64 exec, exec, s[10:11]
	s_addk_i32 s25, 0x100
	v_lshl_add_u64 v[4:5], v[4:5], 0, s[8:9]
	s_cmp_ge_i32 s25, s17
	v_lshl_add_u64 v[2:3], v[2:3], 0, s[8:9]
	s_cbranch_scc1 .LBB572_70
.LBB572_31:                             ; =>This Loop Header: Depth=1
                                        ;     Child Loop BB572_42 Depth 2
                                        ;     Child Loop BB572_62 Depth 2
	v_add_u32_e32 v6, s25, v0
	v_cmp_gt_i32_e32 vcc, s17, v6
	s_and_saveexec_b64 s[10:11], vcc
	s_cbranch_execz .LBB572_30
; %bb.32:                               ;   in Loop: Header=BB572_31 Depth=1
	v_mad_u64_u32 v[8:9], s[20:21], v6, s14, 0
	v_mov_b32_e32 v10, v9
	v_mad_u64_u32 v[6:7], s[20:21], v6, s15, v[10:11]
	v_mov_b32_e32 v9, v6
	s_and_b64 vcc, exec, s[0:1]
	v_lshl_add_u64 v[6:7], v[8:9], 1, s[6:7]
	s_cbranch_vccnz .LBB572_38
; %bb.33:                               ;   in Loop: Header=BB572_31 Depth=1
	global_load_ushort v8, v[6:7], off
	s_waitcnt vmcnt(0)
	v_lshlrev_b32_e32 v8, 16, v8
	v_mul_f32_e32 v8, s28, v8
	v_and_b32_e32 v9, 0x7f800000, v8
	v_cmp_ne_u32_e32 vcc, s23, v9
                                        ; implicit-def: $vgpr9
	s_and_saveexec_b64 s[20:21], vcc
	s_xor_b64 s[20:21], exec, s[20:21]
; %bb.34:                               ;   in Loop: Header=BB572_31 Depth=1
	v_bfe_u32 v9, v8, 16, 1
	v_add3_u32 v9, v8, v9, s24
                                        ; implicit-def: $vgpr8
; %bb.35:                               ;   in Loop: Header=BB572_31 Depth=1
	s_andn2_saveexec_b64 s[20:21], s[20:21]
; %bb.36:                               ;   in Loop: Header=BB572_31 Depth=1
	v_or_b32_e32 v9, 0x10000, v8
	v_cmp_eq_u32_sdwa vcc, v8, v1 src0_sel:WORD_0 src1_sel:DWORD
	s_nop 1
	v_cndmask_b32_e32 v9, v9, v8, vcc
; %bb.37:                               ;   in Loop: Header=BB572_31 Depth=1
	s_or_b64 exec, exec, s[20:21]
	v_and_b32_e32 v8, 0xffff0000, v9
	v_cvt_i32_f32_e32 v8, v8
	v_cvt_f32_i32_e32 v10, v8
	s_and_b64 vcc, exec, s[2:3]
	s_cbranch_vccz .LBB572_39
	s_branch .LBB572_66
.LBB572_38:                             ;   in Loop: Header=BB572_31 Depth=1
	v_mov_b32_e32 v8, 0
	v_cvt_f32_i32_e32 v10, v8
	s_and_b64 vcc, exec, s[2:3]
	s_cbranch_vccnz .LBB572_66
.LBB572_39:                             ;   in Loop: Header=BB572_31 Depth=1
	s_mov_b32 s12, 0
	s_and_b64 vcc, exec, s[4:5]
	s_cbranch_vccnz .LBB572_59
; %bb.40:                               ;   in Loop: Header=BB572_31 Depth=1
	s_mov_b32 s26, 0
	v_mov_b64_e32 v[8:9], v[4:5]
	s_branch .LBB572_42
.LBB572_41:                             ;   in Loop: Header=BB572_42 Depth=2
	s_or_b64 exec, exec, s[20:21]
	v_and_b32_e32 v11, 0xffff0000, v11
	v_add_f32_e32 v10, v10, v11
	v_and_b32_e32 v11, 0xffff0000, v12
	v_add_f32_e32 v10, v10, v11
	;; [unrolled: 2-line block ×3, first 2 shown]
	v_and_b32_e32 v11, 0xffff0000, v14
	s_add_i32 s26, s26, 4
	s_add_i32 s12, s12, 16
	v_add_f32_e32 v10, v10, v11
	s_cmp_eq_u32 s16, s26
	v_lshl_add_u64 v[8:9], v[8:9], 0, 8
	s_cbranch_scc1 .LBB572_58
.LBB572_42:                             ;   Parent Loop BB572_31 Depth=1
                                        ; =>  This Inner Loop Header: Depth=2
	global_load_ushort v11, v[8:9], off offset:-4
	v_mov_b32_e32 v12, s12
	ds_read_b32 v12, v12
	s_waitcnt vmcnt(0)
	v_lshlrev_b32_e32 v11, 16, v11
	s_waitcnt lgkmcnt(0)
	v_mul_f32_e32 v12, v12, v11
	v_and_b32_e32 v11, 0x7f800000, v12
	v_cmp_ne_u32_e32 vcc, s23, v11
                                        ; implicit-def: $vgpr11
	s_and_saveexec_b64 s[20:21], vcc
	s_xor_b64 s[20:21], exec, s[20:21]
; %bb.43:                               ;   in Loop: Header=BB572_42 Depth=2
	v_bfe_u32 v11, v12, 16, 1
	v_add3_u32 v11, v12, v11, s24
                                        ; implicit-def: $vgpr12
; %bb.44:                               ;   in Loop: Header=BB572_42 Depth=2
	s_andn2_saveexec_b64 s[20:21], s[20:21]
; %bb.45:                               ;   in Loop: Header=BB572_42 Depth=2
	v_or_b32_e32 v11, 0x10000, v12
	v_cmp_eq_u32_sdwa vcc, v12, v1 src0_sel:WORD_0 src1_sel:DWORD
	s_nop 1
	v_cndmask_b32_e32 v11, v11, v12, vcc
; %bb.46:                               ;   in Loop: Header=BB572_42 Depth=2
	s_or_b64 exec, exec, s[20:21]
	global_load_ushort v12, v[8:9], off offset:-2
	v_mov_b32_e32 v13, s12
	ds_read_b32 v13, v13 offset:4
	s_waitcnt vmcnt(0)
	v_lshlrev_b32_e32 v12, 16, v12
	s_waitcnt lgkmcnt(0)
	v_mul_f32_e32 v13, v13, v12
	v_and_b32_e32 v12, 0x7f800000, v13
	v_cmp_ne_u32_e32 vcc, s23, v12
                                        ; implicit-def: $vgpr12
	s_and_saveexec_b64 s[20:21], vcc
	s_xor_b64 s[20:21], exec, s[20:21]
; %bb.47:                               ;   in Loop: Header=BB572_42 Depth=2
	v_bfe_u32 v12, v13, 16, 1
	v_add3_u32 v12, v13, v12, s24
                                        ; implicit-def: $vgpr13
; %bb.48:                               ;   in Loop: Header=BB572_42 Depth=2
	s_andn2_saveexec_b64 s[20:21], s[20:21]
; %bb.49:                               ;   in Loop: Header=BB572_42 Depth=2
	v_or_b32_e32 v12, 0x10000, v13
	v_cmp_eq_u32_sdwa vcc, v13, v1 src0_sel:WORD_0 src1_sel:DWORD
	s_nop 1
	v_cndmask_b32_e32 v12, v12, v13, vcc
; %bb.50:                               ;   in Loop: Header=BB572_42 Depth=2
	s_or_b64 exec, exec, s[20:21]
	global_load_ushort v13, v[8:9], off
	v_mov_b32_e32 v14, s12
	ds_read_b32 v14, v14 offset:8
	s_waitcnt vmcnt(0)
	v_lshlrev_b32_e32 v13, 16, v13
	s_waitcnt lgkmcnt(0)
	v_mul_f32_e32 v14, v14, v13
	v_and_b32_e32 v13, 0x7f800000, v14
	v_cmp_ne_u32_e32 vcc, s23, v13
                                        ; implicit-def: $vgpr13
	s_and_saveexec_b64 s[20:21], vcc
	s_xor_b64 s[20:21], exec, s[20:21]
; %bb.51:                               ;   in Loop: Header=BB572_42 Depth=2
	v_bfe_u32 v13, v14, 16, 1
	v_add3_u32 v13, v14, v13, s24
                                        ; implicit-def: $vgpr14
; %bb.52:                               ;   in Loop: Header=BB572_42 Depth=2
	s_andn2_saveexec_b64 s[20:21], s[20:21]
; %bb.53:                               ;   in Loop: Header=BB572_42 Depth=2
	v_or_b32_e32 v13, 0x10000, v14
	v_cmp_eq_u32_sdwa vcc, v14, v1 src0_sel:WORD_0 src1_sel:DWORD
	s_nop 1
	v_cndmask_b32_e32 v13, v13, v14, vcc
; %bb.54:                               ;   in Loop: Header=BB572_42 Depth=2
	s_or_b64 exec, exec, s[20:21]
	global_load_ushort v14, v[8:9], off offset:2
	v_mov_b32_e32 v15, s12
	ds_read_b32 v15, v15 offset:12
	s_waitcnt vmcnt(0)
	v_lshlrev_b32_e32 v14, 16, v14
	s_waitcnt lgkmcnt(0)
	v_mul_f32_e32 v15, v15, v14
	v_and_b32_e32 v14, 0x7f800000, v15
	v_cmp_ne_u32_e32 vcc, s23, v14
                                        ; implicit-def: $vgpr14
	s_and_saveexec_b64 s[20:21], vcc
	s_xor_b64 s[20:21], exec, s[20:21]
; %bb.55:                               ;   in Loop: Header=BB572_42 Depth=2
	v_bfe_u32 v14, v15, 16, 1
	v_add3_u32 v14, v15, v14, s24
                                        ; implicit-def: $vgpr15
; %bb.56:                               ;   in Loop: Header=BB572_42 Depth=2
	s_andn2_saveexec_b64 s[20:21], s[20:21]
	s_cbranch_execz .LBB572_41
; %bb.57:                               ;   in Loop: Header=BB572_42 Depth=2
	v_or_b32_e32 v14, 0x10000, v15
	v_cmp_eq_u32_sdwa vcc, v15, v1 src0_sel:WORD_0 src1_sel:DWORD
	s_nop 1
	v_cndmask_b32_e32 v14, v14, v15, vcc
	s_branch .LBB572_41
.LBB572_58:                             ;   in Loop: Header=BB572_31 Depth=1
	s_mov_b32 s12, s16
.LBB572_59:                             ;   in Loop: Header=BB572_31 Depth=1
	s_andn2_b64 vcc, exec, s[18:19]
	s_cbranch_vccnz .LBB572_66
; %bb.60:                               ;   in Loop: Header=BB572_31 Depth=1
	s_lshl_b32 s26, s12, 2
	s_lshl_b32 s12, s12, 1
	v_lshl_add_u64 v[8:9], v[2:3], 0, s[12:13]
	s_mov_b32 s12, s22
	s_branch .LBB572_62
.LBB572_61:                             ;   in Loop: Header=BB572_62 Depth=2
	s_or_b64 exec, exec, s[20:21]
	v_and_b32_e32 v11, 0xffff0000, v12
	s_add_i32 s26, s26, 4
	s_add_i32 s12, s12, -1
	v_add_f32_e32 v10, v10, v11
	s_cmp_lg_u32 s12, 0
	v_lshl_add_u64 v[8:9], v[8:9], 0, 2
	s_cbranch_scc0 .LBB572_66
.LBB572_62:                             ;   Parent Loop BB572_31 Depth=1
                                        ; =>  This Inner Loop Header: Depth=2
	global_load_ushort v11, v[8:9], off
	v_mov_b32_e32 v12, s26
	ds_read_b32 v12, v12
	s_waitcnt vmcnt(0)
	v_lshlrev_b32_e32 v11, 16, v11
	s_waitcnt lgkmcnt(0)
	v_mul_f32_e32 v11, v12, v11
	v_and_b32_e32 v12, 0x7f800000, v11
	v_cmp_ne_u32_e32 vcc, s23, v12
                                        ; implicit-def: $vgpr12
	s_and_saveexec_b64 s[20:21], vcc
	s_xor_b64 s[20:21], exec, s[20:21]
; %bb.63:                               ;   in Loop: Header=BB572_62 Depth=2
	v_bfe_u32 v12, v11, 16, 1
	v_add3_u32 v12, v11, v12, s24
                                        ; implicit-def: $vgpr11
; %bb.64:                               ;   in Loop: Header=BB572_62 Depth=2
	s_andn2_saveexec_b64 s[20:21], s[20:21]
	s_cbranch_execz .LBB572_61
; %bb.65:                               ;   in Loop: Header=BB572_62 Depth=2
	v_or_b32_e32 v12, 0x10000, v11
	v_cmp_eq_u32_sdwa vcc, v11, v1 src0_sel:WORD_0 src1_sel:DWORD
	s_nop 1
	v_cndmask_b32_e32 v12, v12, v11, vcc
	s_branch .LBB572_61
.LBB572_66:                             ;   in Loop: Header=BB572_31 Depth=1
	v_and_b32_e32 v8, 0x7f800000, v10
	v_cmp_ne_u32_e32 vcc, s23, v8
                                        ; implicit-def: $vgpr8
	s_and_saveexec_b64 s[20:21], vcc
	s_xor_b64 s[20:21], exec, s[20:21]
; %bb.67:                               ;   in Loop: Header=BB572_31 Depth=1
	v_bfe_u32 v8, v10, 16, 1
	v_add3_u32 v8, v10, v8, s24
                                        ; implicit-def: $vgpr10
; %bb.68:                               ;   in Loop: Header=BB572_31 Depth=1
	s_andn2_saveexec_b64 s[20:21], s[20:21]
	s_cbranch_execz .LBB572_29
; %bb.69:                               ;   in Loop: Header=BB572_31 Depth=1
	v_or_b32_e32 v8, 0x10000, v10
	v_cmp_eq_u32_sdwa vcc, v10, v1 src0_sel:WORD_0 src1_sel:DWORD
	s_nop 1
	v_cndmask_b32_e32 v8, v8, v10, vcc
	s_branch .LBB572_29
.LBB572_70:
	s_endpgm
	.section	.rodata,"a",@progbits
	.p2align	6, 0x0
	.amdhsa_kernel _ZL22rocblas_gemvtsm_kernelILb1ELi256E16rocblas_bfloat16PKfS0_EviiT2_lPKT1_lilS6_lilS3_lPT3_lil
		.amdhsa_group_segment_fixed_size 256
		.amdhsa_private_segment_fixed_size 0
		.amdhsa_kernarg_size 136
		.amdhsa_user_sgpr_count 2
		.amdhsa_user_sgpr_dispatch_ptr 0
		.amdhsa_user_sgpr_queue_ptr 0
		.amdhsa_user_sgpr_kernarg_segment_ptr 1
		.amdhsa_user_sgpr_dispatch_id 0
		.amdhsa_user_sgpr_kernarg_preload_length 0
		.amdhsa_user_sgpr_kernarg_preload_offset 0
		.amdhsa_user_sgpr_private_segment_size 0
		.amdhsa_uses_dynamic_stack 0
		.amdhsa_enable_private_segment 0
		.amdhsa_system_sgpr_workgroup_id_x 1
		.amdhsa_system_sgpr_workgroup_id_y 0
		.amdhsa_system_sgpr_workgroup_id_z 0
		.amdhsa_system_sgpr_workgroup_info 0
		.amdhsa_system_vgpr_workitem_id 0
		.amdhsa_next_free_vgpr 16
		.amdhsa_next_free_sgpr 29
		.amdhsa_accum_offset 16
		.amdhsa_reserve_vcc 1
		.amdhsa_float_round_mode_32 0
		.amdhsa_float_round_mode_16_64 0
		.amdhsa_float_denorm_mode_32 3
		.amdhsa_float_denorm_mode_16_64 3
		.amdhsa_dx10_clamp 1
		.amdhsa_ieee_mode 1
		.amdhsa_fp16_overflow 0
		.amdhsa_tg_split 0
		.amdhsa_exception_fp_ieee_invalid_op 0
		.amdhsa_exception_fp_denorm_src 0
		.amdhsa_exception_fp_ieee_div_zero 0
		.amdhsa_exception_fp_ieee_overflow 0
		.amdhsa_exception_fp_ieee_underflow 0
		.amdhsa_exception_fp_ieee_inexact 0
		.amdhsa_exception_int_div_zero 0
	.end_amdhsa_kernel
	.section	.text._ZL22rocblas_gemvtsm_kernelILb1ELi256E16rocblas_bfloat16PKfS0_EviiT2_lPKT1_lilS6_lilS3_lPT3_lil,"axG",@progbits,_ZL22rocblas_gemvtsm_kernelILb1ELi256E16rocblas_bfloat16PKfS0_EviiT2_lPKT1_lilS6_lilS3_lPT3_lil,comdat
.Lfunc_end572:
	.size	_ZL22rocblas_gemvtsm_kernelILb1ELi256E16rocblas_bfloat16PKfS0_EviiT2_lPKT1_lilS6_lilS3_lPT3_lil, .Lfunc_end572-_ZL22rocblas_gemvtsm_kernelILb1ELi256E16rocblas_bfloat16PKfS0_EviiT2_lPKT1_lilS6_lilS3_lPT3_lil
                                        ; -- End function
	.section	.AMDGPU.csdata,"",@progbits
; Kernel info:
; codeLenInByte = 2076
; NumSgprs: 35
; NumVgprs: 16
; NumAgprs: 0
; TotalNumVgprs: 16
; ScratchSize: 0
; MemoryBound: 0
; FloatMode: 240
; IeeeMode: 1
; LDSByteSize: 256 bytes/workgroup (compile time only)
; SGPRBlocks: 4
; VGPRBlocks: 1
; NumSGPRsForWavesPerEU: 35
; NumVGPRsForWavesPerEU: 16
; AccumOffset: 16
; Occupancy: 8
; WaveLimiterHint : 1
; COMPUTE_PGM_RSRC2:SCRATCH_EN: 0
; COMPUTE_PGM_RSRC2:USER_SGPR: 2
; COMPUTE_PGM_RSRC2:TRAP_HANDLER: 0
; COMPUTE_PGM_RSRC2:TGID_X_EN: 1
; COMPUTE_PGM_RSRC2:TGID_Y_EN: 0
; COMPUTE_PGM_RSRC2:TGID_Z_EN: 0
; COMPUTE_PGM_RSRC2:TIDIG_COMP_CNT: 0
; COMPUTE_PGM_RSRC3_GFX90A:ACCUM_OFFSET: 3
; COMPUTE_PGM_RSRC3_GFX90A:TG_SPLIT: 0
	.section	.text._ZL22rocblas_gemvtsm_kernelILb1ELi256E16rocblas_bfloat16fS0_EviiT2_lPKT1_lilS4_lilS1_lPT3_lil,"axG",@progbits,_ZL22rocblas_gemvtsm_kernelILb1ELi256E16rocblas_bfloat16fS0_EviiT2_lPKT1_lilS4_lilS1_lPT3_lil,comdat
	.globl	_ZL22rocblas_gemvtsm_kernelILb1ELi256E16rocblas_bfloat16fS0_EviiT2_lPKT1_lilS4_lilS1_lPT3_lil ; -- Begin function _ZL22rocblas_gemvtsm_kernelILb1ELi256E16rocblas_bfloat16fS0_EviiT2_lPKT1_lilS4_lilS1_lPT3_lil
	.p2align	8
	.type	_ZL22rocblas_gemvtsm_kernelILb1ELi256E16rocblas_bfloat16fS0_EviiT2_lPKT1_lilS4_lilS1_lPT3_lil,@function
_ZL22rocblas_gemvtsm_kernelILb1ELi256E16rocblas_bfloat16fS0_EviiT2_lPKT1_lilS4_lilS1_lPT3_lil: ; @_ZL22rocblas_gemvtsm_kernelILb1ELi256E16rocblas_bfloat16fS0_EviiT2_lPKT1_lilS4_lilS1_lPT3_lil
; %bb.0:
	s_load_dwordx4 s[8:11], s[0:1], 0x0
	s_load_dword s24, s[0:1], 0x58
	s_waitcnt lgkmcnt(0)
	v_cmp_eq_f32_e64 s[4:5], s10, 0
	v_cmp_eq_f32_e64 s[6:7], s24, 1.0
	s_and_b64 s[4:5], s[4:5], s[6:7]
	s_and_b64 vcc, exec, s[4:5]
	s_cbranch_vccnz .LBB573_70
; %bb.1:
	s_load_dwordx2 s[4:5], s[0:1], 0x80
	s_load_dwordx4 s[12:15], s[0:1], 0x68
	s_load_dword s16, s[0:1], 0x78
	s_waitcnt lgkmcnt(0)
	s_mul_i32 s3, s2, s5
	s_mul_hi_u32 s5, s2, s4
	s_mul_i32 s18, s2, s4
	s_add_i32 s19, s5, s3
	v_cmp_neq_f32_e64 s[4:5], s10, 0
	s_and_b64 vcc, exec, s[4:5]
	s_cbranch_vccnz .LBB573_9
; %bb.2:
	s_cmp_gt_i32 s9, 0
	s_cselect_b64 s[6:7], -1, 0
	v_cmp_neq_f32_e64 s[4:5], s24, 0
	v_cndmask_b32_e64 v1, 0, 1, s[6:7]
	s_and_b64 vcc, exec, s[4:5]
	v_cmp_ne_u32_e64 s[4:5], 1, v1
	s_cbranch_vccnz .LBB573_10
; %bb.3:
	s_and_b64 vcc, exec, s[4:5]
	s_cbranch_vccnz .LBB573_8
; %bb.4:
	v_mad_i64_i32 v[2:3], s[20:21], s16, v0, 0
	s_ashr_i32 s17, s16, 31
	s_lshl_b64 s[6:7], s[18:19], 1
	s_lshl_b64 s[20:21], s[14:15], 1
	s_add_u32 s3, s12, s20
	s_addc_u32 s11, s13, s21
	s_add_u32 s6, s3, s6
	s_addc_u32 s7, s11, s7
	v_lshl_add_u64 v[2:3], v[2:3], 1, s[6:7]
	s_lshl_b64 s[6:7], s[16:17], 9
	s_mov_b32 s3, 0
	v_mov_b32_e32 v1, 0
	s_branch .LBB573_6
.LBB573_5:                              ;   in Loop: Header=BB573_6 Depth=1
	s_or_b64 exec, exec, s[20:21]
	s_addk_i32 s3, 0x100
	s_cmp_ge_i32 s3, s9
	v_lshl_add_u64 v[2:3], v[2:3], 0, s[6:7]
	s_cbranch_scc1 .LBB573_8
.LBB573_6:                              ; =>This Inner Loop Header: Depth=1
	v_add_u32_e32 v4, s3, v0
	v_cmp_gt_i32_e32 vcc, s9, v4
	s_and_saveexec_b64 s[20:21], vcc
	s_cbranch_execz .LBB573_5
; %bb.7:                                ;   in Loop: Header=BB573_6 Depth=1
	global_store_short v[2:3], v1, off
	s_branch .LBB573_5
.LBB573_8:
	s_cbranch_execz .LBB573_11
	s_branch .LBB573_20
.LBB573_9:
	s_branch .LBB573_21
.LBB573_10:
.LBB573_11:
	s_and_b64 vcc, exec, s[4:5]
	s_cbranch_vccnz .LBB573_20
; %bb.12:
	v_mad_i64_i32 v[2:3], s[6:7], s16, v0, 0
	s_ashr_i32 s17, s16, 31
	s_lshl_b64 s[4:5], s[18:19], 1
	s_lshl_b64 s[6:7], s[14:15], 1
	s_add_u32 s3, s12, s6
	s_addc_u32 s6, s13, s7
	s_add_u32 s4, s3, s4
	s_addc_u32 s5, s6, s5
	v_lshl_add_u64 v[2:3], v[2:3], 1, s[4:5]
	s_lshl_b64 s[4:5], s[16:17], 9
	s_mov_b32 s3, 0
	s_mov_b32 s11, 0x7f800000
	s_movk_i32 s17, 0x7fff
	v_mov_b32_e32 v1, 0
	s_branch .LBB573_15
.LBB573_13:                             ;   in Loop: Header=BB573_15 Depth=1
	s_or_b64 exec, exec, s[20:21]
	global_store_short_d16_hi v[2:3], v5, off
.LBB573_14:                             ;   in Loop: Header=BB573_15 Depth=1
	s_or_b64 exec, exec, s[6:7]
	s_addk_i32 s3, 0x100
	s_cmp_ge_i32 s3, s9
	v_lshl_add_u64 v[2:3], v[2:3], 0, s[4:5]
	s_cbranch_scc1 .LBB573_20
.LBB573_15:                             ; =>This Inner Loop Header: Depth=1
	v_add_u32_e32 v4, s3, v0
	v_cmp_gt_i32_e32 vcc, s9, v4
	s_and_saveexec_b64 s[6:7], vcc
	s_cbranch_execz .LBB573_14
; %bb.16:                               ;   in Loop: Header=BB573_15 Depth=1
	global_load_ushort v4, v[2:3], off
	s_waitcnt vmcnt(0)
	v_lshlrev_b32_e32 v4, 16, v4
	v_mul_f32_e32 v4, s24, v4
	v_and_b32_e32 v5, 0x7f800000, v4
	v_cmp_ne_u32_e32 vcc, s11, v5
                                        ; implicit-def: $vgpr5
	s_and_saveexec_b64 s[20:21], vcc
	s_xor_b64 s[20:21], exec, s[20:21]
; %bb.17:                               ;   in Loop: Header=BB573_15 Depth=1
	v_bfe_u32 v5, v4, 16, 1
	v_add3_u32 v5, v4, v5, s17
                                        ; implicit-def: $vgpr4
; %bb.18:                               ;   in Loop: Header=BB573_15 Depth=1
	s_andn2_saveexec_b64 s[20:21], s[20:21]
	s_cbranch_execz .LBB573_13
; %bb.19:                               ;   in Loop: Header=BB573_15 Depth=1
	v_or_b32_e32 v5, 0x10000, v4
	v_cmp_eq_u32_sdwa vcc, v4, v1 src0_sel:WORD_0 src1_sel:DWORD
	s_nop 1
	v_cndmask_b32_e32 v5, v5, v4, vcc
	s_branch .LBB573_13
.LBB573_20:
	s_cbranch_execnz .LBB573_70
.LBB573_21:
	s_load_dwordx4 s[4:7], s[0:1], 0x30
	s_load_dwordx2 s[22:23], s[0:1], 0x40
	v_cmp_gt_i32_e32 vcc, s8, v0
	s_and_saveexec_b64 s[20:21], vcc
	s_cbranch_execz .LBB573_27
; %bb.22:
	s_load_dwordx2 s[26:27], s[0:1], 0x50
	s_load_dword s3, s[0:1], 0x48
	s_waitcnt lgkmcnt(0)
	s_mul_i32 s11, s2, s27
	s_mul_hi_u32 s17, s2, s26
	s_mul_i32 s26, s2, s26
	s_add_i32 s27, s17, s11
	s_lshl_b64 s[26:27], s[26:27], 1
	s_add_u32 s11, s6, s26
	s_addc_u32 s17, s7, s27
	s_lshl_b64 s[6:7], s[22:23], 1
	s_add_u32 s6, s11, s6
	s_addc_u32 s7, s17, s7
	v_mad_i64_i32 v[2:3], s[22:23], s3, v0, 0
	v_lshl_add_u64 v[2:3], v[2:3], 1, s[6:7]
	global_load_ushort v1, v[2:3], off
	s_mov_b32 s3, 0x7f800000
	s_waitcnt vmcnt(0)
	v_lshlrev_b32_e32 v1, 16, v1
	v_mul_f32_e32 v1, s10, v1
	v_and_b32_e32 v2, 0x7f800000, v1
	v_cmp_ne_u32_e32 vcc, s3, v2
                                        ; implicit-def: $vgpr2
	s_and_saveexec_b64 s[6:7], vcc
	s_xor_b64 s[6:7], exec, s[6:7]
; %bb.23:
	v_bfe_u32 v2, v1, 16, 1
	s_movk_i32 s3, 0x7fff
	v_add3_u32 v2, v1, v2, s3
                                        ; implicit-def: $vgpr1
; %bb.24:
	s_andn2_saveexec_b64 s[6:7], s[6:7]
; %bb.25:
	v_mov_b32_e32 v2, 0
	v_or_b32_e32 v3, 0x10000, v1
	v_cmp_eq_u32_sdwa vcc, v1, v2 src0_sel:WORD_0 src1_sel:DWORD
	s_nop 1
	v_cndmask_b32_e32 v2, v3, v1, vcc
; %bb.26:
	s_or_b64 exec, exec, s[6:7]
	v_and_b32_e32 v1, 0xffff0000, v2
	v_lshlrev_b32_e32 v2, 2, v0
	ds_write_b32 v2, v1
.LBB573_27:
	s_or_b64 exec, exec, s[20:21]
	s_cmp_lt_i32 s9, 1
	s_waitcnt lgkmcnt(0)
	s_barrier
	s_cbranch_scc1 .LBB573_70
; %bb.28:
	s_lshl_b64 s[6:7], s[18:19], 1
	s_add_u32 s3, s12, s6
	s_load_dwordx4 s[28:31], s[0:1], 0x18
	s_load_dword s6, s[0:1], 0x28
	s_addc_u32 s7, s13, s7
	s_lshl_b64 s[0:1], s[14:15], 1
	s_add_u32 s10, s3, s0
	s_addc_u32 s11, s7, s1
	s_waitcnt lgkmcnt(0)
	s_ashr_i32 s7, s6, 31
	s_ashr_i32 s17, s16, 31
	s_cmp_gt_i32 s8, 0
	s_cselect_b64 s[18:19], -1, 0
	s_and_b32 s22, s8, 3
	s_cmp_gt_u32 s8, 3
	s_cselect_b64 s[20:21], -1, 0
	s_and_b32 s8, s8, 0x7ffffffc
	s_cmp_lg_u32 s22, 0
	s_mul_i32 s0, s5, s2
	s_mul_hi_u32 s1, s4, s2
	s_cselect_b64 s[26:27], -1, 0
	s_add_i32 s1, s1, s0
	s_mul_i32 s0, s4, s2
	v_mad_i64_i32 v[2:3], s[2:3], s6, v0, 0
	s_lshl_b64 s[0:1], s[0:1], 1
	s_lshl_b64 s[2:3], s[30:31], 1
	s_add_u32 s2, s28, s2
	s_addc_u32 s3, s29, s3
	s_add_u32 s0, s2, s0
	s_addc_u32 s1, s3, s1
	v_lshl_add_u64 v[2:3], v[2:3], 1, s[0:1]
	v_cmp_neq_f32_e64 s[0:1], s24, 0
	v_cndmask_b32_e64 v6, 0, 1, s[18:19]
	v_cndmask_b32_e64 v7, 0, 1, s[26:27]
	;; [unrolled: 1-line block ×3, first 2 shown]
	v_cmp_ne_u32_e64 s[0:1], 1, v1
	v_cndmask_b32_e64 v1, 0, 1, s[20:21]
	s_mov_b32 s13, 0
	v_lshl_add_u64 v[4:5], v[2:3], 0, 4
	s_lshl_b64 s[14:15], s[6:7], 9
	s_mov_b32 s23, 0x7f800000
	s_movk_i32 s25, 0x7fff
	v_cmp_ne_u32_e64 s[2:3], 1, v1
	v_mov_b32_e32 v1, 0
	v_cmp_ne_u32_e64 s[4:5], 1, v6
	v_cmp_ne_u32_e64 s[6:7], 1, v7
	s_mov_b32 s26, 0
	s_branch .LBB573_31
.LBB573_29:                             ;   in Loop: Header=BB573_31 Depth=1
	s_or_b64 exec, exec, s[20:21]
	global_store_short_d16_hi v[6:7], v8, off
.LBB573_30:                             ;   in Loop: Header=BB573_31 Depth=1
	s_or_b64 exec, exec, s[18:19]
	s_addk_i32 s26, 0x100
	v_lshl_add_u64 v[4:5], v[4:5], 0, s[14:15]
	s_cmp_ge_i32 s26, s9
	v_lshl_add_u64 v[2:3], v[2:3], 0, s[14:15]
	s_cbranch_scc1 .LBB573_70
.LBB573_31:                             ; =>This Loop Header: Depth=1
                                        ;     Child Loop BB573_42 Depth 2
                                        ;     Child Loop BB573_62 Depth 2
	v_add_u32_e32 v6, s26, v0
	v_cmp_gt_i32_e32 vcc, s9, v6
	s_and_saveexec_b64 s[18:19], vcc
	s_cbranch_execz .LBB573_30
; %bb.32:                               ;   in Loop: Header=BB573_31 Depth=1
	v_mad_u64_u32 v[8:9], s[20:21], v6, s16, 0
	v_mov_b32_e32 v10, v9
	v_mad_u64_u32 v[6:7], s[20:21], v6, s17, v[10:11]
	v_mov_b32_e32 v9, v6
	s_and_b64 vcc, exec, s[0:1]
	v_lshl_add_u64 v[6:7], v[8:9], 1, s[10:11]
	s_cbranch_vccnz .LBB573_38
; %bb.33:                               ;   in Loop: Header=BB573_31 Depth=1
	global_load_ushort v8, v[6:7], off
	s_waitcnt vmcnt(0)
	v_lshlrev_b32_e32 v8, 16, v8
	v_mul_f32_e32 v8, s24, v8
	v_and_b32_e32 v9, 0x7f800000, v8
	v_cmp_ne_u32_e32 vcc, s23, v9
                                        ; implicit-def: $vgpr9
	s_and_saveexec_b64 s[20:21], vcc
	s_xor_b64 s[20:21], exec, s[20:21]
; %bb.34:                               ;   in Loop: Header=BB573_31 Depth=1
	v_bfe_u32 v9, v8, 16, 1
	v_add3_u32 v9, v8, v9, s25
                                        ; implicit-def: $vgpr8
; %bb.35:                               ;   in Loop: Header=BB573_31 Depth=1
	s_andn2_saveexec_b64 s[20:21], s[20:21]
; %bb.36:                               ;   in Loop: Header=BB573_31 Depth=1
	v_or_b32_e32 v9, 0x10000, v8
	v_cmp_eq_u32_sdwa vcc, v8, v1 src0_sel:WORD_0 src1_sel:DWORD
	s_nop 1
	v_cndmask_b32_e32 v9, v9, v8, vcc
; %bb.37:                               ;   in Loop: Header=BB573_31 Depth=1
	s_or_b64 exec, exec, s[20:21]
	v_and_b32_e32 v8, 0xffff0000, v9
	v_cvt_i32_f32_e32 v8, v8
	v_cvt_f32_i32_e32 v10, v8
	s_and_b64 vcc, exec, s[4:5]
	s_cbranch_vccz .LBB573_39
	s_branch .LBB573_66
.LBB573_38:                             ;   in Loop: Header=BB573_31 Depth=1
	v_mov_b32_e32 v8, 0
	v_cvt_f32_i32_e32 v10, v8
	s_and_b64 vcc, exec, s[4:5]
	s_cbranch_vccnz .LBB573_66
.LBB573_39:                             ;   in Loop: Header=BB573_31 Depth=1
	s_mov_b32 s12, 0
	s_and_b64 vcc, exec, s[2:3]
	s_cbranch_vccnz .LBB573_59
; %bb.40:                               ;   in Loop: Header=BB573_31 Depth=1
	s_mov_b32 s27, 0
	v_mov_b64_e32 v[8:9], v[4:5]
	s_branch .LBB573_42
.LBB573_41:                             ;   in Loop: Header=BB573_42 Depth=2
	s_or_b64 exec, exec, s[20:21]
	v_and_b32_e32 v11, 0xffff0000, v11
	v_add_f32_e32 v10, v10, v11
	v_and_b32_e32 v11, 0xffff0000, v12
	v_add_f32_e32 v10, v10, v11
	;; [unrolled: 2-line block ×3, first 2 shown]
	v_and_b32_e32 v11, 0xffff0000, v14
	s_add_i32 s27, s27, 4
	s_add_i32 s12, s12, 16
	v_add_f32_e32 v10, v10, v11
	s_cmp_eq_u32 s8, s27
	v_lshl_add_u64 v[8:9], v[8:9], 0, 8
	s_cbranch_scc1 .LBB573_58
.LBB573_42:                             ;   Parent Loop BB573_31 Depth=1
                                        ; =>  This Inner Loop Header: Depth=2
	global_load_ushort v11, v[8:9], off offset:-4
	v_mov_b32_e32 v12, s12
	ds_read_b32 v12, v12
	s_waitcnt vmcnt(0)
	v_lshlrev_b32_e32 v11, 16, v11
	s_waitcnt lgkmcnt(0)
	v_mul_f32_e32 v12, v12, v11
	v_and_b32_e32 v11, 0x7f800000, v12
	v_cmp_ne_u32_e32 vcc, s23, v11
                                        ; implicit-def: $vgpr11
	s_and_saveexec_b64 s[20:21], vcc
	s_xor_b64 s[20:21], exec, s[20:21]
; %bb.43:                               ;   in Loop: Header=BB573_42 Depth=2
	v_bfe_u32 v11, v12, 16, 1
	v_add3_u32 v11, v12, v11, s25
                                        ; implicit-def: $vgpr12
; %bb.44:                               ;   in Loop: Header=BB573_42 Depth=2
	s_andn2_saveexec_b64 s[20:21], s[20:21]
; %bb.45:                               ;   in Loop: Header=BB573_42 Depth=2
	v_or_b32_e32 v11, 0x10000, v12
	v_cmp_eq_u32_sdwa vcc, v12, v1 src0_sel:WORD_0 src1_sel:DWORD
	s_nop 1
	v_cndmask_b32_e32 v11, v11, v12, vcc
; %bb.46:                               ;   in Loop: Header=BB573_42 Depth=2
	s_or_b64 exec, exec, s[20:21]
	global_load_ushort v12, v[8:9], off offset:-2
	v_mov_b32_e32 v13, s12
	ds_read_b32 v13, v13 offset:4
	s_waitcnt vmcnt(0)
	v_lshlrev_b32_e32 v12, 16, v12
	s_waitcnt lgkmcnt(0)
	v_mul_f32_e32 v13, v13, v12
	v_and_b32_e32 v12, 0x7f800000, v13
	v_cmp_ne_u32_e32 vcc, s23, v12
                                        ; implicit-def: $vgpr12
	s_and_saveexec_b64 s[20:21], vcc
	s_xor_b64 s[20:21], exec, s[20:21]
; %bb.47:                               ;   in Loop: Header=BB573_42 Depth=2
	v_bfe_u32 v12, v13, 16, 1
	v_add3_u32 v12, v13, v12, s25
                                        ; implicit-def: $vgpr13
; %bb.48:                               ;   in Loop: Header=BB573_42 Depth=2
	s_andn2_saveexec_b64 s[20:21], s[20:21]
; %bb.49:                               ;   in Loop: Header=BB573_42 Depth=2
	v_or_b32_e32 v12, 0x10000, v13
	v_cmp_eq_u32_sdwa vcc, v13, v1 src0_sel:WORD_0 src1_sel:DWORD
	s_nop 1
	v_cndmask_b32_e32 v12, v12, v13, vcc
; %bb.50:                               ;   in Loop: Header=BB573_42 Depth=2
	s_or_b64 exec, exec, s[20:21]
	global_load_ushort v13, v[8:9], off
	v_mov_b32_e32 v14, s12
	ds_read_b32 v14, v14 offset:8
	s_waitcnt vmcnt(0)
	v_lshlrev_b32_e32 v13, 16, v13
	s_waitcnt lgkmcnt(0)
	v_mul_f32_e32 v14, v14, v13
	v_and_b32_e32 v13, 0x7f800000, v14
	v_cmp_ne_u32_e32 vcc, s23, v13
                                        ; implicit-def: $vgpr13
	s_and_saveexec_b64 s[20:21], vcc
	s_xor_b64 s[20:21], exec, s[20:21]
; %bb.51:                               ;   in Loop: Header=BB573_42 Depth=2
	v_bfe_u32 v13, v14, 16, 1
	v_add3_u32 v13, v14, v13, s25
                                        ; implicit-def: $vgpr14
; %bb.52:                               ;   in Loop: Header=BB573_42 Depth=2
	s_andn2_saveexec_b64 s[20:21], s[20:21]
; %bb.53:                               ;   in Loop: Header=BB573_42 Depth=2
	v_or_b32_e32 v13, 0x10000, v14
	v_cmp_eq_u32_sdwa vcc, v14, v1 src0_sel:WORD_0 src1_sel:DWORD
	s_nop 1
	v_cndmask_b32_e32 v13, v13, v14, vcc
; %bb.54:                               ;   in Loop: Header=BB573_42 Depth=2
	s_or_b64 exec, exec, s[20:21]
	global_load_ushort v14, v[8:9], off offset:2
	v_mov_b32_e32 v15, s12
	ds_read_b32 v15, v15 offset:12
	s_waitcnt vmcnt(0)
	v_lshlrev_b32_e32 v14, 16, v14
	s_waitcnt lgkmcnt(0)
	v_mul_f32_e32 v15, v15, v14
	v_and_b32_e32 v14, 0x7f800000, v15
	v_cmp_ne_u32_e32 vcc, s23, v14
                                        ; implicit-def: $vgpr14
	s_and_saveexec_b64 s[20:21], vcc
	s_xor_b64 s[20:21], exec, s[20:21]
; %bb.55:                               ;   in Loop: Header=BB573_42 Depth=2
	v_bfe_u32 v14, v15, 16, 1
	v_add3_u32 v14, v15, v14, s25
                                        ; implicit-def: $vgpr15
; %bb.56:                               ;   in Loop: Header=BB573_42 Depth=2
	s_andn2_saveexec_b64 s[20:21], s[20:21]
	s_cbranch_execz .LBB573_41
; %bb.57:                               ;   in Loop: Header=BB573_42 Depth=2
	v_or_b32_e32 v14, 0x10000, v15
	v_cmp_eq_u32_sdwa vcc, v15, v1 src0_sel:WORD_0 src1_sel:DWORD
	s_nop 1
	v_cndmask_b32_e32 v14, v14, v15, vcc
	s_branch .LBB573_41
.LBB573_58:                             ;   in Loop: Header=BB573_31 Depth=1
	s_mov_b32 s12, s8
.LBB573_59:                             ;   in Loop: Header=BB573_31 Depth=1
	s_and_b64 vcc, exec, s[6:7]
	s_cbranch_vccnz .LBB573_66
; %bb.60:                               ;   in Loop: Header=BB573_31 Depth=1
	s_lshl_b32 s27, s12, 2
	s_lshl_b32 s12, s12, 1
	v_lshl_add_u64 v[8:9], v[2:3], 0, s[12:13]
	s_mov_b32 s12, s22
	s_branch .LBB573_62
.LBB573_61:                             ;   in Loop: Header=BB573_62 Depth=2
	s_or_b64 exec, exec, s[20:21]
	v_and_b32_e32 v11, 0xffff0000, v12
	s_add_i32 s27, s27, 4
	s_add_i32 s12, s12, -1
	v_add_f32_e32 v10, v10, v11
	s_cmp_lg_u32 s12, 0
	v_lshl_add_u64 v[8:9], v[8:9], 0, 2
	s_cbranch_scc0 .LBB573_66
.LBB573_62:                             ;   Parent Loop BB573_31 Depth=1
                                        ; =>  This Inner Loop Header: Depth=2
	global_load_ushort v11, v[8:9], off
	v_mov_b32_e32 v12, s27
	ds_read_b32 v12, v12
	s_waitcnt vmcnt(0)
	v_lshlrev_b32_e32 v11, 16, v11
	s_waitcnt lgkmcnt(0)
	v_mul_f32_e32 v11, v12, v11
	v_and_b32_e32 v12, 0x7f800000, v11
	v_cmp_ne_u32_e32 vcc, s23, v12
                                        ; implicit-def: $vgpr12
	s_and_saveexec_b64 s[20:21], vcc
	s_xor_b64 s[20:21], exec, s[20:21]
; %bb.63:                               ;   in Loop: Header=BB573_62 Depth=2
	v_bfe_u32 v12, v11, 16, 1
	v_add3_u32 v12, v11, v12, s25
                                        ; implicit-def: $vgpr11
; %bb.64:                               ;   in Loop: Header=BB573_62 Depth=2
	s_andn2_saveexec_b64 s[20:21], s[20:21]
	s_cbranch_execz .LBB573_61
; %bb.65:                               ;   in Loop: Header=BB573_62 Depth=2
	v_or_b32_e32 v12, 0x10000, v11
	v_cmp_eq_u32_sdwa vcc, v11, v1 src0_sel:WORD_0 src1_sel:DWORD
	s_nop 1
	v_cndmask_b32_e32 v12, v12, v11, vcc
	s_branch .LBB573_61
.LBB573_66:                             ;   in Loop: Header=BB573_31 Depth=1
	v_and_b32_e32 v8, 0x7f800000, v10
	v_cmp_ne_u32_e32 vcc, s23, v8
                                        ; implicit-def: $vgpr8
	s_and_saveexec_b64 s[20:21], vcc
	s_xor_b64 s[20:21], exec, s[20:21]
; %bb.67:                               ;   in Loop: Header=BB573_31 Depth=1
	v_bfe_u32 v8, v10, 16, 1
	v_add3_u32 v8, v10, v8, s25
                                        ; implicit-def: $vgpr10
; %bb.68:                               ;   in Loop: Header=BB573_31 Depth=1
	s_andn2_saveexec_b64 s[20:21], s[20:21]
	s_cbranch_execz .LBB573_29
; %bb.69:                               ;   in Loop: Header=BB573_31 Depth=1
	v_or_b32_e32 v8, 0x10000, v10
	v_cmp_eq_u32_sdwa vcc, v10, v1 src0_sel:WORD_0 src1_sel:DWORD
	s_nop 1
	v_cndmask_b32_e32 v8, v8, v10, vcc
	s_branch .LBB573_29
.LBB573_70:
	s_endpgm
	.section	.rodata,"a",@progbits
	.p2align	6, 0x0
	.amdhsa_kernel _ZL22rocblas_gemvtsm_kernelILb1ELi256E16rocblas_bfloat16fS0_EviiT2_lPKT1_lilS4_lilS1_lPT3_lil
		.amdhsa_group_segment_fixed_size 256
		.amdhsa_private_segment_fixed_size 0
		.amdhsa_kernarg_size 136
		.amdhsa_user_sgpr_count 2
		.amdhsa_user_sgpr_dispatch_ptr 0
		.amdhsa_user_sgpr_queue_ptr 0
		.amdhsa_user_sgpr_kernarg_segment_ptr 1
		.amdhsa_user_sgpr_dispatch_id 0
		.amdhsa_user_sgpr_kernarg_preload_length 0
		.amdhsa_user_sgpr_kernarg_preload_offset 0
		.amdhsa_user_sgpr_private_segment_size 0
		.amdhsa_uses_dynamic_stack 0
		.amdhsa_enable_private_segment 0
		.amdhsa_system_sgpr_workgroup_id_x 1
		.amdhsa_system_sgpr_workgroup_id_y 0
		.amdhsa_system_sgpr_workgroup_id_z 0
		.amdhsa_system_sgpr_workgroup_info 0
		.amdhsa_system_vgpr_workitem_id 0
		.amdhsa_next_free_vgpr 16
		.amdhsa_next_free_sgpr 32
		.amdhsa_accum_offset 16
		.amdhsa_reserve_vcc 1
		.amdhsa_float_round_mode_32 0
		.amdhsa_float_round_mode_16_64 0
		.amdhsa_float_denorm_mode_32 3
		.amdhsa_float_denorm_mode_16_64 3
		.amdhsa_dx10_clamp 1
		.amdhsa_ieee_mode 1
		.amdhsa_fp16_overflow 0
		.amdhsa_tg_split 0
		.amdhsa_exception_fp_ieee_invalid_op 0
		.amdhsa_exception_fp_denorm_src 0
		.amdhsa_exception_fp_ieee_div_zero 0
		.amdhsa_exception_fp_ieee_overflow 0
		.amdhsa_exception_fp_ieee_underflow 0
		.amdhsa_exception_fp_ieee_inexact 0
		.amdhsa_exception_int_div_zero 0
	.end_amdhsa_kernel
	.section	.text._ZL22rocblas_gemvtsm_kernelILb1ELi256E16rocblas_bfloat16fS0_EviiT2_lPKT1_lilS4_lilS1_lPT3_lil,"axG",@progbits,_ZL22rocblas_gemvtsm_kernelILb1ELi256E16rocblas_bfloat16fS0_EviiT2_lPKT1_lilS4_lilS1_lPT3_lil,comdat
.Lfunc_end573:
	.size	_ZL22rocblas_gemvtsm_kernelILb1ELi256E16rocblas_bfloat16fS0_EviiT2_lPKT1_lilS4_lilS1_lPT3_lil, .Lfunc_end573-_ZL22rocblas_gemvtsm_kernelILb1ELi256E16rocblas_bfloat16fS0_EviiT2_lPKT1_lilS4_lilS1_lPT3_lil
                                        ; -- End function
	.section	.AMDGPU.csdata,"",@progbits
; Kernel info:
; codeLenInByte = 2024
; NumSgprs: 38
; NumVgprs: 16
; NumAgprs: 0
; TotalNumVgprs: 16
; ScratchSize: 0
; MemoryBound: 0
; FloatMode: 240
; IeeeMode: 1
; LDSByteSize: 256 bytes/workgroup (compile time only)
; SGPRBlocks: 4
; VGPRBlocks: 1
; NumSGPRsForWavesPerEU: 38
; NumVGPRsForWavesPerEU: 16
; AccumOffset: 16
; Occupancy: 8
; WaveLimiterHint : 1
; COMPUTE_PGM_RSRC2:SCRATCH_EN: 0
; COMPUTE_PGM_RSRC2:USER_SGPR: 2
; COMPUTE_PGM_RSRC2:TRAP_HANDLER: 0
; COMPUTE_PGM_RSRC2:TGID_X_EN: 1
; COMPUTE_PGM_RSRC2:TGID_Y_EN: 0
; COMPUTE_PGM_RSRC2:TGID_Z_EN: 0
; COMPUTE_PGM_RSRC2:TIDIG_COMP_CNT: 0
; COMPUTE_PGM_RSRC3_GFX90A:ACCUM_OFFSET: 3
; COMPUTE_PGM_RSRC3_GFX90A:TG_SPLIT: 0
	.section	.text._ZL23rocblas_gemvt_sn_kernelILb1ELi256ELi4Ei16rocblas_bfloat16PKffEviiT4_lPKT3_lilS6_lilPT5_i,"axG",@progbits,_ZL23rocblas_gemvt_sn_kernelILb1ELi256ELi4Ei16rocblas_bfloat16PKffEviiT4_lPKT3_lilS6_lilPT5_i,comdat
	.globl	_ZL23rocblas_gemvt_sn_kernelILb1ELi256ELi4Ei16rocblas_bfloat16PKffEviiT4_lPKT3_lilS6_lilPT5_i ; -- Begin function _ZL23rocblas_gemvt_sn_kernelILb1ELi256ELi4Ei16rocblas_bfloat16PKffEviiT4_lPKT3_lilS6_lilPT5_i
	.p2align	8
	.type	_ZL23rocblas_gemvt_sn_kernelILb1ELi256ELi4Ei16rocblas_bfloat16PKffEviiT4_lPKT3_lilS6_lilPT5_i,@function
_ZL23rocblas_gemvt_sn_kernelILb1ELi256ELi4Ei16rocblas_bfloat16PKffEviiT4_lPKT3_lilS6_lilPT5_i: ; @_ZL23rocblas_gemvt_sn_kernelILb1ELi256ELi4Ei16rocblas_bfloat16PKffEviiT4_lPKT3_lilS6_lilPT5_i
; %bb.0:
	s_load_dwordx8 s[12:19], s[0:1], 0x8
	s_load_dwordx2 s[20:21], s[0:1], 0x0
	s_mov_b32 s6, s3
	s_mov_b32 s23, 0
	s_waitcnt lgkmcnt(0)
	s_mul_i32 s3, s3, s15
	s_mul_hi_u32 s4, s6, s14
	s_add_i32 s5, s4, s3
	s_mul_i32 s4, s6, s14
	s_lshl_b64 s[4:5], s[4:5], 2
	s_add_u32 s4, s12, s4
	s_addc_u32 s5, s13, s5
	s_load_dword s33, s[4:5], 0x0
	s_load_dwordx4 s[8:11], s[0:1], 0x50
	s_load_dword s22, s[0:1], 0x68
	s_ashr_i32 s7, s21, 31
	s_mul_hi_u32 s3, s21, s6
	s_mul_i32 s4, s7, s6
	s_add_i32 s13, s3, s4
	s_mul_i32 s12, s21, s6
	s_waitcnt lgkmcnt(0)
	s_mul_i32 s3, s13, s22
	s_mul_hi_u32 s4, s12, s22
	s_add_i32 s5, s4, s3
	s_mul_i32 s4, s12, s22
	s_lshl_b64 s[4:5], s[4:5], 2
	s_add_u32 s49, s10, s4
	s_addc_u32 s50, s11, s5
	v_cmp_neq_f32_e64 s[4:5], s33, 0
	s_and_b64 vcc, exec, s[4:5]
	v_cmp_eq_u32_e64 s[4:5], 0, v0
	s_cbranch_vccnz .LBB574_10
; %bb.1:
	s_cmp_gt_i32 s21, 0
	s_cselect_b64 s[14:15], -1, 0
	s_and_b64 s[14:15], s[4:5], s[14:15]
	s_and_saveexec_b64 s[4:5], s[14:15]
	s_cbranch_execz .LBB574_9
; %bb.2:
	s_cmp_gt_u32 s21, 1
	s_cselect_b64 s[14:15], -1, 0
	s_cmp_eq_u32 s22, 1
	s_cselect_b64 s[26:27], -1, 0
	s_mov_b32 s3, 0
	s_and_b64 s[14:15], s[14:15], s[26:27]
	s_mov_b64 s[24:25], -1
	s_andn2_b64 vcc, exec, s[14:15]
	s_mov_b32 s14, s3
	s_cbranch_vccnz .LBB574_6
; %bb.3:
	s_lshl_b64 s[14:15], s[2:3], 2
	s_add_u32 s24, s49, s14
	s_addc_u32 s25, s50, s15
	s_and_b32 s14, s21, 0x7ffffffe
	v_mov_b32_e32 v2, 0
	v_mov_b32_e32 v3, v2
	s_mov_b32 s15, s14
.LBB574_4:                              ; =>This Inner Loop Header: Depth=1
	global_store_dwordx2 v2, v[2:3], s[24:25]
	s_add_u32 s24, s24, 8
	s_addc_u32 s25, s25, 0
	s_add_i32 s15, s15, -2
	s_cmp_lg_u32 s15, 0
	s_cbranch_scc1 .LBB574_4
; %bb.5:
	s_cmp_lg_u32 s14, s21
	s_cselect_b64 s[24:25], -1, 0
.LBB574_6:
	s_and_b64 vcc, exec, s[24:25]
	s_cbranch_vccz .LBB574_9
; %bb.7:
	s_mov_b32 s15, 0
	s_sub_i32 s24, s21, s14
	s_lshl_b64 s[12:13], s[12:13], 2
	s_lshl_b64 s[14:15], s[14:15], 2
	s_add_u32 s12, s12, s14
	s_addc_u32 s13, s13, s15
	s_mul_i32 s13, s13, s22
	s_mul_hi_u32 s14, s12, s22
	s_add_i32 s14, s14, s13
	s_mul_i32 s15, s12, s22
	s_lshl_b64 s[12:13], s[2:3], 2
	s_add_u32 s3, s15, s12
	s_addc_u32 s12, s14, s13
	s_add_u32 s10, s10, s3
	s_addc_u32 s11, s11, s12
	s_lshl_b64 s[12:13], s[22:23], 2
	v_mov_b32_e32 v1, 0
.LBB574_8:                              ; =>This Inner Loop Header: Depth=1
	s_add_i32 s24, s24, -1
	global_store_dword v1, v1, s[10:11]
	s_add_u32 s10, s10, s12
	s_addc_u32 s11, s11, s13
	s_cmp_eq_u32 s24, 0
	s_cbranch_scc0 .LBB574_8
.LBB574_9:
	s_or_b64 exec, exec, s[4:5]
	s_cbranch_execz .LBB574_11
	s_branch .LBB574_84
.LBB574_10:
.LBB574_11:
	s_load_dword s24, s[0:1], 0x28
	s_load_dwordx4 s[12:15], s[0:1], 0x30
	s_load_dwordx2 s[4:5], s[0:1], 0x40
	s_load_dword s23, s[0:1], 0x48
	s_mul_i32 s0, s6, s9
	s_mul_hi_u32 s1, s6, s8
	s_add_i32 s1, s1, s0
	s_mul_i32 s0, s6, s8
	s_lshl_b64 s[0:1], s[0:1], 1
	s_waitcnt lgkmcnt(0)
	s_add_u32 s3, s14, s0
	s_addc_u32 s8, s15, s1
	s_lshl_b64 s[0:1], s[4:5], 1
	s_add_u32 s26, s3, s0
	s_addc_u32 s27, s8, s1
	s_mul_i32 s0, s6, s13
	s_mul_hi_u32 s1, s6, s12
	s_add_i32 s1, s1, s0
	s_mul_i32 s0, s6, s12
	s_lshl_b64 s[28:29], s[0:1], 1
	s_add_u32 s0, s16, s28
	s_addc_u32 s1, s17, s29
	s_lshl_b64 s[18:19], s[18:19], 1
	s_add_u32 s0, s0, s18
	s_addc_u32 s1, s1, s19
	s_lshl_b32 s3, s2, 10
	v_lshl_or_b32 v10, v0, 2, s3
	v_ashrrev_i32_e32 v11, 31, v10
	v_lshl_add_u64 v[6:7], v[10:11], 1, s[0:1]
	s_lshr_b32 s0, s7, 30
	s_add_i32 s0, s21, s0
	s_and_b32 s3, s0, -4
	s_ashr_i32 s0, s20, 31
	s_lshr_b32 s0, s0, 30
	s_add_i32 s0, s20, s0
	s_and_b32 s0, s0, -4
	s_sub_i32 s48, s20, s0
	s_cmp_lt_i32 s3, 1
	v_add_u32_e32 v31, 4, v10
	v_add_u32_e32 v32, s48, v10
	v_and_b32_e32 v1, 63, v0
	v_cmp_gt_u32_e64 s[0:1], 64, v0
	v_mbcnt_lo_u32_b32 v30, -1, 0
	v_cmp_gt_u32_e64 s[4:5], 4, v0
	v_lshrrev_b32_e32 v9, 4, v0
	v_mul_lo_u32 v8, v10, s23
	s_cbranch_scc1 .LBB574_59
; %bb.12:
	v_mbcnt_hi_u32_b32 v2, -1, v30
	v_and_b32_e32 v3, 63, v2
	v_cmp_gt_u32_e32 vcc, 32, v3
	v_mul_lo_u32 v12, v10, s23
	s_cmp_gt_i32 s48, 0
	v_cndmask_b32_e64 v4, 0, 1, vcc
	v_lshlrev_b32_e32 v4, 5, v4
	v_cmp_gt_u32_e32 vcc, 48, v3
	v_add_lshl_u32 v33, v4, v2, 2
	s_cselect_b64 s[34:35], -1, 0
	v_cndmask_b32_e64 v4, 0, 1, vcc
	v_lshlrev_b32_e32 v4, 4, v4
	v_cmp_gt_u32_e32 vcc, 56, v3
	v_add_lshl_u32 v34, v4, v2, 2
	s_lshl_b32 s51, s24, 2
	v_cndmask_b32_e64 v4, 0, 1, vcc
	v_lshlrev_b32_e32 v4, 3, v4
	v_cmp_gt_u32_e32 vcc, 60, v3
	v_add_lshl_u32 v35, v4, v2, 2
	s_lshl_b32 s30, s24, 1
	v_cndmask_b32_e64 v4, 0, 1, vcc
	v_lshlrev_b32_e32 v4, 2, v4
	v_cmp_gt_u32_e32 vcc, 62, v3
	v_add_lshl_u32 v36, v4, v2, 2
	s_add_u32 s14, s28, s18
	v_cndmask_b32_e64 v4, 0, 1, vcc
	v_lshlrev_b32_e32 v4, 1, v4
	v_cmp_ne_u32_e32 vcc, 63, v3
	v_add_lshl_u32 v37, v4, v2, 2
	s_addc_u32 s15, s29, s19
	v_addc_co_u32_e32 v2, vcc, 0, v2, vcc
	v_lshlrev_b32_e32 v38, 2, v2
	v_add_u32_e32 v2, s23, v12
	v_ashrrev_i32_e32 v3, 31, v2
	v_lshl_add_u64 v[16:17], v[2:3], 1, s[26:27]
	v_add_u32_e32 v2, s23, v2
	v_ashrrev_i32_e32 v3, 31, v2
	s_mov_b32 s31, 0
	v_lshl_add_u64 v[18:19], v[2:3], 1, s[26:27]
	v_add_u32_e32 v2, s23, v2
	s_add_u32 s14, s16, s14
	v_ashrrev_i32_e32 v13, 31, v12
	v_ashrrev_i32_e32 v3, 31, v2
	s_mov_b32 s25, s31
	s_addc_u32 s15, s17, s15
	v_cmp_ge_i32_e64 s[6:7], s20, v31
	v_cmp_ge_i32_e64 s[8:9], s20, v32
	v_cmp_eq_u32_e64 s[10:11], 0, v1
	v_lshlrev_b32_e32 v39, 2, v1
	v_and_b32_e32 v40, 12, v9
	v_cmp_eq_u32_e64 s[12:13], 0, v0
	v_lshl_add_u64 v[14:15], v[12:13], 1, s[26:27]
	v_lshl_add_u64 v[20:21], v[2:3], 1, s[26:27]
	s_mul_i32 s52, s24, 3
	s_mov_b32 s53, s31
	v_lshl_add_u64 v[22:23], v[10:11], 1, s[14:15]
	v_mov_b32_e32 v13, 0
	s_mov_b32 s36, s31
	s_mov_b64 s[38:39], s[30:31]
	s_mov_b64 s[40:41], s[24:25]
	s_mov_b32 s25, 0
                                        ; implicit-def: $vgpr2_vgpr3_vgpr4_vgpr5
	s_branch .LBB574_14
.LBB574_13:                             ;   in Loop: Header=BB574_14 Depth=1
	s_or_b64 exec, exec, s[14:15]
	s_add_i32 s25, s25, 4
	s_add_u32 s40, s40, s51
	s_addc_u32 s41, s41, 0
	s_add_u32 s38, s38, s51
	s_addc_u32 s39, s39, 0
	;; [unrolled: 2-line block ×3, first 2 shown]
	s_add_i32 s36, s36, s51
	s_cmp_ge_i32 s25, s3
	s_cbranch_scc1 .LBB574_60
.LBB574_14:                             ; =>This Loop Header: Depth=1
                                        ;     Child Loop BB574_45 Depth 2
                                        ;     Child Loop BB574_48 Depth 2
                                        ; implicit-def: $vgpr25
                                        ; implicit-def: $vgpr27
	s_and_saveexec_b64 s[14:15], s[6:7]
	s_xor_b64 s[14:15], exec, s[14:15]
	s_cbranch_execnz .LBB574_41
; %bb.15:                               ;   in Loop: Header=BB574_14 Depth=1
	s_andn2_saveexec_b64 s[42:43], s[14:15]
	s_cbranch_execnz .LBB574_42
.LBB574_16:                             ;   in Loop: Header=BB574_14 Depth=1
	s_or_b64 exec, exec, s[42:43]
	s_and_saveexec_b64 s[14:15], s[0:1]
	s_cbranch_execz .LBB574_18
.LBB574_17:                             ;   in Loop: Header=BB574_14 Depth=1
	ds_write_b32 v39, v13
.LBB574_18:                             ;   in Loop: Header=BB574_14 Depth=1
	s_or_b64 exec, exec, s[14:15]
	ds_bpermute_b32 v28, v33, v26
	s_waitcnt lgkmcnt(0)
	s_barrier
	v_add_f32_e32 v26, v26, v28
	ds_bpermute_b32 v28, v34, v26
	s_waitcnt lgkmcnt(0)
	v_add_f32_e32 v26, v26, v28
	ds_bpermute_b32 v28, v35, v26
	s_waitcnt lgkmcnt(0)
	;; [unrolled: 3-line block ×4, first 2 shown]
	v_add_f32_e32 v26, v26, v28
	ds_bpermute_b32 v28, v38, v26
	s_and_saveexec_b64 s[14:15], s[10:11]
	s_cbranch_execz .LBB574_20
; %bb.19:                               ;   in Loop: Header=BB574_14 Depth=1
	s_waitcnt lgkmcnt(0)
	v_add_f32_e32 v26, v26, v28
	ds_write_b32 v40, v26
.LBB574_20:                             ;   in Loop: Header=BB574_14 Depth=1
	s_or_b64 exec, exec, s[14:15]
	v_mov_b32_e32 v26, 0
	s_waitcnt lgkmcnt(0)
	s_barrier
	s_and_saveexec_b64 s[14:15], s[4:5]
	s_cbranch_execnz .LBB574_50
; %bb.21:                               ;   in Loop: Header=BB574_14 Depth=1
	s_or_b64 exec, exec, s[14:15]
	s_and_saveexec_b64 s[14:15], s[0:1]
	s_cbranch_execnz .LBB574_51
.LBB574_22:                             ;   in Loop: Header=BB574_14 Depth=1
	s_or_b64 exec, exec, s[14:15]
	s_and_saveexec_b64 s[14:15], s[0:1]
	s_cbranch_execz .LBB574_24
.LBB574_23:                             ;   in Loop: Header=BB574_14 Depth=1
	ds_write_b32 v39, v13
.LBB574_24:                             ;   in Loop: Header=BB574_14 Depth=1
	s_or_b64 exec, exec, s[14:15]
	ds_bpermute_b32 v28, v33, v27
	s_waitcnt lgkmcnt(0)
	s_barrier
	v_add_f32_e32 v27, v27, v28
	ds_bpermute_b32 v28, v34, v27
	s_waitcnt lgkmcnt(0)
	v_add_f32_e32 v27, v27, v28
	ds_bpermute_b32 v28, v35, v27
	s_waitcnt lgkmcnt(0)
	;; [unrolled: 3-line block ×4, first 2 shown]
	v_add_f32_e32 v27, v27, v28
	ds_bpermute_b32 v28, v38, v27
	s_and_saveexec_b64 s[14:15], s[10:11]
	s_cbranch_execz .LBB574_26
; %bb.25:                               ;   in Loop: Header=BB574_14 Depth=1
	s_waitcnt lgkmcnt(0)
	v_add_f32_e32 v27, v27, v28
	ds_write_b32 v40, v27
.LBB574_26:                             ;   in Loop: Header=BB574_14 Depth=1
	s_or_b64 exec, exec, s[14:15]
	v_mov_b32_e32 v27, 0
	s_waitcnt lgkmcnt(0)
	s_barrier
	s_and_saveexec_b64 s[14:15], s[4:5]
	s_cbranch_execnz .LBB574_52
; %bb.27:                               ;   in Loop: Header=BB574_14 Depth=1
	s_or_b64 exec, exec, s[14:15]
	s_and_saveexec_b64 s[14:15], s[0:1]
	s_cbranch_execnz .LBB574_53
.LBB574_28:                             ;   in Loop: Header=BB574_14 Depth=1
	s_or_b64 exec, exec, s[14:15]
	s_and_saveexec_b64 s[14:15], s[0:1]
	s_cbranch_execz .LBB574_30
.LBB574_29:                             ;   in Loop: Header=BB574_14 Depth=1
	ds_write_b32 v39, v13
.LBB574_30:                             ;   in Loop: Header=BB574_14 Depth=1
	s_or_b64 exec, exec, s[14:15]
	ds_bpermute_b32 v28, v33, v24
	s_waitcnt lgkmcnt(0)
	s_barrier
	v_add_f32_e32 v24, v24, v28
	ds_bpermute_b32 v28, v34, v24
	s_waitcnt lgkmcnt(0)
	v_add_f32_e32 v24, v24, v28
	ds_bpermute_b32 v28, v35, v24
	s_waitcnt lgkmcnt(0)
	;; [unrolled: 3-line block ×4, first 2 shown]
	v_add_f32_e32 v24, v24, v28
	ds_bpermute_b32 v28, v38, v24
	s_and_saveexec_b64 s[14:15], s[10:11]
	s_cbranch_execz .LBB574_32
; %bb.31:                               ;   in Loop: Header=BB574_14 Depth=1
	s_waitcnt lgkmcnt(0)
	v_add_f32_e32 v24, v24, v28
	ds_write_b32 v40, v24
.LBB574_32:                             ;   in Loop: Header=BB574_14 Depth=1
	s_or_b64 exec, exec, s[14:15]
	v_mov_b32_e32 v24, 0
	s_waitcnt lgkmcnt(0)
	s_barrier
	s_and_saveexec_b64 s[14:15], s[4:5]
	s_cbranch_execnz .LBB574_54
; %bb.33:                               ;   in Loop: Header=BB574_14 Depth=1
	s_or_b64 exec, exec, s[14:15]
	s_and_saveexec_b64 s[14:15], s[0:1]
	s_cbranch_execnz .LBB574_55
.LBB574_34:                             ;   in Loop: Header=BB574_14 Depth=1
	s_or_b64 exec, exec, s[14:15]
	s_and_saveexec_b64 s[14:15], s[0:1]
	s_cbranch_execz .LBB574_36
.LBB574_35:                             ;   in Loop: Header=BB574_14 Depth=1
	ds_write_b32 v39, v13
.LBB574_36:                             ;   in Loop: Header=BB574_14 Depth=1
	s_or_b64 exec, exec, s[14:15]
	ds_bpermute_b32 v28, v33, v25
	s_waitcnt lgkmcnt(0)
	s_barrier
	v_add_f32_e32 v25, v25, v28
	ds_bpermute_b32 v28, v34, v25
	s_waitcnt lgkmcnt(0)
	v_add_f32_e32 v25, v25, v28
	ds_bpermute_b32 v28, v35, v25
	s_waitcnt lgkmcnt(0)
	;; [unrolled: 3-line block ×4, first 2 shown]
	v_add_f32_e32 v25, v25, v28
	ds_bpermute_b32 v28, v38, v25
	s_and_saveexec_b64 s[14:15], s[10:11]
	s_cbranch_execz .LBB574_38
; %bb.37:                               ;   in Loop: Header=BB574_14 Depth=1
	s_waitcnt lgkmcnt(0)
	v_add_f32_e32 v25, v25, v28
	ds_write_b32 v40, v25
.LBB574_38:                             ;   in Loop: Header=BB574_14 Depth=1
	s_or_b64 exec, exec, s[14:15]
	v_mov_b32_e32 v25, 0
	s_waitcnt lgkmcnt(0)
	s_barrier
	s_and_saveexec_b64 s[14:15], s[4:5]
	s_cbranch_execnz .LBB574_56
; %bb.39:                               ;   in Loop: Header=BB574_14 Depth=1
	s_or_b64 exec, exec, s[14:15]
	s_and_saveexec_b64 s[14:15], s[0:1]
	s_cbranch_execnz .LBB574_57
.LBB574_40:                             ;   in Loop: Header=BB574_14 Depth=1
	s_or_b64 exec, exec, s[14:15]
	s_and_saveexec_b64 s[14:15], s[12:13]
	s_cbranch_execz .LBB574_13
	s_branch .LBB574_58
.LBB574_41:                             ;   in Loop: Header=BB574_14 Depth=1
	s_mul_i32 s42, s25, s24
	s_ashr_i32 s43, s42, 31
	v_lshl_add_u64 v[2:3], s[42:43], 1, v[6:7]
	s_add_i32 s42, s42, s24
	s_ashr_i32 s43, s42, 31
	global_load_ushort v4, v[14:15], off
	global_load_ushort v5, v[16:17], off
	;; [unrolled: 1-line block ×4, first 2 shown]
	s_waitcnt lgkmcnt(0)
	global_load_dwordx2 v[24:25], v[2:3], off
	v_lshl_add_u64 v[2:3], s[42:43], 1, v[6:7]
	s_add_i32 s42, s42, s24
	s_ashr_i32 s43, s42, 31
	global_load_dwordx2 v[26:27], v[2:3], off
	v_lshl_add_u64 v[2:3], s[42:43], 1, v[6:7]
	s_add_i32 s42, s42, s24
	s_ashr_i32 s43, s42, 31
	global_load_dwordx2 v[28:29], v[2:3], off
	v_lshl_add_u64 v[2:3], s[42:43], 1, v[6:7]
	global_load_dwordx2 v[42:43], v[2:3], off
	s_waitcnt vmcnt(7)
	v_lshlrev_b32_e32 v2, 16, v4
	s_waitcnt vmcnt(6)
	v_lshlrev_b32_e32 v45, 16, v5
	;; [unrolled: 2-line block ×5, first 2 shown]
	v_and_b32_e32 v58, 0xffff0000, v25
	v_mov_b32_e32 v50, v45
	v_lshlrev_b32_e32 v54, 16, v24
	s_waitcnt vmcnt(2)
	v_lshlrev_b32_e32 v55, 16, v26
	v_and_b32_e32 v25, 0xffff0000, v26
	v_lshlrev_b32_e32 v57, 16, v27
	v_and_b32_e32 v59, 0xffff0000, v27
	s_waitcnt vmcnt(1)
	v_lshlrev_b32_e32 v26, 16, v28
	v_and_b32_e32 v27, 0xffff0000, v28
	s_waitcnt vmcnt(0)
	v_and_b32_e32 v3, 0xffff0000, v42
	v_lshlrev_b32_e32 v44, 16, v42
	v_and_b32_e32 v47, 0xffff0000, v43
	v_lshlrev_b32_e32 v48, 16, v43
	v_pk_mul_f32 v[62:63], v[44:45], v[2:3]
	v_lshlrev_b32_e32 v41, 16, v29
	v_and_b32_e32 v29, 0xffff0000, v29
	v_mul_f32_e32 v26, v2, v26
	v_mul_f32_e32 v28, v45, v27
	v_mov_b32_e32 v3, v45
	v_pk_mul_f32 v[44:45], v[48:49], v[46:47]
	v_mov_b32_e32 v27, v62
	v_and_b32_e32 v24, 0xffff0000, v24
	v_mul_f32_e32 v60, v49, v29
	v_mov_b32_e32 v29, v63
	v_mov_b32_e32 v43, v44
	;; [unrolled: 1-line block ×3, first 2 shown]
	v_pk_fma_f32 v[44:45], v[2:3], v[54:55], 0 op_sel_hi:[0,1,0]
	v_pk_add_f32 v[26:27], v[26:27], 0 op_sel_hi:[1,0]
	v_mul_f32_e32 v42, v46, v41
	v_pk_fma_f32 v[24:25], v[50:51], v[24:25], v[44:45] op_sel_hi:[0,1,1]
	v_pk_add_f32 v[26:27], v[26:27], v[28:29]
	v_mov_b32_e32 v52, v49
	v_pk_fma_f32 v[28:29], v[46:47], v[56:57], v[24:25] op_sel_hi:[0,1,1]
	v_pk_add_f32 v[24:25], v[26:27], v[42:43]
	v_mov_b32_e32 v4, v46
	v_mov_b32_e32 v5, v49
	v_pk_add_f32 v[24:25], v[24:25], v[60:61]
	v_pk_fma_f32 v[26:27], v[52:53], v[58:59], v[28:29] op_sel_hi:[0,1,1]
	s_andn2_saveexec_b64 s[42:43], s[14:15]
	s_cbranch_execz .LBB574_16
.LBB574_42:                             ;   in Loop: Header=BB574_14 Depth=1
	s_waitcnt lgkmcnt(0)
	v_mov_b32_e32 v25, 0
	v_mov_b32_e32 v24, 0
	;; [unrolled: 1-line block ×4, first 2 shown]
	s_and_saveexec_b64 s[44:45], s[8:9]
	s_cbranch_execz .LBB574_49
; %bb.43:                               ;   in Loop: Header=BB574_14 Depth=1
	v_cndmask_b32_e64 v24, 0, 1, s[34:35]
	v_cmp_ne_u32_e64 s[14:15], 1, v24
	s_andn2_b64 vcc, exec, s[34:35]
	s_cbranch_vccnz .LBB574_46
; %bb.44:                               ;   in Loop: Header=BB574_14 Depth=1
	s_mov_b64 s[46:47], 0
	v_mov_b32_e32 v24, v12
.LBB574_45:                             ;   Parent Loop BB574_14 Depth=1
                                        ; =>  This Inner Loop Header: Depth=2
	v_ashrrev_i32_e32 v25, 31, v24
	v_lshl_add_u64 v[26:27], v[24:25], 1, s[26:27]
	global_load_ushort v25, v[26:27], off
	s_cmp_eq_u32 s46, 3
	s_cselect_b64 vcc, -1, 0
	s_cmp_eq_u32 s46, 2
	v_add_u32_e32 v24, s23, v24
	s_waitcnt vmcnt(0)
	v_lshlrev_b32_e32 v25, 16, v25
	v_cndmask_b32_e32 v5, v5, v25, vcc
	s_cselect_b64 vcc, -1, 0
	s_cmp_eq_u32 s46, 1
	v_cndmask_b32_e32 v4, v4, v25, vcc
	s_cselect_b64 vcc, -1, 0
	s_cmp_eq_u32 s46, 0
	v_cndmask_b32_e32 v3, v3, v25, vcc
	s_cselect_b64 vcc, -1, 0
	s_add_u32 s46, s46, 1
	s_addc_u32 s47, s47, 0
	s_cmp_eq_u32 s48, s46
	v_cndmask_b32_e32 v2, v2, v25, vcc
	s_cbranch_scc0 .LBB574_45
.LBB574_46:                             ;   in Loop: Header=BB574_14 Depth=1
	v_mov_b32_e32 v25, 0
	s_and_b64 vcc, exec, s[14:15]
	v_mov_b32_e32 v24, v25
	v_mov_b32_e32 v27, v25
	v_mov_b32_e32 v26, v25
	s_cbranch_vccnz .LBB574_49
; %bb.47:                               ;   in Loop: Header=BB574_14 Depth=1
	s_ashr_i32 s37, s36, 31
	v_mov_b32_e32 v26, 0
	v_lshl_add_u64 v[28:29], s[36:37], 1, v[22:23]
	s_mov_b64 s[14:15], 0
	v_mov_b32_e32 v27, v26
	v_mov_b32_e32 v24, v26
	;; [unrolled: 1-line block ×3, first 2 shown]
.LBB574_48:                             ;   Parent Loop BB574_14 Depth=1
                                        ; =>  This Inner Loop Header: Depth=2
	s_cmp_eq_u32 s14, 1
	s_cselect_b64 vcc, -1, 0
	s_cmp_eq_u32 s14, 2
	v_cndmask_b32_e32 v42, v2, v3, vcc
	s_cselect_b64 vcc, -1, 0
	s_cmp_eq_u32 s14, 3
	v_cndmask_b32_e32 v48, v42, v4, vcc
	s_cselect_b64 vcc, -1, 0
	s_add_i32 s46, s40, s14
	s_add_i32 s56, s52, s14
	;; [unrolled: 1-line block ×3, first 2 shown]
	s_ashr_i32 s47, s46, 31
	s_ashr_i32 s57, s56, 31
	;; [unrolled: 1-line block ×3, first 2 shown]
	v_lshl_add_u64 v[42:43], s[46:47], 1, v[6:7]
	v_lshl_add_u64 v[46:47], s[56:57], 1, v[6:7]
	global_load_ushort v41, v[28:29], off
	v_lshl_add_u64 v[44:45], s[54:55], 1, v[6:7]
	global_load_ushort v43, v[42:43], off
	s_nop 0
	global_load_ushort v46, v[46:47], off
	s_nop 0
	global_load_ushort v49, v[44:45], off
	s_add_u32 s14, s14, 1
	v_cndmask_b32_e32 v42, v48, v5, vcc
	s_addc_u32 s15, s15, 0
	v_lshl_add_u64 v[28:29], v[28:29], 0, 2
	s_cmp_lg_u32 s48, s14
	s_waitcnt vmcnt(3)
	v_lshlrev_b32_e32 v44, 16, v41
	s_waitcnt vmcnt(2)
	v_lshlrev_b32_e32 v45, 16, v43
	;; [unrolled: 2-line block ×4, first 2 shown]
	v_pk_fma_f32 v[26:27], v[42:43], v[44:45], v[26:27] op_sel_hi:[0,1,1]
	v_pk_fma_f32 v[24:25], v[42:43], v[46:47], v[24:25] op_sel_hi:[0,1,1]
	s_cbranch_scc1 .LBB574_48
.LBB574_49:                             ;   in Loop: Header=BB574_14 Depth=1
	s_or_b64 exec, exec, s[44:45]
	s_or_b64 exec, exec, s[42:43]
	s_and_saveexec_b64 s[14:15], s[0:1]
	s_cbranch_execnz .LBB574_17
	s_branch .LBB574_18
.LBB574_50:                             ;   in Loop: Header=BB574_14 Depth=1
	ds_read_b32 v26, v39
	s_or_b64 exec, exec, s[14:15]
	s_and_saveexec_b64 s[14:15], s[0:1]
	s_cbranch_execz .LBB574_22
.LBB574_51:                             ;   in Loop: Header=BB574_14 Depth=1
	s_waitcnt lgkmcnt(0)
	ds_bpermute_b32 v28, v37, v26
	s_waitcnt lgkmcnt(0)
	v_add_f32_e32 v26, v26, v28
	ds_bpermute_b32 v28, v38, v26
	s_waitcnt lgkmcnt(0)
	v_add_f32_e32 v26, v26, v28
	s_or_b64 exec, exec, s[14:15]
	s_and_saveexec_b64 s[14:15], s[0:1]
	s_cbranch_execnz .LBB574_23
	s_branch .LBB574_24
.LBB574_52:                             ;   in Loop: Header=BB574_14 Depth=1
	ds_read_b32 v27, v39
	s_or_b64 exec, exec, s[14:15]
	s_and_saveexec_b64 s[14:15], s[0:1]
	s_cbranch_execz .LBB574_28
.LBB574_53:                             ;   in Loop: Header=BB574_14 Depth=1
	s_waitcnt lgkmcnt(0)
	ds_bpermute_b32 v28, v37, v27
	s_waitcnt lgkmcnt(0)
	v_add_f32_e32 v27, v27, v28
	ds_bpermute_b32 v28, v38, v27
	s_waitcnt lgkmcnt(0)
	v_add_f32_e32 v27, v27, v28
	s_or_b64 exec, exec, s[14:15]
	s_and_saveexec_b64 s[14:15], s[0:1]
	s_cbranch_execnz .LBB574_29
	s_branch .LBB574_30
.LBB574_54:                             ;   in Loop: Header=BB574_14 Depth=1
	ds_read_b32 v24, v39
	s_or_b64 exec, exec, s[14:15]
	s_and_saveexec_b64 s[14:15], s[0:1]
	s_cbranch_execz .LBB574_34
.LBB574_55:                             ;   in Loop: Header=BB574_14 Depth=1
	s_waitcnt lgkmcnt(0)
	ds_bpermute_b32 v28, v37, v24
	s_waitcnt lgkmcnt(0)
	v_add_f32_e32 v24, v24, v28
	ds_bpermute_b32 v28, v38, v24
	s_waitcnt lgkmcnt(0)
	v_add_f32_e32 v24, v24, v28
	s_or_b64 exec, exec, s[14:15]
	s_and_saveexec_b64 s[14:15], s[0:1]
	s_cbranch_execnz .LBB574_35
	s_branch .LBB574_36
.LBB574_56:                             ;   in Loop: Header=BB574_14 Depth=1
	ds_read_b32 v25, v39
	s_or_b64 exec, exec, s[14:15]
	s_and_saveexec_b64 s[14:15], s[0:1]
	s_cbranch_execz .LBB574_40
.LBB574_57:                             ;   in Loop: Header=BB574_14 Depth=1
	s_waitcnt lgkmcnt(0)
	ds_bpermute_b32 v28, v37, v25
	s_waitcnt lgkmcnt(0)
	v_add_f32_e32 v25, v25, v28
	ds_bpermute_b32 v28, v38, v25
	s_waitcnt lgkmcnt(0)
	v_add_f32_e32 v25, v25, v28
	s_or_b64 exec, exec, s[14:15]
	s_and_saveexec_b64 s[14:15], s[12:13]
	s_cbranch_execz .LBB574_13
.LBB574_58:                             ;   in Loop: Header=BB574_14 Depth=1
	s_mul_i32 s30, s25, s22
	s_add_i32 s30, s30, s2
	s_lshl_b64 s[42:43], s[30:31], 2
	s_add_u32 s42, s49, s42
	v_mul_f32_e32 v26, s33, v26
	s_addc_u32 s43, s50, s43
	s_add_i32 s30, s30, s22
	global_store_dword v13, v26, s[42:43]
	s_lshl_b64 s[42:43], s[30:31], 2
	s_add_u32 s42, s49, s42
	v_mul_f32_e32 v26, s33, v27
	s_addc_u32 s43, s50, s43
	s_add_i32 s30, s30, s22
	global_store_dword v13, v26, s[42:43]
	;; [unrolled: 6-line block ×3, first 2 shown]
	s_lshl_b64 s[42:43], s[30:31], 2
	s_add_u32 s42, s49, s42
	s_waitcnt lgkmcnt(0)
	v_mul_f32_e32 v24, s33, v25
	s_addc_u32 s43, s50, s43
	global_store_dword v13, v24, s[42:43]
	s_branch .LBB574_13
.LBB574_59:
	s_mov_b32 s25, 0
                                        ; implicit-def: $vgpr2_vgpr3_vgpr4_vgpr5
.LBB574_60:
	s_cmp_ge_i32 s25, s21
	s_cbranch_scc1 .LBB574_84
; %bb.61:
	v_mbcnt_hi_u32_b32 v12, -1, v30
	v_and_b32_e32 v13, 63, v12
	v_cmp_gt_u32_e32 vcc, 32, v13
	s_mov_b32 s3, 0
	s_cmp_gt_i32 s48, 0
	v_cndmask_b32_e64 v14, 0, 1, vcc
	v_lshlrev_b32_e32 v14, 5, v14
	v_cmp_gt_u32_e32 vcc, 48, v13
	v_add_lshl_u32 v23, v14, v12, 2
	s_cselect_b64 s[30:31], -1, 0
	v_cndmask_b32_e64 v14, 0, 1, vcc
	v_lshlrev_b32_e32 v14, 4, v14
	v_cmp_gt_u32_e32 vcc, 56, v13
	v_add_lshl_u32 v24, v14, v12, 2
	s_lshl_b64 s[14:15], s[2:3], 2
	v_cndmask_b32_e64 v14, 0, 1, vcc
	v_lshlrev_b32_e32 v14, 3, v14
	v_cmp_gt_u32_e32 vcc, 60, v13
	s_waitcnt lgkmcnt(0)
	v_add_lshl_u32 v25, v14, v12, 2
	s_add_u32 s2, s49, s14
	v_cndmask_b32_e64 v14, 0, 1, vcc
	v_cmp_ge_i32_e64 s[0:1], s20, v31
	v_cmp_ge_i32_e64 s[4:5], s20, v32
	v_lshlrev_b32_e32 v14, 2, v14
	v_cmp_gt_u32_e32 vcc, 62, v13
	s_addc_u32 s20, s50, s15
	v_add_u32_e32 v16, s23, v8
	v_add_lshl_u32 v26, v14, v12, 2
	v_cndmask_b32_e64 v14, 0, 1, vcc
	v_add_u32_e32 v18, s23, v16
	s_add_u32 s14, s28, s18
	v_lshlrev_b32_e32 v14, 1, v14
	v_ashrrev_i32_e32 v17, 31, v16
	v_ashrrev_i32_e32 v19, 31, v18
	s_addc_u32 s15, s29, s19
	v_add_lshl_u32 v27, v14, v12, 2
	v_cmp_ne_u32_e32 vcc, 63, v13
	v_lshl_add_u64 v[14:15], v[16:17], 1, s[26:27]
	v_lshl_add_u64 v[16:17], v[18:19], 1, s[26:27]
	v_add_u32_e32 v18, s23, v18
	s_add_u32 s14, s16, s14
	v_lshlrev_b32_e32 v22, 2, v1
	v_addc_co_u32_e32 v12, vcc, 0, v12, vcc
	v_cmp_eq_u32_e64 s[8:9], 0, v1
	v_and_b32_e32 v1, 12, v9
	v_ashrrev_i32_e32 v9, 31, v8
	v_ashrrev_i32_e32 v19, 31, v18
	s_addc_u32 s15, s17, s15
	v_cmp_gt_u32_e64 s[6:7], 64, v0
	v_lshlrev_b32_e32 v28, 2, v12
	v_cmp_gt_u32_e64 s[10:11], 4, v0
	v_cmp_eq_u32_e64 s[12:13], 0, v0
	v_lshl_add_u64 v[12:13], v[8:9], 1, s[26:27]
	v_lshl_add_u64 v[18:19], v[18:19], 1, s[26:27]
	;; [unrolled: 1-line block ×3, first 2 shown]
	s_mul_i32 s16, s25, s24
	v_mov_b32_e32 v9, 0
	s_branch .LBB574_63
.LBB574_62:                             ;   in Loop: Header=BB574_63 Depth=1
	s_or_b64 exec, exec, s[14:15]
	s_add_i32 s25, s25, 1
	s_add_i32 s16, s16, s24
	s_cmp_ge_i32 s25, s21
	s_cbranch_scc1 .LBB574_84
.LBB574_63:                             ; =>This Loop Header: Depth=1
                                        ;     Child Loop BB574_76 Depth 2
                                        ;     Child Loop BB574_79 Depth 2
	s_waitcnt lgkmcnt(0)
	v_mov_b32_e32 v0, s3
	s_and_saveexec_b64 s[14:15], s[0:1]
	s_xor_b64 s[14:15], exec, s[14:15]
	s_cbranch_execnz .LBB574_72
; %bb.64:                               ;   in Loop: Header=BB574_63 Depth=1
	s_andn2_saveexec_b64 s[18:19], s[14:15]
	s_cbranch_execnz .LBB574_73
.LBB574_65:                             ;   in Loop: Header=BB574_63 Depth=1
	s_or_b64 exec, exec, s[18:19]
	s_and_saveexec_b64 s[14:15], s[6:7]
	s_cbranch_execz .LBB574_67
.LBB574_66:                             ;   in Loop: Header=BB574_63 Depth=1
	ds_write_b32 v22, v9
.LBB574_67:                             ;   in Loop: Header=BB574_63 Depth=1
	s_or_b64 exec, exec, s[14:15]
	ds_bpermute_b32 v20, v23, v0
	s_waitcnt lgkmcnt(0)
	s_barrier
	v_add_f32_e32 v0, v0, v20
	ds_bpermute_b32 v20, v24, v0
	s_waitcnt lgkmcnt(0)
	v_add_f32_e32 v0, v0, v20
	ds_bpermute_b32 v20, v25, v0
	s_waitcnt lgkmcnt(0)
	;; [unrolled: 3-line block ×4, first 2 shown]
	v_add_f32_e32 v0, v0, v20
	ds_bpermute_b32 v20, v28, v0
	s_and_saveexec_b64 s[14:15], s[8:9]
	s_cbranch_execz .LBB574_69
; %bb.68:                               ;   in Loop: Header=BB574_63 Depth=1
	s_waitcnt lgkmcnt(0)
	v_add_f32_e32 v0, v0, v20
	ds_write_b32 v1, v0
.LBB574_69:                             ;   in Loop: Header=BB574_63 Depth=1
	s_or_b64 exec, exec, s[14:15]
	v_mov_b32_e32 v0, 0
	s_waitcnt lgkmcnt(0)
	s_barrier
	s_and_saveexec_b64 s[14:15], s[10:11]
	s_cbranch_execnz .LBB574_81
; %bb.70:                               ;   in Loop: Header=BB574_63 Depth=1
	s_or_b64 exec, exec, s[14:15]
	s_and_saveexec_b64 s[14:15], s[6:7]
	s_cbranch_execnz .LBB574_82
.LBB574_71:                             ;   in Loop: Header=BB574_63 Depth=1
	s_or_b64 exec, exec, s[14:15]
	s_and_saveexec_b64 s[14:15], s[12:13]
	s_cbranch_execz .LBB574_62
	s_branch .LBB574_83
.LBB574_72:                             ;   in Loop: Header=BB574_63 Depth=1
	s_mul_i32 s18, s25, s24
	s_ashr_i32 s19, s18, 31
	v_lshl_add_u64 v[2:3], s[18:19], 1, v[6:7]
	global_load_ushort v0, v[12:13], off
	global_load_ushort v4, v[14:15], off
	;; [unrolled: 1-line block ×4, first 2 shown]
	global_load_dwordx2 v[20:21], v[2:3], off
	s_waitcnt vmcnt(4)
	v_lshlrev_b32_e32 v2, 16, v0
	s_waitcnt vmcnt(3)
	v_lshlrev_b32_e32 v3, 16, v4
	;; [unrolled: 2-line block ×4, first 2 shown]
	s_waitcnt vmcnt(0)
	v_and_b32_e32 v31, 0xffff0000, v20
	v_lshlrev_b32_e32 v30, 16, v20
	v_and_b32_e32 v33, 0xffff0000, v21
	v_lshlrev_b32_e32 v32, 16, v21
	v_pk_mul_f32 v[20:21], v[2:3], v[30:31]
	s_nop 0
	v_add_f32_e32 v0, 0, v20
	v_add_f32_e32 v0, v0, v21
	v_pk_mul_f32 v[20:21], v[4:5], v[32:33]
	s_nop 0
	v_add_f32_e32 v0, v0, v20
	v_add_f32_e32 v0, v0, v21
	s_andn2_saveexec_b64 s[18:19], s[14:15]
	s_cbranch_execz .LBB574_65
.LBB574_73:                             ;   in Loop: Header=BB574_63 Depth=1
	s_and_saveexec_b64 s[28:29], s[4:5]
	s_cbranch_execz .LBB574_80
; %bb.74:                               ;   in Loop: Header=BB574_63 Depth=1
	v_cndmask_b32_e64 v20, 0, 1, s[30:31]
	v_cmp_ne_u32_e64 s[14:15], 1, v20
	s_andn2_b64 vcc, exec, s[30:31]
	s_cbranch_vccnz .LBB574_77
; %bb.75:                               ;   in Loop: Header=BB574_63 Depth=1
	s_mov_b64 s[34:35], 0
	v_mov_b32_e32 v20, v8
.LBB574_76:                             ;   Parent Loop BB574_63 Depth=1
                                        ; =>  This Inner Loop Header: Depth=2
	v_ashrrev_i32_e32 v21, 31, v20
	v_lshl_add_u64 v[30:31], v[20:21], 1, s[26:27]
	global_load_ushort v21, v[30:31], off
	s_cmp_eq_u32 s34, 3
	s_cselect_b64 vcc, -1, 0
	s_cmp_eq_u32 s34, 2
	v_add_u32_e32 v20, s23, v20
	s_waitcnt vmcnt(0)
	v_lshlrev_b32_e32 v21, 16, v21
	v_cndmask_b32_e32 v5, v5, v21, vcc
	s_cselect_b64 vcc, -1, 0
	s_cmp_eq_u32 s34, 1
	v_cndmask_b32_e32 v4, v4, v21, vcc
	s_cselect_b64 vcc, -1, 0
	s_cmp_eq_u32 s34, 0
	v_cndmask_b32_e32 v3, v3, v21, vcc
	s_cselect_b64 vcc, -1, 0
	s_add_u32 s34, s34, 1
	s_addc_u32 s35, s35, 0
	s_cmp_eq_u32 s48, s34
	v_cndmask_b32_e32 v2, v2, v21, vcc
	s_cbranch_scc0 .LBB574_76
.LBB574_77:                             ;   in Loop: Header=BB574_63 Depth=1
	s_and_b64 vcc, exec, s[14:15]
	s_cbranch_vccnz .LBB574_80
; %bb.78:                               ;   in Loop: Header=BB574_63 Depth=1
	s_ashr_i32 s17, s16, 31
	v_lshl_add_u64 v[20:21], s[16:17], 1, v[10:11]
	s_mov_b64 s[14:15], 0
.LBB574_79:                             ;   Parent Loop BB574_63 Depth=1
                                        ; =>  This Inner Loop Header: Depth=2
	global_load_ushort v29, v[20:21], off
	s_cmp_eq_u32 s14, 1
	s_cselect_b64 vcc, -1, 0
	s_cmp_eq_u32 s14, 2
	v_cndmask_b32_e32 v30, v2, v3, vcc
	s_cselect_b64 vcc, -1, 0
	s_cmp_eq_u32 s14, 3
	v_cndmask_b32_e32 v30, v30, v4, vcc
	s_cselect_b64 vcc, -1, 0
	s_add_u32 s14, s14, 1
	v_cndmask_b32_e32 v30, v30, v5, vcc
	s_addc_u32 s15, s15, 0
	v_lshl_add_u64 v[20:21], v[20:21], 0, 2
	s_cmp_lg_u32 s48, s14
	s_waitcnt vmcnt(0)
	v_lshlrev_b32_e32 v29, 16, v29
	v_fmac_f32_e32 v0, v30, v29
	s_cbranch_scc1 .LBB574_79
.LBB574_80:                             ;   in Loop: Header=BB574_63 Depth=1
	s_or_b64 exec, exec, s[28:29]
	s_or_b64 exec, exec, s[18:19]
	s_and_saveexec_b64 s[14:15], s[6:7]
	s_cbranch_execnz .LBB574_66
	s_branch .LBB574_67
.LBB574_81:                             ;   in Loop: Header=BB574_63 Depth=1
	ds_read_b32 v0, v22
	s_or_b64 exec, exec, s[14:15]
	s_and_saveexec_b64 s[14:15], s[6:7]
	s_cbranch_execz .LBB574_71
.LBB574_82:                             ;   in Loop: Header=BB574_63 Depth=1
	s_waitcnt lgkmcnt(0)
	ds_bpermute_b32 v20, v27, v0
	s_waitcnt lgkmcnt(0)
	v_add_f32_e32 v0, v0, v20
	ds_bpermute_b32 v20, v28, v0
	s_waitcnt lgkmcnt(0)
	v_add_f32_e32 v0, v0, v20
	s_or_b64 exec, exec, s[14:15]
	s_and_saveexec_b64 s[14:15], s[12:13]
	s_cbranch_execz .LBB574_62
.LBB574_83:                             ;   in Loop: Header=BB574_63 Depth=1
	s_mul_hi_u32 s19, s25, s22
	s_mul_i32 s18, s25, s22
	s_lshl_b64 s[18:19], s[18:19], 2
	s_add_u32 s18, s2, s18
	s_waitcnt lgkmcnt(0)
	v_mul_f32_e32 v0, s33, v0
	s_addc_u32 s19, s20, s19
	global_store_dword v9, v0, s[18:19]
	s_branch .LBB574_62
.LBB574_84:
	s_endpgm
	.section	.rodata,"a",@progbits
	.p2align	6, 0x0
	.amdhsa_kernel _ZL23rocblas_gemvt_sn_kernelILb1ELi256ELi4Ei16rocblas_bfloat16PKffEviiT4_lPKT3_lilS6_lilPT5_i
		.amdhsa_group_segment_fixed_size 256
		.amdhsa_private_segment_fixed_size 0
		.amdhsa_kernarg_size 360
		.amdhsa_user_sgpr_count 2
		.amdhsa_user_sgpr_dispatch_ptr 0
		.amdhsa_user_sgpr_queue_ptr 0
		.amdhsa_user_sgpr_kernarg_segment_ptr 1
		.amdhsa_user_sgpr_dispatch_id 0
		.amdhsa_user_sgpr_kernarg_preload_length 0
		.amdhsa_user_sgpr_kernarg_preload_offset 0
		.amdhsa_user_sgpr_private_segment_size 0
		.amdhsa_uses_dynamic_stack 0
		.amdhsa_enable_private_segment 0
		.amdhsa_system_sgpr_workgroup_id_x 1
		.amdhsa_system_sgpr_workgroup_id_y 0
		.amdhsa_system_sgpr_workgroup_id_z 1
		.amdhsa_system_sgpr_workgroup_info 0
		.amdhsa_system_vgpr_workitem_id 0
		.amdhsa_next_free_vgpr 64
		.amdhsa_next_free_sgpr 58
		.amdhsa_accum_offset 64
		.amdhsa_reserve_vcc 1
		.amdhsa_float_round_mode_32 0
		.amdhsa_float_round_mode_16_64 0
		.amdhsa_float_denorm_mode_32 3
		.amdhsa_float_denorm_mode_16_64 3
		.amdhsa_dx10_clamp 1
		.amdhsa_ieee_mode 1
		.amdhsa_fp16_overflow 0
		.amdhsa_tg_split 0
		.amdhsa_exception_fp_ieee_invalid_op 0
		.amdhsa_exception_fp_denorm_src 0
		.amdhsa_exception_fp_ieee_div_zero 0
		.amdhsa_exception_fp_ieee_overflow 0
		.amdhsa_exception_fp_ieee_underflow 0
		.amdhsa_exception_fp_ieee_inexact 0
		.amdhsa_exception_int_div_zero 0
	.end_amdhsa_kernel
	.section	.text._ZL23rocblas_gemvt_sn_kernelILb1ELi256ELi4Ei16rocblas_bfloat16PKffEviiT4_lPKT3_lilS6_lilPT5_i,"axG",@progbits,_ZL23rocblas_gemvt_sn_kernelILb1ELi256ELi4Ei16rocblas_bfloat16PKffEviiT4_lPKT3_lilS6_lilPT5_i,comdat
.Lfunc_end574:
	.size	_ZL23rocblas_gemvt_sn_kernelILb1ELi256ELi4Ei16rocblas_bfloat16PKffEviiT4_lPKT3_lilS6_lilPT5_i, .Lfunc_end574-_ZL23rocblas_gemvt_sn_kernelILb1ELi256ELi4Ei16rocblas_bfloat16PKffEviiT4_lPKT3_lilS6_lilPT5_i
                                        ; -- End function
	.section	.AMDGPU.csdata,"",@progbits
; Kernel info:
; codeLenInByte = 4108
; NumSgprs: 64
; NumVgprs: 64
; NumAgprs: 0
; TotalNumVgprs: 64
; ScratchSize: 0
; MemoryBound: 0
; FloatMode: 240
; IeeeMode: 1
; LDSByteSize: 256 bytes/workgroup (compile time only)
; SGPRBlocks: 7
; VGPRBlocks: 7
; NumSGPRsForWavesPerEU: 64
; NumVGPRsForWavesPerEU: 64
; AccumOffset: 64
; Occupancy: 8
; WaveLimiterHint : 1
; COMPUTE_PGM_RSRC2:SCRATCH_EN: 0
; COMPUTE_PGM_RSRC2:USER_SGPR: 2
; COMPUTE_PGM_RSRC2:TRAP_HANDLER: 0
; COMPUTE_PGM_RSRC2:TGID_X_EN: 1
; COMPUTE_PGM_RSRC2:TGID_Y_EN: 0
; COMPUTE_PGM_RSRC2:TGID_Z_EN: 1
; COMPUTE_PGM_RSRC2:TIDIG_COMP_CNT: 0
; COMPUTE_PGM_RSRC3_GFX90A:ACCUM_OFFSET: 15
; COMPUTE_PGM_RSRC3_GFX90A:TG_SPLIT: 0
	.section	.text._ZL23rocblas_gemvt_sn_kernelILb1ELi256ELi4El16rocblas_bfloat16PKffEviiT4_lPKT3_lilS6_lilPT5_i,"axG",@progbits,_ZL23rocblas_gemvt_sn_kernelILb1ELi256ELi4El16rocblas_bfloat16PKffEviiT4_lPKT3_lilS6_lilPT5_i,comdat
	.globl	_ZL23rocblas_gemvt_sn_kernelILb1ELi256ELi4El16rocblas_bfloat16PKffEviiT4_lPKT3_lilS6_lilPT5_i ; -- Begin function _ZL23rocblas_gemvt_sn_kernelILb1ELi256ELi4El16rocblas_bfloat16PKffEviiT4_lPKT3_lilS6_lilPT5_i
	.p2align	8
	.type	_ZL23rocblas_gemvt_sn_kernelILb1ELi256ELi4El16rocblas_bfloat16PKffEviiT4_lPKT3_lilS6_lilPT5_i,@function
_ZL23rocblas_gemvt_sn_kernelILb1ELi256ELi4El16rocblas_bfloat16PKffEviiT4_lPKT3_lilS6_lilPT5_i: ; @_ZL23rocblas_gemvt_sn_kernelILb1ELi256ELi4El16rocblas_bfloat16PKffEviiT4_lPKT3_lilS6_lilPT5_i
; %bb.0:
	s_load_dwordx8 s[12:19], s[0:1], 0x8
	s_load_dwordx2 s[24:25], s[0:1], 0x0
	s_mov_b32 s6, s3
	s_mov_b32 s27, 0
	s_waitcnt lgkmcnt(0)
	s_mul_i32 s3, s3, s15
	s_mul_hi_u32 s4, s6, s14
	s_add_i32 s5, s4, s3
	s_mul_i32 s4, s6, s14
	s_lshl_b64 s[4:5], s[4:5], 2
	s_add_u32 s4, s12, s4
	s_addc_u32 s5, s13, s5
	s_load_dword s33, s[4:5], 0x0
	s_load_dwordx4 s[8:11], s[0:1], 0x50
	s_load_dword s26, s[0:1], 0x68
	s_ashr_i32 s7, s25, 31
	s_mul_hi_u32 s3, s25, s6
	s_mul_i32 s4, s7, s6
	s_add_i32 s13, s3, s4
	s_mul_i32 s12, s25, s6
	s_waitcnt lgkmcnt(0)
	s_mul_i32 s3, s13, s26
	s_mul_hi_u32 s4, s12, s26
	s_add_i32 s5, s4, s3
	s_mul_i32 s4, s12, s26
	s_lshl_b64 s[4:5], s[4:5], 2
	s_add_u32 s58, s10, s4
	s_addc_u32 s59, s11, s5
	v_cmp_neq_f32_e64 s[4:5], s33, 0
	s_and_b64 vcc, exec, s[4:5]
	v_cmp_eq_u32_e64 s[4:5], 0, v0
	s_cbranch_vccnz .LBB575_10
; %bb.1:
	s_cmp_gt_i32 s25, 0
	s_cselect_b64 s[14:15], -1, 0
	s_and_b64 s[14:15], s[4:5], s[14:15]
	s_and_saveexec_b64 s[4:5], s[14:15]
	s_cbranch_execz .LBB575_9
; %bb.2:
	s_cmp_gt_u32 s25, 1
	s_cselect_b64 s[14:15], -1, 0
	s_cmp_eq_u32 s26, 1
	s_cselect_b64 s[22:23], -1, 0
	s_mov_b32 s3, 0
	s_and_b64 s[14:15], s[14:15], s[22:23]
	s_mov_b64 s[20:21], -1
	s_andn2_b64 vcc, exec, s[14:15]
	s_mov_b32 s14, s3
	s_cbranch_vccnz .LBB575_6
; %bb.3:
	s_lshl_b64 s[14:15], s[2:3], 2
	s_add_u32 s20, s58, s14
	s_addc_u32 s21, s59, s15
	s_and_b32 s14, s25, 0x7ffffffe
	v_mov_b32_e32 v2, 0
	v_mov_b32_e32 v3, v2
	s_mov_b32 s15, s14
.LBB575_4:                              ; =>This Inner Loop Header: Depth=1
	global_store_dwordx2 v2, v[2:3], s[20:21]
	s_add_u32 s20, s20, 8
	s_addc_u32 s21, s21, 0
	s_add_i32 s15, s15, -2
	s_cmp_lg_u32 s15, 0
	s_cbranch_scc1 .LBB575_4
; %bb.5:
	s_cmp_lg_u32 s14, s25
	s_cselect_b64 s[20:21], -1, 0
.LBB575_6:
	s_and_b64 vcc, exec, s[20:21]
	s_cbranch_vccz .LBB575_9
; %bb.7:
	s_mov_b32 s15, 0
	s_sub_i32 s20, s25, s14
	s_lshl_b64 s[12:13], s[12:13], 2
	s_lshl_b64 s[14:15], s[14:15], 2
	s_add_u32 s12, s12, s14
	s_addc_u32 s13, s13, s15
	s_mul_i32 s13, s13, s26
	s_mul_hi_u32 s14, s12, s26
	s_add_i32 s14, s14, s13
	s_mul_i32 s15, s12, s26
	s_lshl_b64 s[12:13], s[2:3], 2
	s_add_u32 s3, s15, s12
	s_addc_u32 s12, s14, s13
	s_add_u32 s10, s10, s3
	s_addc_u32 s11, s11, s12
	s_lshl_b64 s[12:13], s[26:27], 2
	v_mov_b32_e32 v1, 0
.LBB575_8:                              ; =>This Inner Loop Header: Depth=1
	s_add_i32 s20, s20, -1
	global_store_dword v1, v1, s[10:11]
	s_add_u32 s10, s10, s12
	s_addc_u32 s11, s11, s13
	s_cmp_eq_u32 s20, 0
	s_cbranch_scc0 .LBB575_8
.LBB575_9:
	s_or_b64 exec, exec, s[4:5]
	s_cbranch_execz .LBB575_11
	s_branch .LBB575_84
.LBB575_10:
.LBB575_11:
	s_load_dword s28, s[0:1], 0x28
	s_load_dword s30, s[0:1], 0x48
	s_load_dwordx2 s[4:5], s[0:1], 0x40
	s_load_dwordx4 s[20:23], s[0:1], 0x30
	s_mul_i32 s0, s6, s9
	s_mul_hi_u32 s1, s6, s8
	s_add_i32 s1, s1, s0
	s_mul_i32 s0, s6, s8
	s_waitcnt lgkmcnt(0)
	s_ashr_i32 s29, s28, 31
	s_ashr_i32 s31, s30, 31
	s_lshl_b64 s[34:35], s[0:1], 1
	s_add_u32 s0, s22, s34
	s_addc_u32 s1, s23, s35
	s_lshl_b64 s[36:37], s[4:5], 1
	s_add_u32 s38, s0, s36
	s_addc_u32 s39, s1, s37
	s_mul_i32 s0, s6, s21
	s_mul_hi_u32 s1, s6, s20
	s_add_i32 s1, s1, s0
	s_mul_i32 s0, s6, s20
	s_lshl_b64 s[20:21], s[0:1], 1
	s_add_u32 s0, s16, s20
	s_addc_u32 s1, s17, s21
	s_lshl_b64 s[18:19], s[18:19], 1
	s_add_u32 s0, s0, s18
	s_addc_u32 s1, s1, s19
	s_lshl_b32 s3, s2, 10
	v_lshl_or_b32 v8, v0, 2, s3
	v_ashrrev_i32_e32 v9, 31, v8
	v_lshl_add_u64 v[6:7], v[8:9], 1, s[0:1]
	s_lshr_b32 s0, s7, 30
	s_add_i32 s0, s25, s0
	s_and_b32 s60, s0, -4
	s_ashr_i32 s0, s24, 31
	s_lshr_b32 s0, s0, 30
	s_add_i32 s0, s24, s0
	s_and_b32 s0, s0, -4
	s_sub_i32 s27, s24, s0
	s_cmp_lt_i32 s60, 1
	v_add_u32_e32 v33, 4, v8
	v_add_u32_e32 v34, s27, v8
	v_and_b32_e32 v30, 63, v0
	v_cmp_gt_u32_e64 s[0:1], 64, v0
	v_mbcnt_lo_u32_b32 v32, -1, 0
	v_cmp_gt_u32_e64 s[4:5], 4, v0
	v_lshrrev_b32_e32 v31, 4, v0
	v_or_b32_e32 v29, 1, v8
	v_or_b32_e32 v28, 2, v8
	v_or_b32_e32 v1, 3, v8
	s_cbranch_scc1 .LBB575_59
; %bb.12:
	v_mbcnt_hi_u32_b32 v2, -1, v32
	v_and_b32_e32 v3, 63, v2
	v_cmp_gt_u32_e32 vcc, 32, v3
	s_mov_b32 s3, 0
	s_cmp_gt_i32 s27, 0
	v_cndmask_b32_e64 v4, 0, 1, vcc
	v_lshlrev_b32_e32 v4, 5, v4
	v_cmp_gt_u32_e32 vcc, 48, v3
	v_add_lshl_u32 v35, v4, v2, 2
	s_cselect_b64 s[40:41], -1, 0
	v_cndmask_b32_e64 v4, 0, 1, vcc
	v_lshlrev_b32_e32 v4, 4, v4
	v_cmp_gt_u32_e32 vcc, 56, v3
	v_add_lshl_u32 v36, v4, v2, 2
	s_lshl_b64 s[14:15], s[2:3], 2
	v_cndmask_b32_e64 v4, 0, 1, vcc
	v_lshlrev_b32_e32 v4, 3, v4
	v_cmp_gt_u32_e32 vcc, 60, v3
	v_add_lshl_u32 v37, v4, v2, 2
	s_add_u32 s61, s58, s14
	v_cndmask_b32_e64 v4, 0, 1, vcc
	v_lshlrev_b32_e32 v4, 2, v4
	v_cmp_gt_u32_e32 vcc, 62, v3
	v_add_lshl_u32 v38, v4, v2, 2
	s_addc_u32 s62, s59, s15
	v_cndmask_b32_e64 v4, 0, 1, vcc
	v_lshlrev_b32_e32 v4, 1, v4
	v_add_lshl_u32 v39, v4, v2, 2
	v_cmp_ne_u32_e32 vcc, 63, v3
	v_mad_i64_i32 v[4:5], s[14:15], s30, v29, 0
	s_nop 0
	v_addc_co_u32_e32 v2, vcc, 0, v2, vcc
	v_lshl_add_u64 v[12:13], v[4:5], 1, s[38:39]
	v_mad_i64_i32 v[4:5], s[14:15], s30, v28, 0
	v_lshlrev_b32_e32 v40, 2, v2
	v_mad_i64_i32 v[2:3], s[14:15], s30, v8, 0
	v_lshl_add_u64 v[14:15], v[4:5], 1, s[38:39]
	v_mad_i64_i32 v[4:5], s[14:15], s30, v1, 0
	s_add_u32 s14, s22, s36
	s_addc_u32 s15, s23, s37
	s_add_u32 s14, s14, s34
	v_lshlrev_b64 v[2:3], 1, v[2:3]
	s_addc_u32 s15, s15, s35
	v_cmp_ge_i32_e64 s[6:7], s24, v33
	v_cmp_ge_i32_e64 s[8:9], s24, v34
	v_cmp_eq_u32_e64 s[10:11], 0, v30
	v_lshlrev_b32_e32 v41, 2, v30
	v_and_b32_e32 v42, 12, v31
	v_cmp_eq_u32_e64 s[12:13], 0, v0
	v_lshl_add_u64 v[10:11], s[38:39], 0, v[2:3]
	v_lshl_add_u64 v[16:17], v[4:5], 1, s[38:39]
	;; [unrolled: 1-line block ×3, first 2 shown]
	s_lshl_b64 s[42:43], s[30:31], 1
	s_lshl_b64 s[44:45], s[28:29], 3
	;; [unrolled: 1-line block ×4, first 2 shown]
	s_mul_hi_i32 s51, s28, 6
	s_mul_i32 s50, s28, 6
	v_mov_b32_e32 v43, 0
	v_mov_b64_e32 v[20:21], v[6:7]
                                        ; implicit-def: $vgpr2_vgpr3_vgpr4_vgpr5
	s_branch .LBB575_14
.LBB575_13:                             ;   in Loop: Header=BB575_14 Depth=1
	s_or_b64 exec, exec, s[14:15]
	s_add_i32 s3, s3, 4
	s_cmp_ge_i32 s3, s60
	v_lshl_add_u64 v[20:21], v[20:21], 0, s[44:45]
	s_cbranch_scc1 .LBB575_60
.LBB575_14:                             ; =>This Loop Header: Depth=1
                                        ;     Child Loop BB575_45 Depth 2
                                        ;     Child Loop BB575_48 Depth 2
                                        ; implicit-def: $vgpr23
                                        ; implicit-def: $vgpr25
	s_and_saveexec_b64 s[14:15], s[6:7]
	s_xor_b64 s[14:15], exec, s[14:15]
	s_cbranch_execnz .LBB575_41
; %bb.15:                               ;   in Loop: Header=BB575_14 Depth=1
	s_andn2_saveexec_b64 s[52:53], s[14:15]
	s_cbranch_execnz .LBB575_42
.LBB575_16:                             ;   in Loop: Header=BB575_14 Depth=1
	s_or_b64 exec, exec, s[52:53]
	s_and_saveexec_b64 s[14:15], s[0:1]
	s_cbranch_execz .LBB575_18
.LBB575_17:                             ;   in Loop: Header=BB575_14 Depth=1
	ds_write_b32 v41, v43
.LBB575_18:                             ;   in Loop: Header=BB575_14 Depth=1
	s_or_b64 exec, exec, s[14:15]
	ds_bpermute_b32 v26, v35, v24
	s_waitcnt lgkmcnt(0)
	s_barrier
	v_add_f32_e32 v24, v24, v26
	ds_bpermute_b32 v26, v36, v24
	s_waitcnt lgkmcnt(0)
	v_add_f32_e32 v24, v24, v26
	ds_bpermute_b32 v26, v37, v24
	s_waitcnt lgkmcnt(0)
	;; [unrolled: 3-line block ×4, first 2 shown]
	v_add_f32_e32 v24, v24, v26
	ds_bpermute_b32 v26, v40, v24
	s_and_saveexec_b64 s[14:15], s[10:11]
	s_cbranch_execz .LBB575_20
; %bb.19:                               ;   in Loop: Header=BB575_14 Depth=1
	s_waitcnt lgkmcnt(0)
	v_add_f32_e32 v24, v24, v26
	ds_write_b32 v42, v24
.LBB575_20:                             ;   in Loop: Header=BB575_14 Depth=1
	s_or_b64 exec, exec, s[14:15]
	v_mov_b32_e32 v24, 0
	s_waitcnt lgkmcnt(0)
	s_barrier
	s_and_saveexec_b64 s[14:15], s[4:5]
	s_cbranch_execnz .LBB575_50
; %bb.21:                               ;   in Loop: Header=BB575_14 Depth=1
	s_or_b64 exec, exec, s[14:15]
	s_and_saveexec_b64 s[14:15], s[0:1]
	s_cbranch_execnz .LBB575_51
.LBB575_22:                             ;   in Loop: Header=BB575_14 Depth=1
	s_or_b64 exec, exec, s[14:15]
	s_and_saveexec_b64 s[14:15], s[0:1]
	s_cbranch_execz .LBB575_24
.LBB575_23:                             ;   in Loop: Header=BB575_14 Depth=1
	ds_write_b32 v41, v43
.LBB575_24:                             ;   in Loop: Header=BB575_14 Depth=1
	s_or_b64 exec, exec, s[14:15]
	ds_bpermute_b32 v26, v35, v25
	s_waitcnt lgkmcnt(0)
	s_barrier
	v_add_f32_e32 v25, v25, v26
	ds_bpermute_b32 v26, v36, v25
	s_waitcnt lgkmcnt(0)
	v_add_f32_e32 v25, v25, v26
	ds_bpermute_b32 v26, v37, v25
	s_waitcnt lgkmcnt(0)
	;; [unrolled: 3-line block ×4, first 2 shown]
	v_add_f32_e32 v25, v25, v26
	ds_bpermute_b32 v26, v40, v25
	s_and_saveexec_b64 s[14:15], s[10:11]
	s_cbranch_execz .LBB575_26
; %bb.25:                               ;   in Loop: Header=BB575_14 Depth=1
	s_waitcnt lgkmcnt(0)
	v_add_f32_e32 v25, v25, v26
	ds_write_b32 v42, v25
.LBB575_26:                             ;   in Loop: Header=BB575_14 Depth=1
	s_or_b64 exec, exec, s[14:15]
	v_mov_b32_e32 v25, 0
	s_waitcnt lgkmcnt(0)
	s_barrier
	s_and_saveexec_b64 s[14:15], s[4:5]
	s_cbranch_execnz .LBB575_52
; %bb.27:                               ;   in Loop: Header=BB575_14 Depth=1
	s_or_b64 exec, exec, s[14:15]
	s_and_saveexec_b64 s[14:15], s[0:1]
	s_cbranch_execnz .LBB575_53
.LBB575_28:                             ;   in Loop: Header=BB575_14 Depth=1
	s_or_b64 exec, exec, s[14:15]
	s_and_saveexec_b64 s[14:15], s[0:1]
	s_cbranch_execz .LBB575_30
.LBB575_29:                             ;   in Loop: Header=BB575_14 Depth=1
	ds_write_b32 v41, v43
.LBB575_30:                             ;   in Loop: Header=BB575_14 Depth=1
	s_or_b64 exec, exec, s[14:15]
	ds_bpermute_b32 v26, v35, v22
	s_waitcnt lgkmcnt(0)
	s_barrier
	v_add_f32_e32 v22, v22, v26
	ds_bpermute_b32 v26, v36, v22
	s_waitcnt lgkmcnt(0)
	v_add_f32_e32 v22, v22, v26
	ds_bpermute_b32 v26, v37, v22
	s_waitcnt lgkmcnt(0)
	;; [unrolled: 3-line block ×4, first 2 shown]
	v_add_f32_e32 v22, v22, v26
	ds_bpermute_b32 v26, v40, v22
	s_and_saveexec_b64 s[14:15], s[10:11]
	s_cbranch_execz .LBB575_32
; %bb.31:                               ;   in Loop: Header=BB575_14 Depth=1
	s_waitcnt lgkmcnt(0)
	v_add_f32_e32 v22, v22, v26
	ds_write_b32 v42, v22
.LBB575_32:                             ;   in Loop: Header=BB575_14 Depth=1
	s_or_b64 exec, exec, s[14:15]
	v_mov_b32_e32 v22, 0
	s_waitcnt lgkmcnt(0)
	s_barrier
	s_and_saveexec_b64 s[14:15], s[4:5]
	s_cbranch_execnz .LBB575_54
; %bb.33:                               ;   in Loop: Header=BB575_14 Depth=1
	s_or_b64 exec, exec, s[14:15]
	s_and_saveexec_b64 s[14:15], s[0:1]
	s_cbranch_execnz .LBB575_55
.LBB575_34:                             ;   in Loop: Header=BB575_14 Depth=1
	s_or_b64 exec, exec, s[14:15]
	s_and_saveexec_b64 s[14:15], s[0:1]
	s_cbranch_execz .LBB575_36
.LBB575_35:                             ;   in Loop: Header=BB575_14 Depth=1
	ds_write_b32 v41, v43
.LBB575_36:                             ;   in Loop: Header=BB575_14 Depth=1
	s_or_b64 exec, exec, s[14:15]
	ds_bpermute_b32 v26, v35, v23
	s_waitcnt lgkmcnt(0)
	s_barrier
	v_add_f32_e32 v23, v23, v26
	ds_bpermute_b32 v26, v36, v23
	s_waitcnt lgkmcnt(0)
	v_add_f32_e32 v23, v23, v26
	ds_bpermute_b32 v26, v37, v23
	s_waitcnt lgkmcnt(0)
	;; [unrolled: 3-line block ×4, first 2 shown]
	v_add_f32_e32 v23, v23, v26
	ds_bpermute_b32 v26, v40, v23
	s_and_saveexec_b64 s[14:15], s[10:11]
	s_cbranch_execz .LBB575_38
; %bb.37:                               ;   in Loop: Header=BB575_14 Depth=1
	s_waitcnt lgkmcnt(0)
	v_add_f32_e32 v23, v23, v26
	ds_write_b32 v42, v23
.LBB575_38:                             ;   in Loop: Header=BB575_14 Depth=1
	s_or_b64 exec, exec, s[14:15]
	v_mov_b32_e32 v23, 0
	s_waitcnt lgkmcnt(0)
	s_barrier
	s_and_saveexec_b64 s[14:15], s[4:5]
	s_cbranch_execnz .LBB575_56
; %bb.39:                               ;   in Loop: Header=BB575_14 Depth=1
	s_or_b64 exec, exec, s[14:15]
	s_and_saveexec_b64 s[14:15], s[0:1]
	s_cbranch_execnz .LBB575_57
.LBB575_40:                             ;   in Loop: Header=BB575_14 Depth=1
	s_or_b64 exec, exec, s[14:15]
	s_and_saveexec_b64 s[14:15], s[12:13]
	s_cbranch_execz .LBB575_13
	s_branch .LBB575_58
.LBB575_41:                             ;   in Loop: Header=BB575_14 Depth=1
	s_mul_i32 s52, s3, s29
	s_mul_hi_u32 s53, s3, s28
	s_add_i32 s53, s53, s52
	s_mul_i32 s52, s3, s28
	v_lshl_add_u64 v[2:3], s[52:53], 1, v[6:7]
	s_or_b32 s52, s3, 2
	s_mul_i32 s53, s52, s29
	s_mul_hi_u32 s55, s52, s28
	s_add_i32 s53, s55, s53
	s_mul_i32 s52, s52, s28
	s_waitcnt lgkmcnt(0)
	global_load_dwordx2 v[22:23], v[2:3], off
	v_lshl_add_u64 v[2:3], s[52:53], 1, v[6:7]
	s_or_b32 s52, s3, 3
	s_mul_i32 s53, s52, s29
	s_mul_hi_u32 s55, s52, s28
	s_or_b32 s54, s3, 1
	s_add_i32 s53, s55, s53
	s_mul_i32 s52, s52, s28
	global_load_ushort v4, v[10:11], off
	global_load_ushort v5, v[12:13], off
	global_load_ushort v46, v[14:15], off
	global_load_ushort v49, v[16:17], off
	global_load_dwordx2 v[24:25], v[2:3], off
	v_lshl_add_u64 v[2:3], s[52:53], 1, v[6:7]
	s_mul_i32 s52, s54, s29
	s_mul_hi_u32 s53, s54, s28
	global_load_dwordx2 v[26:27], v[2:3], off
	s_add_i32 s53, s53, s52
	s_mul_i32 s52, s54, s28
	v_lshl_add_u64 v[2:3], s[52:53], 1, v[6:7]
	global_load_dwordx2 v[44:45], v[2:3], off
	s_waitcnt vmcnt(7)
	v_lshlrev_b32_e32 v56, 16, v22
	v_and_b32_e32 v22, 0xffff0000, v22
	v_lshlrev_b32_e32 v58, 16, v23
	v_and_b32_e32 v60, 0xffff0000, v23
	s_waitcnt vmcnt(6)
	v_lshlrev_b32_e32 v2, 16, v4
	s_waitcnt vmcnt(5)
	v_lshlrev_b32_e32 v47, 16, v5
	;; [unrolled: 2-line block ×5, first 2 shown]
	v_lshlrev_b32_e32 v62, 16, v25
	v_and_b32_e32 v25, 0xffff0000, v25
	v_and_b32_e32 v55, 0xffff0000, v24
	s_waitcnt vmcnt(1)
	v_and_b32_e32 v3, 0xffff0000, v26
	v_lshlrev_b32_e32 v46, 16, v26
	v_and_b32_e32 v49, 0xffff0000, v27
	v_lshlrev_b32_e32 v50, 16, v27
	v_pk_mul_f32 v[26:27], v[46:47], v[2:3]
	s_waitcnt vmcnt(0)
	v_lshlrev_b32_e32 v57, 16, v44
	v_mul_f32_e32 v24, v2, v53
	v_mov_b32_e32 v3, v47
	v_mul_f32_e32 v46, v48, v62
	v_pk_mul_f32 v[62:63], v[50:51], v[48:49]
	v_mul_f32_e32 v50, v51, v25
	v_mov_b32_e32 v25, v26
	v_mov_b32_e32 v52, v47
	v_and_b32_e32 v23, 0xffff0000, v44
	v_lshlrev_b32_e32 v59, 16, v45
	v_and_b32_e32 v61, 0xffff0000, v45
	v_mul_f32_e32 v44, v47, v55
	v_mov_b32_e32 v45, v27
	v_pk_fma_f32 v[26:27], v[2:3], v[56:57], 0 op_sel_hi:[0,1,0]
	v_pk_add_f32 v[24:25], v[24:25], 0 op_sel_hi:[1,0]
	v_mov_b32_e32 v47, v62
	v_pk_fma_f32 v[22:23], v[52:53], v[22:23], v[26:27] op_sel_hi:[0,1,1]
	v_pk_add_f32 v[24:25], v[24:25], v[44:45]
	v_mov_b32_e32 v5, v51
	v_mov_b32_e32 v54, v51
	;; [unrolled: 1-line block ×3, first 2 shown]
	v_pk_fma_f32 v[26:27], v[48:49], v[58:59], v[22:23] op_sel_hi:[0,1,1]
	v_pk_add_f32 v[22:23], v[24:25], v[46:47]
	v_mov_b32_e32 v4, v48
	v_pk_add_f32 v[22:23], v[22:23], v[50:51]
	v_pk_fma_f32 v[24:25], v[54:55], v[60:61], v[26:27] op_sel_hi:[0,1,1]
	s_andn2_saveexec_b64 s[52:53], s[14:15]
	s_cbranch_execz .LBB575_16
.LBB575_42:                             ;   in Loop: Header=BB575_14 Depth=1
	s_waitcnt lgkmcnt(0)
	v_mov_b32_e32 v23, 0
	v_mov_b32_e32 v22, 0
	;; [unrolled: 1-line block ×4, first 2 shown]
	s_and_saveexec_b64 s[54:55], s[8:9]
	s_cbranch_execz .LBB575_49
; %bb.43:                               ;   in Loop: Header=BB575_14 Depth=1
	v_cndmask_b32_e64 v22, 0, 1, s[40:41]
	v_cmp_ne_u32_e64 s[14:15], 1, v22
	s_andn2_b64 vcc, exec, s[40:41]
	s_cbranch_vccnz .LBB575_46
; %bb.44:                               ;   in Loop: Header=BB575_14 Depth=1
	s_mov_b64 s[56:57], 0
	v_mov_b64_e32 v[22:23], v[18:19]
.LBB575_45:                             ;   Parent Loop BB575_14 Depth=1
                                        ; =>  This Inner Loop Header: Depth=2
	global_load_ushort v24, v[22:23], off
	s_cmp_eq_u32 s56, 3
	s_cselect_b64 vcc, -1, 0
	s_cmp_eq_u32 s56, 2
	v_lshl_add_u64 v[22:23], v[22:23], 0, s[42:43]
	s_waitcnt vmcnt(0)
	v_lshlrev_b32_e32 v24, 16, v24
	v_cndmask_b32_e32 v5, v5, v24, vcc
	s_cselect_b64 vcc, -1, 0
	s_cmp_eq_u32 s56, 1
	v_cndmask_b32_e32 v4, v4, v24, vcc
	s_cselect_b64 vcc, -1, 0
	s_cmp_eq_u32 s56, 0
	v_cndmask_b32_e32 v3, v3, v24, vcc
	s_cselect_b64 vcc, -1, 0
	s_add_u32 s56, s56, 1
	s_addc_u32 s57, s57, 0
	s_cmp_eq_u32 s27, s56
	v_cndmask_b32_e32 v2, v2, v24, vcc
	s_cbranch_scc0 .LBB575_45
.LBB575_46:                             ;   in Loop: Header=BB575_14 Depth=1
	v_mov_b32_e32 v23, 0
	s_and_b64 vcc, exec, s[14:15]
	v_mov_b32_e32 v22, v23
	v_mov_b32_e32 v25, v23
	;; [unrolled: 1-line block ×3, first 2 shown]
	s_cbranch_vccnz .LBB575_49
; %bb.47:                               ;   in Loop: Header=BB575_14 Depth=1
	v_mov_b32_e32 v24, 0
	s_mov_b64 s[14:15], 0
	v_mov_b64_e32 v[26:27], v[20:21]
	v_mov_b32_e32 v25, v24
	v_mov_b32_e32 v22, v24
	;; [unrolled: 1-line block ×3, first 2 shown]
.LBB575_48:                             ;   Parent Loop BB575_14 Depth=1
                                        ; =>  This Inner Loop Header: Depth=2
	v_lshl_add_u64 v[44:45], v[26:27], 0, s[46:47]
	v_lshl_add_u64 v[48:49], v[26:27], 0, s[50:51]
	;; [unrolled: 1-line block ×3, first 2 shown]
	global_load_ushort v50, v[26:27], off
	s_nop 0
	global_load_ushort v45, v[44:45], off
	s_nop 0
	;; [unrolled: 2-line block ×3, first 2 shown]
	global_load_ushort v51, v[46:47], off
	s_cmp_eq_u32 s14, 1
	s_cselect_b64 vcc, -1, 0
	s_cmp_eq_u32 s14, 2
	v_cndmask_b32_e32 v44, v2, v3, vcc
	s_cselect_b64 vcc, -1, 0
	s_cmp_eq_u32 s14, 3
	v_cndmask_b32_e32 v44, v44, v4, vcc
	s_cselect_b64 vcc, -1, 0
	s_add_u32 s14, s14, 1
	v_cndmask_b32_e32 v44, v44, v5, vcc
	s_addc_u32 s15, s15, 0
	v_lshl_add_u64 v[26:27], v[26:27], 0, 2
	s_cmp_lg_u32 s27, s14
	s_waitcnt vmcnt(3)
	v_lshlrev_b32_e32 v46, 16, v50
	s_waitcnt vmcnt(2)
	v_lshlrev_b32_e32 v47, 16, v45
	;; [unrolled: 2-line block ×4, first 2 shown]
	v_pk_fma_f32 v[24:25], v[44:45], v[46:47], v[24:25] op_sel_hi:[0,1,1]
	v_pk_fma_f32 v[22:23], v[44:45], v[48:49], v[22:23] op_sel_hi:[0,1,1]
	s_cbranch_scc1 .LBB575_48
.LBB575_49:                             ;   in Loop: Header=BB575_14 Depth=1
	s_or_b64 exec, exec, s[54:55]
	s_or_b64 exec, exec, s[52:53]
	s_and_saveexec_b64 s[14:15], s[0:1]
	s_cbranch_execnz .LBB575_17
	s_branch .LBB575_18
.LBB575_50:                             ;   in Loop: Header=BB575_14 Depth=1
	ds_read_b32 v24, v41
	s_or_b64 exec, exec, s[14:15]
	s_and_saveexec_b64 s[14:15], s[0:1]
	s_cbranch_execz .LBB575_22
.LBB575_51:                             ;   in Loop: Header=BB575_14 Depth=1
	s_waitcnt lgkmcnt(0)
	ds_bpermute_b32 v26, v39, v24
	s_waitcnt lgkmcnt(0)
	v_add_f32_e32 v24, v24, v26
	ds_bpermute_b32 v26, v40, v24
	s_waitcnt lgkmcnt(0)
	v_add_f32_e32 v24, v24, v26
	s_or_b64 exec, exec, s[14:15]
	s_and_saveexec_b64 s[14:15], s[0:1]
	s_cbranch_execnz .LBB575_23
	s_branch .LBB575_24
.LBB575_52:                             ;   in Loop: Header=BB575_14 Depth=1
	ds_read_b32 v25, v41
	s_or_b64 exec, exec, s[14:15]
	s_and_saveexec_b64 s[14:15], s[0:1]
	s_cbranch_execz .LBB575_28
.LBB575_53:                             ;   in Loop: Header=BB575_14 Depth=1
	s_waitcnt lgkmcnt(0)
	ds_bpermute_b32 v26, v39, v25
	s_waitcnt lgkmcnt(0)
	v_add_f32_e32 v25, v25, v26
	ds_bpermute_b32 v26, v40, v25
	s_waitcnt lgkmcnt(0)
	v_add_f32_e32 v25, v25, v26
	s_or_b64 exec, exec, s[14:15]
	s_and_saveexec_b64 s[14:15], s[0:1]
	s_cbranch_execnz .LBB575_29
	s_branch .LBB575_30
.LBB575_54:                             ;   in Loop: Header=BB575_14 Depth=1
	ds_read_b32 v22, v41
	s_or_b64 exec, exec, s[14:15]
	s_and_saveexec_b64 s[14:15], s[0:1]
	s_cbranch_execz .LBB575_34
.LBB575_55:                             ;   in Loop: Header=BB575_14 Depth=1
	s_waitcnt lgkmcnt(0)
	ds_bpermute_b32 v26, v39, v22
	s_waitcnt lgkmcnt(0)
	v_add_f32_e32 v22, v22, v26
	ds_bpermute_b32 v26, v40, v22
	s_waitcnt lgkmcnt(0)
	v_add_f32_e32 v22, v22, v26
	s_or_b64 exec, exec, s[14:15]
	s_and_saveexec_b64 s[14:15], s[0:1]
	s_cbranch_execnz .LBB575_35
	s_branch .LBB575_36
.LBB575_56:                             ;   in Loop: Header=BB575_14 Depth=1
	ds_read_b32 v23, v41
	s_or_b64 exec, exec, s[14:15]
	s_and_saveexec_b64 s[14:15], s[0:1]
	s_cbranch_execz .LBB575_40
.LBB575_57:                             ;   in Loop: Header=BB575_14 Depth=1
	s_waitcnt lgkmcnt(0)
	ds_bpermute_b32 v26, v39, v23
	s_waitcnt lgkmcnt(0)
	v_add_f32_e32 v23, v23, v26
	ds_bpermute_b32 v26, v40, v23
	s_waitcnt lgkmcnt(0)
	v_add_f32_e32 v23, v23, v26
	s_or_b64 exec, exec, s[14:15]
	s_and_saveexec_b64 s[14:15], s[12:13]
	s_cbranch_execz .LBB575_13
.LBB575_58:                             ;   in Loop: Header=BB575_14 Depth=1
	s_mul_hi_u32 s53, s3, s26
	s_mul_i32 s52, s3, s26
	s_lshl_b64 s[52:53], s[52:53], 2
	s_add_u32 s52, s61, s52
	v_mul_f32_e32 v24, s33, v24
	s_addc_u32 s53, s62, s53
	global_store_dword v43, v24, s[52:53]
	s_or_b32 s52, s3, 1
	s_mul_hi_u32 s53, s52, s26
	s_mul_i32 s52, s52, s26
	s_lshl_b64 s[52:53], s[52:53], 2
	s_add_u32 s52, s61, s52
	v_mul_f32_e32 v24, s33, v25
	s_addc_u32 s53, s62, s53
	global_store_dword v43, v24, s[52:53]
	s_or_b32 s52, s3, 2
	;; [unrolled: 8-line block ×3, first 2 shown]
	s_mul_hi_u32 s53, s52, s26
	s_mul_i32 s52, s52, s26
	s_lshl_b64 s[52:53], s[52:53], 2
	s_add_u32 s52, s61, s52
	s_waitcnt lgkmcnt(0)
	v_mul_f32_e32 v22, s33, v23
	s_addc_u32 s53, s62, s53
	global_store_dword v43, v22, s[52:53]
	s_branch .LBB575_13
.LBB575_59:
	s_mov_b32 s3, 0
                                        ; implicit-def: $vgpr2_vgpr3_vgpr4_vgpr5
.LBB575_60:
	s_cmp_ge_i32 s3, s25
	s_cbranch_scc1 .LBB575_84
; %bb.61:
	v_mbcnt_hi_u32_b32 v10, -1, v32
	v_and_b32_e32 v11, 63, v10
	v_cmp_gt_u32_e32 vcc, 32, v11
	s_mov_b32 s41, 0
	s_cmp_gt_i32 s27, 0
	v_cndmask_b32_e64 v12, 0, 1, vcc
	v_lshlrev_b32_e32 v12, 5, v12
	v_cmp_gt_u32_e32 vcc, 48, v11
	s_waitcnt lgkmcnt(0)
	v_add_lshl_u32 v23, v12, v10, 2
	s_mov_b32 s40, s2
	v_cndmask_b32_e64 v12, 0, 1, vcc
	v_lshlrev_b32_e32 v12, 4, v12
	v_cmp_gt_u32_e32 vcc, 56, v11
	v_add_lshl_u32 v24, v12, v10, 2
	s_cselect_b64 s[42:43], -1, 0
	v_cndmask_b32_e64 v12, 0, 1, vcc
	v_lshlrev_b32_e32 v12, 3, v12
	v_cmp_gt_u32_e32 vcc, 60, v11
	v_add_lshl_u32 v25, v12, v10, 2
	s_lshl_b64 s[14:15], s[40:41], 2
	v_cndmask_b32_e64 v12, 0, 1, vcc
	v_lshlrev_b32_e32 v12, 2, v12
	v_cmp_gt_u32_e32 vcc, 62, v11
	v_add_lshl_u32 v26, v12, v10, 2
	s_add_u32 s2, s58, s14
	v_cndmask_b32_e64 v12, 0, 1, vcc
	v_lshlrev_b32_e32 v12, 1, v12
	v_cmp_ne_u32_e32 vcc, 63, v11
	v_add_lshl_u32 v27, v12, v10, 2
	v_cmp_ge_i32_e64 s[0:1], s24, v33
	v_addc_co_u32_e32 v10, vcc, 0, v10, vcc
	v_cmp_ge_i32_e64 s[4:5], s24, v34
	v_cmp_gt_u32_e64 s[6:7], 64, v0
	v_lshlrev_b32_e32 v32, 2, v10
	v_cmp_gt_u32_e64 s[10:11], 4, v0
	v_cmp_eq_u32_e64 s[12:13], 0, v0
	s_addc_u32 s24, s59, s15
	v_mad_i64_i32 v[10:11], s[14:15], s30, v8, 0
	v_mad_i64_i32 v[12:13], s[14:15], s30, v29, 0
	;; [unrolled: 1-line block ×4, first 2 shown]
	s_add_u32 s14, s22, s36
	s_addc_u32 s15, s23, s37
	s_add_u32 s14, s14, s34
	v_lshlrev_b64 v[18:19], 1, v[10:11]
	s_addc_u32 s15, s15, s35
	v_lshl_add_u64 v[10:11], s[38:39], 0, v[18:19]
	v_lshl_add_u64 v[18:19], s[14:15], 0, v[18:19]
	s_mul_i32 s14, s29, s3
	s_mul_hi_u32 s15, s28, s3
	s_add_i32 s15, s15, s14
	s_mul_i32 s14, s28, s3
	s_lshl_b64 s[22:23], s[30:31], 1
	s_lshl_b64 s[14:15], s[14:15], 1
	s_add_u32 s14, s20, s14
	s_addc_u32 s15, s21, s15
	s_add_u32 s14, s14, s18
	s_addc_u32 s15, s15, s19
	;; [unrolled: 2-line block ×3, first 2 shown]
	v_lshlrev_b32_e32 v22, 2, v30
	v_cmp_eq_u32_e64 s[8:9], 0, v30
	v_and_b32_e32 v30, 12, v31
	v_lshl_add_u64 v[12:13], v[12:13], 1, s[38:39]
	v_lshl_add_u64 v[14:15], v[14:15], 1, s[38:39]
	;; [unrolled: 1-line block ×4, first 2 shown]
	s_lshl_b64 s[16:17], s[28:29], 1
	v_mov_b32_e32 v1, 0
	s_branch .LBB575_63
.LBB575_62:                             ;   in Loop: Header=BB575_63 Depth=1
	s_or_b64 exec, exec, s[14:15]
	s_add_i32 s3, s3, 1
	s_cmp_ge_i32 s3, s25
	v_lshl_add_u64 v[8:9], v[8:9], 0, s[16:17]
	s_cbranch_scc1 .LBB575_84
.LBB575_63:                             ; =>This Loop Header: Depth=1
                                        ;     Child Loop BB575_76 Depth 2
                                        ;     Child Loop BB575_79 Depth 2
	s_waitcnt lgkmcnt(0)
	v_mov_b32_e32 v0, s41
	s_and_saveexec_b64 s[14:15], s[0:1]
	s_xor_b64 s[14:15], exec, s[14:15]
	s_cbranch_execnz .LBB575_72
; %bb.64:                               ;   in Loop: Header=BB575_63 Depth=1
	s_andn2_saveexec_b64 s[18:19], s[14:15]
	s_cbranch_execnz .LBB575_73
.LBB575_65:                             ;   in Loop: Header=BB575_63 Depth=1
	s_or_b64 exec, exec, s[18:19]
	s_and_saveexec_b64 s[14:15], s[6:7]
	s_cbranch_execz .LBB575_67
.LBB575_66:                             ;   in Loop: Header=BB575_63 Depth=1
	ds_write_b32 v22, v1
.LBB575_67:                             ;   in Loop: Header=BB575_63 Depth=1
	s_or_b64 exec, exec, s[14:15]
	ds_bpermute_b32 v20, v23, v0
	s_waitcnt lgkmcnt(0)
	s_barrier
	v_add_f32_e32 v0, v0, v20
	ds_bpermute_b32 v20, v24, v0
	s_waitcnt lgkmcnt(0)
	v_add_f32_e32 v0, v0, v20
	ds_bpermute_b32 v20, v25, v0
	s_waitcnt lgkmcnt(0)
	;; [unrolled: 3-line block ×4, first 2 shown]
	v_add_f32_e32 v0, v0, v20
	ds_bpermute_b32 v20, v32, v0
	s_and_saveexec_b64 s[14:15], s[8:9]
	s_cbranch_execz .LBB575_69
; %bb.68:                               ;   in Loop: Header=BB575_63 Depth=1
	s_waitcnt lgkmcnt(0)
	v_add_f32_e32 v0, v0, v20
	ds_write_b32 v30, v0
.LBB575_69:                             ;   in Loop: Header=BB575_63 Depth=1
	s_or_b64 exec, exec, s[14:15]
	v_mov_b32_e32 v0, 0
	s_waitcnt lgkmcnt(0)
	s_barrier
	s_and_saveexec_b64 s[14:15], s[10:11]
	s_cbranch_execnz .LBB575_81
; %bb.70:                               ;   in Loop: Header=BB575_63 Depth=1
	s_or_b64 exec, exec, s[14:15]
	s_and_saveexec_b64 s[14:15], s[6:7]
	s_cbranch_execnz .LBB575_82
.LBB575_71:                             ;   in Loop: Header=BB575_63 Depth=1
	s_or_b64 exec, exec, s[14:15]
	s_and_saveexec_b64 s[14:15], s[12:13]
	s_cbranch_execz .LBB575_62
	s_branch .LBB575_83
.LBB575_72:                             ;   in Loop: Header=BB575_63 Depth=1
	s_mul_i32 s18, s3, s29
	s_mul_hi_u32 s19, s3, s28
	s_add_i32 s19, s19, s18
	s_mul_i32 s18, s3, s28
	v_lshl_add_u64 v[2:3], s[18:19], 1, v[6:7]
	global_load_ushort v0, v[10:11], off
	global_load_ushort v4, v[12:13], off
	;; [unrolled: 1-line block ×4, first 2 shown]
	global_load_dwordx2 v[20:21], v[2:3], off
	s_waitcnt vmcnt(4)
	v_lshlrev_b32_e32 v2, 16, v0
	s_waitcnt vmcnt(3)
	v_lshlrev_b32_e32 v3, 16, v4
	;; [unrolled: 2-line block ×4, first 2 shown]
	s_waitcnt vmcnt(0)
	v_and_b32_e32 v29, 0xffff0000, v20
	v_lshlrev_b32_e32 v28, 16, v20
	v_and_b32_e32 v35, 0xffff0000, v21
	v_lshlrev_b32_e32 v34, 16, v21
	v_pk_mul_f32 v[20:21], v[2:3], v[28:29]
	s_nop 0
	v_add_f32_e32 v0, 0, v20
	v_add_f32_e32 v0, v0, v21
	v_pk_mul_f32 v[20:21], v[4:5], v[34:35]
	s_nop 0
	v_add_f32_e32 v0, v0, v20
	v_add_f32_e32 v0, v0, v21
	s_andn2_saveexec_b64 s[18:19], s[14:15]
	s_cbranch_execz .LBB575_65
.LBB575_73:                             ;   in Loop: Header=BB575_63 Depth=1
	s_and_saveexec_b64 s[20:21], s[4:5]
	s_cbranch_execz .LBB575_80
; %bb.74:                               ;   in Loop: Header=BB575_63 Depth=1
	v_cndmask_b32_e64 v20, 0, 1, s[42:43]
	v_cmp_ne_u32_e64 s[14:15], 1, v20
	s_andn2_b64 vcc, exec, s[42:43]
	s_cbranch_vccnz .LBB575_77
; %bb.75:                               ;   in Loop: Header=BB575_63 Depth=1
	s_mov_b64 s[30:31], 0
	v_mov_b64_e32 v[20:21], v[18:19]
.LBB575_76:                             ;   Parent Loop BB575_63 Depth=1
                                        ; =>  This Inner Loop Header: Depth=2
	global_load_ushort v28, v[20:21], off
	s_cmp_eq_u32 s30, 3
	s_cselect_b64 vcc, -1, 0
	s_cmp_eq_u32 s30, 2
	v_lshl_add_u64 v[20:21], v[20:21], 0, s[22:23]
	s_waitcnt vmcnt(0)
	v_lshlrev_b32_e32 v28, 16, v28
	v_cndmask_b32_e32 v5, v5, v28, vcc
	s_cselect_b64 vcc, -1, 0
	s_cmp_eq_u32 s30, 1
	v_cndmask_b32_e32 v4, v4, v28, vcc
	s_cselect_b64 vcc, -1, 0
	s_cmp_eq_u32 s30, 0
	v_cndmask_b32_e32 v3, v3, v28, vcc
	s_cselect_b64 vcc, -1, 0
	s_add_u32 s30, s30, 1
	s_addc_u32 s31, s31, 0
	s_cmp_eq_u32 s27, s30
	v_cndmask_b32_e32 v2, v2, v28, vcc
	s_cbranch_scc0 .LBB575_76
.LBB575_77:                             ;   in Loop: Header=BB575_63 Depth=1
	s_and_b64 vcc, exec, s[14:15]
	s_cbranch_vccnz .LBB575_80
; %bb.78:                               ;   in Loop: Header=BB575_63 Depth=1
	s_mov_b64 s[14:15], 0
	v_mov_b64_e32 v[20:21], v[8:9]
.LBB575_79:                             ;   Parent Loop BB575_63 Depth=1
                                        ; =>  This Inner Loop Header: Depth=2
	global_load_ushort v28, v[20:21], off
	s_cmp_eq_u32 s14, 1
	s_cselect_b64 vcc, -1, 0
	s_cmp_eq_u32 s14, 2
	v_cndmask_b32_e32 v29, v2, v3, vcc
	s_cselect_b64 vcc, -1, 0
	s_cmp_eq_u32 s14, 3
	v_cndmask_b32_e32 v29, v29, v4, vcc
	s_cselect_b64 vcc, -1, 0
	s_add_u32 s14, s14, 1
	v_cndmask_b32_e32 v29, v29, v5, vcc
	s_addc_u32 s15, s15, 0
	v_lshl_add_u64 v[20:21], v[20:21], 0, 2
	s_cmp_lg_u32 s27, s14
	s_waitcnt vmcnt(0)
	v_lshlrev_b32_e32 v28, 16, v28
	v_fmac_f32_e32 v0, v29, v28
	s_cbranch_scc1 .LBB575_79
.LBB575_80:                             ;   in Loop: Header=BB575_63 Depth=1
	s_or_b64 exec, exec, s[20:21]
	s_or_b64 exec, exec, s[18:19]
	s_and_saveexec_b64 s[14:15], s[6:7]
	s_cbranch_execnz .LBB575_66
	s_branch .LBB575_67
.LBB575_81:                             ;   in Loop: Header=BB575_63 Depth=1
	ds_read_b32 v0, v22
	s_or_b64 exec, exec, s[14:15]
	s_and_saveexec_b64 s[14:15], s[6:7]
	s_cbranch_execz .LBB575_71
.LBB575_82:                             ;   in Loop: Header=BB575_63 Depth=1
	s_waitcnt lgkmcnt(0)
	ds_bpermute_b32 v20, v27, v0
	s_waitcnt lgkmcnt(0)
	v_add_f32_e32 v0, v0, v20
	ds_bpermute_b32 v20, v32, v0
	s_waitcnt lgkmcnt(0)
	v_add_f32_e32 v0, v0, v20
	s_or_b64 exec, exec, s[14:15]
	s_and_saveexec_b64 s[14:15], s[12:13]
	s_cbranch_execz .LBB575_62
.LBB575_83:                             ;   in Loop: Header=BB575_63 Depth=1
	s_mul_hi_u32 s19, s3, s26
	s_mul_i32 s18, s3, s26
	s_lshl_b64 s[18:19], s[18:19], 2
	s_add_u32 s18, s2, s18
	s_waitcnt lgkmcnt(0)
	v_mul_f32_e32 v0, s33, v0
	s_addc_u32 s19, s24, s19
	global_store_dword v1, v0, s[18:19]
	s_branch .LBB575_62
.LBB575_84:
	s_endpgm
	.section	.rodata,"a",@progbits
	.p2align	6, 0x0
	.amdhsa_kernel _ZL23rocblas_gemvt_sn_kernelILb1ELi256ELi4El16rocblas_bfloat16PKffEviiT4_lPKT3_lilS6_lilPT5_i
		.amdhsa_group_segment_fixed_size 256
		.amdhsa_private_segment_fixed_size 0
		.amdhsa_kernarg_size 360
		.amdhsa_user_sgpr_count 2
		.amdhsa_user_sgpr_dispatch_ptr 0
		.amdhsa_user_sgpr_queue_ptr 0
		.amdhsa_user_sgpr_kernarg_segment_ptr 1
		.amdhsa_user_sgpr_dispatch_id 0
		.amdhsa_user_sgpr_kernarg_preload_length 0
		.amdhsa_user_sgpr_kernarg_preload_offset 0
		.amdhsa_user_sgpr_private_segment_size 0
		.amdhsa_uses_dynamic_stack 0
		.amdhsa_enable_private_segment 0
		.amdhsa_system_sgpr_workgroup_id_x 1
		.amdhsa_system_sgpr_workgroup_id_y 0
		.amdhsa_system_sgpr_workgroup_id_z 1
		.amdhsa_system_sgpr_workgroup_info 0
		.amdhsa_system_vgpr_workitem_id 0
		.amdhsa_next_free_vgpr 64
		.amdhsa_next_free_sgpr 63
		.amdhsa_accum_offset 64
		.amdhsa_reserve_vcc 1
		.amdhsa_float_round_mode_32 0
		.amdhsa_float_round_mode_16_64 0
		.amdhsa_float_denorm_mode_32 3
		.amdhsa_float_denorm_mode_16_64 3
		.amdhsa_dx10_clamp 1
		.amdhsa_ieee_mode 1
		.amdhsa_fp16_overflow 0
		.amdhsa_tg_split 0
		.amdhsa_exception_fp_ieee_invalid_op 0
		.amdhsa_exception_fp_denorm_src 0
		.amdhsa_exception_fp_ieee_div_zero 0
		.amdhsa_exception_fp_ieee_overflow 0
		.amdhsa_exception_fp_ieee_underflow 0
		.amdhsa_exception_fp_ieee_inexact 0
		.amdhsa_exception_int_div_zero 0
	.end_amdhsa_kernel
	.section	.text._ZL23rocblas_gemvt_sn_kernelILb1ELi256ELi4El16rocblas_bfloat16PKffEviiT4_lPKT3_lilS6_lilPT5_i,"axG",@progbits,_ZL23rocblas_gemvt_sn_kernelILb1ELi256ELi4El16rocblas_bfloat16PKffEviiT4_lPKT3_lilS6_lilPT5_i,comdat
.Lfunc_end575:
	.size	_ZL23rocblas_gemvt_sn_kernelILb1ELi256ELi4El16rocblas_bfloat16PKffEviiT4_lPKT3_lilS6_lilPT5_i, .Lfunc_end575-_ZL23rocblas_gemvt_sn_kernelILb1ELi256ELi4El16rocblas_bfloat16PKffEviiT4_lPKT3_lilS6_lilPT5_i
                                        ; -- End function
	.section	.AMDGPU.csdata,"",@progbits
; Kernel info:
; codeLenInByte = 4212
; NumSgprs: 69
; NumVgprs: 64
; NumAgprs: 0
; TotalNumVgprs: 64
; ScratchSize: 0
; MemoryBound: 0
; FloatMode: 240
; IeeeMode: 1
; LDSByteSize: 256 bytes/workgroup (compile time only)
; SGPRBlocks: 8
; VGPRBlocks: 7
; NumSGPRsForWavesPerEU: 69
; NumVGPRsForWavesPerEU: 64
; AccumOffset: 64
; Occupancy: 8
; WaveLimiterHint : 1
; COMPUTE_PGM_RSRC2:SCRATCH_EN: 0
; COMPUTE_PGM_RSRC2:USER_SGPR: 2
; COMPUTE_PGM_RSRC2:TRAP_HANDLER: 0
; COMPUTE_PGM_RSRC2:TGID_X_EN: 1
; COMPUTE_PGM_RSRC2:TGID_Y_EN: 0
; COMPUTE_PGM_RSRC2:TGID_Z_EN: 1
; COMPUTE_PGM_RSRC2:TIDIG_COMP_CNT: 0
; COMPUTE_PGM_RSRC3_GFX90A:ACCUM_OFFSET: 15
; COMPUTE_PGM_RSRC3_GFX90A:TG_SPLIT: 0
	.section	.text._ZL23rocblas_gemvt_sn_kernelILb1ELi256ELi4Ei16rocblas_bfloat16ffEviiT4_lPKT3_lilS4_lilPT5_i,"axG",@progbits,_ZL23rocblas_gemvt_sn_kernelILb1ELi256ELi4Ei16rocblas_bfloat16ffEviiT4_lPKT3_lilS4_lilPT5_i,comdat
	.globl	_ZL23rocblas_gemvt_sn_kernelILb1ELi256ELi4Ei16rocblas_bfloat16ffEviiT4_lPKT3_lilS4_lilPT5_i ; -- Begin function _ZL23rocblas_gemvt_sn_kernelILb1ELi256ELi4Ei16rocblas_bfloat16ffEviiT4_lPKT3_lilS4_lilPT5_i
	.p2align	8
	.type	_ZL23rocblas_gemvt_sn_kernelILb1ELi256ELi4Ei16rocblas_bfloat16ffEviiT4_lPKT3_lilS4_lilPT5_i,@function
_ZL23rocblas_gemvt_sn_kernelILb1ELi256ELi4Ei16rocblas_bfloat16ffEviiT4_lPKT3_lilS4_lilPT5_i: ; @_ZL23rocblas_gemvt_sn_kernelILb1ELi256ELi4Ei16rocblas_bfloat16ffEviiT4_lPKT3_lilS4_lilPT5_i
; %bb.0:
	s_load_dwordx4 s[16:19], s[0:1], 0x0
	s_load_dwordx4 s[8:11], s[0:1], 0x50
	s_load_dword s24, s[0:1], 0x68
	s_mov_b32 s6, s3
	s_mov_b32 s25, 0
	s_waitcnt lgkmcnt(0)
	s_ashr_i32 s7, s17, 31
	s_mul_hi_u32 s3, s17, s3
	s_mul_i32 s4, s7, s6
	s_add_i32 s13, s3, s4
	s_mul_i32 s12, s17, s6
	s_mul_i32 s3, s13, s24
	s_mul_hi_u32 s4, s12, s24
	s_add_i32 s5, s4, s3
	s_mul_i32 s4, s12, s24
	s_lshl_b64 s[4:5], s[4:5], 2
	s_add_u32 s33, s10, s4
	s_addc_u32 s50, s11, s5
	v_cmp_neq_f32_e64 s[4:5], s18, 0
	s_and_b64 vcc, exec, s[4:5]
	v_cmp_eq_u32_e64 s[4:5], 0, v0
	s_cbranch_vccnz .LBB576_10
; %bb.1:
	s_cmp_gt_i32 s17, 0
	s_cselect_b64 s[14:15], -1, 0
	s_and_b64 s[14:15], s[4:5], s[14:15]
	s_and_saveexec_b64 s[4:5], s[14:15]
	s_cbranch_execz .LBB576_9
; %bb.2:
	s_cmp_gt_u32 s17, 1
	s_cselect_b64 s[14:15], -1, 0
	s_cmp_eq_u32 s24, 1
	s_cselect_b64 s[22:23], -1, 0
	s_mov_b32 s3, 0
	s_and_b64 s[14:15], s[14:15], s[22:23]
	s_mov_b64 s[20:21], -1
	s_andn2_b64 vcc, exec, s[14:15]
	s_mov_b32 s14, s3
	s_cbranch_vccnz .LBB576_6
; %bb.3:
	s_lshl_b64 s[14:15], s[2:3], 2
	s_add_u32 s20, s33, s14
	s_addc_u32 s21, s50, s15
	s_and_b32 s14, s17, 0x7ffffffe
	v_mov_b32_e32 v2, 0
	v_mov_b32_e32 v3, v2
	s_mov_b32 s15, s14
.LBB576_4:                              ; =>This Inner Loop Header: Depth=1
	global_store_dwordx2 v2, v[2:3], s[20:21]
	s_add_u32 s20, s20, 8
	s_addc_u32 s21, s21, 0
	s_add_i32 s15, s15, -2
	s_cmp_lg_u32 s15, 0
	s_cbranch_scc1 .LBB576_4
; %bb.5:
	s_cmp_lg_u32 s14, s17
	s_cselect_b64 s[20:21], -1, 0
.LBB576_6:
	s_and_b64 vcc, exec, s[20:21]
	s_cbranch_vccz .LBB576_9
; %bb.7:
	s_mov_b32 s15, 0
	s_sub_i32 s19, s17, s14
	s_lshl_b64 s[12:13], s[12:13], 2
	s_lshl_b64 s[14:15], s[14:15], 2
	s_add_u32 s12, s12, s14
	s_addc_u32 s13, s13, s15
	s_mul_i32 s13, s13, s24
	s_mul_hi_u32 s14, s12, s24
	s_add_i32 s14, s14, s13
	s_mul_i32 s15, s12, s24
	s_lshl_b64 s[12:13], s[2:3], 2
	s_add_u32 s3, s15, s12
	s_addc_u32 s12, s14, s13
	s_add_u32 s10, s10, s3
	s_addc_u32 s11, s11, s12
	s_lshl_b64 s[12:13], s[24:25], 2
	v_mov_b32_e32 v1, 0
.LBB576_8:                              ; =>This Inner Loop Header: Depth=1
	s_add_i32 s19, s19, -1
	global_store_dword v1, v1, s[10:11]
	s_add_u32 s10, s10, s12
	s_addc_u32 s11, s11, s13
	s_cmp_eq_u32 s19, 0
	s_cbranch_scc0 .LBB576_8
.LBB576_9:
	s_or_b64 exec, exec, s[4:5]
	s_cbranch_execz .LBB576_11
	s_branch .LBB576_84
.LBB576_10:
.LBB576_11:
	s_load_dwordx4 s[20:23], s[0:1], 0x18
	s_load_dword s26, s[0:1], 0x28
	s_load_dwordx4 s[12:15], s[0:1], 0x30
	s_load_dwordx2 s[4:5], s[0:1], 0x40
	s_load_dword s19, s[0:1], 0x48
	s_mul_i32 s0, s6, s9
	s_mul_hi_u32 s1, s6, s8
	s_add_i32 s1, s1, s0
	s_mul_i32 s0, s6, s8
	s_lshl_b64 s[0:1], s[0:1], 1
	s_waitcnt lgkmcnt(0)
	s_add_u32 s3, s14, s0
	s_addc_u32 s8, s15, s1
	s_lshl_b64 s[0:1], s[4:5], 1
	s_add_u32 s28, s3, s0
	s_addc_u32 s29, s8, s1
	s_mul_i32 s0, s6, s13
	s_mul_hi_u32 s1, s6, s12
	s_add_i32 s1, s1, s0
	s_mul_i32 s0, s6, s12
	s_lshl_b64 s[30:31], s[0:1], 1
	s_add_u32 s0, s20, s30
	s_addc_u32 s1, s21, s31
	s_lshl_b64 s[22:23], s[22:23], 1
	s_add_u32 s0, s0, s22
	s_addc_u32 s1, s1, s23
	s_lshl_b32 s3, s2, 10
	v_lshl_or_b32 v10, v0, 2, s3
	v_ashrrev_i32_e32 v11, 31, v10
	v_lshl_add_u64 v[6:7], v[10:11], 1, s[0:1]
	s_lshr_b32 s0, s7, 30
	s_add_i32 s0, s17, s0
	s_and_b32 s3, s0, -4
	s_ashr_i32 s0, s16, 31
	s_lshr_b32 s0, s0, 30
	s_add_i32 s0, s16, s0
	s_and_b32 s0, s0, -4
	s_sub_i32 s25, s16, s0
	s_cmp_lt_i32 s3, 1
	v_add_u32_e32 v31, 4, v10
	v_add_u32_e32 v32, s25, v10
	v_and_b32_e32 v1, 63, v0
	v_cmp_gt_u32_e64 s[0:1], 64, v0
	v_mbcnt_lo_u32_b32 v30, -1, 0
	v_cmp_gt_u32_e64 s[4:5], 4, v0
	v_lshrrev_b32_e32 v9, 4, v0
	v_mul_lo_u32 v8, v10, s19
	s_cbranch_scc1 .LBB576_59
; %bb.12:
	v_mbcnt_hi_u32_b32 v2, -1, v30
	v_and_b32_e32 v3, 63, v2
	v_cmp_gt_u32_e32 vcc, 32, v3
	v_mul_lo_u32 v12, v10, s19
	s_cmp_gt_i32 s25, 0
	v_cndmask_b32_e64 v4, 0, 1, vcc
	v_lshlrev_b32_e32 v4, 5, v4
	v_cmp_gt_u32_e32 vcc, 48, v3
	v_add_lshl_u32 v33, v4, v2, 2
	s_cselect_b64 s[36:37], -1, 0
	v_cndmask_b32_e64 v4, 0, 1, vcc
	v_lshlrev_b32_e32 v4, 4, v4
	v_cmp_gt_u32_e32 vcc, 56, v3
	v_add_lshl_u32 v34, v4, v2, 2
	s_lshl_b32 s51, s26, 2
	v_cndmask_b32_e64 v4, 0, 1, vcc
	v_lshlrev_b32_e32 v4, 3, v4
	v_cmp_gt_u32_e32 vcc, 60, v3
	v_add_lshl_u32 v35, v4, v2, 2
	s_lshl_b32 s34, s26, 1
	v_cndmask_b32_e64 v4, 0, 1, vcc
	v_lshlrev_b32_e32 v4, 2, v4
	v_cmp_gt_u32_e32 vcc, 62, v3
	v_add_lshl_u32 v36, v4, v2, 2
	s_add_u32 s14, s30, s22
	v_cndmask_b32_e64 v4, 0, 1, vcc
	v_lshlrev_b32_e32 v4, 1, v4
	v_cmp_ne_u32_e32 vcc, 63, v3
	v_add_lshl_u32 v37, v4, v2, 2
	s_addc_u32 s15, s31, s23
	v_addc_co_u32_e32 v2, vcc, 0, v2, vcc
	v_lshlrev_b32_e32 v38, 2, v2
	v_add_u32_e32 v2, s19, v12
	v_ashrrev_i32_e32 v3, 31, v2
	v_lshl_add_u64 v[16:17], v[2:3], 1, s[28:29]
	v_add_u32_e32 v2, s19, v2
	v_ashrrev_i32_e32 v3, 31, v2
	s_mov_b32 s35, 0
	v_lshl_add_u64 v[18:19], v[2:3], 1, s[28:29]
	v_add_u32_e32 v2, s19, v2
	s_add_u32 s14, s20, s14
	v_ashrrev_i32_e32 v13, 31, v12
	v_ashrrev_i32_e32 v3, 31, v2
	s_mov_b32 s27, s35
	s_addc_u32 s15, s21, s15
	v_cmp_ge_i32_e64 s[6:7], s16, v31
	v_cmp_ge_i32_e64 s[8:9], s16, v32
	v_cmp_eq_u32_e64 s[10:11], 0, v1
	v_lshlrev_b32_e32 v39, 2, v1
	v_and_b32_e32 v40, 12, v9
	v_cmp_eq_u32_e64 s[12:13], 0, v0
	v_lshl_add_u64 v[14:15], v[12:13], 1, s[28:29]
	v_lshl_add_u64 v[20:21], v[2:3], 1, s[28:29]
	s_mul_i32 s52, s26, 3
	s_mov_b32 s53, s35
	v_lshl_add_u64 v[22:23], v[10:11], 1, s[14:15]
	v_mov_b32_e32 v13, 0
	s_mov_b32 s38, s35
	s_mov_b64 s[40:41], s[34:35]
	s_mov_b64 s[42:43], s[26:27]
	s_mov_b32 s27, 0
                                        ; implicit-def: $vgpr2_vgpr3_vgpr4_vgpr5
	s_branch .LBB576_14
.LBB576_13:                             ;   in Loop: Header=BB576_14 Depth=1
	s_or_b64 exec, exec, s[14:15]
	s_add_i32 s27, s27, 4
	s_add_u32 s42, s42, s51
	s_addc_u32 s43, s43, 0
	s_add_u32 s40, s40, s51
	s_addc_u32 s41, s41, 0
	;; [unrolled: 2-line block ×3, first 2 shown]
	s_add_i32 s38, s38, s51
	s_cmp_ge_i32 s27, s3
	s_cbranch_scc1 .LBB576_60
.LBB576_14:                             ; =>This Loop Header: Depth=1
                                        ;     Child Loop BB576_45 Depth 2
                                        ;     Child Loop BB576_48 Depth 2
                                        ; implicit-def: $vgpr25
                                        ; implicit-def: $vgpr27
	s_and_saveexec_b64 s[14:15], s[6:7]
	s_xor_b64 s[14:15], exec, s[14:15]
	s_cbranch_execnz .LBB576_41
; %bb.15:                               ;   in Loop: Header=BB576_14 Depth=1
	s_andn2_saveexec_b64 s[44:45], s[14:15]
	s_cbranch_execnz .LBB576_42
.LBB576_16:                             ;   in Loop: Header=BB576_14 Depth=1
	s_or_b64 exec, exec, s[44:45]
	s_and_saveexec_b64 s[14:15], s[0:1]
	s_cbranch_execz .LBB576_18
.LBB576_17:                             ;   in Loop: Header=BB576_14 Depth=1
	ds_write_b32 v39, v13
.LBB576_18:                             ;   in Loop: Header=BB576_14 Depth=1
	s_or_b64 exec, exec, s[14:15]
	ds_bpermute_b32 v28, v33, v26
	s_waitcnt lgkmcnt(0)
	s_barrier
	v_add_f32_e32 v26, v26, v28
	ds_bpermute_b32 v28, v34, v26
	s_waitcnt lgkmcnt(0)
	v_add_f32_e32 v26, v26, v28
	ds_bpermute_b32 v28, v35, v26
	s_waitcnt lgkmcnt(0)
	;; [unrolled: 3-line block ×4, first 2 shown]
	v_add_f32_e32 v26, v26, v28
	ds_bpermute_b32 v28, v38, v26
	s_and_saveexec_b64 s[14:15], s[10:11]
	s_cbranch_execz .LBB576_20
; %bb.19:                               ;   in Loop: Header=BB576_14 Depth=1
	s_waitcnt lgkmcnt(0)
	v_add_f32_e32 v26, v26, v28
	ds_write_b32 v40, v26
.LBB576_20:                             ;   in Loop: Header=BB576_14 Depth=1
	s_or_b64 exec, exec, s[14:15]
	v_mov_b32_e32 v26, 0
	s_waitcnt lgkmcnt(0)
	s_barrier
	s_and_saveexec_b64 s[14:15], s[4:5]
	s_cbranch_execnz .LBB576_50
; %bb.21:                               ;   in Loop: Header=BB576_14 Depth=1
	s_or_b64 exec, exec, s[14:15]
	s_and_saveexec_b64 s[14:15], s[0:1]
	s_cbranch_execnz .LBB576_51
.LBB576_22:                             ;   in Loop: Header=BB576_14 Depth=1
	s_or_b64 exec, exec, s[14:15]
	s_and_saveexec_b64 s[14:15], s[0:1]
	s_cbranch_execz .LBB576_24
.LBB576_23:                             ;   in Loop: Header=BB576_14 Depth=1
	ds_write_b32 v39, v13
.LBB576_24:                             ;   in Loop: Header=BB576_14 Depth=1
	s_or_b64 exec, exec, s[14:15]
	ds_bpermute_b32 v28, v33, v27
	s_waitcnt lgkmcnt(0)
	s_barrier
	v_add_f32_e32 v27, v27, v28
	ds_bpermute_b32 v28, v34, v27
	s_waitcnt lgkmcnt(0)
	v_add_f32_e32 v27, v27, v28
	ds_bpermute_b32 v28, v35, v27
	s_waitcnt lgkmcnt(0)
	;; [unrolled: 3-line block ×4, first 2 shown]
	v_add_f32_e32 v27, v27, v28
	ds_bpermute_b32 v28, v38, v27
	s_and_saveexec_b64 s[14:15], s[10:11]
	s_cbranch_execz .LBB576_26
; %bb.25:                               ;   in Loop: Header=BB576_14 Depth=1
	s_waitcnt lgkmcnt(0)
	v_add_f32_e32 v27, v27, v28
	ds_write_b32 v40, v27
.LBB576_26:                             ;   in Loop: Header=BB576_14 Depth=1
	s_or_b64 exec, exec, s[14:15]
	v_mov_b32_e32 v27, 0
	s_waitcnt lgkmcnt(0)
	s_barrier
	s_and_saveexec_b64 s[14:15], s[4:5]
	s_cbranch_execnz .LBB576_52
; %bb.27:                               ;   in Loop: Header=BB576_14 Depth=1
	s_or_b64 exec, exec, s[14:15]
	s_and_saveexec_b64 s[14:15], s[0:1]
	s_cbranch_execnz .LBB576_53
.LBB576_28:                             ;   in Loop: Header=BB576_14 Depth=1
	s_or_b64 exec, exec, s[14:15]
	s_and_saveexec_b64 s[14:15], s[0:1]
	s_cbranch_execz .LBB576_30
.LBB576_29:                             ;   in Loop: Header=BB576_14 Depth=1
	ds_write_b32 v39, v13
.LBB576_30:                             ;   in Loop: Header=BB576_14 Depth=1
	s_or_b64 exec, exec, s[14:15]
	ds_bpermute_b32 v28, v33, v24
	s_waitcnt lgkmcnt(0)
	s_barrier
	v_add_f32_e32 v24, v24, v28
	ds_bpermute_b32 v28, v34, v24
	s_waitcnt lgkmcnt(0)
	v_add_f32_e32 v24, v24, v28
	ds_bpermute_b32 v28, v35, v24
	s_waitcnt lgkmcnt(0)
	;; [unrolled: 3-line block ×4, first 2 shown]
	v_add_f32_e32 v24, v24, v28
	ds_bpermute_b32 v28, v38, v24
	s_and_saveexec_b64 s[14:15], s[10:11]
	s_cbranch_execz .LBB576_32
; %bb.31:                               ;   in Loop: Header=BB576_14 Depth=1
	s_waitcnt lgkmcnt(0)
	v_add_f32_e32 v24, v24, v28
	ds_write_b32 v40, v24
.LBB576_32:                             ;   in Loop: Header=BB576_14 Depth=1
	s_or_b64 exec, exec, s[14:15]
	v_mov_b32_e32 v24, 0
	s_waitcnt lgkmcnt(0)
	s_barrier
	s_and_saveexec_b64 s[14:15], s[4:5]
	s_cbranch_execnz .LBB576_54
; %bb.33:                               ;   in Loop: Header=BB576_14 Depth=1
	s_or_b64 exec, exec, s[14:15]
	s_and_saveexec_b64 s[14:15], s[0:1]
	s_cbranch_execnz .LBB576_55
.LBB576_34:                             ;   in Loop: Header=BB576_14 Depth=1
	s_or_b64 exec, exec, s[14:15]
	s_and_saveexec_b64 s[14:15], s[0:1]
	s_cbranch_execz .LBB576_36
.LBB576_35:                             ;   in Loop: Header=BB576_14 Depth=1
	ds_write_b32 v39, v13
.LBB576_36:                             ;   in Loop: Header=BB576_14 Depth=1
	s_or_b64 exec, exec, s[14:15]
	ds_bpermute_b32 v28, v33, v25
	s_waitcnt lgkmcnt(0)
	s_barrier
	v_add_f32_e32 v25, v25, v28
	ds_bpermute_b32 v28, v34, v25
	s_waitcnt lgkmcnt(0)
	v_add_f32_e32 v25, v25, v28
	ds_bpermute_b32 v28, v35, v25
	s_waitcnt lgkmcnt(0)
	;; [unrolled: 3-line block ×4, first 2 shown]
	v_add_f32_e32 v25, v25, v28
	ds_bpermute_b32 v28, v38, v25
	s_and_saveexec_b64 s[14:15], s[10:11]
	s_cbranch_execz .LBB576_38
; %bb.37:                               ;   in Loop: Header=BB576_14 Depth=1
	s_waitcnt lgkmcnt(0)
	v_add_f32_e32 v25, v25, v28
	ds_write_b32 v40, v25
.LBB576_38:                             ;   in Loop: Header=BB576_14 Depth=1
	s_or_b64 exec, exec, s[14:15]
	v_mov_b32_e32 v25, 0
	s_waitcnt lgkmcnt(0)
	s_barrier
	s_and_saveexec_b64 s[14:15], s[4:5]
	s_cbranch_execnz .LBB576_56
; %bb.39:                               ;   in Loop: Header=BB576_14 Depth=1
	s_or_b64 exec, exec, s[14:15]
	s_and_saveexec_b64 s[14:15], s[0:1]
	s_cbranch_execnz .LBB576_57
.LBB576_40:                             ;   in Loop: Header=BB576_14 Depth=1
	s_or_b64 exec, exec, s[14:15]
	s_and_saveexec_b64 s[14:15], s[12:13]
	s_cbranch_execz .LBB576_13
	s_branch .LBB576_58
.LBB576_41:                             ;   in Loop: Header=BB576_14 Depth=1
	s_mul_i32 s44, s27, s26
	s_ashr_i32 s45, s44, 31
	v_lshl_add_u64 v[2:3], s[44:45], 1, v[6:7]
	s_add_i32 s44, s44, s26
	s_ashr_i32 s45, s44, 31
	global_load_ushort v4, v[14:15], off
	global_load_ushort v5, v[16:17], off
	;; [unrolled: 1-line block ×4, first 2 shown]
	s_waitcnt lgkmcnt(0)
	global_load_dwordx2 v[24:25], v[2:3], off
	v_lshl_add_u64 v[2:3], s[44:45], 1, v[6:7]
	s_add_i32 s44, s44, s26
	s_ashr_i32 s45, s44, 31
	global_load_dwordx2 v[26:27], v[2:3], off
	v_lshl_add_u64 v[2:3], s[44:45], 1, v[6:7]
	s_add_i32 s44, s44, s26
	s_ashr_i32 s45, s44, 31
	global_load_dwordx2 v[28:29], v[2:3], off
	v_lshl_add_u64 v[2:3], s[44:45], 1, v[6:7]
	global_load_dwordx2 v[42:43], v[2:3], off
	s_waitcnt vmcnt(7)
	v_lshlrev_b32_e32 v2, 16, v4
	s_waitcnt vmcnt(6)
	v_lshlrev_b32_e32 v45, 16, v5
	;; [unrolled: 2-line block ×5, first 2 shown]
	v_and_b32_e32 v58, 0xffff0000, v25
	v_mov_b32_e32 v50, v45
	v_lshlrev_b32_e32 v54, 16, v24
	s_waitcnt vmcnt(2)
	v_lshlrev_b32_e32 v55, 16, v26
	v_and_b32_e32 v25, 0xffff0000, v26
	v_lshlrev_b32_e32 v57, 16, v27
	v_and_b32_e32 v59, 0xffff0000, v27
	s_waitcnt vmcnt(1)
	v_lshlrev_b32_e32 v26, 16, v28
	v_and_b32_e32 v27, 0xffff0000, v28
	s_waitcnt vmcnt(0)
	v_and_b32_e32 v3, 0xffff0000, v42
	v_lshlrev_b32_e32 v44, 16, v42
	v_and_b32_e32 v47, 0xffff0000, v43
	v_lshlrev_b32_e32 v48, 16, v43
	v_pk_mul_f32 v[62:63], v[44:45], v[2:3]
	v_lshlrev_b32_e32 v41, 16, v29
	v_and_b32_e32 v29, 0xffff0000, v29
	v_mul_f32_e32 v26, v2, v26
	v_mul_f32_e32 v28, v45, v27
	v_mov_b32_e32 v3, v45
	v_pk_mul_f32 v[44:45], v[48:49], v[46:47]
	v_mov_b32_e32 v27, v62
	v_and_b32_e32 v24, 0xffff0000, v24
	v_mul_f32_e32 v60, v49, v29
	v_mov_b32_e32 v29, v63
	v_mov_b32_e32 v43, v44
	;; [unrolled: 1-line block ×3, first 2 shown]
	v_pk_fma_f32 v[44:45], v[2:3], v[54:55], 0 op_sel_hi:[0,1,0]
	v_pk_add_f32 v[26:27], v[26:27], 0 op_sel_hi:[1,0]
	v_mul_f32_e32 v42, v46, v41
	v_pk_fma_f32 v[24:25], v[50:51], v[24:25], v[44:45] op_sel_hi:[0,1,1]
	v_pk_add_f32 v[26:27], v[26:27], v[28:29]
	v_mov_b32_e32 v52, v49
	v_pk_fma_f32 v[28:29], v[46:47], v[56:57], v[24:25] op_sel_hi:[0,1,1]
	v_pk_add_f32 v[24:25], v[26:27], v[42:43]
	v_mov_b32_e32 v4, v46
	v_mov_b32_e32 v5, v49
	v_pk_add_f32 v[24:25], v[24:25], v[60:61]
	v_pk_fma_f32 v[26:27], v[52:53], v[58:59], v[28:29] op_sel_hi:[0,1,1]
	s_andn2_saveexec_b64 s[44:45], s[14:15]
	s_cbranch_execz .LBB576_16
.LBB576_42:                             ;   in Loop: Header=BB576_14 Depth=1
	s_waitcnt lgkmcnt(0)
	v_mov_b32_e32 v25, 0
	v_mov_b32_e32 v24, 0
	;; [unrolled: 1-line block ×4, first 2 shown]
	s_and_saveexec_b64 s[46:47], s[8:9]
	s_cbranch_execz .LBB576_49
; %bb.43:                               ;   in Loop: Header=BB576_14 Depth=1
	v_cndmask_b32_e64 v24, 0, 1, s[36:37]
	v_cmp_ne_u32_e64 s[14:15], 1, v24
	s_andn2_b64 vcc, exec, s[36:37]
	s_cbranch_vccnz .LBB576_46
; %bb.44:                               ;   in Loop: Header=BB576_14 Depth=1
	s_mov_b64 s[48:49], 0
	v_mov_b32_e32 v24, v12
.LBB576_45:                             ;   Parent Loop BB576_14 Depth=1
                                        ; =>  This Inner Loop Header: Depth=2
	v_ashrrev_i32_e32 v25, 31, v24
	v_lshl_add_u64 v[26:27], v[24:25], 1, s[28:29]
	global_load_ushort v25, v[26:27], off
	s_cmp_eq_u32 s48, 3
	s_cselect_b64 vcc, -1, 0
	s_cmp_eq_u32 s48, 2
	v_add_u32_e32 v24, s19, v24
	s_waitcnt vmcnt(0)
	v_lshlrev_b32_e32 v25, 16, v25
	v_cndmask_b32_e32 v5, v5, v25, vcc
	s_cselect_b64 vcc, -1, 0
	s_cmp_eq_u32 s48, 1
	v_cndmask_b32_e32 v4, v4, v25, vcc
	s_cselect_b64 vcc, -1, 0
	s_cmp_eq_u32 s48, 0
	v_cndmask_b32_e32 v3, v3, v25, vcc
	s_cselect_b64 vcc, -1, 0
	s_add_u32 s48, s48, 1
	s_addc_u32 s49, s49, 0
	s_cmp_eq_u32 s25, s48
	v_cndmask_b32_e32 v2, v2, v25, vcc
	s_cbranch_scc0 .LBB576_45
.LBB576_46:                             ;   in Loop: Header=BB576_14 Depth=1
	v_mov_b32_e32 v25, 0
	s_and_b64 vcc, exec, s[14:15]
	v_mov_b32_e32 v24, v25
	v_mov_b32_e32 v27, v25
	;; [unrolled: 1-line block ×3, first 2 shown]
	s_cbranch_vccnz .LBB576_49
; %bb.47:                               ;   in Loop: Header=BB576_14 Depth=1
	s_ashr_i32 s39, s38, 31
	v_mov_b32_e32 v26, 0
	v_lshl_add_u64 v[28:29], s[38:39], 1, v[22:23]
	s_mov_b64 s[14:15], 0
	v_mov_b32_e32 v27, v26
	v_mov_b32_e32 v24, v26
	v_mov_b32_e32 v25, v26
.LBB576_48:                             ;   Parent Loop BB576_14 Depth=1
                                        ; =>  This Inner Loop Header: Depth=2
	s_cmp_eq_u32 s14, 1
	s_cselect_b64 vcc, -1, 0
	s_cmp_eq_u32 s14, 2
	v_cndmask_b32_e32 v42, v2, v3, vcc
	s_cselect_b64 vcc, -1, 0
	s_cmp_eq_u32 s14, 3
	v_cndmask_b32_e32 v48, v42, v4, vcc
	s_cselect_b64 vcc, -1, 0
	s_add_i32 s48, s42, s14
	s_add_i32 s56, s52, s14
	;; [unrolled: 1-line block ×3, first 2 shown]
	s_ashr_i32 s49, s48, 31
	s_ashr_i32 s57, s56, 31
	;; [unrolled: 1-line block ×3, first 2 shown]
	v_lshl_add_u64 v[42:43], s[48:49], 1, v[6:7]
	v_lshl_add_u64 v[46:47], s[56:57], 1, v[6:7]
	global_load_ushort v41, v[28:29], off
	v_lshl_add_u64 v[44:45], s[54:55], 1, v[6:7]
	global_load_ushort v43, v[42:43], off
	s_nop 0
	global_load_ushort v46, v[46:47], off
	s_nop 0
	global_load_ushort v49, v[44:45], off
	s_add_u32 s14, s14, 1
	v_cndmask_b32_e32 v42, v48, v5, vcc
	s_addc_u32 s15, s15, 0
	v_lshl_add_u64 v[28:29], v[28:29], 0, 2
	s_cmp_lg_u32 s25, s14
	s_waitcnt vmcnt(3)
	v_lshlrev_b32_e32 v44, 16, v41
	s_waitcnt vmcnt(2)
	v_lshlrev_b32_e32 v45, 16, v43
	;; [unrolled: 2-line block ×4, first 2 shown]
	v_pk_fma_f32 v[26:27], v[42:43], v[44:45], v[26:27] op_sel_hi:[0,1,1]
	v_pk_fma_f32 v[24:25], v[42:43], v[46:47], v[24:25] op_sel_hi:[0,1,1]
	s_cbranch_scc1 .LBB576_48
.LBB576_49:                             ;   in Loop: Header=BB576_14 Depth=1
	s_or_b64 exec, exec, s[46:47]
	s_or_b64 exec, exec, s[44:45]
	s_and_saveexec_b64 s[14:15], s[0:1]
	s_cbranch_execnz .LBB576_17
	s_branch .LBB576_18
.LBB576_50:                             ;   in Loop: Header=BB576_14 Depth=1
	ds_read_b32 v26, v39
	s_or_b64 exec, exec, s[14:15]
	s_and_saveexec_b64 s[14:15], s[0:1]
	s_cbranch_execz .LBB576_22
.LBB576_51:                             ;   in Loop: Header=BB576_14 Depth=1
	s_waitcnt lgkmcnt(0)
	ds_bpermute_b32 v28, v37, v26
	s_waitcnt lgkmcnt(0)
	v_add_f32_e32 v26, v26, v28
	ds_bpermute_b32 v28, v38, v26
	s_waitcnt lgkmcnt(0)
	v_add_f32_e32 v26, v26, v28
	s_or_b64 exec, exec, s[14:15]
	s_and_saveexec_b64 s[14:15], s[0:1]
	s_cbranch_execnz .LBB576_23
	s_branch .LBB576_24
.LBB576_52:                             ;   in Loop: Header=BB576_14 Depth=1
	ds_read_b32 v27, v39
	s_or_b64 exec, exec, s[14:15]
	s_and_saveexec_b64 s[14:15], s[0:1]
	s_cbranch_execz .LBB576_28
.LBB576_53:                             ;   in Loop: Header=BB576_14 Depth=1
	s_waitcnt lgkmcnt(0)
	ds_bpermute_b32 v28, v37, v27
	s_waitcnt lgkmcnt(0)
	v_add_f32_e32 v27, v27, v28
	ds_bpermute_b32 v28, v38, v27
	s_waitcnt lgkmcnt(0)
	v_add_f32_e32 v27, v27, v28
	s_or_b64 exec, exec, s[14:15]
	s_and_saveexec_b64 s[14:15], s[0:1]
	s_cbranch_execnz .LBB576_29
	s_branch .LBB576_30
.LBB576_54:                             ;   in Loop: Header=BB576_14 Depth=1
	ds_read_b32 v24, v39
	s_or_b64 exec, exec, s[14:15]
	s_and_saveexec_b64 s[14:15], s[0:1]
	s_cbranch_execz .LBB576_34
.LBB576_55:                             ;   in Loop: Header=BB576_14 Depth=1
	s_waitcnt lgkmcnt(0)
	ds_bpermute_b32 v28, v37, v24
	s_waitcnt lgkmcnt(0)
	v_add_f32_e32 v24, v24, v28
	ds_bpermute_b32 v28, v38, v24
	s_waitcnt lgkmcnt(0)
	v_add_f32_e32 v24, v24, v28
	s_or_b64 exec, exec, s[14:15]
	s_and_saveexec_b64 s[14:15], s[0:1]
	s_cbranch_execnz .LBB576_35
	s_branch .LBB576_36
.LBB576_56:                             ;   in Loop: Header=BB576_14 Depth=1
	ds_read_b32 v25, v39
	s_or_b64 exec, exec, s[14:15]
	s_and_saveexec_b64 s[14:15], s[0:1]
	s_cbranch_execz .LBB576_40
.LBB576_57:                             ;   in Loop: Header=BB576_14 Depth=1
	s_waitcnt lgkmcnt(0)
	ds_bpermute_b32 v28, v37, v25
	s_waitcnt lgkmcnt(0)
	v_add_f32_e32 v25, v25, v28
	ds_bpermute_b32 v28, v38, v25
	s_waitcnt lgkmcnt(0)
	v_add_f32_e32 v25, v25, v28
	s_or_b64 exec, exec, s[14:15]
	s_and_saveexec_b64 s[14:15], s[12:13]
	s_cbranch_execz .LBB576_13
.LBB576_58:                             ;   in Loop: Header=BB576_14 Depth=1
	s_mul_i32 s34, s27, s24
	s_add_i32 s34, s34, s2
	s_lshl_b64 s[44:45], s[34:35], 2
	s_add_u32 s44, s33, s44
	v_mul_f32_e32 v26, s18, v26
	s_addc_u32 s45, s50, s45
	s_add_i32 s34, s34, s24
	global_store_dword v13, v26, s[44:45]
	s_lshl_b64 s[44:45], s[34:35], 2
	s_add_u32 s44, s33, s44
	v_mul_f32_e32 v26, s18, v27
	s_addc_u32 s45, s50, s45
	s_add_i32 s34, s34, s24
	global_store_dword v13, v26, s[44:45]
	;; [unrolled: 6-line block ×3, first 2 shown]
	s_lshl_b64 s[44:45], s[34:35], 2
	s_add_u32 s44, s33, s44
	s_waitcnt lgkmcnt(0)
	v_mul_f32_e32 v24, s18, v25
	s_addc_u32 s45, s50, s45
	global_store_dword v13, v24, s[44:45]
	s_branch .LBB576_13
.LBB576_59:
	s_mov_b32 s27, 0
                                        ; implicit-def: $vgpr2_vgpr3_vgpr4_vgpr5
.LBB576_60:
	s_cmp_ge_i32 s27, s17
	s_cbranch_scc1 .LBB576_84
; %bb.61:
	v_mbcnt_hi_u32_b32 v12, -1, v30
	v_and_b32_e32 v13, 63, v12
	v_cmp_gt_u32_e32 vcc, 32, v13
	s_mov_b32 s3, 0
	s_cmp_gt_i32 s25, 0
	v_cndmask_b32_e64 v14, 0, 1, vcc
	v_lshlrev_b32_e32 v14, 5, v14
	v_cmp_gt_u32_e32 vcc, 48, v13
	v_add_lshl_u32 v23, v14, v12, 2
	s_cselect_b64 s[34:35], -1, 0
	v_cndmask_b32_e64 v14, 0, 1, vcc
	v_lshlrev_b32_e32 v14, 4, v14
	v_cmp_gt_u32_e32 vcc, 56, v13
	v_add_lshl_u32 v24, v14, v12, 2
	s_lshl_b64 s[14:15], s[2:3], 2
	v_cndmask_b32_e64 v14, 0, 1, vcc
	v_lshlrev_b32_e32 v14, 3, v14
	v_cmp_gt_u32_e32 vcc, 60, v13
	s_waitcnt lgkmcnt(0)
	v_add_lshl_u32 v25, v14, v12, 2
	s_add_u32 s2, s33, s14
	v_cndmask_b32_e64 v14, 0, 1, vcc
	v_cmp_ge_i32_e64 s[0:1], s16, v31
	v_cmp_ge_i32_e64 s[4:5], s16, v32
	v_lshlrev_b32_e32 v14, 2, v14
	v_cmp_gt_u32_e32 vcc, 62, v13
	s_addc_u32 s16, s50, s15
	v_add_u32_e32 v16, s19, v8
	v_add_lshl_u32 v26, v14, v12, 2
	v_cndmask_b32_e64 v14, 0, 1, vcc
	v_add_u32_e32 v18, s19, v16
	s_add_u32 s14, s30, s22
	v_lshlrev_b32_e32 v14, 1, v14
	v_ashrrev_i32_e32 v17, 31, v16
	v_ashrrev_i32_e32 v19, 31, v18
	s_addc_u32 s15, s31, s23
	v_add_lshl_u32 v27, v14, v12, 2
	v_cmp_ne_u32_e32 vcc, 63, v13
	v_lshl_add_u64 v[14:15], v[16:17], 1, s[28:29]
	v_lshl_add_u64 v[16:17], v[18:19], 1, s[28:29]
	v_add_u32_e32 v18, s19, v18
	s_add_u32 s14, s20, s14
	v_lshlrev_b32_e32 v22, 2, v1
	v_addc_co_u32_e32 v12, vcc, 0, v12, vcc
	v_cmp_eq_u32_e64 s[8:9], 0, v1
	v_and_b32_e32 v1, 12, v9
	v_ashrrev_i32_e32 v9, 31, v8
	v_ashrrev_i32_e32 v19, 31, v18
	s_addc_u32 s15, s21, s15
	v_cmp_gt_u32_e64 s[6:7], 64, v0
	v_lshlrev_b32_e32 v28, 2, v12
	v_cmp_gt_u32_e64 s[10:11], 4, v0
	v_cmp_eq_u32_e64 s[12:13], 0, v0
	v_lshl_add_u64 v[12:13], v[8:9], 1, s[28:29]
	v_lshl_add_u64 v[18:19], v[18:19], 1, s[28:29]
	;; [unrolled: 1-line block ×3, first 2 shown]
	s_mul_i32 s20, s27, s26
	v_mov_b32_e32 v9, 0
	s_branch .LBB576_63
.LBB576_62:                             ;   in Loop: Header=BB576_63 Depth=1
	s_or_b64 exec, exec, s[14:15]
	s_add_i32 s27, s27, 1
	s_add_i32 s20, s20, s26
	s_cmp_ge_i32 s27, s17
	s_cbranch_scc1 .LBB576_84
.LBB576_63:                             ; =>This Loop Header: Depth=1
                                        ;     Child Loop BB576_76 Depth 2
                                        ;     Child Loop BB576_79 Depth 2
	s_waitcnt lgkmcnt(0)
	v_mov_b32_e32 v0, s3
	s_and_saveexec_b64 s[14:15], s[0:1]
	s_xor_b64 s[14:15], exec, s[14:15]
	s_cbranch_execnz .LBB576_72
; %bb.64:                               ;   in Loop: Header=BB576_63 Depth=1
	s_andn2_saveexec_b64 s[22:23], s[14:15]
	s_cbranch_execnz .LBB576_73
.LBB576_65:                             ;   in Loop: Header=BB576_63 Depth=1
	s_or_b64 exec, exec, s[22:23]
	s_and_saveexec_b64 s[14:15], s[6:7]
	s_cbranch_execz .LBB576_67
.LBB576_66:                             ;   in Loop: Header=BB576_63 Depth=1
	ds_write_b32 v22, v9
.LBB576_67:                             ;   in Loop: Header=BB576_63 Depth=1
	s_or_b64 exec, exec, s[14:15]
	ds_bpermute_b32 v20, v23, v0
	s_waitcnt lgkmcnt(0)
	s_barrier
	v_add_f32_e32 v0, v0, v20
	ds_bpermute_b32 v20, v24, v0
	s_waitcnt lgkmcnt(0)
	v_add_f32_e32 v0, v0, v20
	ds_bpermute_b32 v20, v25, v0
	s_waitcnt lgkmcnt(0)
	;; [unrolled: 3-line block ×4, first 2 shown]
	v_add_f32_e32 v0, v0, v20
	ds_bpermute_b32 v20, v28, v0
	s_and_saveexec_b64 s[14:15], s[8:9]
	s_cbranch_execz .LBB576_69
; %bb.68:                               ;   in Loop: Header=BB576_63 Depth=1
	s_waitcnt lgkmcnt(0)
	v_add_f32_e32 v0, v0, v20
	ds_write_b32 v1, v0
.LBB576_69:                             ;   in Loop: Header=BB576_63 Depth=1
	s_or_b64 exec, exec, s[14:15]
	v_mov_b32_e32 v0, 0
	s_waitcnt lgkmcnt(0)
	s_barrier
	s_and_saveexec_b64 s[14:15], s[10:11]
	s_cbranch_execnz .LBB576_81
; %bb.70:                               ;   in Loop: Header=BB576_63 Depth=1
	s_or_b64 exec, exec, s[14:15]
	s_and_saveexec_b64 s[14:15], s[6:7]
	s_cbranch_execnz .LBB576_82
.LBB576_71:                             ;   in Loop: Header=BB576_63 Depth=1
	s_or_b64 exec, exec, s[14:15]
	s_and_saveexec_b64 s[14:15], s[12:13]
	s_cbranch_execz .LBB576_62
	s_branch .LBB576_83
.LBB576_72:                             ;   in Loop: Header=BB576_63 Depth=1
	s_mul_i32 s22, s27, s26
	s_ashr_i32 s23, s22, 31
	v_lshl_add_u64 v[2:3], s[22:23], 1, v[6:7]
	global_load_ushort v0, v[12:13], off
	global_load_ushort v4, v[14:15], off
	;; [unrolled: 1-line block ×4, first 2 shown]
	global_load_dwordx2 v[20:21], v[2:3], off
	s_waitcnt vmcnt(4)
	v_lshlrev_b32_e32 v2, 16, v0
	s_waitcnt vmcnt(3)
	v_lshlrev_b32_e32 v3, 16, v4
	s_waitcnt vmcnt(2)
	v_lshlrev_b32_e32 v4, 16, v29
	s_waitcnt vmcnt(1)
	v_lshlrev_b32_e32 v5, 16, v5
	s_waitcnt vmcnt(0)
	v_and_b32_e32 v31, 0xffff0000, v20
	v_lshlrev_b32_e32 v30, 16, v20
	v_and_b32_e32 v33, 0xffff0000, v21
	v_lshlrev_b32_e32 v32, 16, v21
	v_pk_mul_f32 v[20:21], v[2:3], v[30:31]
	s_nop 0
	v_add_f32_e32 v0, 0, v20
	v_add_f32_e32 v0, v0, v21
	v_pk_mul_f32 v[20:21], v[4:5], v[32:33]
	s_nop 0
	v_add_f32_e32 v0, v0, v20
	v_add_f32_e32 v0, v0, v21
	s_andn2_saveexec_b64 s[22:23], s[14:15]
	s_cbranch_execz .LBB576_65
.LBB576_73:                             ;   in Loop: Header=BB576_63 Depth=1
	s_and_saveexec_b64 s[30:31], s[4:5]
	s_cbranch_execz .LBB576_80
; %bb.74:                               ;   in Loop: Header=BB576_63 Depth=1
	v_cndmask_b32_e64 v20, 0, 1, s[34:35]
	v_cmp_ne_u32_e64 s[14:15], 1, v20
	s_andn2_b64 vcc, exec, s[34:35]
	s_cbranch_vccnz .LBB576_77
; %bb.75:                               ;   in Loop: Header=BB576_63 Depth=1
	s_mov_b64 s[36:37], 0
	v_mov_b32_e32 v20, v8
.LBB576_76:                             ;   Parent Loop BB576_63 Depth=1
                                        ; =>  This Inner Loop Header: Depth=2
	v_ashrrev_i32_e32 v21, 31, v20
	v_lshl_add_u64 v[30:31], v[20:21], 1, s[28:29]
	global_load_ushort v21, v[30:31], off
	s_cmp_eq_u32 s36, 3
	s_cselect_b64 vcc, -1, 0
	s_cmp_eq_u32 s36, 2
	v_add_u32_e32 v20, s19, v20
	s_waitcnt vmcnt(0)
	v_lshlrev_b32_e32 v21, 16, v21
	v_cndmask_b32_e32 v5, v5, v21, vcc
	s_cselect_b64 vcc, -1, 0
	s_cmp_eq_u32 s36, 1
	v_cndmask_b32_e32 v4, v4, v21, vcc
	s_cselect_b64 vcc, -1, 0
	s_cmp_eq_u32 s36, 0
	v_cndmask_b32_e32 v3, v3, v21, vcc
	s_cselect_b64 vcc, -1, 0
	s_add_u32 s36, s36, 1
	s_addc_u32 s37, s37, 0
	s_cmp_eq_u32 s25, s36
	v_cndmask_b32_e32 v2, v2, v21, vcc
	s_cbranch_scc0 .LBB576_76
.LBB576_77:                             ;   in Loop: Header=BB576_63 Depth=1
	s_and_b64 vcc, exec, s[14:15]
	s_cbranch_vccnz .LBB576_80
; %bb.78:                               ;   in Loop: Header=BB576_63 Depth=1
	s_ashr_i32 s21, s20, 31
	v_lshl_add_u64 v[20:21], s[20:21], 1, v[10:11]
	s_mov_b64 s[14:15], 0
.LBB576_79:                             ;   Parent Loop BB576_63 Depth=1
                                        ; =>  This Inner Loop Header: Depth=2
	global_load_ushort v29, v[20:21], off
	s_cmp_eq_u32 s14, 1
	s_cselect_b64 vcc, -1, 0
	s_cmp_eq_u32 s14, 2
	v_cndmask_b32_e32 v30, v2, v3, vcc
	s_cselect_b64 vcc, -1, 0
	s_cmp_eq_u32 s14, 3
	v_cndmask_b32_e32 v30, v30, v4, vcc
	s_cselect_b64 vcc, -1, 0
	s_add_u32 s14, s14, 1
	v_cndmask_b32_e32 v30, v30, v5, vcc
	s_addc_u32 s15, s15, 0
	v_lshl_add_u64 v[20:21], v[20:21], 0, 2
	s_cmp_lg_u32 s25, s14
	s_waitcnt vmcnt(0)
	v_lshlrev_b32_e32 v29, 16, v29
	v_fmac_f32_e32 v0, v30, v29
	s_cbranch_scc1 .LBB576_79
.LBB576_80:                             ;   in Loop: Header=BB576_63 Depth=1
	s_or_b64 exec, exec, s[30:31]
	s_or_b64 exec, exec, s[22:23]
	s_and_saveexec_b64 s[14:15], s[6:7]
	s_cbranch_execnz .LBB576_66
	s_branch .LBB576_67
.LBB576_81:                             ;   in Loop: Header=BB576_63 Depth=1
	ds_read_b32 v0, v22
	s_or_b64 exec, exec, s[14:15]
	s_and_saveexec_b64 s[14:15], s[6:7]
	s_cbranch_execz .LBB576_71
.LBB576_82:                             ;   in Loop: Header=BB576_63 Depth=1
	s_waitcnt lgkmcnt(0)
	ds_bpermute_b32 v20, v27, v0
	s_waitcnt lgkmcnt(0)
	v_add_f32_e32 v0, v0, v20
	ds_bpermute_b32 v20, v28, v0
	s_waitcnt lgkmcnt(0)
	v_add_f32_e32 v0, v0, v20
	s_or_b64 exec, exec, s[14:15]
	s_and_saveexec_b64 s[14:15], s[12:13]
	s_cbranch_execz .LBB576_62
.LBB576_83:                             ;   in Loop: Header=BB576_63 Depth=1
	s_mul_hi_u32 s23, s27, s24
	s_mul_i32 s22, s27, s24
	s_lshl_b64 s[22:23], s[22:23], 2
	s_add_u32 s22, s2, s22
	s_waitcnt lgkmcnt(0)
	v_mul_f32_e32 v0, s18, v0
	s_addc_u32 s23, s16, s23
	global_store_dword v9, v0, s[22:23]
	s_branch .LBB576_62
.LBB576_84:
	s_endpgm
	.section	.rodata,"a",@progbits
	.p2align	6, 0x0
	.amdhsa_kernel _ZL23rocblas_gemvt_sn_kernelILb1ELi256ELi4Ei16rocblas_bfloat16ffEviiT4_lPKT3_lilS4_lilPT5_i
		.amdhsa_group_segment_fixed_size 256
		.amdhsa_private_segment_fixed_size 0
		.amdhsa_kernarg_size 360
		.amdhsa_user_sgpr_count 2
		.amdhsa_user_sgpr_dispatch_ptr 0
		.amdhsa_user_sgpr_queue_ptr 0
		.amdhsa_user_sgpr_kernarg_segment_ptr 1
		.amdhsa_user_sgpr_dispatch_id 0
		.amdhsa_user_sgpr_kernarg_preload_length 0
		.amdhsa_user_sgpr_kernarg_preload_offset 0
		.amdhsa_user_sgpr_private_segment_size 0
		.amdhsa_uses_dynamic_stack 0
		.amdhsa_enable_private_segment 0
		.amdhsa_system_sgpr_workgroup_id_x 1
		.amdhsa_system_sgpr_workgroup_id_y 0
		.amdhsa_system_sgpr_workgroup_id_z 1
		.amdhsa_system_sgpr_workgroup_info 0
		.amdhsa_system_vgpr_workitem_id 0
		.amdhsa_next_free_vgpr 64
		.amdhsa_next_free_sgpr 58
		.amdhsa_accum_offset 64
		.amdhsa_reserve_vcc 1
		.amdhsa_float_round_mode_32 0
		.amdhsa_float_round_mode_16_64 0
		.amdhsa_float_denorm_mode_32 3
		.amdhsa_float_denorm_mode_16_64 3
		.amdhsa_dx10_clamp 1
		.amdhsa_ieee_mode 1
		.amdhsa_fp16_overflow 0
		.amdhsa_tg_split 0
		.amdhsa_exception_fp_ieee_invalid_op 0
		.amdhsa_exception_fp_denorm_src 0
		.amdhsa_exception_fp_ieee_div_zero 0
		.amdhsa_exception_fp_ieee_overflow 0
		.amdhsa_exception_fp_ieee_underflow 0
		.amdhsa_exception_fp_ieee_inexact 0
		.amdhsa_exception_int_div_zero 0
	.end_amdhsa_kernel
	.section	.text._ZL23rocblas_gemvt_sn_kernelILb1ELi256ELi4Ei16rocblas_bfloat16ffEviiT4_lPKT3_lilS4_lilPT5_i,"axG",@progbits,_ZL23rocblas_gemvt_sn_kernelILb1ELi256ELi4Ei16rocblas_bfloat16ffEviiT4_lPKT3_lilS4_lilPT5_i,comdat
.Lfunc_end576:
	.size	_ZL23rocblas_gemvt_sn_kernelILb1ELi256ELi4Ei16rocblas_bfloat16ffEviiT4_lPKT3_lilS4_lilPT5_i, .Lfunc_end576-_ZL23rocblas_gemvt_sn_kernelILb1ELi256ELi4Ei16rocblas_bfloat16ffEviiT4_lPKT3_lilS4_lilPT5_i
                                        ; -- End function
	.section	.AMDGPU.csdata,"",@progbits
; Kernel info:
; codeLenInByte = 4068
; NumSgprs: 64
; NumVgprs: 64
; NumAgprs: 0
; TotalNumVgprs: 64
; ScratchSize: 0
; MemoryBound: 0
; FloatMode: 240
; IeeeMode: 1
; LDSByteSize: 256 bytes/workgroup (compile time only)
; SGPRBlocks: 7
; VGPRBlocks: 7
; NumSGPRsForWavesPerEU: 64
; NumVGPRsForWavesPerEU: 64
; AccumOffset: 64
; Occupancy: 8
; WaveLimiterHint : 1
; COMPUTE_PGM_RSRC2:SCRATCH_EN: 0
; COMPUTE_PGM_RSRC2:USER_SGPR: 2
; COMPUTE_PGM_RSRC2:TRAP_HANDLER: 0
; COMPUTE_PGM_RSRC2:TGID_X_EN: 1
; COMPUTE_PGM_RSRC2:TGID_Y_EN: 0
; COMPUTE_PGM_RSRC2:TGID_Z_EN: 1
; COMPUTE_PGM_RSRC2:TIDIG_COMP_CNT: 0
; COMPUTE_PGM_RSRC3_GFX90A:ACCUM_OFFSET: 15
; COMPUTE_PGM_RSRC3_GFX90A:TG_SPLIT: 0
	.section	.text._ZL23rocblas_gemvt_sn_kernelILb1ELi256ELi4El16rocblas_bfloat16ffEviiT4_lPKT3_lilS4_lilPT5_i,"axG",@progbits,_ZL23rocblas_gemvt_sn_kernelILb1ELi256ELi4El16rocblas_bfloat16ffEviiT4_lPKT3_lilS4_lilPT5_i,comdat
	.globl	_ZL23rocblas_gemvt_sn_kernelILb1ELi256ELi4El16rocblas_bfloat16ffEviiT4_lPKT3_lilS4_lilPT5_i ; -- Begin function _ZL23rocblas_gemvt_sn_kernelILb1ELi256ELi4El16rocblas_bfloat16ffEviiT4_lPKT3_lilS4_lilPT5_i
	.p2align	8
	.type	_ZL23rocblas_gemvt_sn_kernelILb1ELi256ELi4El16rocblas_bfloat16ffEviiT4_lPKT3_lilS4_lilPT5_i,@function
_ZL23rocblas_gemvt_sn_kernelILb1ELi256ELi4El16rocblas_bfloat16ffEviiT4_lPKT3_lilS4_lilPT5_i: ; @_ZL23rocblas_gemvt_sn_kernelILb1ELi256ELi4El16rocblas_bfloat16ffEviiT4_lPKT3_lilS4_lilPT5_i
; %bb.0:
	s_load_dwordx4 s[16:19], s[0:1], 0x0
	s_load_dwordx4 s[8:11], s[0:1], 0x50
	s_load_dword s28, s[0:1], 0x68
	s_mov_b32 s6, s3
	s_mov_b32 s29, 0
	s_waitcnt lgkmcnt(0)
	s_ashr_i32 s7, s17, 31
	s_mul_hi_u32 s3, s17, s3
	s_mul_i32 s4, s7, s6
	s_add_i32 s13, s3, s4
	s_mul_i32 s12, s17, s6
	s_mul_i32 s3, s13, s28
	s_mul_hi_u32 s4, s12, s28
	s_add_i32 s5, s4, s3
	s_mul_i32 s4, s12, s28
	s_lshl_b64 s[4:5], s[4:5], 2
	s_add_u32 s33, s10, s4
	s_addc_u32 s60, s11, s5
	v_cmp_neq_f32_e64 s[4:5], s18, 0
	s_and_b64 vcc, exec, s[4:5]
	v_cmp_eq_u32_e64 s[4:5], 0, v0
	s_cbranch_vccnz .LBB577_10
; %bb.1:
	s_cmp_gt_i32 s17, 0
	s_cselect_b64 s[14:15], -1, 0
	s_and_b64 s[14:15], s[4:5], s[14:15]
	s_and_saveexec_b64 s[4:5], s[14:15]
	s_cbranch_execz .LBB577_9
; %bb.2:
	s_cmp_gt_u32 s17, 1
	s_cselect_b64 s[14:15], -1, 0
	s_cmp_eq_u32 s28, 1
	s_cselect_b64 s[22:23], -1, 0
	s_mov_b32 s3, 0
	s_and_b64 s[14:15], s[14:15], s[22:23]
	s_mov_b64 s[20:21], -1
	s_andn2_b64 vcc, exec, s[14:15]
	s_mov_b32 s14, s3
	s_cbranch_vccnz .LBB577_6
; %bb.3:
	s_lshl_b64 s[14:15], s[2:3], 2
	s_add_u32 s20, s33, s14
	s_addc_u32 s21, s60, s15
	s_and_b32 s14, s17, 0x7ffffffe
	v_mov_b32_e32 v2, 0
	v_mov_b32_e32 v3, v2
	s_mov_b32 s15, s14
.LBB577_4:                              ; =>This Inner Loop Header: Depth=1
	global_store_dwordx2 v2, v[2:3], s[20:21]
	s_add_u32 s20, s20, 8
	s_addc_u32 s21, s21, 0
	s_add_i32 s15, s15, -2
	s_cmp_lg_u32 s15, 0
	s_cbranch_scc1 .LBB577_4
; %bb.5:
	s_cmp_lg_u32 s14, s17
	s_cselect_b64 s[20:21], -1, 0
.LBB577_6:
	s_and_b64 vcc, exec, s[20:21]
	s_cbranch_vccz .LBB577_9
; %bb.7:
	s_mov_b32 s15, 0
	s_sub_i32 s19, s17, s14
	s_lshl_b64 s[12:13], s[12:13], 2
	s_lshl_b64 s[14:15], s[14:15], 2
	s_add_u32 s12, s12, s14
	s_addc_u32 s13, s13, s15
	s_mul_i32 s13, s13, s28
	s_mul_hi_u32 s14, s12, s28
	s_add_i32 s14, s14, s13
	s_mul_i32 s15, s12, s28
	s_lshl_b64 s[12:13], s[2:3], 2
	s_add_u32 s3, s15, s12
	s_addc_u32 s12, s14, s13
	s_add_u32 s10, s10, s3
	s_addc_u32 s11, s11, s12
	s_lshl_b64 s[12:13], s[28:29], 2
	v_mov_b32_e32 v1, 0
.LBB577_8:                              ; =>This Inner Loop Header: Depth=1
	s_add_i32 s19, s19, -1
	global_store_dword v1, v1, s[10:11]
	s_add_u32 s10, s10, s12
	s_addc_u32 s11, s11, s13
	s_cmp_eq_u32 s19, 0
	s_cbranch_scc0 .LBB577_8
.LBB577_9:
	s_or_b64 exec, exec, s[4:5]
	s_cbranch_execz .LBB577_11
	s_branch .LBB577_84
.LBB577_10:
.LBB577_11:
	s_load_dword s30, s[0:1], 0x28
	s_load_dword s34, s[0:1], 0x48
	s_load_dwordx4 s[20:23], s[0:1], 0x18
	s_load_dwordx4 s[24:27], s[0:1], 0x30
	s_load_dwordx2 s[4:5], s[0:1], 0x40
	s_mul_i32 s0, s6, s9
	s_mul_hi_u32 s1, s6, s8
	s_add_i32 s1, s1, s0
	s_mul_i32 s0, s6, s8
	s_waitcnt lgkmcnt(0)
	s_ashr_i32 s31, s30, 31
	s_ashr_i32 s35, s34, 31
	s_lshl_b64 s[36:37], s[0:1], 1
	s_add_u32 s0, s26, s36
	s_addc_u32 s1, s27, s37
	s_lshl_b64 s[38:39], s[4:5], 1
	s_add_u32 s40, s0, s38
	s_addc_u32 s41, s1, s39
	s_mul_i32 s0, s6, s25
	s_mul_hi_u32 s1, s6, s24
	s_add_i32 s1, s1, s0
	s_mul_i32 s0, s6, s24
	s_lshl_b64 s[24:25], s[0:1], 1
	s_add_u32 s0, s20, s24
	s_addc_u32 s1, s21, s25
	s_lshl_b64 s[22:23], s[22:23], 1
	s_add_u32 s0, s0, s22
	s_addc_u32 s1, s1, s23
	s_lshl_b32 s3, s2, 10
	v_lshl_or_b32 v8, v0, 2, s3
	v_ashrrev_i32_e32 v9, 31, v8
	v_lshl_add_u64 v[6:7], v[8:9], 1, s[0:1]
	s_lshr_b32 s0, s7, 30
	s_add_i32 s0, s17, s0
	s_and_b32 s29, s0, -4
	s_ashr_i32 s0, s16, 31
	s_lshr_b32 s0, s0, 30
	s_add_i32 s0, s16, s0
	s_and_b32 s0, s0, -4
	s_sub_i32 s19, s16, s0
	s_cmp_lt_i32 s29, 1
	v_add_u32_e32 v33, 4, v8
	v_add_u32_e32 v34, s19, v8
	v_and_b32_e32 v30, 63, v0
	v_cmp_gt_u32_e64 s[0:1], 64, v0
	v_mbcnt_lo_u32_b32 v32, -1, 0
	v_cmp_gt_u32_e64 s[4:5], 4, v0
	v_lshrrev_b32_e32 v31, 4, v0
	v_or_b32_e32 v29, 1, v8
	v_or_b32_e32 v28, 2, v8
	;; [unrolled: 1-line block ×3, first 2 shown]
	s_cbranch_scc1 .LBB577_59
; %bb.12:
	v_mbcnt_hi_u32_b32 v2, -1, v32
	v_and_b32_e32 v3, 63, v2
	v_cmp_gt_u32_e32 vcc, 32, v3
	s_mov_b32 s3, 0
	s_cmp_gt_i32 s19, 0
	v_cndmask_b32_e64 v4, 0, 1, vcc
	v_lshlrev_b32_e32 v4, 5, v4
	v_cmp_gt_u32_e32 vcc, 48, v3
	v_add_lshl_u32 v35, v4, v2, 2
	s_cselect_b64 s[42:43], -1, 0
	v_cndmask_b32_e64 v4, 0, 1, vcc
	v_lshlrev_b32_e32 v4, 4, v4
	v_cmp_gt_u32_e32 vcc, 56, v3
	v_add_lshl_u32 v36, v4, v2, 2
	s_lshl_b64 s[14:15], s[2:3], 2
	v_cndmask_b32_e64 v4, 0, 1, vcc
	v_lshlrev_b32_e32 v4, 3, v4
	v_cmp_gt_u32_e32 vcc, 60, v3
	v_add_lshl_u32 v37, v4, v2, 2
	s_add_u32 s61, s33, s14
	v_cndmask_b32_e64 v4, 0, 1, vcc
	v_lshlrev_b32_e32 v4, 2, v4
	v_cmp_gt_u32_e32 vcc, 62, v3
	v_add_lshl_u32 v38, v4, v2, 2
	s_addc_u32 s62, s60, s15
	v_cndmask_b32_e64 v4, 0, 1, vcc
	v_lshlrev_b32_e32 v4, 1, v4
	v_add_lshl_u32 v39, v4, v2, 2
	v_cmp_ne_u32_e32 vcc, 63, v3
	v_mad_i64_i32 v[4:5], s[14:15], s34, v29, 0
	s_nop 0
	v_addc_co_u32_e32 v2, vcc, 0, v2, vcc
	v_lshl_add_u64 v[12:13], v[4:5], 1, s[40:41]
	v_mad_i64_i32 v[4:5], s[14:15], s34, v28, 0
	v_lshlrev_b32_e32 v40, 2, v2
	v_mad_i64_i32 v[2:3], s[14:15], s34, v8, 0
	v_lshl_add_u64 v[14:15], v[4:5], 1, s[40:41]
	v_mad_i64_i32 v[4:5], s[14:15], s34, v1, 0
	s_add_u32 s14, s26, s38
	s_addc_u32 s15, s27, s39
	s_add_u32 s14, s14, s36
	v_lshlrev_b64 v[2:3], 1, v[2:3]
	s_addc_u32 s15, s15, s37
	v_cmp_ge_i32_e64 s[6:7], s16, v33
	v_cmp_ge_i32_e64 s[8:9], s16, v34
	v_cmp_eq_u32_e64 s[10:11], 0, v30
	v_lshlrev_b32_e32 v41, 2, v30
	v_and_b32_e32 v42, 12, v31
	v_cmp_eq_u32_e64 s[12:13], 0, v0
	v_lshl_add_u64 v[10:11], s[40:41], 0, v[2:3]
	v_lshl_add_u64 v[16:17], v[4:5], 1, s[40:41]
	;; [unrolled: 1-line block ×3, first 2 shown]
	s_lshl_b64 s[44:45], s[34:35], 1
	s_lshl_b64 s[46:47], s[30:31], 3
	;; [unrolled: 1-line block ×4, first 2 shown]
	s_mul_hi_i32 s53, s30, 6
	s_mul_i32 s52, s30, 6
	v_mov_b32_e32 v43, 0
	v_mov_b64_e32 v[20:21], v[6:7]
                                        ; implicit-def: $vgpr2_vgpr3_vgpr4_vgpr5
	s_branch .LBB577_14
.LBB577_13:                             ;   in Loop: Header=BB577_14 Depth=1
	s_or_b64 exec, exec, s[14:15]
	s_add_i32 s3, s3, 4
	s_cmp_ge_i32 s3, s29
	v_lshl_add_u64 v[20:21], v[20:21], 0, s[46:47]
	s_cbranch_scc1 .LBB577_60
.LBB577_14:                             ; =>This Loop Header: Depth=1
                                        ;     Child Loop BB577_45 Depth 2
                                        ;     Child Loop BB577_48 Depth 2
                                        ; implicit-def: $vgpr23
                                        ; implicit-def: $vgpr25
	s_and_saveexec_b64 s[14:15], s[6:7]
	s_xor_b64 s[14:15], exec, s[14:15]
	s_cbranch_execnz .LBB577_41
; %bb.15:                               ;   in Loop: Header=BB577_14 Depth=1
	s_andn2_saveexec_b64 s[54:55], s[14:15]
	s_cbranch_execnz .LBB577_42
.LBB577_16:                             ;   in Loop: Header=BB577_14 Depth=1
	s_or_b64 exec, exec, s[54:55]
	s_and_saveexec_b64 s[14:15], s[0:1]
	s_cbranch_execz .LBB577_18
.LBB577_17:                             ;   in Loop: Header=BB577_14 Depth=1
	ds_write_b32 v41, v43
.LBB577_18:                             ;   in Loop: Header=BB577_14 Depth=1
	s_or_b64 exec, exec, s[14:15]
	ds_bpermute_b32 v26, v35, v24
	s_waitcnt lgkmcnt(0)
	s_barrier
	v_add_f32_e32 v24, v24, v26
	ds_bpermute_b32 v26, v36, v24
	s_waitcnt lgkmcnt(0)
	v_add_f32_e32 v24, v24, v26
	ds_bpermute_b32 v26, v37, v24
	s_waitcnt lgkmcnt(0)
	;; [unrolled: 3-line block ×4, first 2 shown]
	v_add_f32_e32 v24, v24, v26
	ds_bpermute_b32 v26, v40, v24
	s_and_saveexec_b64 s[14:15], s[10:11]
	s_cbranch_execz .LBB577_20
; %bb.19:                               ;   in Loop: Header=BB577_14 Depth=1
	s_waitcnt lgkmcnt(0)
	v_add_f32_e32 v24, v24, v26
	ds_write_b32 v42, v24
.LBB577_20:                             ;   in Loop: Header=BB577_14 Depth=1
	s_or_b64 exec, exec, s[14:15]
	v_mov_b32_e32 v24, 0
	s_waitcnt lgkmcnt(0)
	s_barrier
	s_and_saveexec_b64 s[14:15], s[4:5]
	s_cbranch_execnz .LBB577_50
; %bb.21:                               ;   in Loop: Header=BB577_14 Depth=1
	s_or_b64 exec, exec, s[14:15]
	s_and_saveexec_b64 s[14:15], s[0:1]
	s_cbranch_execnz .LBB577_51
.LBB577_22:                             ;   in Loop: Header=BB577_14 Depth=1
	s_or_b64 exec, exec, s[14:15]
	s_and_saveexec_b64 s[14:15], s[0:1]
	s_cbranch_execz .LBB577_24
.LBB577_23:                             ;   in Loop: Header=BB577_14 Depth=1
	ds_write_b32 v41, v43
.LBB577_24:                             ;   in Loop: Header=BB577_14 Depth=1
	s_or_b64 exec, exec, s[14:15]
	ds_bpermute_b32 v26, v35, v25
	s_waitcnt lgkmcnt(0)
	s_barrier
	v_add_f32_e32 v25, v25, v26
	ds_bpermute_b32 v26, v36, v25
	s_waitcnt lgkmcnt(0)
	v_add_f32_e32 v25, v25, v26
	ds_bpermute_b32 v26, v37, v25
	s_waitcnt lgkmcnt(0)
	;; [unrolled: 3-line block ×4, first 2 shown]
	v_add_f32_e32 v25, v25, v26
	ds_bpermute_b32 v26, v40, v25
	s_and_saveexec_b64 s[14:15], s[10:11]
	s_cbranch_execz .LBB577_26
; %bb.25:                               ;   in Loop: Header=BB577_14 Depth=1
	s_waitcnt lgkmcnt(0)
	v_add_f32_e32 v25, v25, v26
	ds_write_b32 v42, v25
.LBB577_26:                             ;   in Loop: Header=BB577_14 Depth=1
	s_or_b64 exec, exec, s[14:15]
	v_mov_b32_e32 v25, 0
	s_waitcnt lgkmcnt(0)
	s_barrier
	s_and_saveexec_b64 s[14:15], s[4:5]
	s_cbranch_execnz .LBB577_52
; %bb.27:                               ;   in Loop: Header=BB577_14 Depth=1
	s_or_b64 exec, exec, s[14:15]
	s_and_saveexec_b64 s[14:15], s[0:1]
	s_cbranch_execnz .LBB577_53
.LBB577_28:                             ;   in Loop: Header=BB577_14 Depth=1
	s_or_b64 exec, exec, s[14:15]
	s_and_saveexec_b64 s[14:15], s[0:1]
	s_cbranch_execz .LBB577_30
.LBB577_29:                             ;   in Loop: Header=BB577_14 Depth=1
	ds_write_b32 v41, v43
.LBB577_30:                             ;   in Loop: Header=BB577_14 Depth=1
	s_or_b64 exec, exec, s[14:15]
	ds_bpermute_b32 v26, v35, v22
	s_waitcnt lgkmcnt(0)
	s_barrier
	v_add_f32_e32 v22, v22, v26
	ds_bpermute_b32 v26, v36, v22
	s_waitcnt lgkmcnt(0)
	v_add_f32_e32 v22, v22, v26
	ds_bpermute_b32 v26, v37, v22
	s_waitcnt lgkmcnt(0)
	;; [unrolled: 3-line block ×4, first 2 shown]
	v_add_f32_e32 v22, v22, v26
	ds_bpermute_b32 v26, v40, v22
	s_and_saveexec_b64 s[14:15], s[10:11]
	s_cbranch_execz .LBB577_32
; %bb.31:                               ;   in Loop: Header=BB577_14 Depth=1
	s_waitcnt lgkmcnt(0)
	v_add_f32_e32 v22, v22, v26
	ds_write_b32 v42, v22
.LBB577_32:                             ;   in Loop: Header=BB577_14 Depth=1
	s_or_b64 exec, exec, s[14:15]
	v_mov_b32_e32 v22, 0
	s_waitcnt lgkmcnt(0)
	s_barrier
	s_and_saveexec_b64 s[14:15], s[4:5]
	s_cbranch_execnz .LBB577_54
; %bb.33:                               ;   in Loop: Header=BB577_14 Depth=1
	s_or_b64 exec, exec, s[14:15]
	s_and_saveexec_b64 s[14:15], s[0:1]
	s_cbranch_execnz .LBB577_55
.LBB577_34:                             ;   in Loop: Header=BB577_14 Depth=1
	s_or_b64 exec, exec, s[14:15]
	s_and_saveexec_b64 s[14:15], s[0:1]
	s_cbranch_execz .LBB577_36
.LBB577_35:                             ;   in Loop: Header=BB577_14 Depth=1
	ds_write_b32 v41, v43
.LBB577_36:                             ;   in Loop: Header=BB577_14 Depth=1
	s_or_b64 exec, exec, s[14:15]
	ds_bpermute_b32 v26, v35, v23
	s_waitcnt lgkmcnt(0)
	s_barrier
	v_add_f32_e32 v23, v23, v26
	ds_bpermute_b32 v26, v36, v23
	s_waitcnt lgkmcnt(0)
	v_add_f32_e32 v23, v23, v26
	ds_bpermute_b32 v26, v37, v23
	s_waitcnt lgkmcnt(0)
	;; [unrolled: 3-line block ×4, first 2 shown]
	v_add_f32_e32 v23, v23, v26
	ds_bpermute_b32 v26, v40, v23
	s_and_saveexec_b64 s[14:15], s[10:11]
	s_cbranch_execz .LBB577_38
; %bb.37:                               ;   in Loop: Header=BB577_14 Depth=1
	s_waitcnt lgkmcnt(0)
	v_add_f32_e32 v23, v23, v26
	ds_write_b32 v42, v23
.LBB577_38:                             ;   in Loop: Header=BB577_14 Depth=1
	s_or_b64 exec, exec, s[14:15]
	v_mov_b32_e32 v23, 0
	s_waitcnt lgkmcnt(0)
	s_barrier
	s_and_saveexec_b64 s[14:15], s[4:5]
	s_cbranch_execnz .LBB577_56
; %bb.39:                               ;   in Loop: Header=BB577_14 Depth=1
	s_or_b64 exec, exec, s[14:15]
	s_and_saveexec_b64 s[14:15], s[0:1]
	s_cbranch_execnz .LBB577_57
.LBB577_40:                             ;   in Loop: Header=BB577_14 Depth=1
	s_or_b64 exec, exec, s[14:15]
	s_and_saveexec_b64 s[14:15], s[12:13]
	s_cbranch_execz .LBB577_13
	s_branch .LBB577_58
.LBB577_41:                             ;   in Loop: Header=BB577_14 Depth=1
	s_mul_i32 s54, s3, s31
	s_mul_hi_u32 s55, s3, s30
	s_add_i32 s55, s55, s54
	s_mul_i32 s54, s3, s30
	v_lshl_add_u64 v[2:3], s[54:55], 1, v[6:7]
	s_or_b32 s54, s3, 2
	s_mul_i32 s55, s54, s31
	s_mul_hi_u32 s57, s54, s30
	s_add_i32 s55, s57, s55
	s_mul_i32 s54, s54, s30
	s_waitcnt lgkmcnt(0)
	global_load_dwordx2 v[22:23], v[2:3], off
	v_lshl_add_u64 v[2:3], s[54:55], 1, v[6:7]
	s_or_b32 s54, s3, 3
	s_mul_i32 s55, s54, s31
	s_mul_hi_u32 s57, s54, s30
	s_or_b32 s56, s3, 1
	s_add_i32 s55, s57, s55
	s_mul_i32 s54, s54, s30
	global_load_ushort v4, v[10:11], off
	global_load_ushort v5, v[12:13], off
	global_load_ushort v46, v[14:15], off
	global_load_ushort v49, v[16:17], off
	global_load_dwordx2 v[24:25], v[2:3], off
	v_lshl_add_u64 v[2:3], s[54:55], 1, v[6:7]
	s_mul_i32 s54, s56, s31
	s_mul_hi_u32 s55, s56, s30
	global_load_dwordx2 v[26:27], v[2:3], off
	s_add_i32 s55, s55, s54
	s_mul_i32 s54, s56, s30
	v_lshl_add_u64 v[2:3], s[54:55], 1, v[6:7]
	global_load_dwordx2 v[44:45], v[2:3], off
	s_waitcnt vmcnt(7)
	v_lshlrev_b32_e32 v56, 16, v22
	v_and_b32_e32 v22, 0xffff0000, v22
	v_lshlrev_b32_e32 v58, 16, v23
	v_and_b32_e32 v60, 0xffff0000, v23
	s_waitcnt vmcnt(6)
	v_lshlrev_b32_e32 v2, 16, v4
	s_waitcnt vmcnt(5)
	v_lshlrev_b32_e32 v47, 16, v5
	;; [unrolled: 2-line block ×5, first 2 shown]
	v_lshlrev_b32_e32 v62, 16, v25
	v_and_b32_e32 v25, 0xffff0000, v25
	v_and_b32_e32 v55, 0xffff0000, v24
	s_waitcnt vmcnt(1)
	v_and_b32_e32 v3, 0xffff0000, v26
	v_lshlrev_b32_e32 v46, 16, v26
	v_and_b32_e32 v49, 0xffff0000, v27
	v_lshlrev_b32_e32 v50, 16, v27
	v_pk_mul_f32 v[26:27], v[46:47], v[2:3]
	s_waitcnt vmcnt(0)
	v_lshlrev_b32_e32 v57, 16, v44
	v_mul_f32_e32 v24, v2, v53
	v_mov_b32_e32 v3, v47
	v_mul_f32_e32 v46, v48, v62
	v_pk_mul_f32 v[62:63], v[50:51], v[48:49]
	v_mul_f32_e32 v50, v51, v25
	v_mov_b32_e32 v25, v26
	v_mov_b32_e32 v52, v47
	v_and_b32_e32 v23, 0xffff0000, v44
	v_lshlrev_b32_e32 v59, 16, v45
	v_and_b32_e32 v61, 0xffff0000, v45
	v_mul_f32_e32 v44, v47, v55
	v_mov_b32_e32 v45, v27
	v_pk_fma_f32 v[26:27], v[2:3], v[56:57], 0 op_sel_hi:[0,1,0]
	v_pk_add_f32 v[24:25], v[24:25], 0 op_sel_hi:[1,0]
	v_mov_b32_e32 v47, v62
	v_pk_fma_f32 v[22:23], v[52:53], v[22:23], v[26:27] op_sel_hi:[0,1,1]
	v_pk_add_f32 v[24:25], v[24:25], v[44:45]
	v_mov_b32_e32 v5, v51
	v_mov_b32_e32 v54, v51
	;; [unrolled: 1-line block ×3, first 2 shown]
	v_pk_fma_f32 v[26:27], v[48:49], v[58:59], v[22:23] op_sel_hi:[0,1,1]
	v_pk_add_f32 v[22:23], v[24:25], v[46:47]
	v_mov_b32_e32 v4, v48
	v_pk_add_f32 v[22:23], v[22:23], v[50:51]
	v_pk_fma_f32 v[24:25], v[54:55], v[60:61], v[26:27] op_sel_hi:[0,1,1]
	s_andn2_saveexec_b64 s[54:55], s[14:15]
	s_cbranch_execz .LBB577_16
.LBB577_42:                             ;   in Loop: Header=BB577_14 Depth=1
	s_waitcnt lgkmcnt(0)
	v_mov_b32_e32 v23, 0
	v_mov_b32_e32 v22, 0
	v_mov_b32_e32 v25, 0
	v_mov_b32_e32 v24, 0
	s_and_saveexec_b64 s[56:57], s[8:9]
	s_cbranch_execz .LBB577_49
; %bb.43:                               ;   in Loop: Header=BB577_14 Depth=1
	v_cndmask_b32_e64 v22, 0, 1, s[42:43]
	v_cmp_ne_u32_e64 s[14:15], 1, v22
	s_andn2_b64 vcc, exec, s[42:43]
	s_cbranch_vccnz .LBB577_46
; %bb.44:                               ;   in Loop: Header=BB577_14 Depth=1
	s_mov_b64 s[58:59], 0
	v_mov_b64_e32 v[22:23], v[18:19]
.LBB577_45:                             ;   Parent Loop BB577_14 Depth=1
                                        ; =>  This Inner Loop Header: Depth=2
	global_load_ushort v24, v[22:23], off
	s_cmp_eq_u32 s58, 3
	s_cselect_b64 vcc, -1, 0
	s_cmp_eq_u32 s58, 2
	v_lshl_add_u64 v[22:23], v[22:23], 0, s[44:45]
	s_waitcnt vmcnt(0)
	v_lshlrev_b32_e32 v24, 16, v24
	v_cndmask_b32_e32 v5, v5, v24, vcc
	s_cselect_b64 vcc, -1, 0
	s_cmp_eq_u32 s58, 1
	v_cndmask_b32_e32 v4, v4, v24, vcc
	s_cselect_b64 vcc, -1, 0
	s_cmp_eq_u32 s58, 0
	v_cndmask_b32_e32 v3, v3, v24, vcc
	s_cselect_b64 vcc, -1, 0
	s_add_u32 s58, s58, 1
	s_addc_u32 s59, s59, 0
	s_cmp_eq_u32 s19, s58
	v_cndmask_b32_e32 v2, v2, v24, vcc
	s_cbranch_scc0 .LBB577_45
.LBB577_46:                             ;   in Loop: Header=BB577_14 Depth=1
	v_mov_b32_e32 v23, 0
	s_and_b64 vcc, exec, s[14:15]
	v_mov_b32_e32 v22, v23
	v_mov_b32_e32 v25, v23
	;; [unrolled: 1-line block ×3, first 2 shown]
	s_cbranch_vccnz .LBB577_49
; %bb.47:                               ;   in Loop: Header=BB577_14 Depth=1
	v_mov_b32_e32 v24, 0
	s_mov_b64 s[14:15], 0
	v_mov_b64_e32 v[26:27], v[20:21]
	v_mov_b32_e32 v25, v24
	v_mov_b32_e32 v22, v24
	;; [unrolled: 1-line block ×3, first 2 shown]
.LBB577_48:                             ;   Parent Loop BB577_14 Depth=1
                                        ; =>  This Inner Loop Header: Depth=2
	v_lshl_add_u64 v[44:45], v[26:27], 0, s[48:49]
	v_lshl_add_u64 v[48:49], v[26:27], 0, s[52:53]
	;; [unrolled: 1-line block ×3, first 2 shown]
	global_load_ushort v50, v[26:27], off
	s_nop 0
	global_load_ushort v45, v[44:45], off
	s_nop 0
	;; [unrolled: 2-line block ×3, first 2 shown]
	global_load_ushort v51, v[46:47], off
	s_cmp_eq_u32 s14, 1
	s_cselect_b64 vcc, -1, 0
	s_cmp_eq_u32 s14, 2
	v_cndmask_b32_e32 v44, v2, v3, vcc
	s_cselect_b64 vcc, -1, 0
	s_cmp_eq_u32 s14, 3
	v_cndmask_b32_e32 v44, v44, v4, vcc
	s_cselect_b64 vcc, -1, 0
	s_add_u32 s14, s14, 1
	v_cndmask_b32_e32 v44, v44, v5, vcc
	s_addc_u32 s15, s15, 0
	v_lshl_add_u64 v[26:27], v[26:27], 0, 2
	s_cmp_lg_u32 s19, s14
	s_waitcnt vmcnt(3)
	v_lshlrev_b32_e32 v46, 16, v50
	s_waitcnt vmcnt(2)
	v_lshlrev_b32_e32 v47, 16, v45
	;; [unrolled: 2-line block ×4, first 2 shown]
	v_pk_fma_f32 v[24:25], v[44:45], v[46:47], v[24:25] op_sel_hi:[0,1,1]
	v_pk_fma_f32 v[22:23], v[44:45], v[48:49], v[22:23] op_sel_hi:[0,1,1]
	s_cbranch_scc1 .LBB577_48
.LBB577_49:                             ;   in Loop: Header=BB577_14 Depth=1
	s_or_b64 exec, exec, s[56:57]
	s_or_b64 exec, exec, s[54:55]
	s_and_saveexec_b64 s[14:15], s[0:1]
	s_cbranch_execnz .LBB577_17
	s_branch .LBB577_18
.LBB577_50:                             ;   in Loop: Header=BB577_14 Depth=1
	ds_read_b32 v24, v41
	s_or_b64 exec, exec, s[14:15]
	s_and_saveexec_b64 s[14:15], s[0:1]
	s_cbranch_execz .LBB577_22
.LBB577_51:                             ;   in Loop: Header=BB577_14 Depth=1
	s_waitcnt lgkmcnt(0)
	ds_bpermute_b32 v26, v39, v24
	s_waitcnt lgkmcnt(0)
	v_add_f32_e32 v24, v24, v26
	ds_bpermute_b32 v26, v40, v24
	s_waitcnt lgkmcnt(0)
	v_add_f32_e32 v24, v24, v26
	s_or_b64 exec, exec, s[14:15]
	s_and_saveexec_b64 s[14:15], s[0:1]
	s_cbranch_execnz .LBB577_23
	s_branch .LBB577_24
.LBB577_52:                             ;   in Loop: Header=BB577_14 Depth=1
	ds_read_b32 v25, v41
	s_or_b64 exec, exec, s[14:15]
	s_and_saveexec_b64 s[14:15], s[0:1]
	s_cbranch_execz .LBB577_28
.LBB577_53:                             ;   in Loop: Header=BB577_14 Depth=1
	s_waitcnt lgkmcnt(0)
	ds_bpermute_b32 v26, v39, v25
	s_waitcnt lgkmcnt(0)
	v_add_f32_e32 v25, v25, v26
	ds_bpermute_b32 v26, v40, v25
	s_waitcnt lgkmcnt(0)
	v_add_f32_e32 v25, v25, v26
	s_or_b64 exec, exec, s[14:15]
	s_and_saveexec_b64 s[14:15], s[0:1]
	s_cbranch_execnz .LBB577_29
	s_branch .LBB577_30
.LBB577_54:                             ;   in Loop: Header=BB577_14 Depth=1
	ds_read_b32 v22, v41
	s_or_b64 exec, exec, s[14:15]
	s_and_saveexec_b64 s[14:15], s[0:1]
	s_cbranch_execz .LBB577_34
.LBB577_55:                             ;   in Loop: Header=BB577_14 Depth=1
	s_waitcnt lgkmcnt(0)
	ds_bpermute_b32 v26, v39, v22
	s_waitcnt lgkmcnt(0)
	v_add_f32_e32 v22, v22, v26
	ds_bpermute_b32 v26, v40, v22
	s_waitcnt lgkmcnt(0)
	v_add_f32_e32 v22, v22, v26
	s_or_b64 exec, exec, s[14:15]
	s_and_saveexec_b64 s[14:15], s[0:1]
	s_cbranch_execnz .LBB577_35
	s_branch .LBB577_36
.LBB577_56:                             ;   in Loop: Header=BB577_14 Depth=1
	ds_read_b32 v23, v41
	s_or_b64 exec, exec, s[14:15]
	s_and_saveexec_b64 s[14:15], s[0:1]
	s_cbranch_execz .LBB577_40
.LBB577_57:                             ;   in Loop: Header=BB577_14 Depth=1
	s_waitcnt lgkmcnt(0)
	ds_bpermute_b32 v26, v39, v23
	s_waitcnt lgkmcnt(0)
	v_add_f32_e32 v23, v23, v26
	ds_bpermute_b32 v26, v40, v23
	s_waitcnt lgkmcnt(0)
	v_add_f32_e32 v23, v23, v26
	s_or_b64 exec, exec, s[14:15]
	s_and_saveexec_b64 s[14:15], s[12:13]
	s_cbranch_execz .LBB577_13
.LBB577_58:                             ;   in Loop: Header=BB577_14 Depth=1
	s_mul_hi_u32 s55, s3, s28
	s_mul_i32 s54, s3, s28
	s_lshl_b64 s[54:55], s[54:55], 2
	s_add_u32 s54, s61, s54
	v_mul_f32_e32 v24, s18, v24
	s_addc_u32 s55, s62, s55
	global_store_dword v43, v24, s[54:55]
	s_or_b32 s54, s3, 1
	s_mul_hi_u32 s55, s54, s28
	s_mul_i32 s54, s54, s28
	s_lshl_b64 s[54:55], s[54:55], 2
	s_add_u32 s54, s61, s54
	v_mul_f32_e32 v24, s18, v25
	s_addc_u32 s55, s62, s55
	global_store_dword v43, v24, s[54:55]
	s_or_b32 s54, s3, 2
	;; [unrolled: 8-line block ×3, first 2 shown]
	s_mul_hi_u32 s55, s54, s28
	s_mul_i32 s54, s54, s28
	s_lshl_b64 s[54:55], s[54:55], 2
	s_add_u32 s54, s61, s54
	s_waitcnt lgkmcnt(0)
	v_mul_f32_e32 v22, s18, v23
	s_addc_u32 s55, s62, s55
	global_store_dword v43, v22, s[54:55]
	s_branch .LBB577_13
.LBB577_59:
	s_mov_b32 s3, 0
                                        ; implicit-def: $vgpr2_vgpr3_vgpr4_vgpr5
.LBB577_60:
	s_cmp_ge_i32 s3, s17
	s_cbranch_scc1 .LBB577_84
; %bb.61:
	v_mbcnt_hi_u32_b32 v10, -1, v32
	v_and_b32_e32 v11, 63, v10
	v_cmp_gt_u32_e32 vcc, 32, v11
	s_mov_b32 s43, 0
	s_cmp_gt_i32 s19, 0
	v_cndmask_b32_e64 v12, 0, 1, vcc
	v_lshlrev_b32_e32 v12, 5, v12
	v_cmp_gt_u32_e32 vcc, 48, v11
	s_waitcnt lgkmcnt(0)
	v_add_lshl_u32 v23, v12, v10, 2
	s_mov_b32 s42, s2
	v_cndmask_b32_e64 v12, 0, 1, vcc
	v_lshlrev_b32_e32 v12, 4, v12
	v_cmp_gt_u32_e32 vcc, 56, v11
	v_add_lshl_u32 v24, v12, v10, 2
	s_cselect_b64 s[44:45], -1, 0
	v_cndmask_b32_e64 v12, 0, 1, vcc
	v_lshlrev_b32_e32 v12, 3, v12
	v_cmp_gt_u32_e32 vcc, 60, v11
	v_add_lshl_u32 v25, v12, v10, 2
	s_lshl_b64 s[14:15], s[42:43], 2
	v_cndmask_b32_e64 v12, 0, 1, vcc
	v_lshlrev_b32_e32 v12, 2, v12
	v_cmp_gt_u32_e32 vcc, 62, v11
	v_add_lshl_u32 v26, v12, v10, 2
	s_add_u32 s2, s33, s14
	v_cndmask_b32_e64 v12, 0, 1, vcc
	v_lshlrev_b32_e32 v12, 1, v12
	v_cmp_ne_u32_e32 vcc, 63, v11
	v_add_lshl_u32 v27, v12, v10, 2
	v_cmp_ge_i32_e64 s[0:1], s16, v33
	v_addc_co_u32_e32 v10, vcc, 0, v10, vcc
	v_cmp_ge_i32_e64 s[4:5], s16, v34
	v_cmp_gt_u32_e64 s[6:7], 64, v0
	v_lshlrev_b32_e32 v32, 2, v10
	v_cmp_gt_u32_e64 s[10:11], 4, v0
	v_cmp_eq_u32_e64 s[12:13], 0, v0
	s_addc_u32 s16, s60, s15
	v_mad_i64_i32 v[10:11], s[14:15], s34, v8, 0
	v_mad_i64_i32 v[12:13], s[14:15], s34, v29, 0
	;; [unrolled: 1-line block ×4, first 2 shown]
	s_add_u32 s14, s26, s38
	s_addc_u32 s15, s27, s39
	s_add_u32 s14, s14, s36
	v_lshlrev_b64 v[18:19], 1, v[10:11]
	s_addc_u32 s15, s15, s37
	v_lshl_add_u64 v[10:11], s[40:41], 0, v[18:19]
	v_lshl_add_u64 v[18:19], s[14:15], 0, v[18:19]
	s_mul_i32 s14, s31, s3
	s_mul_hi_u32 s15, s30, s3
	s_add_i32 s15, s15, s14
	s_mul_i32 s14, s30, s3
	s_lshl_b64 s[26:27], s[34:35], 1
	s_lshl_b64 s[14:15], s[14:15], 1
	s_add_u32 s14, s24, s14
	s_addc_u32 s15, s25, s15
	s_add_u32 s14, s14, s22
	s_addc_u32 s15, s15, s23
	;; [unrolled: 2-line block ×3, first 2 shown]
	v_lshlrev_b32_e32 v22, 2, v30
	v_cmp_eq_u32_e64 s[8:9], 0, v30
	v_and_b32_e32 v30, 12, v31
	v_lshl_add_u64 v[12:13], v[12:13], 1, s[40:41]
	v_lshl_add_u64 v[14:15], v[14:15], 1, s[40:41]
	;; [unrolled: 1-line block ×4, first 2 shown]
	s_lshl_b64 s[20:21], s[30:31], 1
	v_mov_b32_e32 v1, 0
	s_branch .LBB577_63
.LBB577_62:                             ;   in Loop: Header=BB577_63 Depth=1
	s_or_b64 exec, exec, s[14:15]
	s_add_i32 s3, s3, 1
	s_cmp_ge_i32 s3, s17
	v_lshl_add_u64 v[8:9], v[8:9], 0, s[20:21]
	s_cbranch_scc1 .LBB577_84
.LBB577_63:                             ; =>This Loop Header: Depth=1
                                        ;     Child Loop BB577_76 Depth 2
                                        ;     Child Loop BB577_79 Depth 2
	s_waitcnt lgkmcnt(0)
	v_mov_b32_e32 v0, s43
	s_and_saveexec_b64 s[14:15], s[0:1]
	s_xor_b64 s[14:15], exec, s[14:15]
	s_cbranch_execnz .LBB577_72
; %bb.64:                               ;   in Loop: Header=BB577_63 Depth=1
	s_andn2_saveexec_b64 s[22:23], s[14:15]
	s_cbranch_execnz .LBB577_73
.LBB577_65:                             ;   in Loop: Header=BB577_63 Depth=1
	s_or_b64 exec, exec, s[22:23]
	s_and_saveexec_b64 s[14:15], s[6:7]
	s_cbranch_execz .LBB577_67
.LBB577_66:                             ;   in Loop: Header=BB577_63 Depth=1
	ds_write_b32 v22, v1
.LBB577_67:                             ;   in Loop: Header=BB577_63 Depth=1
	s_or_b64 exec, exec, s[14:15]
	ds_bpermute_b32 v20, v23, v0
	s_waitcnt lgkmcnt(0)
	s_barrier
	v_add_f32_e32 v0, v0, v20
	ds_bpermute_b32 v20, v24, v0
	s_waitcnt lgkmcnt(0)
	v_add_f32_e32 v0, v0, v20
	ds_bpermute_b32 v20, v25, v0
	s_waitcnt lgkmcnt(0)
	;; [unrolled: 3-line block ×4, first 2 shown]
	v_add_f32_e32 v0, v0, v20
	ds_bpermute_b32 v20, v32, v0
	s_and_saveexec_b64 s[14:15], s[8:9]
	s_cbranch_execz .LBB577_69
; %bb.68:                               ;   in Loop: Header=BB577_63 Depth=1
	s_waitcnt lgkmcnt(0)
	v_add_f32_e32 v0, v0, v20
	ds_write_b32 v30, v0
.LBB577_69:                             ;   in Loop: Header=BB577_63 Depth=1
	s_or_b64 exec, exec, s[14:15]
	v_mov_b32_e32 v0, 0
	s_waitcnt lgkmcnt(0)
	s_barrier
	s_and_saveexec_b64 s[14:15], s[10:11]
	s_cbranch_execnz .LBB577_81
; %bb.70:                               ;   in Loop: Header=BB577_63 Depth=1
	s_or_b64 exec, exec, s[14:15]
	s_and_saveexec_b64 s[14:15], s[6:7]
	s_cbranch_execnz .LBB577_82
.LBB577_71:                             ;   in Loop: Header=BB577_63 Depth=1
	s_or_b64 exec, exec, s[14:15]
	s_and_saveexec_b64 s[14:15], s[12:13]
	s_cbranch_execz .LBB577_62
	s_branch .LBB577_83
.LBB577_72:                             ;   in Loop: Header=BB577_63 Depth=1
	s_mul_i32 s22, s3, s31
	s_mul_hi_u32 s23, s3, s30
	s_add_i32 s23, s23, s22
	s_mul_i32 s22, s3, s30
	v_lshl_add_u64 v[2:3], s[22:23], 1, v[6:7]
	global_load_ushort v0, v[10:11], off
	global_load_ushort v4, v[12:13], off
	;; [unrolled: 1-line block ×4, first 2 shown]
	global_load_dwordx2 v[20:21], v[2:3], off
	s_waitcnt vmcnt(4)
	v_lshlrev_b32_e32 v2, 16, v0
	s_waitcnt vmcnt(3)
	v_lshlrev_b32_e32 v3, 16, v4
	;; [unrolled: 2-line block ×4, first 2 shown]
	s_waitcnt vmcnt(0)
	v_and_b32_e32 v29, 0xffff0000, v20
	v_lshlrev_b32_e32 v28, 16, v20
	v_and_b32_e32 v35, 0xffff0000, v21
	v_lshlrev_b32_e32 v34, 16, v21
	v_pk_mul_f32 v[20:21], v[2:3], v[28:29]
	s_nop 0
	v_add_f32_e32 v0, 0, v20
	v_add_f32_e32 v0, v0, v21
	v_pk_mul_f32 v[20:21], v[4:5], v[34:35]
	s_nop 0
	v_add_f32_e32 v0, v0, v20
	v_add_f32_e32 v0, v0, v21
	s_andn2_saveexec_b64 s[22:23], s[14:15]
	s_cbranch_execz .LBB577_65
.LBB577_73:                             ;   in Loop: Header=BB577_63 Depth=1
	s_and_saveexec_b64 s[24:25], s[4:5]
	s_cbranch_execz .LBB577_80
; %bb.74:                               ;   in Loop: Header=BB577_63 Depth=1
	v_cndmask_b32_e64 v20, 0, 1, s[44:45]
	v_cmp_ne_u32_e64 s[14:15], 1, v20
	s_andn2_b64 vcc, exec, s[44:45]
	s_cbranch_vccnz .LBB577_77
; %bb.75:                               ;   in Loop: Header=BB577_63 Depth=1
	s_mov_b64 s[34:35], 0
	v_mov_b64_e32 v[20:21], v[18:19]
.LBB577_76:                             ;   Parent Loop BB577_63 Depth=1
                                        ; =>  This Inner Loop Header: Depth=2
	global_load_ushort v28, v[20:21], off
	s_cmp_eq_u32 s34, 3
	s_cselect_b64 vcc, -1, 0
	s_cmp_eq_u32 s34, 2
	v_lshl_add_u64 v[20:21], v[20:21], 0, s[26:27]
	s_waitcnt vmcnt(0)
	v_lshlrev_b32_e32 v28, 16, v28
	v_cndmask_b32_e32 v5, v5, v28, vcc
	s_cselect_b64 vcc, -1, 0
	s_cmp_eq_u32 s34, 1
	v_cndmask_b32_e32 v4, v4, v28, vcc
	s_cselect_b64 vcc, -1, 0
	s_cmp_eq_u32 s34, 0
	v_cndmask_b32_e32 v3, v3, v28, vcc
	s_cselect_b64 vcc, -1, 0
	s_add_u32 s34, s34, 1
	s_addc_u32 s35, s35, 0
	s_cmp_eq_u32 s19, s34
	v_cndmask_b32_e32 v2, v2, v28, vcc
	s_cbranch_scc0 .LBB577_76
.LBB577_77:                             ;   in Loop: Header=BB577_63 Depth=1
	s_and_b64 vcc, exec, s[14:15]
	s_cbranch_vccnz .LBB577_80
; %bb.78:                               ;   in Loop: Header=BB577_63 Depth=1
	s_mov_b64 s[14:15], 0
	v_mov_b64_e32 v[20:21], v[8:9]
.LBB577_79:                             ;   Parent Loop BB577_63 Depth=1
                                        ; =>  This Inner Loop Header: Depth=2
	global_load_ushort v28, v[20:21], off
	s_cmp_eq_u32 s14, 1
	s_cselect_b64 vcc, -1, 0
	s_cmp_eq_u32 s14, 2
	v_cndmask_b32_e32 v29, v2, v3, vcc
	s_cselect_b64 vcc, -1, 0
	s_cmp_eq_u32 s14, 3
	v_cndmask_b32_e32 v29, v29, v4, vcc
	s_cselect_b64 vcc, -1, 0
	s_add_u32 s14, s14, 1
	v_cndmask_b32_e32 v29, v29, v5, vcc
	s_addc_u32 s15, s15, 0
	v_lshl_add_u64 v[20:21], v[20:21], 0, 2
	s_cmp_lg_u32 s19, s14
	s_waitcnt vmcnt(0)
	v_lshlrev_b32_e32 v28, 16, v28
	v_fmac_f32_e32 v0, v29, v28
	s_cbranch_scc1 .LBB577_79
.LBB577_80:                             ;   in Loop: Header=BB577_63 Depth=1
	s_or_b64 exec, exec, s[24:25]
	s_or_b64 exec, exec, s[22:23]
	s_and_saveexec_b64 s[14:15], s[6:7]
	s_cbranch_execnz .LBB577_66
	s_branch .LBB577_67
.LBB577_81:                             ;   in Loop: Header=BB577_63 Depth=1
	ds_read_b32 v0, v22
	s_or_b64 exec, exec, s[14:15]
	s_and_saveexec_b64 s[14:15], s[6:7]
	s_cbranch_execz .LBB577_71
.LBB577_82:                             ;   in Loop: Header=BB577_63 Depth=1
	s_waitcnt lgkmcnt(0)
	ds_bpermute_b32 v20, v27, v0
	s_waitcnt lgkmcnt(0)
	v_add_f32_e32 v0, v0, v20
	ds_bpermute_b32 v20, v32, v0
	s_waitcnt lgkmcnt(0)
	v_add_f32_e32 v0, v0, v20
	s_or_b64 exec, exec, s[14:15]
	s_and_saveexec_b64 s[14:15], s[12:13]
	s_cbranch_execz .LBB577_62
.LBB577_83:                             ;   in Loop: Header=BB577_63 Depth=1
	s_mul_hi_u32 s23, s3, s28
	s_mul_i32 s22, s3, s28
	s_lshl_b64 s[22:23], s[22:23], 2
	s_add_u32 s22, s2, s22
	s_waitcnt lgkmcnt(0)
	v_mul_f32_e32 v0, s18, v0
	s_addc_u32 s23, s16, s23
	global_store_dword v1, v0, s[22:23]
	s_branch .LBB577_62
.LBB577_84:
	s_endpgm
	.section	.rodata,"a",@progbits
	.p2align	6, 0x0
	.amdhsa_kernel _ZL23rocblas_gemvt_sn_kernelILb1ELi256ELi4El16rocblas_bfloat16ffEviiT4_lPKT3_lilS4_lilPT5_i
		.amdhsa_group_segment_fixed_size 256
		.amdhsa_private_segment_fixed_size 0
		.amdhsa_kernarg_size 360
		.amdhsa_user_sgpr_count 2
		.amdhsa_user_sgpr_dispatch_ptr 0
		.amdhsa_user_sgpr_queue_ptr 0
		.amdhsa_user_sgpr_kernarg_segment_ptr 1
		.amdhsa_user_sgpr_dispatch_id 0
		.amdhsa_user_sgpr_kernarg_preload_length 0
		.amdhsa_user_sgpr_kernarg_preload_offset 0
		.amdhsa_user_sgpr_private_segment_size 0
		.amdhsa_uses_dynamic_stack 0
		.amdhsa_enable_private_segment 0
		.amdhsa_system_sgpr_workgroup_id_x 1
		.amdhsa_system_sgpr_workgroup_id_y 0
		.amdhsa_system_sgpr_workgroup_id_z 1
		.amdhsa_system_sgpr_workgroup_info 0
		.amdhsa_system_vgpr_workitem_id 0
		.amdhsa_next_free_vgpr 64
		.amdhsa_next_free_sgpr 63
		.amdhsa_accum_offset 64
		.amdhsa_reserve_vcc 1
		.amdhsa_float_round_mode_32 0
		.amdhsa_float_round_mode_16_64 0
		.amdhsa_float_denorm_mode_32 3
		.amdhsa_float_denorm_mode_16_64 3
		.amdhsa_dx10_clamp 1
		.amdhsa_ieee_mode 1
		.amdhsa_fp16_overflow 0
		.amdhsa_tg_split 0
		.amdhsa_exception_fp_ieee_invalid_op 0
		.amdhsa_exception_fp_denorm_src 0
		.amdhsa_exception_fp_ieee_div_zero 0
		.amdhsa_exception_fp_ieee_overflow 0
		.amdhsa_exception_fp_ieee_underflow 0
		.amdhsa_exception_fp_ieee_inexact 0
		.amdhsa_exception_int_div_zero 0
	.end_amdhsa_kernel
	.section	.text._ZL23rocblas_gemvt_sn_kernelILb1ELi256ELi4El16rocblas_bfloat16ffEviiT4_lPKT3_lilS4_lilPT5_i,"axG",@progbits,_ZL23rocblas_gemvt_sn_kernelILb1ELi256ELi4El16rocblas_bfloat16ffEviiT4_lPKT3_lilS4_lilPT5_i,comdat
.Lfunc_end577:
	.size	_ZL23rocblas_gemvt_sn_kernelILb1ELi256ELi4El16rocblas_bfloat16ffEviiT4_lPKT3_lilS4_lilPT5_i, .Lfunc_end577-_ZL23rocblas_gemvt_sn_kernelILb1ELi256ELi4El16rocblas_bfloat16ffEviiT4_lPKT3_lilS4_lilPT5_i
                                        ; -- End function
	.section	.AMDGPU.csdata,"",@progbits
; Kernel info:
; codeLenInByte = 4172
; NumSgprs: 69
; NumVgprs: 64
; NumAgprs: 0
; TotalNumVgprs: 64
; ScratchSize: 0
; MemoryBound: 0
; FloatMode: 240
; IeeeMode: 1
; LDSByteSize: 256 bytes/workgroup (compile time only)
; SGPRBlocks: 8
; VGPRBlocks: 7
; NumSGPRsForWavesPerEU: 69
; NumVGPRsForWavesPerEU: 64
; AccumOffset: 64
; Occupancy: 8
; WaveLimiterHint : 1
; COMPUTE_PGM_RSRC2:SCRATCH_EN: 0
; COMPUTE_PGM_RSRC2:USER_SGPR: 2
; COMPUTE_PGM_RSRC2:TRAP_HANDLER: 0
; COMPUTE_PGM_RSRC2:TGID_X_EN: 1
; COMPUTE_PGM_RSRC2:TGID_Y_EN: 0
; COMPUTE_PGM_RSRC2:TGID_Z_EN: 1
; COMPUTE_PGM_RSRC2:TIDIG_COMP_CNT: 0
; COMPUTE_PGM_RSRC3_GFX90A:ACCUM_OFFSET: 15
; COMPUTE_PGM_RSRC3_GFX90A:TG_SPLIT: 0
	.section	.text._ZL20rocblas_gemvt_kernelILb1ELi256E16rocblas_bfloat16PKfS0_EviiT2_lPKT1_lilS6_lilS3_lPT3_lili,"axG",@progbits,_ZL20rocblas_gemvt_kernelILb1ELi256E16rocblas_bfloat16PKfS0_EviiT2_lPKT1_lilS6_lilS3_lPT3_lili,comdat
	.globl	_ZL20rocblas_gemvt_kernelILb1ELi256E16rocblas_bfloat16PKfS0_EviiT2_lPKT1_lilS6_lilS3_lPT3_lili ; -- Begin function _ZL20rocblas_gemvt_kernelILb1ELi256E16rocblas_bfloat16PKfS0_EviiT2_lPKT1_lilS6_lilS3_lPT3_lili
	.p2align	8
	.type	_ZL20rocblas_gemvt_kernelILb1ELi256E16rocblas_bfloat16PKfS0_EviiT2_lPKT1_lilS6_lilS3_lPT3_lili,@function
_ZL20rocblas_gemvt_kernelILb1ELi256E16rocblas_bfloat16PKfS0_EviiT2_lPKT1_lilS6_lilS3_lPT3_lili: ; @_ZL20rocblas_gemvt_kernelILb1ELi256E16rocblas_bfloat16PKfS0_EviiT2_lPKT1_lilS6_lilS3_lPT3_lili
; %bb.0:
	s_load_dwordx8 s[4:11], s[0:1], 0x8
	s_load_dwordx8 s[12:19], s[0:1], 0x50
	s_waitcnt lgkmcnt(0)
	s_mul_i32 s7, s3, s7
	s_mul_hi_u32 s20, s3, s6
	s_add_i32 s7, s20, s7
	s_mul_i32 s6, s3, s6
	s_lshl_b64 s[6:7], s[6:7], 2
	s_add_u32 s4, s4, s6
	s_addc_u32 s5, s5, s7
	s_load_dword s24, s[4:5], 0x0
	s_mul_i32 s4, s3, s17
	s_mul_hi_u32 s5, s3, s16
	s_add_i32 s5, s5, s4
	s_mul_i32 s4, s3, s16
	s_lshl_b64 s[4:5], s[4:5], 2
	s_add_u32 s4, s14, s4
	s_addc_u32 s5, s15, s5
	s_load_dword s22, s[4:5], 0x0
	s_waitcnt lgkmcnt(0)
	v_cmp_eq_f32_e64 s[4:5], s24, 0
	v_cmp_eq_f32_e64 s[6:7], s22, 1.0
	s_and_b64 s[4:5], s[4:5], s[6:7]
	s_and_b64 vcc, exec, s[4:5]
	s_cbranch_vccnz .LBB578_64
; %bb.1:
	s_load_dwordx2 s[4:5], s[0:1], 0x80
	s_load_dwordx2 s[6:7], s[0:1], 0x70
	s_load_dword s23, s[0:1], 0x78
	s_waitcnt lgkmcnt(0)
	s_mul_i32 s5, s3, s5
	s_mul_hi_u32 s14, s3, s4
	s_mul_i32 s4, s3, s4
	s_add_i32 s5, s14, s5
	s_lshl_b64 s[4:5], s[4:5], 1
	s_add_u32 s14, s18, s4
	s_addc_u32 s15, s19, s5
	s_lshl_b64 s[4:5], s[6:7], 1
	s_add_u32 s20, s14, s4
	s_addc_u32 s21, s15, s5
	v_cmp_neq_f32_e64 s[4:5], s24, 0
	s_and_b64 vcc, exec, s[4:5]
	v_cmp_eq_u32_e64 s[4:5], 0, v0
	s_cbranch_vccnz .LBB578_6
; %bb.2:
	s_mov_b64 s[16:17], 0
	s_mov_b64 s[14:15], 0
                                        ; implicit-def: $sgpr25
                                        ; implicit-def: $sgpr6_sgpr7
	s_and_saveexec_b64 s[18:19], s[4:5]
	s_cbranch_execz .LBB578_7
; %bb.3:
	v_cmp_eq_f32_e64 s[4:5], s22, 0
	s_mov_b32 s25, 0
	s_mul_hi_i32 s7, s23, s2
	s_mul_i32 s6, s23, s2
	s_and_b64 vcc, exec, s[4:5]
	s_cbranch_vccnz .LBB578_11
; %bb.4:
	s_lshl_b64 s[4:5], s[6:7], 1
	s_add_u32 s4, s20, s4
	s_addc_u32 s5, s21, s5
	v_mov_b32_e32 v1, 0
	global_load_ushort v1, v1, s[4:5]
	s_mov_b32 s4, 0x7f800000
	s_waitcnt vmcnt(0)
	v_lshlrev_b32_e32 v1, 16, v1
	v_mul_f32_e32 v1, s22, v1
	v_and_b32_e32 v2, 0x7f800000, v1
	v_cmp_eq_u32_e32 vcc, s4, v2
	v_readfirstlane_b32 s14, v1
	s_cbranch_vccnz .LBB578_8
; %bb.5:
	s_bfe_u32 s4, s14, 0x10010
	s_add_i32 s4, s14, s4
	s_add_i32 s15, s4, 0x7fff
	s_cbranch_execz .LBB578_9
	s_branch .LBB578_10
.LBB578_6:
	s_mov_b64 s[14:15], 0
                                        ; implicit-def: $sgpr25
                                        ; implicit-def: $sgpr6_sgpr7
	s_cbranch_execnz .LBB578_12
	s_branch .LBB578_62
.LBB578_7:
	s_or_b64 exec, exec, s[18:19]
	s_and_b64 vcc, exec, s[16:17]
	s_cbranch_vccnz .LBB578_12
	s_branch .LBB578_62
.LBB578_8:
                                        ; implicit-def: $sgpr15
.LBB578_9:
	s_and_b32 s4, s14, 0xffff
	s_or_b32 s5, s14, 0x10000
	s_cmp_eq_u32 s4, 0
	s_cselect_b32 s15, s14, s5
.LBB578_10:
	s_lshr_b32 s25, s15, 16
.LBB578_11:
	s_mov_b64 s[14:15], exec
	s_or_b64 exec, exec, s[18:19]
	s_and_b64 vcc, exec, s[16:17]
	s_cbranch_vccz .LBB578_62
.LBB578_12:
	s_load_dword s25, s[0:1], 0x0
	s_load_dword s18, s[0:1], 0x28
	s_load_dwordx4 s[4:7], s[0:1], 0x30
	s_load_dwordx2 s[16:17], s[0:1], 0x40
	s_mul_i32 s13, s3, s13
	s_load_dword s0, s[0:1], 0x48
	s_mul_hi_u32 s19, s3, s12
	s_waitcnt lgkmcnt(0)
	s_mul_i32 s1, s3, s5
	s_mul_hi_u32 s5, s3, s4
	s_add_i32 s5, s5, s1
	s_mul_i32 s4, s3, s4
	s_add_i32 s13, s19, s13
	s_lshl_b64 s[4:5], s[4:5], 1
	s_add_u32 s1, s8, s4
	s_mul_i32 s12, s3, s12
	s_addc_u32 s3, s9, s5
	s_lshl_b64 s[4:5], s[10:11], 1
	s_add_u32 s1, s1, s4
	s_addc_u32 s9, s3, s5
	s_mul_hi_i32 s5, s18, s2
	s_mul_i32 s4, s18, s2
	s_lshl_b64 s[4:5], s[4:5], 1
	s_add_u32 s8, s4, s1
	s_addc_u32 s9, s5, s9
	s_ashr_i32 s1, s25, 31
	v_cmp_gt_i32_e32 vcc, s25, v0
	s_lshr_b32 s1, s1, 24
	s_add_i32 s1, s25, s1
	v_cndmask_b32_e32 v1, 0, v0, vcc
	v_lshlrev_b32_e32 v2, 1, v1
	v_mov_b32_e32 v3, 0
	s_and_b32 s4, s1, 0xffffff00
	s_mov_b32 s3, 0
	s_cmpk_lt_i32 s25, 0x100
	v_lshl_add_u64 v[4:5], s[8:9], 0, v[2:3]
	s_cbranch_scc1 .LBB578_19
; %bb.13:
	v_mad_i64_i32 v[2:3], s[10:11], s0, v0, 0
	s_ashr_i32 s1, s0, 31
	s_lshl_b64 s[8:9], s[12:13], 1
	s_lshl_b64 s[10:11], s[16:17], 1
	s_add_u32 s5, s6, s10
	s_addc_u32 s10, s7, s11
	s_add_u32 s8, s5, s8
	s_addc_u32 s9, s10, s9
	v_lshl_add_u64 v[6:7], v[2:3], 1, s[8:9]
	s_lshl_b64 s[8:9], s[0:1], 9
	v_mov_b32_e32 v1, 0
	s_mov_b32 s1, 0x7f800000
	s_movk_i32 s5, 0x7fff
	s_mov_b64 s[10:11], 0x200
	v_mov_b64_e32 v[8:9], v[4:5]
	v_mov_b32_e32 v3, 0
	s_branch .LBB578_15
.LBB578_14:                             ;   in Loop: Header=BB578_15 Depth=1
	s_or_b64 exec, exec, s[18:19]
	v_and_b32_e32 v2, 0xffff0000, v2
	s_addk_i32 s3, 0x100
	v_add_f32_e32 v3, v3, v2
	v_lshl_add_u64 v[6:7], v[6:7], 0, s[8:9]
	s_cmp_ge_i32 s3, s4
	v_lshl_add_u64 v[8:9], v[8:9], 0, s[10:11]
	s_cbranch_scc1 .LBB578_19
.LBB578_15:                             ; =>This Inner Loop Header: Depth=1
	global_load_ushort v2, v[6:7], off
	global_load_ushort v10, v[8:9], off
	s_waitcnt vmcnt(1)
	v_lshlrev_b32_e32 v2, 16, v2
	s_waitcnt vmcnt(0)
	v_lshlrev_b32_e32 v10, 16, v10
	v_pk_mul_f32 v[10:11], v[2:3], v[10:11] op_sel_hi:[0,1]
	v_and_b32_e32 v2, 0x7f800000, v10
	v_cmp_ne_u32_e32 vcc, s1, v2
                                        ; implicit-def: $vgpr2
	s_and_saveexec_b64 s[18:19], vcc
	s_xor_b64 s[18:19], exec, s[18:19]
; %bb.16:                               ;   in Loop: Header=BB578_15 Depth=1
	v_bfe_u32 v2, v10, 16, 1
	v_add3_u32 v2, v10, v2, s5
                                        ; implicit-def: $vgpr10_vgpr11
; %bb.17:                               ;   in Loop: Header=BB578_15 Depth=1
	s_andn2_saveexec_b64 s[18:19], s[18:19]
	s_cbranch_execz .LBB578_14
; %bb.18:                               ;   in Loop: Header=BB578_15 Depth=1
	v_or_b32_e32 v2, 0x10000, v10
	v_cmp_eq_u32_sdwa vcc, v10, v1 src0_sel:WORD_0 src1_sel:DWORD
	s_nop 1
	v_cndmask_b32_e32 v2, v2, v10, vcc
	s_branch .LBB578_14
.LBB578_19:
	v_add_u32_e32 v1, s4, v0
	v_cmp_gt_i32_e32 vcc, s25, v1
	s_and_saveexec_b64 s[8:9], vcc
	s_cbranch_execz .LBB578_25
; %bb.20:
	s_lshl_b64 s[10:11], s[12:13], 1
	s_add_u32 s1, s6, s10
	s_addc_u32 s3, s7, s11
	s_lshl_b64 s[6:7], s[16:17], 1
	s_add_u32 s6, s1, s6
	s_addc_u32 s7, s3, s7
	v_mad_i64_i32 v[6:7], s[0:1], s0, v1, 0
	s_ashr_i32 s5, s4, 31
	v_lshl_add_u64 v[6:7], v[6:7], 1, s[6:7]
	v_lshl_add_u64 v[4:5], s[4:5], 1, v[4:5]
	global_load_ushort v1, v[6:7], off
	global_load_ushort v8, v[4:5], off
	s_mov_b32 s0, 0x7f800000
	s_waitcnt vmcnt(1)
	v_lshlrev_b32_e32 v2, 16, v1
	s_waitcnt vmcnt(0)
	v_lshlrev_b32_e32 v4, 16, v8
	v_pk_mul_f32 v[4:5], v[2:3], v[4:5] op_sel_hi:[0,1]
	v_and_b32_e32 v1, 0x7f800000, v4
	v_cmp_ne_u32_e32 vcc, s0, v1
                                        ; implicit-def: $vgpr1
	s_and_saveexec_b64 s[0:1], vcc
	s_xor_b64 s[0:1], exec, s[0:1]
; %bb.21:
	v_bfe_u32 v1, v4, 16, 1
	s_movk_i32 s3, 0x7fff
	v_add3_u32 v1, v4, v1, s3
                                        ; implicit-def: $vgpr4_vgpr5
; %bb.22:
	s_andn2_saveexec_b64 s[0:1], s[0:1]
; %bb.23:
	v_mov_b32_e32 v1, 0
	v_or_b32_e32 v2, 0x10000, v4
	v_cmp_eq_u32_sdwa vcc, v4, v1 src0_sel:WORD_0 src1_sel:DWORD
	s_nop 1
	v_cndmask_b32_e32 v1, v2, v4, vcc
; %bb.24:
	s_or_b64 exec, exec, s[0:1]
	v_and_b32_e32 v1, 0xffff0000, v1
	v_add_f32_e32 v3, v3, v1
.LBB578_25:
	s_or_b64 exec, exec, s[8:9]
	s_movk_i32 s0, 0x80
	v_lshlrev_b32_e32 v1, 2, v0
	v_cmp_gt_u32_e32 vcc, s0, v0
	ds_write_b32 v1, v3
	s_waitcnt lgkmcnt(0)
	s_barrier
	s_and_saveexec_b64 s[0:1], vcc
	s_cbranch_execz .LBB578_27
; %bb.26:
	ds_read2st64_b32 v[2:3], v1 offset1:2
	s_waitcnt lgkmcnt(0)
	v_add_f32_e32 v2, v3, v2
	ds_write_b32 v1, v2
.LBB578_27:
	s_or_b64 exec, exec, s[0:1]
	v_cmp_gt_u32_e32 vcc, 64, v0
	s_waitcnt lgkmcnt(0)
	s_barrier
	s_and_saveexec_b64 s[0:1], vcc
	s_cbranch_execz .LBB578_29
; %bb.28:
	ds_read2st64_b32 v[2:3], v1 offset1:1
	s_waitcnt lgkmcnt(0)
	v_add_f32_e32 v2, v3, v2
	ds_write_b32 v1, v2
.LBB578_29:
	s_or_b64 exec, exec, s[0:1]
	v_cmp_gt_u32_e32 vcc, 32, v0
	s_waitcnt lgkmcnt(0)
	s_barrier
	s_and_saveexec_b64 s[0:1], vcc
	s_cbranch_execz .LBB578_31
; %bb.30:
	ds_read2_b32 v[2:3], v1 offset1:32
	s_waitcnt lgkmcnt(0)
	v_add_f32_e32 v2, v3, v2
	ds_write_b32 v1, v2
.LBB578_31:
	s_or_b64 exec, exec, s[0:1]
	v_cmp_gt_u32_e32 vcc, 16, v0
	s_waitcnt lgkmcnt(0)
	s_barrier
	s_and_saveexec_b64 s[0:1], vcc
	s_cbranch_execz .LBB578_33
; %bb.32:
	ds_read2_b32 v[2:3], v1 offset1:16
	s_waitcnt lgkmcnt(0)
	v_add_f32_e32 v2, v3, v2
	ds_write_b32 v1, v2
.LBB578_33:
	;; [unrolled: 12-line block ×5, first 2 shown]
	s_or_b64 exec, exec, s[0:1]
	v_cmp_eq_u32_e32 vcc, 0, v0
	s_waitcnt lgkmcnt(0)
	s_barrier
	s_and_saveexec_b64 s[0:1], vcc
	s_cbranch_execz .LBB578_41
; %bb.40:
	v_mov_b32_e32 v2, 0
	ds_read_b64 v[0:1], v2
	s_waitcnt lgkmcnt(0)
	v_add_f32_e32 v0, v1, v0
	ds_write_b32 v2, v0
.LBB578_41:
	s_or_b64 exec, exec, s[0:1]
	s_waitcnt lgkmcnt(0)
	s_barrier
	s_waitcnt lgkmcnt(0)
                                        ; implicit-def: $sgpr25
                                        ; implicit-def: $sgpr6_sgpr7
	s_and_saveexec_b64 s[0:1], vcc
	s_cbranch_execz .LBB578_61
; %bb.42:
	v_mov_b32_e32 v0, 0
	ds_read_b32 v0, v0
	v_cmp_eq_f32_e64 s[4:5], s22, 0
	s_and_b64 vcc, exec, s[4:5]
	s_waitcnt lgkmcnt(0)
	v_mul_f32_e32 v0, s24, v0
	s_nop 0
	v_readfirstlane_b32 s8, v0
	s_cbranch_vccz .LBB578_45
; %bb.43:
	s_and_b32 s3, s8, 0x7f800000
	s_cmp_eq_u32 s3, 0x7f800000
	s_cbranch_scc1 .LBB578_46
; %bb.44:
	s_bfe_u32 s3, s8, 0x10010
	s_add_i32 s3, s8, s3
	s_add_i32 s9, s3, 0x7fff
	s_mov_b64 s[4:5], 0
	s_branch .LBB578_47
.LBB578_45:
                                        ; implicit-def: $sgpr9
	s_mul_hi_i32 s7, s23, s2
	s_mul_i32 s6, s23, s2
	s_branch .LBB578_50
.LBB578_46:
	s_mov_b64 s[4:5], -1
                                        ; implicit-def: $sgpr9
.LBB578_47:
	s_andn2_b64 vcc, exec, s[4:5]
	s_cbranch_vccnz .LBB578_49
; %bb.48:
	s_and_b32 s3, s8, 0xffff
	s_or_b32 s4, s8, 0x10000
	s_cmp_eq_u32 s3, 0
	s_cselect_b32 s9, s8, s4
.LBB578_49:
	s_mul_hi_i32 s7, s23, s2
	s_mul_i32 s6, s23, s2
	s_cbranch_execnz .LBB578_60
.LBB578_50:
	s_lshl_b64 s[2:3], s[6:7], 1
	s_add_u32 s2, s20, s2
	s_addc_u32 s3, s21, s3
	v_mov_b32_e32 v0, 0
	global_load_ushort v0, v0, s[2:3]
	s_mov_b32 s2, 0x7f800000
	s_waitcnt vmcnt(0)
	v_lshlrev_b32_e32 v0, 16, v0
	v_mul_f32_e32 v0, s22, v0
	v_and_b32_e32 v1, 0x7f800000, v0
	v_cmp_eq_u32_e32 vcc, s2, v1
	v_readfirstlane_b32 s4, v0
	s_cbranch_vccnz .LBB578_52
; %bb.51:
	s_bfe_u32 s2, s4, 0x10010
	s_add_i32 s2, s4, s2
	s_add_i32 s5, s2, 0x7fff
	s_mov_b64 s[2:3], 0
	s_branch .LBB578_53
.LBB578_52:
	s_mov_b64 s[2:3], -1
                                        ; implicit-def: $sgpr5
.LBB578_53:
	s_andn2_b64 vcc, exec, s[2:3]
	s_cbranch_vccnz .LBB578_55
; %bb.54:
	s_and_b32 s2, s4, 0xffff
	s_or_b32 s3, s4, 0x10000
	s_cmp_eq_u32 s2, 0
	s_cselect_b32 s5, s4, s3
.LBB578_55:
	s_and_b32 s2, s5, 0xffff0000
	v_mov_b32_e32 v0, s2
	v_add_f32_e32 v0, s8, v0
	s_mov_b32 s2, 0x7f800000
	v_and_b32_e32 v1, 0x7f800000, v0
	v_cmp_eq_u32_e32 vcc, s2, v1
	v_readfirstlane_b32 s4, v0
	s_cbranch_vccnz .LBB578_57
; %bb.56:
	s_bfe_u32 s2, s4, 0x10010
	s_add_i32 s2, s4, s2
	s_add_i32 s9, s2, 0x7fff
	s_mov_b64 s[2:3], 0
	s_branch .LBB578_58
.LBB578_57:
	s_mov_b64 s[2:3], -1
                                        ; implicit-def: $sgpr9
.LBB578_58:
	s_andn2_b64 vcc, exec, s[2:3]
	s_cbranch_vccnz .LBB578_60
; %bb.59:
	s_and_b32 s2, s4, 0xffff
	s_or_b32 s3, s4, 0x10000
	s_cmp_eq_u32 s2, 0
	s_cselect_b32 s9, s4, s3
.LBB578_60:
	s_lshr_b32 s25, s9, 16
	s_or_b64 s[14:15], s[14:15], exec
.LBB578_61:
	s_or_b64 exec, exec, s[0:1]
.LBB578_62:
	s_and_saveexec_b64 s[0:1], s[14:15]
	s_cbranch_execz .LBB578_64
; %bb.63:
	s_lshl_b64 s[0:1], s[6:7], 1
	s_add_u32 s0, s20, s0
	s_addc_u32 s1, s21, s1
	v_mov_b32_e32 v0, 0
	v_mov_b32_e32 v1, s25
	global_store_short v0, v1, s[0:1]
.LBB578_64:
	s_endpgm
	.section	.rodata,"a",@progbits
	.p2align	6, 0x0
	.amdhsa_kernel _ZL20rocblas_gemvt_kernelILb1ELi256E16rocblas_bfloat16PKfS0_EviiT2_lPKT1_lilS6_lilS3_lPT3_lili
		.amdhsa_group_segment_fixed_size 1024
		.amdhsa_private_segment_fixed_size 0
		.amdhsa_kernarg_size 140
		.amdhsa_user_sgpr_count 2
		.amdhsa_user_sgpr_dispatch_ptr 0
		.amdhsa_user_sgpr_queue_ptr 0
		.amdhsa_user_sgpr_kernarg_segment_ptr 1
		.amdhsa_user_sgpr_dispatch_id 0
		.amdhsa_user_sgpr_kernarg_preload_length 0
		.amdhsa_user_sgpr_kernarg_preload_offset 0
		.amdhsa_user_sgpr_private_segment_size 0
		.amdhsa_uses_dynamic_stack 0
		.amdhsa_enable_private_segment 0
		.amdhsa_system_sgpr_workgroup_id_x 1
		.amdhsa_system_sgpr_workgroup_id_y 0
		.amdhsa_system_sgpr_workgroup_id_z 1
		.amdhsa_system_sgpr_workgroup_info 0
		.amdhsa_system_vgpr_workitem_id 0
		.amdhsa_next_free_vgpr 12
		.amdhsa_next_free_sgpr 26
		.amdhsa_accum_offset 12
		.amdhsa_reserve_vcc 1
		.amdhsa_float_round_mode_32 0
		.amdhsa_float_round_mode_16_64 0
		.amdhsa_float_denorm_mode_32 3
		.amdhsa_float_denorm_mode_16_64 3
		.amdhsa_dx10_clamp 1
		.amdhsa_ieee_mode 1
		.amdhsa_fp16_overflow 0
		.amdhsa_tg_split 0
		.amdhsa_exception_fp_ieee_invalid_op 0
		.amdhsa_exception_fp_denorm_src 0
		.amdhsa_exception_fp_ieee_div_zero 0
		.amdhsa_exception_fp_ieee_overflow 0
		.amdhsa_exception_fp_ieee_underflow 0
		.amdhsa_exception_fp_ieee_inexact 0
		.amdhsa_exception_int_div_zero 0
	.end_amdhsa_kernel
	.section	.text._ZL20rocblas_gemvt_kernelILb1ELi256E16rocblas_bfloat16PKfS0_EviiT2_lPKT1_lilS6_lilS3_lPT3_lili,"axG",@progbits,_ZL20rocblas_gemvt_kernelILb1ELi256E16rocblas_bfloat16PKfS0_EviiT2_lPKT1_lilS6_lilS3_lPT3_lili,comdat
.Lfunc_end578:
	.size	_ZL20rocblas_gemvt_kernelILb1ELi256E16rocblas_bfloat16PKfS0_EviiT2_lPKT1_lilS6_lilS3_lPT3_lili, .Lfunc_end578-_ZL20rocblas_gemvt_kernelILb1ELi256E16rocblas_bfloat16PKfS0_EviiT2_lPKT1_lilS6_lilS3_lPT3_lili
                                        ; -- End function
	.section	.AMDGPU.csdata,"",@progbits
; Kernel info:
; codeLenInByte = 1912
; NumSgprs: 32
; NumVgprs: 12
; NumAgprs: 0
; TotalNumVgprs: 12
; ScratchSize: 0
; MemoryBound: 0
; FloatMode: 240
; IeeeMode: 1
; LDSByteSize: 1024 bytes/workgroup (compile time only)
; SGPRBlocks: 3
; VGPRBlocks: 1
; NumSGPRsForWavesPerEU: 32
; NumVGPRsForWavesPerEU: 12
; AccumOffset: 12
; Occupancy: 8
; WaveLimiterHint : 1
; COMPUTE_PGM_RSRC2:SCRATCH_EN: 0
; COMPUTE_PGM_RSRC2:USER_SGPR: 2
; COMPUTE_PGM_RSRC2:TRAP_HANDLER: 0
; COMPUTE_PGM_RSRC2:TGID_X_EN: 1
; COMPUTE_PGM_RSRC2:TGID_Y_EN: 0
; COMPUTE_PGM_RSRC2:TGID_Z_EN: 1
; COMPUTE_PGM_RSRC2:TIDIG_COMP_CNT: 0
; COMPUTE_PGM_RSRC3_GFX90A:ACCUM_OFFSET: 2
; COMPUTE_PGM_RSRC3_GFX90A:TG_SPLIT: 0
	.section	.text._ZL20rocblas_gemvt_kernelILb1ELi256E16rocblas_bfloat16fS0_EviiT2_lPKT1_lilS4_lilS1_lPT3_lili,"axG",@progbits,_ZL20rocblas_gemvt_kernelILb1ELi256E16rocblas_bfloat16fS0_EviiT2_lPKT1_lilS4_lilS1_lPT3_lili,comdat
	.globl	_ZL20rocblas_gemvt_kernelILb1ELi256E16rocblas_bfloat16fS0_EviiT2_lPKT1_lilS4_lilS1_lPT3_lili ; -- Begin function _ZL20rocblas_gemvt_kernelILb1ELi256E16rocblas_bfloat16fS0_EviiT2_lPKT1_lilS4_lilS1_lPT3_lili
	.p2align	8
	.type	_ZL20rocblas_gemvt_kernelILb1ELi256E16rocblas_bfloat16fS0_EviiT2_lPKT1_lilS4_lilS1_lPT3_lili,@function
_ZL20rocblas_gemvt_kernelILb1ELi256E16rocblas_bfloat16fS0_EviiT2_lPKT1_lilS4_lilS1_lPT3_lili: ; @_ZL20rocblas_gemvt_kernelILb1ELi256E16rocblas_bfloat16fS0_EviiT2_lPKT1_lilS4_lilS1_lPT3_lili
; %bb.0:
	s_load_dword s24, s[0:1], 0x8
	s_load_dword s22, s[0:1], 0x58
	s_waitcnt lgkmcnt(0)
	v_cmp_eq_f32_e64 s[4:5], s24, 0
	v_cmp_eq_f32_e64 s[6:7], s22, 1.0
	s_and_b64 s[4:5], s[4:5], s[6:7]
	s_and_b64 vcc, exec, s[4:5]
	s_cbranch_vccnz .LBB579_64
; %bb.1:
	s_load_dwordx2 s[8:9], s[0:1], 0x80
	s_load_dwordx4 s[4:7], s[0:1], 0x68
	s_load_dword s23, s[0:1], 0x78
	s_waitcnt lgkmcnt(0)
	s_mul_i32 s9, s3, s9
	s_mul_hi_u32 s10, s3, s8
	s_mul_i32 s8, s3, s8
	s_add_i32 s9, s10, s9
	s_lshl_b64 s[8:9], s[8:9], 1
	s_add_u32 s8, s4, s8
	s_addc_u32 s9, s5, s9
	s_lshl_b64 s[4:5], s[6:7], 1
	s_add_u32 s20, s8, s4
	s_addc_u32 s21, s9, s5
	v_cmp_neq_f32_e64 s[4:5], s24, 0
	s_and_b64 vcc, exec, s[4:5]
	v_cmp_eq_u32_e64 s[4:5], 0, v0
	s_cbranch_vccnz .LBB579_6
; %bb.2:
	s_mov_b64 s[10:11], 0
	s_mov_b64 s[8:9], 0
                                        ; implicit-def: $sgpr14
                                        ; implicit-def: $sgpr6_sgpr7
	s_and_saveexec_b64 s[12:13], s[4:5]
	s_cbranch_execz .LBB579_7
; %bb.3:
	v_cmp_eq_f32_e64 s[4:5], s22, 0
	s_mov_b32 s14, 0
	s_mul_hi_i32 s7, s23, s2
	s_mul_i32 s6, s23, s2
	s_and_b64 vcc, exec, s[4:5]
	s_cbranch_vccnz .LBB579_11
; %bb.4:
	s_lshl_b64 s[4:5], s[6:7], 1
	s_add_u32 s4, s20, s4
	s_addc_u32 s5, s21, s5
	v_mov_b32_e32 v1, 0
	global_load_ushort v1, v1, s[4:5]
	s_mov_b32 s4, 0x7f800000
	s_waitcnt vmcnt(0)
	v_lshlrev_b32_e32 v1, 16, v1
	v_mul_f32_e32 v1, s22, v1
	v_and_b32_e32 v2, 0x7f800000, v1
	v_cmp_eq_u32_e32 vcc, s4, v2
	v_readfirstlane_b32 s8, v1
	s_cbranch_vccnz .LBB579_8
; %bb.5:
	s_bfe_u32 s4, s8, 0x10010
	s_add_i32 s4, s8, s4
	s_add_i32 s9, s4, 0x7fff
	s_cbranch_execz .LBB579_9
	s_branch .LBB579_10
.LBB579_6:
	s_mov_b64 s[8:9], 0
                                        ; implicit-def: $sgpr14
                                        ; implicit-def: $sgpr6_sgpr7
	s_cbranch_execnz .LBB579_12
	s_branch .LBB579_62
.LBB579_7:
	s_or_b64 exec, exec, s[12:13]
	s_and_b64 vcc, exec, s[10:11]
	s_cbranch_vccnz .LBB579_12
	s_branch .LBB579_62
.LBB579_8:
                                        ; implicit-def: $sgpr9
.LBB579_9:
	s_and_b32 s4, s8, 0xffff
	s_or_b32 s5, s8, 0x10000
	s_cmp_eq_u32 s4, 0
	s_cselect_b32 s9, s8, s5
.LBB579_10:
	s_lshr_b32 s14, s9, 16
.LBB579_11:
	s_mov_b64 s[8:9], exec
	s_or_b64 exec, exec, s[12:13]
	s_and_b64 vcc, exec, s[10:11]
	s_cbranch_vccz .LBB579_62
.LBB579_12:
	s_load_dwordx2 s[14:15], s[0:1], 0x50
	s_load_dword s25, s[0:1], 0x0
	s_load_dwordx4 s[16:19], s[0:1], 0x18
	s_load_dword s13, s[0:1], 0x28
	s_load_dwordx4 s[4:7], s[0:1], 0x30
	s_load_dwordx2 s[10:11], s[0:1], 0x40
	s_load_dword s12, s[0:1], 0x48
	s_waitcnt lgkmcnt(0)
	s_mul_i32 s0, s3, s15
	s_mul_hi_u32 s1, s3, s14
	s_add_i32 s1, s1, s0
	s_mul_i32 s0, s3, s14
	s_mul_i32 s5, s3, s5
	s_mul_hi_u32 s14, s3, s4
	s_add_i32 s5, s14, s5
	s_mul_i32 s4, s3, s4
	s_lshl_b64 s[4:5], s[4:5], 1
	s_add_u32 s3, s16, s4
	s_addc_u32 s14, s17, s5
	s_lshl_b64 s[4:5], s[18:19], 1
	s_add_u32 s15, s3, s4
	s_addc_u32 s16, s14, s5
	s_mul_hi_i32 s5, s13, s2
	s_mul_i32 s4, s13, s2
	s_lshl_b64 s[4:5], s[4:5], 1
	s_add_u32 s14, s4, s15
	s_addc_u32 s15, s5, s16
	s_ashr_i32 s4, s25, 31
	v_cmp_gt_i32_e32 vcc, s25, v0
	s_lshr_b32 s4, s4, 24
	s_add_i32 s4, s25, s4
	v_cndmask_b32_e32 v1, 0, v0, vcc
	v_lshlrev_b32_e32 v2, 1, v1
	v_mov_b32_e32 v3, 0
	s_and_b32 s4, s4, 0xffffff00
	s_mov_b32 s3, 0
	s_cmpk_lt_i32 s25, 0x100
	v_lshl_add_u64 v[4:5], s[14:15], 0, v[2:3]
	s_cbranch_scc1 .LBB579_19
; %bb.13:
	v_mad_i64_i32 v[2:3], s[16:17], s12, v0, 0
	s_ashr_i32 s13, s12, 31
	s_lshl_b64 s[14:15], s[0:1], 1
	s_lshl_b64 s[16:17], s[10:11], 1
	s_add_u32 s5, s6, s16
	s_addc_u32 s16, s7, s17
	s_add_u32 s14, s5, s14
	s_addc_u32 s15, s16, s15
	v_lshl_add_u64 v[6:7], v[2:3], 1, s[14:15]
	s_lshl_b64 s[14:15], s[12:13], 9
	v_mov_b32_e32 v1, 0
	s_mov_b32 s5, 0x7f800000
	s_movk_i32 s13, 0x7fff
	s_mov_b64 s[16:17], 0x200
	v_mov_b64_e32 v[8:9], v[4:5]
	v_mov_b32_e32 v3, 0
	s_branch .LBB579_15
.LBB579_14:                             ;   in Loop: Header=BB579_15 Depth=1
	s_or_b64 exec, exec, s[18:19]
	v_and_b32_e32 v2, 0xffff0000, v2
	s_addk_i32 s3, 0x100
	v_add_f32_e32 v3, v3, v2
	v_lshl_add_u64 v[6:7], v[6:7], 0, s[14:15]
	s_cmp_ge_i32 s3, s4
	v_lshl_add_u64 v[8:9], v[8:9], 0, s[16:17]
	s_cbranch_scc1 .LBB579_19
.LBB579_15:                             ; =>This Inner Loop Header: Depth=1
	global_load_ushort v2, v[6:7], off
	global_load_ushort v10, v[8:9], off
	s_waitcnt vmcnt(1)
	v_lshlrev_b32_e32 v2, 16, v2
	s_waitcnt vmcnt(0)
	v_lshlrev_b32_e32 v10, 16, v10
	v_pk_mul_f32 v[10:11], v[2:3], v[10:11] op_sel_hi:[0,1]
	v_and_b32_e32 v2, 0x7f800000, v10
	v_cmp_ne_u32_e32 vcc, s5, v2
                                        ; implicit-def: $vgpr2
	s_and_saveexec_b64 s[18:19], vcc
	s_xor_b64 s[18:19], exec, s[18:19]
; %bb.16:                               ;   in Loop: Header=BB579_15 Depth=1
	v_bfe_u32 v2, v10, 16, 1
	v_add3_u32 v2, v10, v2, s13
                                        ; implicit-def: $vgpr10_vgpr11
; %bb.17:                               ;   in Loop: Header=BB579_15 Depth=1
	s_andn2_saveexec_b64 s[18:19], s[18:19]
	s_cbranch_execz .LBB579_14
; %bb.18:                               ;   in Loop: Header=BB579_15 Depth=1
	v_or_b32_e32 v2, 0x10000, v10
	v_cmp_eq_u32_sdwa vcc, v10, v1 src0_sel:WORD_0 src1_sel:DWORD
	s_nop 1
	v_cndmask_b32_e32 v2, v2, v10, vcc
	s_branch .LBB579_14
.LBB579_19:
	v_add_u32_e32 v1, s4, v0
	v_cmp_gt_i32_e32 vcc, s25, v1
	s_and_saveexec_b64 s[14:15], vcc
	s_cbranch_execz .LBB579_25
; %bb.20:
	s_lshl_b64 s[0:1], s[0:1], 1
	s_add_u32 s3, s6, s0
	s_addc_u32 s5, s7, s1
	s_lshl_b64 s[0:1], s[10:11], 1
	s_add_u32 s0, s3, s0
	s_addc_u32 s1, s5, s1
	s_ashr_i32 s5, s4, 31
	v_lshl_add_u64 v[4:5], s[4:5], 1, v[4:5]
	v_mad_i64_i32 v[6:7], s[4:5], s12, v1, 0
	v_lshl_add_u64 v[6:7], v[6:7], 1, s[0:1]
	global_load_ushort v1, v[6:7], off
	global_load_ushort v8, v[4:5], off
	s_mov_b32 s0, 0x7f800000
	s_waitcnt vmcnt(1)
	v_lshlrev_b32_e32 v2, 16, v1
	s_waitcnt vmcnt(0)
	v_lshlrev_b32_e32 v4, 16, v8
	v_pk_mul_f32 v[4:5], v[2:3], v[4:5] op_sel_hi:[0,1]
	v_and_b32_e32 v1, 0x7f800000, v4
	v_cmp_ne_u32_e32 vcc, s0, v1
                                        ; implicit-def: $vgpr1
	s_and_saveexec_b64 s[0:1], vcc
	s_xor_b64 s[0:1], exec, s[0:1]
; %bb.21:
	v_bfe_u32 v1, v4, 16, 1
	s_movk_i32 s3, 0x7fff
	v_add3_u32 v1, v4, v1, s3
                                        ; implicit-def: $vgpr4_vgpr5
; %bb.22:
	s_andn2_saveexec_b64 s[0:1], s[0:1]
; %bb.23:
	v_mov_b32_e32 v1, 0
	v_or_b32_e32 v2, 0x10000, v4
	v_cmp_eq_u32_sdwa vcc, v4, v1 src0_sel:WORD_0 src1_sel:DWORD
	s_nop 1
	v_cndmask_b32_e32 v1, v2, v4, vcc
; %bb.24:
	s_or_b64 exec, exec, s[0:1]
	v_and_b32_e32 v1, 0xffff0000, v1
	v_add_f32_e32 v3, v3, v1
.LBB579_25:
	s_or_b64 exec, exec, s[14:15]
	s_movk_i32 s0, 0x80
	v_lshlrev_b32_e32 v1, 2, v0
	v_cmp_gt_u32_e32 vcc, s0, v0
	ds_write_b32 v1, v3
	s_waitcnt lgkmcnt(0)
	s_barrier
	s_and_saveexec_b64 s[0:1], vcc
	s_cbranch_execz .LBB579_27
; %bb.26:
	ds_read2st64_b32 v[2:3], v1 offset1:2
	s_waitcnt lgkmcnt(0)
	v_add_f32_e32 v2, v3, v2
	ds_write_b32 v1, v2
.LBB579_27:
	s_or_b64 exec, exec, s[0:1]
	v_cmp_gt_u32_e32 vcc, 64, v0
	s_waitcnt lgkmcnt(0)
	s_barrier
	s_and_saveexec_b64 s[0:1], vcc
	s_cbranch_execz .LBB579_29
; %bb.28:
	ds_read2st64_b32 v[2:3], v1 offset1:1
	s_waitcnt lgkmcnt(0)
	v_add_f32_e32 v2, v3, v2
	ds_write_b32 v1, v2
.LBB579_29:
	s_or_b64 exec, exec, s[0:1]
	v_cmp_gt_u32_e32 vcc, 32, v0
	s_waitcnt lgkmcnt(0)
	s_barrier
	s_and_saveexec_b64 s[0:1], vcc
	s_cbranch_execz .LBB579_31
; %bb.30:
	ds_read2_b32 v[2:3], v1 offset1:32
	s_waitcnt lgkmcnt(0)
	v_add_f32_e32 v2, v3, v2
	ds_write_b32 v1, v2
.LBB579_31:
	s_or_b64 exec, exec, s[0:1]
	v_cmp_gt_u32_e32 vcc, 16, v0
	s_waitcnt lgkmcnt(0)
	s_barrier
	s_and_saveexec_b64 s[0:1], vcc
	s_cbranch_execz .LBB579_33
; %bb.32:
	ds_read2_b32 v[2:3], v1 offset1:16
	s_waitcnt lgkmcnt(0)
	v_add_f32_e32 v2, v3, v2
	ds_write_b32 v1, v2
.LBB579_33:
	;; [unrolled: 12-line block ×5, first 2 shown]
	s_or_b64 exec, exec, s[0:1]
	v_cmp_eq_u32_e32 vcc, 0, v0
	s_waitcnt lgkmcnt(0)
	s_barrier
	s_and_saveexec_b64 s[0:1], vcc
	s_cbranch_execz .LBB579_41
; %bb.40:
	v_mov_b32_e32 v2, 0
	ds_read_b64 v[0:1], v2
	s_waitcnt lgkmcnt(0)
	v_add_f32_e32 v0, v1, v0
	ds_write_b32 v2, v0
.LBB579_41:
	s_or_b64 exec, exec, s[0:1]
	s_waitcnt lgkmcnt(0)
	s_barrier
	s_waitcnt lgkmcnt(0)
                                        ; implicit-def: $sgpr14
                                        ; implicit-def: $sgpr6_sgpr7
	s_and_saveexec_b64 s[0:1], vcc
	s_cbranch_execz .LBB579_61
; %bb.42:
	v_mov_b32_e32 v0, 0
	ds_read_b32 v0, v0
	v_cmp_eq_f32_e64 s[4:5], s22, 0
	s_and_b64 vcc, exec, s[4:5]
	s_waitcnt lgkmcnt(0)
	v_mul_f32_e32 v0, s24, v0
	s_nop 0
	v_readfirstlane_b32 s10, v0
	s_cbranch_vccz .LBB579_45
; %bb.43:
	s_and_b32 s3, s10, 0x7f800000
	s_cmp_eq_u32 s3, 0x7f800000
	s_cbranch_scc1 .LBB579_46
; %bb.44:
	s_bfe_u32 s3, s10, 0x10010
	s_add_i32 s3, s10, s3
	s_add_i32 s11, s3, 0x7fff
	s_mov_b64 s[4:5], 0
	s_branch .LBB579_47
.LBB579_45:
                                        ; implicit-def: $sgpr11
	s_mul_hi_i32 s7, s23, s2
	s_mul_i32 s6, s23, s2
	s_branch .LBB579_50
.LBB579_46:
	s_mov_b64 s[4:5], -1
                                        ; implicit-def: $sgpr11
.LBB579_47:
	s_andn2_b64 vcc, exec, s[4:5]
	s_cbranch_vccnz .LBB579_49
; %bb.48:
	s_and_b32 s3, s10, 0xffff
	s_or_b32 s4, s10, 0x10000
	s_cmp_eq_u32 s3, 0
	s_cselect_b32 s11, s10, s4
.LBB579_49:
	s_mul_hi_i32 s7, s23, s2
	s_mul_i32 s6, s23, s2
	s_cbranch_execnz .LBB579_60
.LBB579_50:
	s_lshl_b64 s[2:3], s[6:7], 1
	s_add_u32 s2, s20, s2
	s_addc_u32 s3, s21, s3
	v_mov_b32_e32 v0, 0
	global_load_ushort v0, v0, s[2:3]
	s_mov_b32 s2, 0x7f800000
	s_waitcnt vmcnt(0)
	v_lshlrev_b32_e32 v0, 16, v0
	v_mul_f32_e32 v0, s22, v0
	v_and_b32_e32 v1, 0x7f800000, v0
	v_cmp_eq_u32_e32 vcc, s2, v1
	v_readfirstlane_b32 s4, v0
	s_cbranch_vccnz .LBB579_52
; %bb.51:
	s_bfe_u32 s2, s4, 0x10010
	s_add_i32 s2, s4, s2
	s_add_i32 s5, s2, 0x7fff
	s_mov_b64 s[2:3], 0
	s_branch .LBB579_53
.LBB579_52:
	s_mov_b64 s[2:3], -1
                                        ; implicit-def: $sgpr5
.LBB579_53:
	s_andn2_b64 vcc, exec, s[2:3]
	s_cbranch_vccnz .LBB579_55
; %bb.54:
	s_and_b32 s2, s4, 0xffff
	s_or_b32 s3, s4, 0x10000
	s_cmp_eq_u32 s2, 0
	s_cselect_b32 s5, s4, s3
.LBB579_55:
	s_and_b32 s2, s5, 0xffff0000
	v_mov_b32_e32 v0, s2
	v_add_f32_e32 v0, s10, v0
	s_mov_b32 s2, 0x7f800000
	v_and_b32_e32 v1, 0x7f800000, v0
	v_cmp_eq_u32_e32 vcc, s2, v1
	v_readfirstlane_b32 s4, v0
	s_cbranch_vccnz .LBB579_57
; %bb.56:
	s_bfe_u32 s2, s4, 0x10010
	s_add_i32 s2, s4, s2
	s_add_i32 s11, s2, 0x7fff
	s_mov_b64 s[2:3], 0
	s_branch .LBB579_58
.LBB579_57:
	s_mov_b64 s[2:3], -1
                                        ; implicit-def: $sgpr11
.LBB579_58:
	s_andn2_b64 vcc, exec, s[2:3]
	s_cbranch_vccnz .LBB579_60
; %bb.59:
	s_and_b32 s2, s4, 0xffff
	s_or_b32 s3, s4, 0x10000
	s_cmp_eq_u32 s2, 0
	s_cselect_b32 s11, s4, s3
.LBB579_60:
	s_lshr_b32 s14, s11, 16
	s_or_b64 s[8:9], s[8:9], exec
.LBB579_61:
	s_or_b64 exec, exec, s[0:1]
.LBB579_62:
	s_and_saveexec_b64 s[0:1], s[8:9]
	s_cbranch_execz .LBB579_64
; %bb.63:
	s_lshl_b64 s[0:1], s[6:7], 1
	s_add_u32 s0, s20, s0
	s_addc_u32 s1, s21, s1
	v_mov_b32_e32 v0, 0
	v_mov_b32_e32 v1, s14
	global_store_short v0, v1, s[0:1]
.LBB579_64:
	s_endpgm
	.section	.rodata,"a",@progbits
	.p2align	6, 0x0
	.amdhsa_kernel _ZL20rocblas_gemvt_kernelILb1ELi256E16rocblas_bfloat16fS0_EviiT2_lPKT1_lilS4_lilS1_lPT3_lili
		.amdhsa_group_segment_fixed_size 1024
		.amdhsa_private_segment_fixed_size 0
		.amdhsa_kernarg_size 140
		.amdhsa_user_sgpr_count 2
		.amdhsa_user_sgpr_dispatch_ptr 0
		.amdhsa_user_sgpr_queue_ptr 0
		.amdhsa_user_sgpr_kernarg_segment_ptr 1
		.amdhsa_user_sgpr_dispatch_id 0
		.amdhsa_user_sgpr_kernarg_preload_length 0
		.amdhsa_user_sgpr_kernarg_preload_offset 0
		.amdhsa_user_sgpr_private_segment_size 0
		.amdhsa_uses_dynamic_stack 0
		.amdhsa_enable_private_segment 0
		.amdhsa_system_sgpr_workgroup_id_x 1
		.amdhsa_system_sgpr_workgroup_id_y 0
		.amdhsa_system_sgpr_workgroup_id_z 1
		.amdhsa_system_sgpr_workgroup_info 0
		.amdhsa_system_vgpr_workitem_id 0
		.amdhsa_next_free_vgpr 12
		.amdhsa_next_free_sgpr 26
		.amdhsa_accum_offset 12
		.amdhsa_reserve_vcc 1
		.amdhsa_float_round_mode_32 0
		.amdhsa_float_round_mode_16_64 0
		.amdhsa_float_denorm_mode_32 3
		.amdhsa_float_denorm_mode_16_64 3
		.amdhsa_dx10_clamp 1
		.amdhsa_ieee_mode 1
		.amdhsa_fp16_overflow 0
		.amdhsa_tg_split 0
		.amdhsa_exception_fp_ieee_invalid_op 0
		.amdhsa_exception_fp_denorm_src 0
		.amdhsa_exception_fp_ieee_div_zero 0
		.amdhsa_exception_fp_ieee_overflow 0
		.amdhsa_exception_fp_ieee_underflow 0
		.amdhsa_exception_fp_ieee_inexact 0
		.amdhsa_exception_int_div_zero 0
	.end_amdhsa_kernel
	.section	.text._ZL20rocblas_gemvt_kernelILb1ELi256E16rocblas_bfloat16fS0_EviiT2_lPKT1_lilS4_lilS1_lPT3_lili,"axG",@progbits,_ZL20rocblas_gemvt_kernelILb1ELi256E16rocblas_bfloat16fS0_EviiT2_lPKT1_lilS4_lilS1_lPT3_lili,comdat
.Lfunc_end579:
	.size	_ZL20rocblas_gemvt_kernelILb1ELi256E16rocblas_bfloat16fS0_EviiT2_lPKT1_lilS4_lilS1_lPT3_lili, .Lfunc_end579-_ZL20rocblas_gemvt_kernelILb1ELi256E16rocblas_bfloat16fS0_EviiT2_lPKT1_lilS4_lilS1_lPT3_lili
                                        ; -- End function
	.section	.AMDGPU.csdata,"",@progbits
; Kernel info:
; codeLenInByte = 1852
; NumSgprs: 32
; NumVgprs: 12
; NumAgprs: 0
; TotalNumVgprs: 12
; ScratchSize: 0
; MemoryBound: 0
; FloatMode: 240
; IeeeMode: 1
; LDSByteSize: 1024 bytes/workgroup (compile time only)
; SGPRBlocks: 3
; VGPRBlocks: 1
; NumSGPRsForWavesPerEU: 32
; NumVGPRsForWavesPerEU: 12
; AccumOffset: 12
; Occupancy: 8
; WaveLimiterHint : 1
; COMPUTE_PGM_RSRC2:SCRATCH_EN: 0
; COMPUTE_PGM_RSRC2:USER_SGPR: 2
; COMPUTE_PGM_RSRC2:TRAP_HANDLER: 0
; COMPUTE_PGM_RSRC2:TGID_X_EN: 1
; COMPUTE_PGM_RSRC2:TGID_Y_EN: 0
; COMPUTE_PGM_RSRC2:TGID_Z_EN: 1
; COMPUTE_PGM_RSRC2:TIDIG_COMP_CNT: 0
; COMPUTE_PGM_RSRC3_GFX90A:ACCUM_OFFSET: 2
; COMPUTE_PGM_RSRC3_GFX90A:TG_SPLIT: 0
	.section	.text._ZL32rocblas_gemvt_warp_reduce_kernelILb1ELi1024Ei16rocblas_bfloat16PKfS0_EviiT3_lPKT2_lT1_lS6_lS7_lS3_lPT4_lS7_li,"axG",@progbits,_ZL32rocblas_gemvt_warp_reduce_kernelILb1ELi1024Ei16rocblas_bfloat16PKfS0_EviiT3_lPKT2_lT1_lS6_lS7_lS3_lPT4_lS7_li,comdat
	.globl	_ZL32rocblas_gemvt_warp_reduce_kernelILb1ELi1024Ei16rocblas_bfloat16PKfS0_EviiT3_lPKT2_lT1_lS6_lS7_lS3_lPT4_lS7_li ; -- Begin function _ZL32rocblas_gemvt_warp_reduce_kernelILb1ELi1024Ei16rocblas_bfloat16PKfS0_EviiT3_lPKT2_lT1_lS6_lS7_lS3_lPT4_lS7_li
	.p2align	8
	.type	_ZL32rocblas_gemvt_warp_reduce_kernelILb1ELi1024Ei16rocblas_bfloat16PKfS0_EviiT3_lPKT2_lT1_lS6_lS7_lS3_lPT4_lS7_li,@function
_ZL32rocblas_gemvt_warp_reduce_kernelILb1ELi1024Ei16rocblas_bfloat16PKfS0_EviiT3_lPKT2_lT1_lS6_lS7_lS3_lPT4_lS7_li: ; @_ZL32rocblas_gemvt_warp_reduce_kernelILb1ELi1024Ei16rocblas_bfloat16PKfS0_EviiT3_lPKT2_lT1_lS6_lS7_lS3_lPT4_lS7_li
; %bb.0:
	s_load_dwordx8 s[4:11], s[0:1], 0x8
	s_load_dwordx8 s[12:19], s[0:1], 0x50
	s_waitcnt lgkmcnt(0)
	s_mul_i32 s7, s3, s7
	s_mul_hi_u32 s20, s3, s6
	s_add_i32 s7, s20, s7
	s_mul_i32 s6, s3, s6
	s_lshl_b64 s[6:7], s[6:7], 2
	s_add_u32 s4, s4, s6
	s_addc_u32 s5, s5, s7
	s_load_dword s24, s[4:5], 0x0
	s_mul_i32 s4, s3, s17
	s_mul_hi_u32 s5, s3, s16
	s_add_i32 s5, s5, s4
	s_mul_i32 s4, s3, s16
	s_lshl_b64 s[4:5], s[4:5], 2
	s_add_u32 s4, s14, s4
	s_addc_u32 s5, s15, s5
	s_load_dword s22, s[4:5], 0x0
	s_waitcnt lgkmcnt(0)
	v_cmp_eq_f32_e64 s[4:5], s24, 0
	v_cmp_eq_f32_e64 s[6:7], s22, 1.0
	s_and_b64 s[4:5], s[4:5], s[6:7]
	s_and_b64 vcc, exec, s[4:5]
	s_cbranch_vccnz .LBB580_39
; %bb.1:
	s_load_dwordx2 s[4:5], s[0:1], 0x80
	s_load_dwordx2 s[6:7], s[0:1], 0x70
	s_load_dword s23, s[0:1], 0x78
	s_waitcnt lgkmcnt(0)
	s_mul_i32 s5, s3, s5
	s_mul_hi_u32 s14, s3, s4
	s_mul_i32 s4, s3, s4
	s_add_i32 s5, s14, s5
	s_lshl_b64 s[4:5], s[4:5], 1
	s_add_u32 s14, s18, s4
	s_addc_u32 s15, s19, s5
	s_lshl_b64 s[4:5], s[6:7], 1
	s_add_u32 s20, s14, s4
	s_addc_u32 s21, s15, s5
	v_cmp_neq_f32_e64 s[4:5], s24, 0
	s_and_b64 vcc, exec, s[4:5]
	v_cmp_eq_u32_e64 s[4:5], 0, v0
	s_cbranch_vccnz .LBB580_6
; %bb.2:
	s_mov_b64 s[16:17], 0
	s_mov_b64 s[6:7], 0
                                        ; implicit-def: $sgpr25
                                        ; implicit-def: $sgpr14_sgpr15
	s_and_saveexec_b64 s[18:19], s[4:5]
	s_cbranch_execz .LBB580_14
; %bb.3:
	v_cmp_eq_f32_e64 s[4:5], s22, 0
	s_mul_i32 s14, s2, s23
	s_mov_b32 s25, 0
	s_ashr_i32 s15, s14, 31
	s_and_b64 vcc, exec, s[4:5]
	s_cbranch_vccnz .LBB580_43
; %bb.4:
	s_lshl_b64 s[4:5], s[14:15], 1
	s_add_u32 s4, s20, s4
	s_addc_u32 s5, s21, s5
	v_mov_b32_e32 v1, 0
	global_load_ushort v1, v1, s[4:5]
	s_mov_b32 s4, 0x7f800000
	s_waitcnt vmcnt(0)
	v_lshlrev_b32_e32 v1, 16, v1
	v_mul_f32_e32 v1, s22, v1
	v_and_b32_e32 v2, 0x7f800000, v1
	v_cmp_eq_u32_e32 vcc, s4, v2
	v_readfirstlane_b32 s6, v1
	s_cbranch_vccnz .LBB580_40
; %bb.5:
	s_bfe_u32 s4, s6, 0x10010
	s_add_i32 s4, s6, s4
	s_add_i32 s7, s4, 0x7fff
	s_cbranch_execz .LBB580_41
	s_branch .LBB580_42
.LBB580_6:
	s_mov_b64 s[6:7], 0
                                        ; implicit-def: $sgpr25
                                        ; implicit-def: $sgpr14_sgpr15
	s_cbranch_execz .LBB580_44
.LBB580_7:
	s_load_dword s16, s[0:1], 0x0
	s_load_dword s14, s[0:1], 0x28
	s_load_dwordx4 s[28:31], s[0:1], 0x30
	s_load_dwordx2 s[4:5], s[0:1], 0x40
	s_mul_i32 s13, s3, s13
	s_mul_hi_u32 s15, s3, s12
	s_add_i32 s13, s15, s13
	s_mul_i32 s12, s3, s12
	s_lshl_b64 s[12:13], s[12:13], 1
	s_waitcnt lgkmcnt(0)
	s_add_u32 s12, s30, s12
	s_addc_u32 s13, s31, s13
	s_lshl_b64 s[4:5], s[4:5], 1
	s_add_u32 s4, s12, s4
	s_load_dword s17, s[0:1], 0x48
	s_mul_i32 s0, s3, s29
	s_mul_hi_u32 s1, s3, s28
	s_addc_u32 s5, s13, s5
	s_add_i32 s1, s1, s0
	s_mul_i32 s0, s3, s28
	s_lshl_b64 s[0:1], s[0:1], 1
	s_add_u32 s3, s8, s0
	s_addc_u32 s8, s9, s1
	s_lshl_b64 s[0:1], s[10:11], 1
	s_add_u32 s3, s3, s0
	s_mul_i32 s0, s2, s14
	s_addc_u32 s8, s8, s1
	s_ashr_i32 s1, s0, 31
	v_cmp_gt_i32_e32 vcc, s16, v0
	s_lshl_b64 s[0:1], s[0:1], 1
	s_add_u32 s0, s0, s3
	v_cndmask_b32_e32 v1, 0, v0, vcc
	v_lshlrev_b32_e32 v2, 1, v1
	v_mov_b32_e32 v3, 0
	s_addc_u32 s1, s1, s8
	v_lshl_add_u64 v[4:5], s[0:1], 0, v[2:3]
	s_ashr_i32 s0, s16, 31
	s_lshr_b32 s0, s0, 22
	s_add_i32 s0, s16, s0
	s_and_b32 s0, s0, 0xfffffc00
	v_cmp_gt_i32_e32 vcc, s0, v0
	s_and_saveexec_b64 s[8:9], vcc
	s_cbranch_execz .LBB580_16
; %bb.8:
	s_waitcnt lgkmcnt(0)
	v_mul_lo_u32 v6, v0, s17
	s_lshl_b32 s1, s17, 10
	s_mov_b64 s[10:11], 0
	v_mov_b32_e32 v1, 0
	s_mov_b32 s3, 0x7f800000
	s_movk_i32 s18, 0x7fff
	s_mov_b64 s[12:13], 0x800
	v_mov_b64_e32 v[8:9], v[4:5]
	v_mov_b32_e32 v2, v0
	v_mov_b32_e32 v3, 0
	s_branch .LBB580_10
.LBB580_9:                              ;   in Loop: Header=BB580_10 Depth=1
	s_or_b64 exec, exec, s[14:15]
	v_add_u32_e32 v2, 0x400, v2
	v_and_b32_e32 v7, 0xffff0000, v7
	v_cmp_le_i32_e32 vcc, s0, v2
	v_add_f32_e32 v3, v3, v7
	v_add_u32_e32 v6, s1, v6
	s_or_b64 s[10:11], vcc, s[10:11]
	v_lshl_add_u64 v[8:9], v[8:9], 0, s[12:13]
	s_andn2_b64 exec, exec, s[10:11]
	s_cbranch_execz .LBB580_15
.LBB580_10:                             ; =>This Inner Loop Header: Depth=1
	v_ashrrev_i32_e32 v7, 31, v6
	v_lshl_add_u64 v[10:11], v[6:7], 1, s[4:5]
	global_load_ushort v7, v[10:11], off
	global_load_ushort v12, v[8:9], off
	s_waitcnt vmcnt(1)
	v_lshlrev_b32_e32 v10, 16, v7
	s_waitcnt vmcnt(0)
	v_lshlrev_b32_e32 v12, 16, v12
	v_pk_mul_f32 v[10:11], v[10:11], v[12:13] op_sel_hi:[0,1]
	v_and_b32_e32 v7, 0x7f800000, v10
	v_cmp_ne_u32_e32 vcc, s3, v7
                                        ; implicit-def: $vgpr7
	s_and_saveexec_b64 s[14:15], vcc
	s_xor_b64 s[14:15], exec, s[14:15]
; %bb.11:                               ;   in Loop: Header=BB580_10 Depth=1
	v_bfe_u32 v7, v10, 16, 1
	v_add3_u32 v7, v10, v7, s18
                                        ; implicit-def: $vgpr10_vgpr11
; %bb.12:                               ;   in Loop: Header=BB580_10 Depth=1
	s_andn2_saveexec_b64 s[14:15], s[14:15]
	s_cbranch_execz .LBB580_9
; %bb.13:                               ;   in Loop: Header=BB580_10 Depth=1
	v_or_b32_e32 v7, 0x10000, v10
	v_cmp_eq_u32_sdwa vcc, v10, v1 src0_sel:WORD_0 src1_sel:DWORD
	s_nop 1
	v_cndmask_b32_e32 v7, v7, v10, vcc
	s_branch .LBB580_9
.LBB580_14:
	s_or_b64 exec, exec, s[18:19]
	s_and_b64 vcc, exec, s[16:17]
	s_cbranch_vccnz .LBB580_7
	s_branch .LBB580_44
.LBB580_15:
	s_or_b64 exec, exec, s[10:11]
.LBB580_16:
	s_or_b64 exec, exec, s[8:9]
	v_or_b32_e32 v1, s0, v0
	v_cmp_gt_i32_e32 vcc, s16, v1
	s_and_saveexec_b64 s[8:9], vcc
	s_cbranch_execz .LBB580_22
; %bb.17:
	s_ashr_i32 s1, s0, 31
	s_waitcnt lgkmcnt(0)
	v_mul_lo_u32 v6, v1, s17
	v_lshl_add_u64 v[4:5], s[0:1], 1, v[4:5]
	v_ashrrev_i32_e32 v7, 31, v6
	v_lshl_add_u64 v[6:7], v[6:7], 1, s[4:5]
	global_load_ushort v1, v[4:5], off
	global_load_ushort v8, v[6:7], off
	s_mov_b32 s0, 0x7f800000
	s_waitcnt vmcnt(1)
	v_lshlrev_b32_e32 v2, 16, v1
	s_waitcnt vmcnt(0)
	v_lshlrev_b32_e32 v4, 16, v8
	v_pk_mul_f32 v[4:5], v[4:5], v[2:3] op_sel_hi:[0,1]
	v_and_b32_e32 v1, 0x7f800000, v4
	v_cmp_ne_u32_e32 vcc, s0, v1
                                        ; implicit-def: $vgpr1
	s_and_saveexec_b64 s[0:1], vcc
	s_xor_b64 s[0:1], exec, s[0:1]
; %bb.18:
	v_bfe_u32 v1, v4, 16, 1
	s_movk_i32 s3, 0x7fff
	v_add3_u32 v1, v4, v1, s3
                                        ; implicit-def: $vgpr4_vgpr5
; %bb.19:
	s_andn2_saveexec_b64 s[0:1], s[0:1]
; %bb.20:
	v_mov_b32_e32 v1, 0
	v_or_b32_e32 v2, 0x10000, v4
	v_cmp_eq_u32_sdwa vcc, v4, v1 src0_sel:WORD_0 src1_sel:DWORD
	s_nop 1
	v_cndmask_b32_e32 v1, v2, v4, vcc
; %bb.21:
	s_or_b64 exec, exec, s[0:1]
	v_and_b32_e32 v1, 0xffff0000, v1
	v_add_f32_e32 v3, v3, v1
.LBB580_22:
	s_or_b64 exec, exec, s[8:9]
	v_and_b32_e32 v2, 63, v0
	v_cmp_gt_u32_e32 vcc, 64, v0
	v_lshlrev_b32_e32 v1, 2, v2
	s_and_saveexec_b64 s[0:1], vcc
	s_cbranch_execz .LBB580_24
; %bb.23:
	v_mov_b32_e32 v4, 0
	ds_write_b32 v1, v4
.LBB580_24:
	s_or_b64 exec, exec, s[0:1]
	v_mbcnt_lo_u32_b32 v4, -1, 0
	v_mbcnt_hi_u32_b32 v6, -1, v4
	v_and_b32_e32 v7, 63, v6
	v_cmp_gt_u32_e64 s[0:1], 32, v7
	s_waitcnt lgkmcnt(0)
	s_barrier
	v_cndmask_b32_e64 v4, 0, 1, s[0:1]
	v_lshlrev_b32_e32 v4, 5, v4
	v_add_lshl_u32 v4, v4, v6, 2
	ds_bpermute_b32 v4, v4, v3
	v_cmp_gt_u32_e64 s[0:1], 48, v7
	s_waitcnt lgkmcnt(0)
	v_add_f32_e32 v3, v3, v4
	v_cndmask_b32_e64 v5, 0, 1, s[0:1]
	v_lshlrev_b32_e32 v5, 4, v5
	v_add_lshl_u32 v4, v5, v6, 2
	ds_bpermute_b32 v4, v4, v3
	v_cmp_gt_u32_e64 s[0:1], 56, v7
	s_waitcnt lgkmcnt(0)
	v_add_f32_e32 v4, v3, v4
	;; [unrolled: 7-line block ×4, first 2 shown]
	v_cndmask_b32_e64 v9, 0, 1, s[0:1]
	v_lshlrev_b32_e32 v9, 1, v9
	v_add_lshl_u32 v5, v9, v6, 2
	ds_bpermute_b32 v9, v5, v8
	v_cmp_ne_u32_e64 s[0:1], 63, v7
	s_waitcnt lgkmcnt(0)
	v_add_f32_e32 v7, v8, v9
	v_addc_co_u32_e64 v6, s[0:1], 0, v6, s[0:1]
	v_lshlrev_b32_e32 v6, 2, v6
	ds_bpermute_b32 v8, v6, v7
	v_cmp_eq_u32_e64 s[0:1], 0, v2
	s_and_saveexec_b64 s[4:5], s[0:1]
	s_cbranch_execz .LBB580_26
; %bb.25:
	v_lshrrev_b32_e32 v2, 4, v0
	v_and_b32_e32 v2, 60, v2
	s_waitcnt lgkmcnt(0)
	v_add_f32_e32 v7, v7, v8
	ds_write_b32 v2, v7
.LBB580_26:
	s_or_b64 exec, exec, s[4:5]
	v_cmp_gt_u32_e64 s[0:1], 16, v0
	v_mov_b32_e32 v2, 0
	s_waitcnt lgkmcnt(0)
	s_barrier
	s_and_saveexec_b64 s[4:5], s[0:1]
	s_cbranch_execz .LBB580_28
; %bb.27:
	ds_read_b32 v2, v1
	s_or_b64 exec, exec, s[4:5]
	s_and_saveexec_b64 s[0:1], vcc
	s_cbranch_execz .LBB580_30
	s_branch .LBB580_29
.LBB580_28:
	s_or_b64 exec, exec, s[4:5]
	s_and_saveexec_b64 s[0:1], vcc
	s_cbranch_execz .LBB580_30
.LBB580_29:
	s_waitcnt lgkmcnt(0)
	ds_bpermute_b32 v1, v3, v2
	s_waitcnt lgkmcnt(0)
	v_add_f32_e32 v1, v2, v1
	ds_bpermute_b32 v2, v4, v1
	s_waitcnt lgkmcnt(0)
	v_add_f32_e32 v1, v1, v2
	;; [unrolled: 3-line block ×4, first 2 shown]
.LBB580_30:
	s_or_b64 exec, exec, s[0:1]
	v_cmp_eq_u32_e32 vcc, 0, v0
                                        ; implicit-def: $vgpr1
                                        ; implicit-def: $sgpr14_sgpr15
	s_and_saveexec_b64 s[0:1], vcc
	s_cbranch_execz .LBB580_37
; %bb.31:
	v_cmp_eq_f32_e64 s[4:5], s22, 0
	s_waitcnt lgkmcnt(0)
	v_mul_f32_e32 v0, s24, v2
	s_and_b64 vcc, exec, s[4:5]
	s_cbranch_vccz .LBB580_45
; %bb.32:
	s_mov_b32 s3, 0x7f800000
	v_and_b32_e32 v1, 0x7f800000, v0
	v_cmp_ne_u32_e32 vcc, s3, v1
                                        ; implicit-def: $vgpr1
	s_and_saveexec_b64 s[4:5], vcc
	s_xor_b64 s[4:5], exec, s[4:5]
; %bb.33:
	v_bfe_u32 v1, v0, 16, 1
	s_movk_i32 s3, 0x7fff
	v_add3_u32 v1, v0, v1, s3
; %bb.34:
	s_andn2_saveexec_b64 s[4:5], s[4:5]
; %bb.35:
	v_mov_b32_e32 v1, 0
	v_or_b32_e32 v2, 0x10000, v0
	v_cmp_eq_u32_sdwa vcc, v0, v1 src0_sel:WORD_0 src1_sel:DWORD
	s_nop 1
	v_cndmask_b32_e32 v1, v2, v0, vcc
; %bb.36:
	s_or_b64 exec, exec, s[4:5]
	s_mul_i32 s14, s2, s23
	s_cbranch_execz .LBB580_46
	s_branch .LBB580_56
.LBB580_37:
	s_or_b64 exec, exec, s[0:1]
	s_and_saveexec_b64 s[0:1], s[6:7]
	s_cbranch_execz .LBB580_39
.LBB580_38:
	s_lshl_b64 s[0:1], s[14:15], 1
	s_add_u32 s0, s20, s0
	s_addc_u32 s1, s21, s1
	v_mov_b32_e32 v0, 0
	global_store_short v0, v1, s[0:1]
.LBB580_39:
	s_endpgm
.LBB580_40:
                                        ; implicit-def: $sgpr7
.LBB580_41:
	s_and_b32 s4, s6, 0xffff
	s_or_b32 s5, s6, 0x10000
	s_cmp_eq_u32 s4, 0
	s_cselect_b32 s7, s6, s5
.LBB580_42:
	s_lshr_b32 s25, s7, 16
.LBB580_43:
	s_mov_b64 s[6:7], exec
	s_or_b64 exec, exec, s[18:19]
	s_and_b64 vcc, exec, s[16:17]
	s_cbranch_vccnz .LBB580_7
.LBB580_44:
	v_mov_b32_e32 v1, s25
	s_and_saveexec_b64 s[0:1], s[6:7]
	s_cbranch_execnz .LBB580_38
	s_branch .LBB580_39
.LBB580_45:
                                        ; implicit-def: $vgpr1
	s_mul_i32 s14, s2, s23
.LBB580_46:
	s_ashr_i32 s15, s14, 31
	s_lshl_b64 s[2:3], s[14:15], 1
	s_add_u32 s2, s20, s2
	s_addc_u32 s3, s21, s3
	v_mov_b32_e32 v1, 0
	global_load_ushort v1, v1, s[2:3]
	s_mov_b32 s2, 0x7f800000
	s_waitcnt vmcnt(0)
	v_lshlrev_b32_e32 v1, 16, v1
	v_mul_f32_e32 v1, s22, v1
	v_and_b32_e32 v2, 0x7f800000, v1
	v_cmp_eq_u32_e32 vcc, s2, v2
	v_readfirstlane_b32 s4, v1
	s_cbranch_vccnz .LBB580_48
; %bb.47:
	s_bfe_u32 s2, s4, 0x10010
	s_add_i32 s2, s4, s2
	s_add_i32 s5, s2, 0x7fff
	s_mov_b64 s[2:3], 0
	s_branch .LBB580_49
.LBB580_48:
	s_mov_b64 s[2:3], -1
                                        ; implicit-def: $sgpr5
.LBB580_49:
	s_andn2_b64 vcc, exec, s[2:3]
	s_cbranch_vccnz .LBB580_51
; %bb.50:
	s_and_b32 s2, s4, 0xffff
	s_or_b32 s3, s4, 0x10000
	s_cmp_eq_u32 s2, 0
	s_cselect_b32 s5, s4, s3
.LBB580_51:
	s_and_b32 s2, s5, 0xffff0000
	v_add_f32_e32 v0, s2, v0
	s_mov_b32 s2, 0x7f800000
	v_and_b32_e32 v1, 0x7f800000, v0
	v_cmp_ne_u32_e32 vcc, s2, v1
                                        ; implicit-def: $vgpr1
	s_and_saveexec_b64 s[2:3], vcc
	s_xor_b64 s[2:3], exec, s[2:3]
; %bb.52:
	v_bfe_u32 v1, v0, 16, 1
	s_movk_i32 s4, 0x7fff
	v_add3_u32 v1, v0, v1, s4
                                        ; implicit-def: $vgpr0
; %bb.53:
	s_andn2_saveexec_b64 s[2:3], s[2:3]
; %bb.54:
	v_mov_b32_e32 v1, 0
	v_or_b32_e32 v2, 0x10000, v0
	v_cmp_eq_u32_sdwa vcc, v0, v1 src0_sel:WORD_0 src1_sel:DWORD
	s_nop 1
	v_cndmask_b32_e32 v1, v2, v0, vcc
; %bb.55:
	s_or_b64 exec, exec, s[2:3]
.LBB580_56:
	v_lshrrev_b32_e32 v1, 16, v1
	s_ashr_i32 s15, s14, 31
	s_or_b64 s[6:7], s[6:7], exec
	s_or_b64 exec, exec, s[0:1]
	s_and_saveexec_b64 s[0:1], s[6:7]
	s_cbranch_execnz .LBB580_38
	s_branch .LBB580_39
	.section	.rodata,"a",@progbits
	.p2align	6, 0x0
	.amdhsa_kernel _ZL32rocblas_gemvt_warp_reduce_kernelILb1ELi1024Ei16rocblas_bfloat16PKfS0_EviiT3_lPKT2_lT1_lS6_lS7_lS3_lPT4_lS7_li
		.amdhsa_group_segment_fixed_size 256
		.amdhsa_private_segment_fixed_size 0
		.amdhsa_kernarg_size 140
		.amdhsa_user_sgpr_count 2
		.amdhsa_user_sgpr_dispatch_ptr 0
		.amdhsa_user_sgpr_queue_ptr 0
		.amdhsa_user_sgpr_kernarg_segment_ptr 1
		.amdhsa_user_sgpr_dispatch_id 0
		.amdhsa_user_sgpr_kernarg_preload_length 0
		.amdhsa_user_sgpr_kernarg_preload_offset 0
		.amdhsa_user_sgpr_private_segment_size 0
		.amdhsa_uses_dynamic_stack 0
		.amdhsa_enable_private_segment 0
		.amdhsa_system_sgpr_workgroup_id_x 1
		.amdhsa_system_sgpr_workgroup_id_y 0
		.amdhsa_system_sgpr_workgroup_id_z 1
		.amdhsa_system_sgpr_workgroup_info 0
		.amdhsa_system_vgpr_workitem_id 0
		.amdhsa_next_free_vgpr 14
		.amdhsa_next_free_sgpr 32
		.amdhsa_accum_offset 16
		.amdhsa_reserve_vcc 1
		.amdhsa_float_round_mode_32 0
		.amdhsa_float_round_mode_16_64 0
		.amdhsa_float_denorm_mode_32 3
		.amdhsa_float_denorm_mode_16_64 3
		.amdhsa_dx10_clamp 1
		.amdhsa_ieee_mode 1
		.amdhsa_fp16_overflow 0
		.amdhsa_tg_split 0
		.amdhsa_exception_fp_ieee_invalid_op 0
		.amdhsa_exception_fp_denorm_src 0
		.amdhsa_exception_fp_ieee_div_zero 0
		.amdhsa_exception_fp_ieee_overflow 0
		.amdhsa_exception_fp_ieee_underflow 0
		.amdhsa_exception_fp_ieee_inexact 0
		.amdhsa_exception_int_div_zero 0
	.end_amdhsa_kernel
	.section	.text._ZL32rocblas_gemvt_warp_reduce_kernelILb1ELi1024Ei16rocblas_bfloat16PKfS0_EviiT3_lPKT2_lT1_lS6_lS7_lS3_lPT4_lS7_li,"axG",@progbits,_ZL32rocblas_gemvt_warp_reduce_kernelILb1ELi1024Ei16rocblas_bfloat16PKfS0_EviiT3_lPKT2_lT1_lS6_lS7_lS3_lPT4_lS7_li,comdat
.Lfunc_end580:
	.size	_ZL32rocblas_gemvt_warp_reduce_kernelILb1ELi1024Ei16rocblas_bfloat16PKfS0_EviiT3_lPKT2_lT1_lS6_lS7_lS3_lPT4_lS7_li, .Lfunc_end580-_ZL32rocblas_gemvt_warp_reduce_kernelILb1ELi1024Ei16rocblas_bfloat16PKfS0_EviiT3_lPKT2_lT1_lS6_lS7_lS3_lPT4_lS7_li
                                        ; -- End function
	.section	.AMDGPU.csdata,"",@progbits
; Kernel info:
; codeLenInByte = 1996
; NumSgprs: 38
; NumVgprs: 14
; NumAgprs: 0
; TotalNumVgprs: 14
; ScratchSize: 0
; MemoryBound: 0
; FloatMode: 240
; IeeeMode: 1
; LDSByteSize: 256 bytes/workgroup (compile time only)
; SGPRBlocks: 4
; VGPRBlocks: 1
; NumSGPRsForWavesPerEU: 38
; NumVGPRsForWavesPerEU: 14
; AccumOffset: 16
; Occupancy: 8
; WaveLimiterHint : 1
; COMPUTE_PGM_RSRC2:SCRATCH_EN: 0
; COMPUTE_PGM_RSRC2:USER_SGPR: 2
; COMPUTE_PGM_RSRC2:TRAP_HANDLER: 0
; COMPUTE_PGM_RSRC2:TGID_X_EN: 1
; COMPUTE_PGM_RSRC2:TGID_Y_EN: 0
; COMPUTE_PGM_RSRC2:TGID_Z_EN: 1
; COMPUTE_PGM_RSRC2:TIDIG_COMP_CNT: 0
; COMPUTE_PGM_RSRC3_GFX90A:ACCUM_OFFSET: 3
; COMPUTE_PGM_RSRC3_GFX90A:TG_SPLIT: 0
	.section	.text._ZL32rocblas_gemvt_warp_reduce_kernelILb1ELi1024El16rocblas_bfloat16PKfS0_EviiT3_lPKT2_lT1_lS6_lS7_lS3_lPT4_lS7_li,"axG",@progbits,_ZL32rocblas_gemvt_warp_reduce_kernelILb1ELi1024El16rocblas_bfloat16PKfS0_EviiT3_lPKT2_lT1_lS6_lS7_lS3_lPT4_lS7_li,comdat
	.globl	_ZL32rocblas_gemvt_warp_reduce_kernelILb1ELi1024El16rocblas_bfloat16PKfS0_EviiT3_lPKT2_lT1_lS6_lS7_lS3_lPT4_lS7_li ; -- Begin function _ZL32rocblas_gemvt_warp_reduce_kernelILb1ELi1024El16rocblas_bfloat16PKfS0_EviiT3_lPKT2_lT1_lS6_lS7_lS3_lPT4_lS7_li
	.p2align	8
	.type	_ZL32rocblas_gemvt_warp_reduce_kernelILb1ELi1024El16rocblas_bfloat16PKfS0_EviiT3_lPKT2_lT1_lS6_lS7_lS3_lPT4_lS7_li,@function
_ZL32rocblas_gemvt_warp_reduce_kernelILb1ELi1024El16rocblas_bfloat16PKfS0_EviiT3_lPKT2_lT1_lS6_lS7_lS3_lPT4_lS7_li: ; @_ZL32rocblas_gemvt_warp_reduce_kernelILb1ELi1024El16rocblas_bfloat16PKfS0_EviiT3_lPKT2_lT1_lS6_lS7_lS3_lPT4_lS7_li
; %bb.0:
	s_load_dwordx16 s[36:51], s[0:1], 0x8
	s_load_dwordx16 s[8:23], s[0:1], 0x48
	s_waitcnt lgkmcnt(0)
	s_mul_i32 s4, s3, s39
	s_mul_hi_u32 s5, s3, s38
	s_add_i32 s5, s5, s4
	s_mul_i32 s4, s3, s38
	s_lshl_b64 s[4:5], s[4:5], 2
	s_add_u32 s4, s36, s4
	s_addc_u32 s5, s37, s5
	s_load_dword s25, s[4:5], 0x0
	s_mul_i32 s4, s3, s15
	s_mul_hi_u32 s5, s3, s14
	s_add_i32 s5, s5, s4
	s_mul_i32 s4, s3, s14
	s_lshl_b64 s[4:5], s[4:5], 2
	s_add_u32 s4, s12, s4
	s_addc_u32 s5, s13, s5
	s_load_dword s24, s[4:5], 0x0
	s_waitcnt lgkmcnt(0)
	v_cmp_eq_f32_e64 s[4:5], s25, 0
	v_cmp_eq_f32_e64 s[6:7], s24, 1.0
	s_and_b64 s[4:5], s[4:5], s[6:7]
	s_and_b64 vcc, exec, s[4:5]
	s_cbranch_vccnz .LBB581_39
; %bb.1:
	s_mul_i32 s4, s3, s23
	s_mul_hi_u32 s5, s3, s22
	s_add_i32 s5, s5, s4
	s_mul_i32 s4, s3, s22
	s_lshl_b64 s[4:5], s[4:5], 1
	s_add_u32 s6, s16, s4
	s_addc_u32 s7, s17, s5
	s_lshl_b64 s[4:5], s[18:19], 1
	s_add_u32 s22, s6, s4
	s_addc_u32 s23, s7, s5
	v_cmp_neq_f32_e64 s[4:5], s25, 0
	s_and_b64 vcc, exec, s[4:5]
	v_cmp_eq_u32_e64 s[4:5], 0, v0
	s_cbranch_vccnz .LBB581_6
; %bb.2:
	s_mov_b64 s[14:15], 0
	s_mov_b64 s[6:7], 0
                                        ; implicit-def: $sgpr18
                                        ; implicit-def: $sgpr12_sgpr13
	s_and_saveexec_b64 s[16:17], s[4:5]
	s_cbranch_execz .LBB581_14
; %bb.3:
	s_ashr_i32 s6, s2, 31
	s_mul_i32 s7, s2, s21
	s_mul_hi_u32 s12, s2, s20
	v_cmp_eq_f32_e64 s[4:5], s24, 0
	s_add_i32 s7, s12, s7
	s_mul_i32 s6, s6, s20
	s_mov_b32 s18, 0
	s_add_i32 s13, s7, s6
	s_mul_i32 s12, s2, s20
	s_and_b64 vcc, exec, s[4:5]
	s_cbranch_vccnz .LBB581_43
; %bb.4:
	s_lshl_b64 s[4:5], s[12:13], 1
	s_add_u32 s4, s22, s4
	s_addc_u32 s5, s23, s5
	v_mov_b32_e32 v1, 0
	global_load_ushort v1, v1, s[4:5]
	s_mov_b32 s4, 0x7f800000
	s_waitcnt vmcnt(0)
	v_lshlrev_b32_e32 v1, 16, v1
	v_mul_f32_e32 v1, s24, v1
	v_and_b32_e32 v2, 0x7f800000, v1
	v_cmp_eq_u32_e32 vcc, s4, v2
	v_readfirstlane_b32 s6, v1
	s_cbranch_vccnz .LBB581_40
; %bb.5:
	s_bfe_u32 s4, s6, 0x10010
	s_add_i32 s4, s6, s4
	s_add_i32 s7, s4, 0x7fff
	s_cbranch_execz .LBB581_41
	s_branch .LBB581_42
.LBB581_6:
	s_mov_b64 s[6:7], 0
                                        ; implicit-def: $sgpr18
                                        ; implicit-def: $sgpr12_sgpr13
	s_cbranch_execz .LBB581_44
.LBB581_7:
	s_mul_i32 s4, s3, s11
	s_mul_hi_u32 s5, s3, s10
	s_add_i32 s5, s5, s4
	s_mul_i32 s4, s3, s10
	s_load_dword s1, s[0:1], 0x0
	s_mul_i32 s0, s3, s47
	s_mul_hi_u32 s10, s3, s46
	s_add_i32 s11, s10, s0
	s_mul_i32 s10, s3, s46
	s_lshl_b64 s[10:11], s[10:11], 1
	s_add_u32 s0, s40, s10
	s_addc_u32 s3, s41, s11
	s_lshl_b64 s[10:11], s[42:43], 1
	s_add_u32 s0, s0, s10
	s_addc_u32 s12, s3, s11
	s_ashr_i32 s3, s2, 31
	s_mul_i32 s10, s2, s45
	s_mul_hi_u32 s11, s2, s44
	s_add_i32 s10, s11, s10
	s_mul_i32 s11, s3, s44
	s_add_i32 s11, s10, s11
	s_mul_i32 s10, s2, s44
	s_lshl_b64 s[10:11], s[10:11], 1
	s_add_u32 s10, s10, s0
	s_addc_u32 s11, s11, s12
	s_waitcnt lgkmcnt(0)
	s_ashr_i32 s0, s1, 31
	v_cmp_gt_i32_e32 vcc, s1, v0
	s_lshr_b32 s0, s0, 22
	s_add_i32 s0, s1, s0
	v_cndmask_b32_e32 v1, 0, v0, vcc
	v_lshlrev_b32_e32 v2, 1, v1
	v_mov_b32_e32 v3, 0
	s_and_b32 s0, s0, 0xfffffc00
	v_lshl_add_u64 v[4:5], s[10:11], 0, v[2:3]
	v_cmp_gt_i32_e32 vcc, s0, v0
	s_and_saveexec_b64 s[10:11], vcc
	s_cbranch_execz .LBB581_16
; %bb.8:
	v_mad_u64_u32 v[2:3], s[14:15], s8, v0, 0
	v_mov_b32_e32 v6, v3
	v_mad_u64_u32 v[6:7], s[14:15], s9, v0, v[6:7]
	s_lshl_b64 s[12:13], s[4:5], 1
	s_lshl_b64 s[14:15], s[50:51], 1
	s_add_u32 s14, s48, s14
	s_addc_u32 s15, s49, s15
	s_add_u32 s12, s14, s12
	v_mov_b32_e32 v3, v6
	s_addc_u32 s13, s15, s13
	v_lshl_add_u64 v[6:7], v[2:3], 1, s[12:13]
	s_lshl_b64 s[14:15], s[8:9], 11
	s_mov_b64 s[12:13], 0
	v_mov_b32_e32 v1, 0
	s_mov_b32 s26, 0x7f800000
	s_movk_i32 s27, 0x7fff
	s_mov_b64 s[16:17], 0x800
	v_mov_b64_e32 v[8:9], v[4:5]
	v_mov_b32_e32 v2, v0
	v_mov_b32_e32 v3, 0
	s_branch .LBB581_10
.LBB581_9:                              ;   in Loop: Header=BB581_10 Depth=1
	s_or_b64 exec, exec, s[18:19]
	v_add_u32_e32 v2, 0x400, v2
	v_and_b32_e32 v10, 0xffff0000, v12
	v_cmp_le_i32_e32 vcc, s0, v2
	v_add_f32_e32 v3, v3, v10
	v_lshl_add_u64 v[8:9], v[8:9], 0, s[16:17]
	s_or_b64 s[12:13], vcc, s[12:13]
	v_lshl_add_u64 v[6:7], v[6:7], 0, s[14:15]
	s_andn2_b64 exec, exec, s[12:13]
	s_cbranch_execz .LBB581_15
.LBB581_10:                             ; =>This Inner Loop Header: Depth=1
	global_load_ushort v10, v[6:7], off
	global_load_ushort v11, v[8:9], off
	s_waitcnt vmcnt(1)
	v_lshlrev_b32_e32 v10, 16, v10
	s_waitcnt vmcnt(0)
	v_lshlrev_b32_e32 v12, 16, v11
	v_pk_mul_f32 v[10:11], v[10:11], v[12:13] op_sel_hi:[0,1]
	v_and_b32_e32 v11, 0x7f800000, v10
	v_cmp_ne_u32_e32 vcc, s26, v11
                                        ; implicit-def: $vgpr12
	s_and_saveexec_b64 s[18:19], vcc
	s_xor_b64 s[18:19], exec, s[18:19]
; %bb.11:                               ;   in Loop: Header=BB581_10 Depth=1
	v_bfe_u32 v11, v10, 16, 1
	v_add3_u32 v12, v10, v11, s27
                                        ; implicit-def: $vgpr10_vgpr11
; %bb.12:                               ;   in Loop: Header=BB581_10 Depth=1
	s_andn2_saveexec_b64 s[18:19], s[18:19]
	s_cbranch_execz .LBB581_9
; %bb.13:                               ;   in Loop: Header=BB581_10 Depth=1
	v_or_b32_e32 v11, 0x10000, v10
	v_cmp_eq_u32_sdwa vcc, v10, v1 src0_sel:WORD_0 src1_sel:DWORD
	s_nop 1
	v_cndmask_b32_e32 v12, v11, v10, vcc
	s_branch .LBB581_9
.LBB581_14:
	s_or_b64 exec, exec, s[16:17]
	s_and_b64 vcc, exec, s[14:15]
	s_cbranch_vccnz .LBB581_7
	s_branch .LBB581_44
.LBB581_15:
	s_or_b64 exec, exec, s[12:13]
.LBB581_16:
	s_or_b64 exec, exec, s[10:11]
	v_or_b32_e32 v1, s0, v0
	v_cmp_gt_i32_e32 vcc, s1, v1
	s_and_saveexec_b64 s[10:11], vcc
	s_cbranch_execz .LBB581_22
; %bb.17:
	s_lshl_b64 s[4:5], s[4:5], 1
	s_add_u32 s1, s48, s4
	s_addc_u32 s12, s49, s5
	s_lshl_b64 s[4:5], s[50:51], 1
	s_add_u32 s4, s1, s4
	s_addc_u32 s5, s12, s5
	s_ashr_i32 s1, s0, 31
	v_ashrrev_i32_e32 v2, 31, v1
	v_lshl_add_u64 v[4:5], s[0:1], 1, v[4:5]
	v_mul_lo_u32 v8, v1, s9
	v_mul_lo_u32 v2, v2, s8
	v_mad_u64_u32 v[6:7], s[0:1], v1, s8, 0
	v_add3_u32 v7, v7, v8, v2
	v_lshl_add_u64 v[6:7], v[6:7], 1, s[4:5]
	global_load_ushort v1, v[6:7], off
	global_load_ushort v8, v[4:5], off
	s_mov_b32 s0, 0x7f800000
	s_waitcnt vmcnt(1)
	v_lshlrev_b32_e32 v2, 16, v1
	s_waitcnt vmcnt(0)
	v_lshlrev_b32_e32 v4, 16, v8
	v_pk_mul_f32 v[4:5], v[2:3], v[4:5] op_sel_hi:[0,1]
	v_and_b32_e32 v1, 0x7f800000, v4
	v_cmp_ne_u32_e32 vcc, s0, v1
                                        ; implicit-def: $vgpr1
	s_and_saveexec_b64 s[0:1], vcc
	s_xor_b64 s[0:1], exec, s[0:1]
; %bb.18:
	v_bfe_u32 v1, v4, 16, 1
	s_movk_i32 s4, 0x7fff
	v_add3_u32 v1, v4, v1, s4
                                        ; implicit-def: $vgpr4_vgpr5
; %bb.19:
	s_andn2_saveexec_b64 s[0:1], s[0:1]
; %bb.20:
	v_mov_b32_e32 v1, 0
	v_or_b32_e32 v2, 0x10000, v4
	v_cmp_eq_u32_sdwa vcc, v4, v1 src0_sel:WORD_0 src1_sel:DWORD
	s_nop 1
	v_cndmask_b32_e32 v1, v2, v4, vcc
; %bb.21:
	s_or_b64 exec, exec, s[0:1]
	v_and_b32_e32 v1, 0xffff0000, v1
	v_add_f32_e32 v3, v3, v1
.LBB581_22:
	s_or_b64 exec, exec, s[10:11]
	v_and_b32_e32 v2, 63, v0
	v_cmp_gt_u32_e32 vcc, 64, v0
	v_lshlrev_b32_e32 v1, 2, v2
	s_and_saveexec_b64 s[0:1], vcc
	s_cbranch_execz .LBB581_24
; %bb.23:
	v_mov_b32_e32 v4, 0
	ds_write_b32 v1, v4
.LBB581_24:
	s_or_b64 exec, exec, s[0:1]
	v_mbcnt_lo_u32_b32 v4, -1, 0
	v_mbcnt_hi_u32_b32 v6, -1, v4
	v_and_b32_e32 v7, 63, v6
	v_cmp_gt_u32_e64 s[0:1], 32, v7
	s_waitcnt lgkmcnt(0)
	s_barrier
	v_cndmask_b32_e64 v4, 0, 1, s[0:1]
	v_lshlrev_b32_e32 v4, 5, v4
	v_add_lshl_u32 v4, v4, v6, 2
	ds_bpermute_b32 v4, v4, v3
	v_cmp_gt_u32_e64 s[0:1], 48, v7
	s_waitcnt lgkmcnt(0)
	v_add_f32_e32 v3, v3, v4
	v_cndmask_b32_e64 v5, 0, 1, s[0:1]
	v_lshlrev_b32_e32 v5, 4, v5
	v_add_lshl_u32 v4, v5, v6, 2
	ds_bpermute_b32 v4, v4, v3
	v_cmp_gt_u32_e64 s[0:1], 56, v7
	s_waitcnt lgkmcnt(0)
	v_add_f32_e32 v4, v3, v4
	;; [unrolled: 7-line block ×4, first 2 shown]
	v_cndmask_b32_e64 v9, 0, 1, s[0:1]
	v_lshlrev_b32_e32 v9, 1, v9
	v_add_lshl_u32 v5, v9, v6, 2
	ds_bpermute_b32 v9, v5, v8
	v_cmp_ne_u32_e64 s[0:1], 63, v7
	s_waitcnt lgkmcnt(0)
	v_add_f32_e32 v7, v8, v9
	v_addc_co_u32_e64 v6, s[0:1], 0, v6, s[0:1]
	v_lshlrev_b32_e32 v6, 2, v6
	ds_bpermute_b32 v8, v6, v7
	v_cmp_eq_u32_e64 s[0:1], 0, v2
	s_and_saveexec_b64 s[4:5], s[0:1]
	s_cbranch_execz .LBB581_26
; %bb.25:
	v_lshrrev_b32_e32 v2, 4, v0
	v_and_b32_e32 v2, 60, v2
	s_waitcnt lgkmcnt(0)
	v_add_f32_e32 v7, v7, v8
	ds_write_b32 v2, v7
.LBB581_26:
	s_or_b64 exec, exec, s[4:5]
	v_cmp_gt_u32_e64 s[0:1], 16, v0
	v_mov_b32_e32 v2, 0
	s_waitcnt lgkmcnt(0)
	s_barrier
	s_and_saveexec_b64 s[4:5], s[0:1]
	s_cbranch_execz .LBB581_28
; %bb.27:
	ds_read_b32 v2, v1
	s_or_b64 exec, exec, s[4:5]
	s_and_saveexec_b64 s[0:1], vcc
	s_cbranch_execz .LBB581_30
	s_branch .LBB581_29
.LBB581_28:
	s_or_b64 exec, exec, s[4:5]
	s_and_saveexec_b64 s[0:1], vcc
	s_cbranch_execz .LBB581_30
.LBB581_29:
	s_waitcnt lgkmcnt(0)
	ds_bpermute_b32 v1, v3, v2
	s_waitcnt lgkmcnt(0)
	v_add_f32_e32 v1, v2, v1
	ds_bpermute_b32 v2, v4, v1
	s_waitcnt lgkmcnt(0)
	v_add_f32_e32 v1, v1, v2
	;; [unrolled: 3-line block ×4, first 2 shown]
.LBB581_30:
	s_or_b64 exec, exec, s[0:1]
	v_cmp_eq_u32_e32 vcc, 0, v0
                                        ; implicit-def: $vgpr1
                                        ; implicit-def: $sgpr12_sgpr13
	s_and_saveexec_b64 s[0:1], vcc
	s_cbranch_execz .LBB581_37
; %bb.31:
	v_cmp_eq_f32_e64 s[4:5], s24, 0
	s_waitcnt lgkmcnt(0)
	v_mul_f32_e32 v0, s25, v2
	s_and_b64 vcc, exec, s[4:5]
	s_cbranch_vccz .LBB581_45
; %bb.32:
	s_mov_b32 s4, 0x7f800000
	v_and_b32_e32 v1, 0x7f800000, v0
	v_cmp_ne_u32_e32 vcc, s4, v1
                                        ; implicit-def: $vgpr1
	s_and_saveexec_b64 s[4:5], vcc
	s_xor_b64 s[4:5], exec, s[4:5]
; %bb.33:
	v_bfe_u32 v1, v0, 16, 1
	s_movk_i32 s8, 0x7fff
	v_add3_u32 v1, v0, v1, s8
; %bb.34:
	s_andn2_saveexec_b64 s[4:5], s[4:5]
; %bb.35:
	v_mov_b32_e32 v1, 0
	v_or_b32_e32 v2, 0x10000, v0
	v_cmp_eq_u32_sdwa vcc, v0, v1 src0_sel:WORD_0 src1_sel:DWORD
	s_nop 1
	v_cndmask_b32_e32 v1, v2, v0, vcc
; %bb.36:
	s_or_b64 exec, exec, s[4:5]
	s_mov_b64 s[4:5], 0
	s_branch .LBB581_46
.LBB581_37:
	s_or_b64 exec, exec, s[0:1]
	s_and_saveexec_b64 s[0:1], s[6:7]
	s_cbranch_execz .LBB581_39
.LBB581_38:
	s_lshl_b64 s[0:1], s[12:13], 1
	s_add_u32 s0, s22, s0
	s_addc_u32 s1, s23, s1
	v_mov_b32_e32 v0, 0
	global_store_short v0, v1, s[0:1]
.LBB581_39:
	s_endpgm
.LBB581_40:
                                        ; implicit-def: $sgpr7
.LBB581_41:
	s_and_b32 s4, s6, 0xffff
	s_or_b32 s5, s6, 0x10000
	s_cmp_eq_u32 s4, 0
	s_cselect_b32 s7, s6, s5
.LBB581_42:
	s_lshr_b32 s18, s7, 16
.LBB581_43:
	s_mov_b64 s[6:7], exec
	s_or_b64 exec, exec, s[16:17]
	s_and_b64 vcc, exec, s[14:15]
	s_cbranch_vccnz .LBB581_7
.LBB581_44:
	v_mov_b32_e32 v1, s18
	s_and_saveexec_b64 s[0:1], s[6:7]
	s_cbranch_execnz .LBB581_38
	s_branch .LBB581_39
.LBB581_45:
	s_mov_b64 s[4:5], -1
                                        ; implicit-def: $vgpr1
.LBB581_46:
	s_andn2_b64 vcc, exec, s[4:5]
	s_mul_i32 s4, s2, s21
	s_mul_hi_u32 s5, s2, s20
	s_mul_i32 s8, s3, s20
	s_mul_i32 s12, s2, s20
	s_cbranch_vccnz .LBB581_57
; %bb.47:
	s_add_i32 s2, s5, s4
	s_add_i32 s13, s2, s8
	s_lshl_b64 s[2:3], s[12:13], 1
	s_add_u32 s2, s22, s2
	s_addc_u32 s3, s23, s3
	v_mov_b32_e32 v1, 0
	global_load_ushort v1, v1, s[2:3]
	s_mov_b32 s2, 0x7f800000
	s_waitcnt vmcnt(0)
	v_lshlrev_b32_e32 v1, 16, v1
	v_mul_f32_e32 v1, s24, v1
	v_and_b32_e32 v2, 0x7f800000, v1
	v_cmp_eq_u32_e32 vcc, s2, v2
	v_readfirstlane_b32 s9, v1
	s_cbranch_vccnz .LBB581_49
; %bb.48:
	s_bfe_u32 s2, s9, 0x10010
	s_add_i32 s2, s9, s2
	s_add_i32 s10, s2, 0x7fff
	s_mov_b64 s[2:3], 0
	s_branch .LBB581_50
.LBB581_49:
	s_mov_b64 s[2:3], -1
                                        ; implicit-def: $sgpr10
.LBB581_50:
	s_andn2_b64 vcc, exec, s[2:3]
	s_cbranch_vccnz .LBB581_52
; %bb.51:
	s_and_b32 s2, s9, 0xffff
	s_or_b32 s3, s9, 0x10000
	s_cmp_eq_u32 s2, 0
	s_cselect_b32 s10, s9, s3
.LBB581_52:
	s_and_b32 s2, s10, 0xffff0000
	v_add_f32_e32 v0, s2, v0
	s_mov_b32 s2, 0x7f800000
	v_and_b32_e32 v1, 0x7f800000, v0
	v_cmp_ne_u32_e32 vcc, s2, v1
                                        ; implicit-def: $vgpr1
	s_and_saveexec_b64 s[2:3], vcc
	s_xor_b64 s[2:3], exec, s[2:3]
; %bb.53:
	v_bfe_u32 v1, v0, 16, 1
	s_movk_i32 s9, 0x7fff
	v_add3_u32 v1, v0, v1, s9
                                        ; implicit-def: $vgpr0
; %bb.54:
	s_andn2_saveexec_b64 s[2:3], s[2:3]
; %bb.55:
	v_mov_b32_e32 v1, 0
	v_or_b32_e32 v2, 0x10000, v0
	v_cmp_eq_u32_sdwa vcc, v0, v1 src0_sel:WORD_0 src1_sel:DWORD
	s_nop 1
	v_cndmask_b32_e32 v1, v2, v0, vcc
; %bb.56:
	s_or_b64 exec, exec, s[2:3]
.LBB581_57:
	s_add_i32 s2, s5, s4
	v_lshrrev_b32_e32 v1, 16, v1
	s_add_i32 s13, s2, s8
	s_or_b64 s[6:7], s[6:7], exec
	s_or_b64 exec, exec, s[0:1]
	s_and_saveexec_b64 s[0:1], s[6:7]
	s_cbranch_execnz .LBB581_38
	s_branch .LBB581_39
	.section	.rodata,"a",@progbits
	.p2align	6, 0x0
	.amdhsa_kernel _ZL32rocblas_gemvt_warp_reduce_kernelILb1ELi1024El16rocblas_bfloat16PKfS0_EviiT3_lPKT2_lT1_lS6_lS7_lS3_lPT4_lS7_li
		.amdhsa_group_segment_fixed_size 256
		.amdhsa_private_segment_fixed_size 0
		.amdhsa_kernarg_size 140
		.amdhsa_user_sgpr_count 2
		.amdhsa_user_sgpr_dispatch_ptr 0
		.amdhsa_user_sgpr_queue_ptr 0
		.amdhsa_user_sgpr_kernarg_segment_ptr 1
		.amdhsa_user_sgpr_dispatch_id 0
		.amdhsa_user_sgpr_kernarg_preload_length 0
		.amdhsa_user_sgpr_kernarg_preload_offset 0
		.amdhsa_user_sgpr_private_segment_size 0
		.amdhsa_uses_dynamic_stack 0
		.amdhsa_enable_private_segment 0
		.amdhsa_system_sgpr_workgroup_id_x 1
		.amdhsa_system_sgpr_workgroup_id_y 0
		.amdhsa_system_sgpr_workgroup_id_z 1
		.amdhsa_system_sgpr_workgroup_info 0
		.amdhsa_system_vgpr_workitem_id 0
		.amdhsa_next_free_vgpr 14
		.amdhsa_next_free_sgpr 52
		.amdhsa_accum_offset 16
		.amdhsa_reserve_vcc 1
		.amdhsa_float_round_mode_32 0
		.amdhsa_float_round_mode_16_64 0
		.amdhsa_float_denorm_mode_32 3
		.amdhsa_float_denorm_mode_16_64 3
		.amdhsa_dx10_clamp 1
		.amdhsa_ieee_mode 1
		.amdhsa_fp16_overflow 0
		.amdhsa_tg_split 0
		.amdhsa_exception_fp_ieee_invalid_op 0
		.amdhsa_exception_fp_denorm_src 0
		.amdhsa_exception_fp_ieee_div_zero 0
		.amdhsa_exception_fp_ieee_overflow 0
		.amdhsa_exception_fp_ieee_underflow 0
		.amdhsa_exception_fp_ieee_inexact 0
		.amdhsa_exception_int_div_zero 0
	.end_amdhsa_kernel
	.section	.text._ZL32rocblas_gemvt_warp_reduce_kernelILb1ELi1024El16rocblas_bfloat16PKfS0_EviiT3_lPKT2_lT1_lS6_lS7_lS3_lPT4_lS7_li,"axG",@progbits,_ZL32rocblas_gemvt_warp_reduce_kernelILb1ELi1024El16rocblas_bfloat16PKfS0_EviiT3_lPKT2_lT1_lS6_lS7_lS3_lPT4_lS7_li,comdat
.Lfunc_end581:
	.size	_ZL32rocblas_gemvt_warp_reduce_kernelILb1ELi1024El16rocblas_bfloat16PKfS0_EviiT3_lPKT2_lT1_lS6_lS7_lS3_lPT4_lS7_li, .Lfunc_end581-_ZL32rocblas_gemvt_warp_reduce_kernelILb1ELi1024El16rocblas_bfloat16PKfS0_EviiT3_lPKT2_lT1_lS6_lS7_lS3_lPT4_lS7_li
                                        ; -- End function
	.section	.AMDGPU.csdata,"",@progbits
; Kernel info:
; codeLenInByte = 2060
; NumSgprs: 58
; NumVgprs: 14
; NumAgprs: 0
; TotalNumVgprs: 14
; ScratchSize: 0
; MemoryBound: 0
; FloatMode: 240
; IeeeMode: 1
; LDSByteSize: 256 bytes/workgroup (compile time only)
; SGPRBlocks: 7
; VGPRBlocks: 1
; NumSGPRsForWavesPerEU: 58
; NumVGPRsForWavesPerEU: 14
; AccumOffset: 16
; Occupancy: 8
; WaveLimiterHint : 0
; COMPUTE_PGM_RSRC2:SCRATCH_EN: 0
; COMPUTE_PGM_RSRC2:USER_SGPR: 2
; COMPUTE_PGM_RSRC2:TRAP_HANDLER: 0
; COMPUTE_PGM_RSRC2:TGID_X_EN: 1
; COMPUTE_PGM_RSRC2:TGID_Y_EN: 0
; COMPUTE_PGM_RSRC2:TGID_Z_EN: 1
; COMPUTE_PGM_RSRC2:TIDIG_COMP_CNT: 0
; COMPUTE_PGM_RSRC3_GFX90A:ACCUM_OFFSET: 3
; COMPUTE_PGM_RSRC3_GFX90A:TG_SPLIT: 0
	.section	.text._ZL32rocblas_gemvt_warp_reduce_kernelILb1ELi1024Ei16rocblas_bfloat16fS0_EviiT3_lPKT2_lT1_lS4_lS5_lS1_lPT4_lS5_li,"axG",@progbits,_ZL32rocblas_gemvt_warp_reduce_kernelILb1ELi1024Ei16rocblas_bfloat16fS0_EviiT3_lPKT2_lT1_lS4_lS5_lS1_lPT4_lS5_li,comdat
	.globl	_ZL32rocblas_gemvt_warp_reduce_kernelILb1ELi1024Ei16rocblas_bfloat16fS0_EviiT3_lPKT2_lT1_lS4_lS5_lS1_lPT4_lS5_li ; -- Begin function _ZL32rocblas_gemvt_warp_reduce_kernelILb1ELi1024Ei16rocblas_bfloat16fS0_EviiT3_lPKT2_lT1_lS4_lS5_lS1_lPT4_lS5_li
	.p2align	8
	.type	_ZL32rocblas_gemvt_warp_reduce_kernelILb1ELi1024Ei16rocblas_bfloat16fS0_EviiT3_lPKT2_lT1_lS4_lS5_lS1_lPT4_lS5_li,@function
_ZL32rocblas_gemvt_warp_reduce_kernelILb1ELi1024Ei16rocblas_bfloat16fS0_EviiT3_lPKT2_lT1_lS4_lS5_lS1_lPT4_lS5_li: ; @_ZL32rocblas_gemvt_warp_reduce_kernelILb1ELi1024Ei16rocblas_bfloat16fS0_EviiT3_lPKT2_lT1_lS4_lS5_lS1_lPT4_lS5_li
; %bb.0:
	s_load_dword s20, s[0:1], 0x8
	s_load_dword s18, s[0:1], 0x58
	s_waitcnt lgkmcnt(0)
	v_cmp_eq_f32_e64 s[4:5], s20, 0
	v_cmp_eq_f32_e64 s[6:7], s18, 1.0
	s_and_b64 s[4:5], s[4:5], s[6:7]
	s_and_b64 vcc, exec, s[4:5]
	s_cbranch_vccnz .LBB582_39
; %bb.1:
	s_load_dwordx2 s[8:9], s[0:1], 0x80
	s_load_dwordx4 s[4:7], s[0:1], 0x68
	s_load_dword s19, s[0:1], 0x78
	s_waitcnt lgkmcnt(0)
	s_mul_i32 s9, s3, s9
	s_mul_hi_u32 s10, s3, s8
	s_mul_i32 s8, s3, s8
	s_add_i32 s9, s10, s9
	s_lshl_b64 s[8:9], s[8:9], 1
	s_add_u32 s8, s4, s8
	s_addc_u32 s9, s5, s9
	s_lshl_b64 s[4:5], s[6:7], 1
	s_add_u32 s16, s8, s4
	s_addc_u32 s17, s9, s5
	v_cmp_neq_f32_e64 s[4:5], s20, 0
	s_and_b64 vcc, exec, s[4:5]
	v_cmp_eq_u32_e64 s[4:5], 0, v0
	s_cbranch_vccnz .LBB582_6
; %bb.2:
	s_mov_b64 s[10:11], 0
	s_mov_b64 s[6:7], 0
                                        ; implicit-def: $sgpr14
                                        ; implicit-def: $sgpr8_sgpr9
	s_and_saveexec_b64 s[12:13], s[4:5]
	s_cbranch_execz .LBB582_14
; %bb.3:
	v_cmp_eq_f32_e64 s[4:5], s18, 0
	s_mul_i32 s8, s2, s19
	s_mov_b32 s14, 0
	s_ashr_i32 s9, s8, 31
	s_and_b64 vcc, exec, s[4:5]
	s_cbranch_vccnz .LBB582_43
; %bb.4:
	s_lshl_b64 s[4:5], s[8:9], 1
	s_add_u32 s4, s16, s4
	s_addc_u32 s5, s17, s5
	v_mov_b32_e32 v1, 0
	global_load_ushort v1, v1, s[4:5]
	s_mov_b32 s4, 0x7f800000
	s_waitcnt vmcnt(0)
	v_lshlrev_b32_e32 v1, 16, v1
	v_mul_f32_e32 v1, s18, v1
	v_and_b32_e32 v2, 0x7f800000, v1
	v_cmp_eq_u32_e32 vcc, s4, v2
	v_readfirstlane_b32 s6, v1
	s_cbranch_vccnz .LBB582_40
; %bb.5:
	s_bfe_u32 s4, s6, 0x10010
	s_add_i32 s4, s6, s4
	s_add_i32 s7, s4, 0x7fff
	s_cbranch_execz .LBB582_41
	s_branch .LBB582_42
.LBB582_6:
	s_mov_b64 s[6:7], 0
                                        ; implicit-def: $sgpr14
                                        ; implicit-def: $sgpr8_sgpr9
	s_cbranch_execz .LBB582_44
.LBB582_7:
	s_load_dwordx2 s[22:23], s[0:1], 0x50
	s_load_dword s5, s[0:1], 0x0
	s_load_dwordx4 s[8:11], s[0:1], 0x18
	s_load_dword s4, s[0:1], 0x28
	s_load_dwordx4 s[12:15], s[0:1], 0x30
	s_load_dwordx2 s[24:25], s[0:1], 0x40
	s_load_dword s21, s[0:1], 0x48
	s_waitcnt lgkmcnt(0)
	s_mul_i32 s0, s3, s23
	s_mul_hi_u32 s1, s3, s22
	s_add_i32 s1, s1, s0
	s_mul_i32 s0, s3, s22
	s_lshl_b64 s[0:1], s[0:1], 1
	s_add_u32 s14, s14, s0
	s_addc_u32 s15, s15, s1
	s_lshl_b64 s[0:1], s[24:25], 1
	s_add_u32 s0, s14, s0
	s_mul_i32 s13, s3, s13
	s_mul_hi_u32 s14, s3, s12
	s_addc_u32 s1, s15, s1
	s_add_i32 s13, s14, s13
	s_mul_i32 s12, s3, s12
	s_lshl_b64 s[12:13], s[12:13], 1
	s_add_u32 s3, s8, s12
	s_addc_u32 s12, s9, s13
	s_lshl_b64 s[8:9], s[10:11], 1
	s_add_u32 s3, s3, s8
	s_mul_i32 s8, s2, s4
	s_addc_u32 s10, s12, s9
	s_ashr_i32 s9, s8, 31
	s_lshl_b64 s[8:9], s[8:9], 1
	s_add_u32 s8, s8, s3
	s_addc_u32 s9, s9, s10
	s_ashr_i32 s3, s5, 31
	v_cmp_gt_i32_e32 vcc, s5, v0
	s_lshr_b32 s3, s3, 22
	s_add_i32 s3, s5, s3
	v_cndmask_b32_e32 v1, 0, v0, vcc
	v_lshlrev_b32_e32 v2, 1, v1
	v_mov_b32_e32 v3, 0
	s_and_b32 s4, s3, 0xfffffc00
	v_lshl_add_u64 v[4:5], s[8:9], 0, v[2:3]
	v_cmp_gt_i32_e32 vcc, s4, v0
	s_and_saveexec_b64 s[8:9], vcc
	s_cbranch_execz .LBB582_16
; %bb.8:
	v_mul_lo_u32 v6, v0, s21
	s_lshl_b32 s3, s21, 10
	s_mov_b64 s[10:11], 0
	v_mov_b32_e32 v1, 0
	s_mov_b32 s22, 0x7f800000
	s_movk_i32 s23, 0x7fff
	s_mov_b64 s[12:13], 0x800
	v_mov_b64_e32 v[8:9], v[4:5]
	v_mov_b32_e32 v2, v0
	v_mov_b32_e32 v3, 0
	s_branch .LBB582_10
.LBB582_9:                              ;   in Loop: Header=BB582_10 Depth=1
	s_or_b64 exec, exec, s[14:15]
	v_add_u32_e32 v2, 0x400, v2
	v_and_b32_e32 v7, 0xffff0000, v7
	v_cmp_le_i32_e32 vcc, s4, v2
	v_add_f32_e32 v3, v3, v7
	v_add_u32_e32 v6, s3, v6
	s_or_b64 s[10:11], vcc, s[10:11]
	v_lshl_add_u64 v[8:9], v[8:9], 0, s[12:13]
	s_andn2_b64 exec, exec, s[10:11]
	s_cbranch_execz .LBB582_15
.LBB582_10:                             ; =>This Inner Loop Header: Depth=1
	v_ashrrev_i32_e32 v7, 31, v6
	v_lshl_add_u64 v[10:11], v[6:7], 1, s[0:1]
	global_load_ushort v7, v[10:11], off
	global_load_ushort v12, v[8:9], off
	s_waitcnt vmcnt(1)
	v_lshlrev_b32_e32 v10, 16, v7
	s_waitcnt vmcnt(0)
	v_lshlrev_b32_e32 v12, 16, v12
	v_pk_mul_f32 v[10:11], v[10:11], v[12:13] op_sel_hi:[0,1]
	v_and_b32_e32 v7, 0x7f800000, v10
	v_cmp_ne_u32_e32 vcc, s22, v7
                                        ; implicit-def: $vgpr7
	s_and_saveexec_b64 s[14:15], vcc
	s_xor_b64 s[14:15], exec, s[14:15]
; %bb.11:                               ;   in Loop: Header=BB582_10 Depth=1
	v_bfe_u32 v7, v10, 16, 1
	v_add3_u32 v7, v10, v7, s23
                                        ; implicit-def: $vgpr10_vgpr11
; %bb.12:                               ;   in Loop: Header=BB582_10 Depth=1
	s_andn2_saveexec_b64 s[14:15], s[14:15]
	s_cbranch_execz .LBB582_9
; %bb.13:                               ;   in Loop: Header=BB582_10 Depth=1
	v_or_b32_e32 v7, 0x10000, v10
	v_cmp_eq_u32_sdwa vcc, v10, v1 src0_sel:WORD_0 src1_sel:DWORD
	s_nop 1
	v_cndmask_b32_e32 v7, v7, v10, vcc
	s_branch .LBB582_9
.LBB582_14:
	s_or_b64 exec, exec, s[12:13]
	s_and_b64 vcc, exec, s[10:11]
	s_cbranch_vccnz .LBB582_7
	s_branch .LBB582_44
.LBB582_15:
	s_or_b64 exec, exec, s[10:11]
.LBB582_16:
	s_or_b64 exec, exec, s[8:9]
	v_or_b32_e32 v1, s4, v0
	v_cmp_gt_i32_e32 vcc, s5, v1
	s_and_saveexec_b64 s[8:9], vcc
	s_cbranch_execz .LBB582_22
; %bb.17:
	s_ashr_i32 s5, s4, 31
	v_mul_lo_u32 v6, v1, s21
	v_lshl_add_u64 v[4:5], s[4:5], 1, v[4:5]
	v_ashrrev_i32_e32 v7, 31, v6
	v_lshl_add_u64 v[6:7], v[6:7], 1, s[0:1]
	global_load_ushort v1, v[4:5], off
	global_load_ushort v8, v[6:7], off
	s_mov_b32 s0, 0x7f800000
	s_waitcnt vmcnt(1)
	v_lshlrev_b32_e32 v2, 16, v1
	s_waitcnt vmcnt(0)
	v_lshlrev_b32_e32 v4, 16, v8
	v_pk_mul_f32 v[4:5], v[4:5], v[2:3] op_sel_hi:[0,1]
	v_and_b32_e32 v1, 0x7f800000, v4
	v_cmp_ne_u32_e32 vcc, s0, v1
                                        ; implicit-def: $vgpr1
	s_and_saveexec_b64 s[0:1], vcc
	s_xor_b64 s[0:1], exec, s[0:1]
; %bb.18:
	v_bfe_u32 v1, v4, 16, 1
	s_movk_i32 s3, 0x7fff
	v_add3_u32 v1, v4, v1, s3
                                        ; implicit-def: $vgpr4_vgpr5
; %bb.19:
	s_andn2_saveexec_b64 s[0:1], s[0:1]
; %bb.20:
	v_mov_b32_e32 v1, 0
	v_or_b32_e32 v2, 0x10000, v4
	v_cmp_eq_u32_sdwa vcc, v4, v1 src0_sel:WORD_0 src1_sel:DWORD
	s_nop 1
	v_cndmask_b32_e32 v1, v2, v4, vcc
; %bb.21:
	s_or_b64 exec, exec, s[0:1]
	v_and_b32_e32 v1, 0xffff0000, v1
	v_add_f32_e32 v3, v3, v1
.LBB582_22:
	s_or_b64 exec, exec, s[8:9]
	v_and_b32_e32 v2, 63, v0
	v_cmp_gt_u32_e32 vcc, 64, v0
	v_lshlrev_b32_e32 v1, 2, v2
	s_and_saveexec_b64 s[0:1], vcc
	s_cbranch_execz .LBB582_24
; %bb.23:
	v_mov_b32_e32 v4, 0
	ds_write_b32 v1, v4
.LBB582_24:
	s_or_b64 exec, exec, s[0:1]
	v_mbcnt_lo_u32_b32 v4, -1, 0
	v_mbcnt_hi_u32_b32 v6, -1, v4
	v_and_b32_e32 v7, 63, v6
	v_cmp_gt_u32_e64 s[0:1], 32, v7
	s_waitcnt lgkmcnt(0)
	s_barrier
	v_cndmask_b32_e64 v4, 0, 1, s[0:1]
	v_lshlrev_b32_e32 v4, 5, v4
	v_add_lshl_u32 v4, v4, v6, 2
	ds_bpermute_b32 v4, v4, v3
	v_cmp_gt_u32_e64 s[0:1], 48, v7
	s_waitcnt lgkmcnt(0)
	v_add_f32_e32 v3, v3, v4
	v_cndmask_b32_e64 v5, 0, 1, s[0:1]
	v_lshlrev_b32_e32 v5, 4, v5
	v_add_lshl_u32 v4, v5, v6, 2
	ds_bpermute_b32 v4, v4, v3
	v_cmp_gt_u32_e64 s[0:1], 56, v7
	s_waitcnt lgkmcnt(0)
	v_add_f32_e32 v4, v3, v4
	;; [unrolled: 7-line block ×4, first 2 shown]
	v_cndmask_b32_e64 v9, 0, 1, s[0:1]
	v_lshlrev_b32_e32 v9, 1, v9
	v_add_lshl_u32 v5, v9, v6, 2
	ds_bpermute_b32 v9, v5, v8
	v_cmp_ne_u32_e64 s[0:1], 63, v7
	s_waitcnt lgkmcnt(0)
	v_add_f32_e32 v7, v8, v9
	v_addc_co_u32_e64 v6, s[0:1], 0, v6, s[0:1]
	v_lshlrev_b32_e32 v6, 2, v6
	ds_bpermute_b32 v8, v6, v7
	v_cmp_eq_u32_e64 s[0:1], 0, v2
	s_and_saveexec_b64 s[4:5], s[0:1]
	s_cbranch_execz .LBB582_26
; %bb.25:
	v_lshrrev_b32_e32 v2, 4, v0
	v_and_b32_e32 v2, 60, v2
	s_waitcnt lgkmcnt(0)
	v_add_f32_e32 v7, v7, v8
	ds_write_b32 v2, v7
.LBB582_26:
	s_or_b64 exec, exec, s[4:5]
	v_cmp_gt_u32_e64 s[0:1], 16, v0
	v_mov_b32_e32 v2, 0
	s_waitcnt lgkmcnt(0)
	s_barrier
	s_and_saveexec_b64 s[4:5], s[0:1]
	s_cbranch_execz .LBB582_28
; %bb.27:
	ds_read_b32 v2, v1
	s_or_b64 exec, exec, s[4:5]
	s_and_saveexec_b64 s[0:1], vcc
	s_cbranch_execz .LBB582_30
	s_branch .LBB582_29
.LBB582_28:
	s_or_b64 exec, exec, s[4:5]
	s_and_saveexec_b64 s[0:1], vcc
	s_cbranch_execz .LBB582_30
.LBB582_29:
	s_waitcnt lgkmcnt(0)
	ds_bpermute_b32 v1, v3, v2
	s_waitcnt lgkmcnt(0)
	v_add_f32_e32 v1, v2, v1
	ds_bpermute_b32 v2, v4, v1
	s_waitcnt lgkmcnt(0)
	v_add_f32_e32 v1, v1, v2
	;; [unrolled: 3-line block ×4, first 2 shown]
.LBB582_30:
	s_or_b64 exec, exec, s[0:1]
	v_cmp_eq_u32_e32 vcc, 0, v0
                                        ; implicit-def: $vgpr1
                                        ; implicit-def: $sgpr8_sgpr9
	s_and_saveexec_b64 s[0:1], vcc
	s_cbranch_execz .LBB582_37
; %bb.31:
	v_cmp_eq_f32_e64 s[4:5], s18, 0
	s_waitcnt lgkmcnt(0)
	v_mul_f32_e32 v0, s20, v2
	s_and_b64 vcc, exec, s[4:5]
	s_cbranch_vccz .LBB582_45
; %bb.32:
	s_mov_b32 s3, 0x7f800000
	v_and_b32_e32 v1, 0x7f800000, v0
	v_cmp_ne_u32_e32 vcc, s3, v1
                                        ; implicit-def: $vgpr1
	s_and_saveexec_b64 s[4:5], vcc
	s_xor_b64 s[4:5], exec, s[4:5]
; %bb.33:
	v_bfe_u32 v1, v0, 16, 1
	s_movk_i32 s3, 0x7fff
	v_add3_u32 v1, v0, v1, s3
; %bb.34:
	s_andn2_saveexec_b64 s[4:5], s[4:5]
; %bb.35:
	v_mov_b32_e32 v1, 0
	v_or_b32_e32 v2, 0x10000, v0
	v_cmp_eq_u32_sdwa vcc, v0, v1 src0_sel:WORD_0 src1_sel:DWORD
	s_nop 1
	v_cndmask_b32_e32 v1, v2, v0, vcc
; %bb.36:
	s_or_b64 exec, exec, s[4:5]
	s_mul_i32 s8, s2, s19
	s_cbranch_execz .LBB582_46
	s_branch .LBB582_56
.LBB582_37:
	s_or_b64 exec, exec, s[0:1]
	s_and_saveexec_b64 s[0:1], s[6:7]
	s_cbranch_execz .LBB582_39
.LBB582_38:
	s_lshl_b64 s[0:1], s[8:9], 1
	s_add_u32 s0, s16, s0
	s_addc_u32 s1, s17, s1
	v_mov_b32_e32 v0, 0
	global_store_short v0, v1, s[0:1]
.LBB582_39:
	s_endpgm
.LBB582_40:
                                        ; implicit-def: $sgpr7
.LBB582_41:
	s_and_b32 s4, s6, 0xffff
	s_or_b32 s5, s6, 0x10000
	s_cmp_eq_u32 s4, 0
	s_cselect_b32 s7, s6, s5
.LBB582_42:
	s_lshr_b32 s14, s7, 16
.LBB582_43:
	s_mov_b64 s[6:7], exec
	s_or_b64 exec, exec, s[12:13]
	s_and_b64 vcc, exec, s[10:11]
	s_cbranch_vccnz .LBB582_7
.LBB582_44:
	v_mov_b32_e32 v1, s14
	s_and_saveexec_b64 s[0:1], s[6:7]
	s_cbranch_execnz .LBB582_38
	s_branch .LBB582_39
.LBB582_45:
                                        ; implicit-def: $vgpr1
	s_mul_i32 s8, s2, s19
.LBB582_46:
	s_ashr_i32 s9, s8, 31
	s_lshl_b64 s[2:3], s[8:9], 1
	s_add_u32 s2, s16, s2
	s_addc_u32 s3, s17, s3
	v_mov_b32_e32 v1, 0
	global_load_ushort v1, v1, s[2:3]
	s_mov_b32 s2, 0x7f800000
	s_waitcnt vmcnt(0)
	v_lshlrev_b32_e32 v1, 16, v1
	v_mul_f32_e32 v1, s18, v1
	v_and_b32_e32 v2, 0x7f800000, v1
	v_cmp_eq_u32_e32 vcc, s2, v2
	v_readfirstlane_b32 s4, v1
	s_cbranch_vccnz .LBB582_48
; %bb.47:
	s_bfe_u32 s2, s4, 0x10010
	s_add_i32 s2, s4, s2
	s_add_i32 s5, s2, 0x7fff
	s_mov_b64 s[2:3], 0
	s_branch .LBB582_49
.LBB582_48:
	s_mov_b64 s[2:3], -1
                                        ; implicit-def: $sgpr5
.LBB582_49:
	s_andn2_b64 vcc, exec, s[2:3]
	s_cbranch_vccnz .LBB582_51
; %bb.50:
	s_and_b32 s2, s4, 0xffff
	s_or_b32 s3, s4, 0x10000
	s_cmp_eq_u32 s2, 0
	s_cselect_b32 s5, s4, s3
.LBB582_51:
	s_and_b32 s2, s5, 0xffff0000
	v_add_f32_e32 v0, s2, v0
	s_mov_b32 s2, 0x7f800000
	v_and_b32_e32 v1, 0x7f800000, v0
	v_cmp_ne_u32_e32 vcc, s2, v1
                                        ; implicit-def: $vgpr1
	s_and_saveexec_b64 s[2:3], vcc
	s_xor_b64 s[2:3], exec, s[2:3]
; %bb.52:
	v_bfe_u32 v1, v0, 16, 1
	s_movk_i32 s4, 0x7fff
	v_add3_u32 v1, v0, v1, s4
                                        ; implicit-def: $vgpr0
; %bb.53:
	s_andn2_saveexec_b64 s[2:3], s[2:3]
; %bb.54:
	v_mov_b32_e32 v1, 0
	v_or_b32_e32 v2, 0x10000, v0
	v_cmp_eq_u32_sdwa vcc, v0, v1 src0_sel:WORD_0 src1_sel:DWORD
	s_nop 1
	v_cndmask_b32_e32 v1, v2, v0, vcc
; %bb.55:
	s_or_b64 exec, exec, s[2:3]
.LBB582_56:
	v_lshrrev_b32_e32 v1, 16, v1
	s_ashr_i32 s9, s8, 31
	s_or_b64 s[6:7], s[6:7], exec
	s_or_b64 exec, exec, s[0:1]
	s_and_saveexec_b64 s[0:1], s[6:7]
	s_cbranch_execnz .LBB582_38
	s_branch .LBB582_39
	.section	.rodata,"a",@progbits
	.p2align	6, 0x0
	.amdhsa_kernel _ZL32rocblas_gemvt_warp_reduce_kernelILb1ELi1024Ei16rocblas_bfloat16fS0_EviiT3_lPKT2_lT1_lS4_lS5_lS1_lPT4_lS5_li
		.amdhsa_group_segment_fixed_size 256
		.amdhsa_private_segment_fixed_size 0
		.amdhsa_kernarg_size 140
		.amdhsa_user_sgpr_count 2
		.amdhsa_user_sgpr_dispatch_ptr 0
		.amdhsa_user_sgpr_queue_ptr 0
		.amdhsa_user_sgpr_kernarg_segment_ptr 1
		.amdhsa_user_sgpr_dispatch_id 0
		.amdhsa_user_sgpr_kernarg_preload_length 0
		.amdhsa_user_sgpr_kernarg_preload_offset 0
		.amdhsa_user_sgpr_private_segment_size 0
		.amdhsa_uses_dynamic_stack 0
		.amdhsa_enable_private_segment 0
		.amdhsa_system_sgpr_workgroup_id_x 1
		.amdhsa_system_sgpr_workgroup_id_y 0
		.amdhsa_system_sgpr_workgroup_id_z 1
		.amdhsa_system_sgpr_workgroup_info 0
		.amdhsa_system_vgpr_workitem_id 0
		.amdhsa_next_free_vgpr 14
		.amdhsa_next_free_sgpr 26
		.amdhsa_accum_offset 16
		.amdhsa_reserve_vcc 1
		.amdhsa_float_round_mode_32 0
		.amdhsa_float_round_mode_16_64 0
		.amdhsa_float_denorm_mode_32 3
		.amdhsa_float_denorm_mode_16_64 3
		.amdhsa_dx10_clamp 1
		.amdhsa_ieee_mode 1
		.amdhsa_fp16_overflow 0
		.amdhsa_tg_split 0
		.amdhsa_exception_fp_ieee_invalid_op 0
		.amdhsa_exception_fp_denorm_src 0
		.amdhsa_exception_fp_ieee_div_zero 0
		.amdhsa_exception_fp_ieee_overflow 0
		.amdhsa_exception_fp_ieee_underflow 0
		.amdhsa_exception_fp_ieee_inexact 0
		.amdhsa_exception_int_div_zero 0
	.end_amdhsa_kernel
	.section	.text._ZL32rocblas_gemvt_warp_reduce_kernelILb1ELi1024Ei16rocblas_bfloat16fS0_EviiT3_lPKT2_lT1_lS4_lS5_lS1_lPT4_lS5_li,"axG",@progbits,_ZL32rocblas_gemvt_warp_reduce_kernelILb1ELi1024Ei16rocblas_bfloat16fS0_EviiT3_lPKT2_lT1_lS4_lS5_lS1_lPT4_lS5_li,comdat
.Lfunc_end582:
	.size	_ZL32rocblas_gemvt_warp_reduce_kernelILb1ELi1024Ei16rocblas_bfloat16fS0_EviiT3_lPKT2_lT1_lS4_lS5_lS1_lPT4_lS5_li, .Lfunc_end582-_ZL32rocblas_gemvt_warp_reduce_kernelILb1ELi1024Ei16rocblas_bfloat16fS0_EviiT3_lPKT2_lT1_lS4_lS5_lS1_lPT4_lS5_li
                                        ; -- End function
	.section	.AMDGPU.csdata,"",@progbits
; Kernel info:
; codeLenInByte = 1928
; NumSgprs: 32
; NumVgprs: 14
; NumAgprs: 0
; TotalNumVgprs: 14
; ScratchSize: 0
; MemoryBound: 0
; FloatMode: 240
; IeeeMode: 1
; LDSByteSize: 256 bytes/workgroup (compile time only)
; SGPRBlocks: 3
; VGPRBlocks: 1
; NumSGPRsForWavesPerEU: 32
; NumVGPRsForWavesPerEU: 14
; AccumOffset: 16
; Occupancy: 8
; WaveLimiterHint : 1
; COMPUTE_PGM_RSRC2:SCRATCH_EN: 0
; COMPUTE_PGM_RSRC2:USER_SGPR: 2
; COMPUTE_PGM_RSRC2:TRAP_HANDLER: 0
; COMPUTE_PGM_RSRC2:TGID_X_EN: 1
; COMPUTE_PGM_RSRC2:TGID_Y_EN: 0
; COMPUTE_PGM_RSRC2:TGID_Z_EN: 1
; COMPUTE_PGM_RSRC2:TIDIG_COMP_CNT: 0
; COMPUTE_PGM_RSRC3_GFX90A:ACCUM_OFFSET: 3
; COMPUTE_PGM_RSRC3_GFX90A:TG_SPLIT: 0
	.section	.text._ZL32rocblas_gemvt_warp_reduce_kernelILb1ELi1024El16rocblas_bfloat16fS0_EviiT3_lPKT2_lT1_lS4_lS5_lS1_lPT4_lS5_li,"axG",@progbits,_ZL32rocblas_gemvt_warp_reduce_kernelILb1ELi1024El16rocblas_bfloat16fS0_EviiT3_lPKT2_lT1_lS4_lS5_lS1_lPT4_lS5_li,comdat
	.globl	_ZL32rocblas_gemvt_warp_reduce_kernelILb1ELi1024El16rocblas_bfloat16fS0_EviiT3_lPKT2_lT1_lS4_lS5_lS1_lPT4_lS5_li ; -- Begin function _ZL32rocblas_gemvt_warp_reduce_kernelILb1ELi1024El16rocblas_bfloat16fS0_EviiT3_lPKT2_lT1_lS4_lS5_lS1_lPT4_lS5_li
	.p2align	8
	.type	_ZL32rocblas_gemvt_warp_reduce_kernelILb1ELi1024El16rocblas_bfloat16fS0_EviiT3_lPKT2_lT1_lS4_lS5_lS1_lPT4_lS5_li,@function
_ZL32rocblas_gemvt_warp_reduce_kernelILb1ELi1024El16rocblas_bfloat16fS0_EviiT3_lPKT2_lT1_lS4_lS5_lS1_lPT4_lS5_li: ; @_ZL32rocblas_gemvt_warp_reduce_kernelILb1ELi1024El16rocblas_bfloat16fS0_EviiT3_lPKT2_lT1_lS4_lS5_lS1_lPT4_lS5_li
; %bb.0:
	s_load_dword s29, s[0:1], 0x8
	s_load_dword s28, s[0:1], 0x58
	s_waitcnt lgkmcnt(0)
	v_cmp_eq_f32_e64 s[4:5], s29, 0
	v_cmp_eq_f32_e64 s[6:7], s28, 1.0
	s_and_b64 s[4:5], s[4:5], s[6:7]
	s_and_b64 vcc, exec, s[4:5]
	s_cbranch_vccnz .LBB583_39
; %bb.1:
	s_load_dwordx8 s[16:23], s[0:1], 0x68
	v_cmp_neq_f32_e64 s[4:5], s29, 0
	s_waitcnt lgkmcnt(0)
	s_mul_i32 s7, s3, s23
	s_mul_hi_u32 s8, s3, s22
	s_mul_i32 s6, s3, s22
	s_add_i32 s7, s8, s7
	s_lshl_b64 s[6:7], s[6:7], 1
	s_add_u32 s8, s16, s6
	s_addc_u32 s9, s17, s7
	s_lshl_b64 s[6:7], s[18:19], 1
	s_add_u32 s26, s8, s6
	s_addc_u32 s27, s9, s7
	s_and_b64 vcc, exec, s[4:5]
	v_cmp_eq_u32_e64 s[4:5], 0, v0
	s_cbranch_vccnz .LBB583_6
; %bb.2:
	s_mov_b64 s[8:9], 0
	s_mov_b64 s[22:23], 0
                                        ; implicit-def: $sgpr12
                                        ; implicit-def: $sgpr6_sgpr7
	s_and_saveexec_b64 s[10:11], s[4:5]
	s_cbranch_execz .LBB583_14
; %bb.3:
	s_ashr_i32 s6, s2, 31
	s_mul_i32 s7, s2, s21
	s_mul_hi_u32 s13, s2, s20
	v_cmp_eq_f32_e64 s[4:5], s28, 0
	s_add_i32 s7, s13, s7
	s_mul_i32 s6, s6, s20
	s_mov_b32 s12, 0
	s_add_i32 s7, s7, s6
	s_mul_i32 s6, s2, s20
	s_and_b64 vcc, exec, s[4:5]
	s_cbranch_vccnz .LBB583_43
; %bb.4:
	s_lshl_b64 s[4:5], s[6:7], 1
	s_add_u32 s4, s26, s4
	s_addc_u32 s5, s27, s5
	v_mov_b32_e32 v1, 0
	global_load_ushort v1, v1, s[4:5]
	s_mov_b32 s4, 0x7f800000
	s_waitcnt vmcnt(0)
	v_lshlrev_b32_e32 v1, 16, v1
	v_mul_f32_e32 v1, s28, v1
	v_and_b32_e32 v2, 0x7f800000, v1
	v_cmp_eq_u32_e32 vcc, s4, v2
	v_readfirstlane_b32 s12, v1
	s_cbranch_vccnz .LBB583_40
; %bb.5:
	s_bfe_u32 s4, s12, 0x10010
	s_add_i32 s4, s12, s4
	s_add_i32 s13, s4, 0x7fff
	s_cbranch_execz .LBB583_41
	s_branch .LBB583_42
.LBB583_6:
	s_mov_b64 s[22:23], 0
                                        ; implicit-def: $sgpr12
                                        ; implicit-def: $sgpr6_sgpr7
	s_cbranch_execz .LBB583_44
.LBB583_7:
	s_load_dwordx16 s[4:19], s[0:1], 0x18
	s_load_dword s30, s[0:1], 0x0
	v_mov_b32_e32 v3, 0
	s_waitcnt lgkmcnt(0)
	s_mul_i32 s1, s3, s19
	s_mul_hi_u32 s19, s3, s18
	s_mul_i32 s0, s3, s18
	s_mul_i32 s11, s3, s11
	s_mul_hi_u32 s18, s3, s10
	s_add_i32 s11, s18, s11
	s_mul_i32 s10, s3, s10
	s_add_i32 s1, s19, s1
	s_lshl_b64 s[10:11], s[10:11], 1
	s_add_u32 s3, s4, s10
	s_addc_u32 s10, s5, s11
	s_lshl_b64 s[4:5], s[6:7], 1
	s_add_u32 s6, s3, s4
	s_addc_u32 s7, s10, s5
	s_ashr_i32 s3, s2, 31
	s_mul_i32 s4, s2, s9
	s_mul_hi_u32 s5, s2, s8
	s_add_i32 s4, s5, s4
	s_mul_i32 s5, s3, s8
	s_add_i32 s5, s4, s5
	s_mul_i32 s4, s2, s8
	v_cmp_gt_i32_e32 vcc, s30, v0
	s_lshl_b64 s[4:5], s[4:5], 1
	s_add_u32 s4, s4, s6
	v_cndmask_b32_e32 v1, 0, v0, vcc
	v_lshlrev_b32_e32 v2, 1, v1
	s_addc_u32 s5, s5, s7
	v_lshl_add_u64 v[4:5], s[4:5], 0, v[2:3]
	s_ashr_i32 s4, s30, 31
	s_lshr_b32 s4, s4, 22
	s_add_i32 s4, s30, s4
	s_and_b32 s4, s4, 0xfffffc00
	v_cmp_gt_i32_e32 vcc, s4, v0
	s_and_saveexec_b64 s[6:7], vcc
	s_cbranch_execz .LBB583_16
; %bb.8:
	v_mad_u64_u32 v[2:3], s[10:11], s16, v0, 0
	v_mov_b32_e32 v6, v3
	v_mad_u64_u32 v[6:7], s[10:11], s17, v0, v[6:7]
	s_lshl_b64 s[8:9], s[0:1], 1
	s_lshl_b64 s[10:11], s[14:15], 1
	s_add_u32 s5, s12, s10
	s_addc_u32 s10, s13, s11
	s_add_u32 s8, s5, s8
	v_mov_b32_e32 v3, v6
	s_addc_u32 s9, s10, s9
	v_lshl_add_u64 v[6:7], v[2:3], 1, s[8:9]
	s_lshl_b64 s[10:11], s[16:17], 11
	s_mov_b64 s[8:9], 0
	v_mov_b32_e32 v1, 0
	s_mov_b32 s5, 0x7f800000
	s_movk_i32 s31, 0x7fff
	s_mov_b64 s[18:19], 0x800
	v_mov_b64_e32 v[8:9], v[4:5]
	v_mov_b32_e32 v2, v0
	v_mov_b32_e32 v3, 0
	s_branch .LBB583_10
.LBB583_9:                              ;   in Loop: Header=BB583_10 Depth=1
	s_or_b64 exec, exec, s[24:25]
	v_add_u32_e32 v2, 0x400, v2
	v_and_b32_e32 v10, 0xffff0000, v12
	v_cmp_le_i32_e32 vcc, s4, v2
	v_add_f32_e32 v3, v3, v10
	v_lshl_add_u64 v[8:9], v[8:9], 0, s[18:19]
	s_or_b64 s[8:9], vcc, s[8:9]
	v_lshl_add_u64 v[6:7], v[6:7], 0, s[10:11]
	s_andn2_b64 exec, exec, s[8:9]
	s_cbranch_execz .LBB583_15
.LBB583_10:                             ; =>This Inner Loop Header: Depth=1
	global_load_ushort v10, v[6:7], off
	global_load_ushort v11, v[8:9], off
	s_waitcnt vmcnt(1)
	v_lshlrev_b32_e32 v10, 16, v10
	s_waitcnt vmcnt(0)
	v_lshlrev_b32_e32 v12, 16, v11
	v_pk_mul_f32 v[10:11], v[10:11], v[12:13] op_sel_hi:[0,1]
	v_and_b32_e32 v11, 0x7f800000, v10
	v_cmp_ne_u32_e32 vcc, s5, v11
                                        ; implicit-def: $vgpr12
	s_and_saveexec_b64 s[24:25], vcc
	s_xor_b64 s[24:25], exec, s[24:25]
; %bb.11:                               ;   in Loop: Header=BB583_10 Depth=1
	v_bfe_u32 v11, v10, 16, 1
	v_add3_u32 v12, v10, v11, s31
                                        ; implicit-def: $vgpr10_vgpr11
; %bb.12:                               ;   in Loop: Header=BB583_10 Depth=1
	s_andn2_saveexec_b64 s[24:25], s[24:25]
	s_cbranch_execz .LBB583_9
; %bb.13:                               ;   in Loop: Header=BB583_10 Depth=1
	v_or_b32_e32 v11, 0x10000, v10
	v_cmp_eq_u32_sdwa vcc, v10, v1 src0_sel:WORD_0 src1_sel:DWORD
	s_nop 1
	v_cndmask_b32_e32 v12, v11, v10, vcc
	s_branch .LBB583_9
.LBB583_14:
	s_or_b64 exec, exec, s[10:11]
	s_and_b64 vcc, exec, s[8:9]
	s_cbranch_vccnz .LBB583_7
	s_branch .LBB583_44
.LBB583_15:
	s_or_b64 exec, exec, s[8:9]
.LBB583_16:
	s_or_b64 exec, exec, s[6:7]
	v_or_b32_e32 v1, s4, v0
	v_cmp_gt_i32_e32 vcc, s30, v1
	s_and_saveexec_b64 s[6:7], vcc
	s_cbranch_execz .LBB583_22
; %bb.17:
	s_lshl_b64 s[0:1], s[0:1], 1
	s_add_u32 s5, s12, s0
	s_addc_u32 s8, s13, s1
	s_lshl_b64 s[0:1], s[14:15], 1
	s_add_u32 s0, s5, s0
	s_addc_u32 s1, s8, s1
	s_ashr_i32 s5, s4, 31
	v_ashrrev_i32_e32 v2, 31, v1
	v_lshl_add_u64 v[4:5], s[4:5], 1, v[4:5]
	v_mul_lo_u32 v8, v1, s17
	v_mul_lo_u32 v2, v2, s16
	v_mad_u64_u32 v[6:7], s[4:5], v1, s16, 0
	v_add3_u32 v7, v7, v8, v2
	v_lshl_add_u64 v[6:7], v[6:7], 1, s[0:1]
	global_load_ushort v1, v[6:7], off
	global_load_ushort v8, v[4:5], off
	s_mov_b32 s0, 0x7f800000
	s_waitcnt vmcnt(1)
	v_lshlrev_b32_e32 v2, 16, v1
	s_waitcnt vmcnt(0)
	v_lshlrev_b32_e32 v4, 16, v8
	v_pk_mul_f32 v[4:5], v[2:3], v[4:5] op_sel_hi:[0,1]
	v_and_b32_e32 v1, 0x7f800000, v4
	v_cmp_ne_u32_e32 vcc, s0, v1
                                        ; implicit-def: $vgpr1
	s_and_saveexec_b64 s[0:1], vcc
	s_xor_b64 s[0:1], exec, s[0:1]
; %bb.18:
	v_bfe_u32 v1, v4, 16, 1
	s_movk_i32 s4, 0x7fff
	v_add3_u32 v1, v4, v1, s4
                                        ; implicit-def: $vgpr4_vgpr5
; %bb.19:
	s_andn2_saveexec_b64 s[0:1], s[0:1]
; %bb.20:
	v_mov_b32_e32 v1, 0
	v_or_b32_e32 v2, 0x10000, v4
	v_cmp_eq_u32_sdwa vcc, v4, v1 src0_sel:WORD_0 src1_sel:DWORD
	s_nop 1
	v_cndmask_b32_e32 v1, v2, v4, vcc
; %bb.21:
	s_or_b64 exec, exec, s[0:1]
	v_and_b32_e32 v1, 0xffff0000, v1
	v_add_f32_e32 v3, v3, v1
.LBB583_22:
	s_or_b64 exec, exec, s[6:7]
	v_and_b32_e32 v2, 63, v0
	v_cmp_gt_u32_e32 vcc, 64, v0
	v_lshlrev_b32_e32 v1, 2, v2
	s_and_saveexec_b64 s[0:1], vcc
	s_cbranch_execz .LBB583_24
; %bb.23:
	v_mov_b32_e32 v4, 0
	ds_write_b32 v1, v4
.LBB583_24:
	s_or_b64 exec, exec, s[0:1]
	v_mbcnt_lo_u32_b32 v4, -1, 0
	v_mbcnt_hi_u32_b32 v6, -1, v4
	v_and_b32_e32 v7, 63, v6
	v_cmp_gt_u32_e64 s[0:1], 32, v7
	s_waitcnt lgkmcnt(0)
	s_barrier
	v_cndmask_b32_e64 v4, 0, 1, s[0:1]
	v_lshlrev_b32_e32 v4, 5, v4
	v_add_lshl_u32 v4, v4, v6, 2
	ds_bpermute_b32 v4, v4, v3
	v_cmp_gt_u32_e64 s[0:1], 48, v7
	s_waitcnt lgkmcnt(0)
	v_add_f32_e32 v3, v3, v4
	v_cndmask_b32_e64 v5, 0, 1, s[0:1]
	v_lshlrev_b32_e32 v5, 4, v5
	v_add_lshl_u32 v4, v5, v6, 2
	ds_bpermute_b32 v4, v4, v3
	v_cmp_gt_u32_e64 s[0:1], 56, v7
	s_waitcnt lgkmcnt(0)
	v_add_f32_e32 v4, v3, v4
	;; [unrolled: 7-line block ×4, first 2 shown]
	v_cndmask_b32_e64 v9, 0, 1, s[0:1]
	v_lshlrev_b32_e32 v9, 1, v9
	v_add_lshl_u32 v5, v9, v6, 2
	ds_bpermute_b32 v9, v5, v8
	v_cmp_ne_u32_e64 s[0:1], 63, v7
	s_waitcnt lgkmcnt(0)
	v_add_f32_e32 v7, v8, v9
	v_addc_co_u32_e64 v6, s[0:1], 0, v6, s[0:1]
	v_lshlrev_b32_e32 v6, 2, v6
	ds_bpermute_b32 v8, v6, v7
	v_cmp_eq_u32_e64 s[0:1], 0, v2
	s_and_saveexec_b64 s[4:5], s[0:1]
	s_cbranch_execz .LBB583_26
; %bb.25:
	v_lshrrev_b32_e32 v2, 4, v0
	v_and_b32_e32 v2, 60, v2
	s_waitcnt lgkmcnt(0)
	v_add_f32_e32 v7, v7, v8
	ds_write_b32 v2, v7
.LBB583_26:
	s_or_b64 exec, exec, s[4:5]
	v_cmp_gt_u32_e64 s[0:1], 16, v0
	v_mov_b32_e32 v2, 0
	s_waitcnt lgkmcnt(0)
	s_barrier
	s_and_saveexec_b64 s[4:5], s[0:1]
	s_cbranch_execz .LBB583_28
; %bb.27:
	ds_read_b32 v2, v1
	s_or_b64 exec, exec, s[4:5]
	s_and_saveexec_b64 s[0:1], vcc
	s_cbranch_execz .LBB583_30
	s_branch .LBB583_29
.LBB583_28:
	s_or_b64 exec, exec, s[4:5]
	s_and_saveexec_b64 s[0:1], vcc
	s_cbranch_execz .LBB583_30
.LBB583_29:
	s_waitcnt lgkmcnt(0)
	ds_bpermute_b32 v1, v3, v2
	s_waitcnt lgkmcnt(0)
	v_add_f32_e32 v1, v2, v1
	ds_bpermute_b32 v2, v4, v1
	s_waitcnt lgkmcnt(0)
	v_add_f32_e32 v1, v1, v2
	;; [unrolled: 3-line block ×4, first 2 shown]
.LBB583_30:
	s_or_b64 exec, exec, s[0:1]
	v_cmp_eq_u32_e32 vcc, 0, v0
                                        ; implicit-def: $vgpr1
                                        ; implicit-def: $sgpr6_sgpr7
	s_and_saveexec_b64 s[0:1], vcc
	s_cbranch_execz .LBB583_37
; %bb.31:
	v_cmp_eq_f32_e64 s[4:5], s28, 0
	s_waitcnt lgkmcnt(0)
	v_mul_f32_e32 v0, s29, v2
	s_and_b64 vcc, exec, s[4:5]
	s_cbranch_vccz .LBB583_45
; %bb.32:
	s_mov_b32 s4, 0x7f800000
	v_and_b32_e32 v1, 0x7f800000, v0
	v_cmp_ne_u32_e32 vcc, s4, v1
                                        ; implicit-def: $vgpr1
	s_and_saveexec_b64 s[4:5], vcc
	s_xor_b64 s[4:5], exec, s[4:5]
; %bb.33:
	v_bfe_u32 v1, v0, 16, 1
	s_movk_i32 s6, 0x7fff
	v_add3_u32 v1, v0, v1, s6
; %bb.34:
	s_andn2_saveexec_b64 s[4:5], s[4:5]
; %bb.35:
	v_mov_b32_e32 v1, 0
	v_or_b32_e32 v2, 0x10000, v0
	v_cmp_eq_u32_sdwa vcc, v0, v1 src0_sel:WORD_0 src1_sel:DWORD
	s_nop 1
	v_cndmask_b32_e32 v1, v2, v0, vcc
; %bb.36:
	s_or_b64 exec, exec, s[4:5]
	s_mov_b64 s[4:5], 0
	s_branch .LBB583_46
.LBB583_37:
	s_or_b64 exec, exec, s[0:1]
	s_and_saveexec_b64 s[0:1], s[22:23]
	s_cbranch_execz .LBB583_39
.LBB583_38:
	s_lshl_b64 s[0:1], s[6:7], 1
	s_add_u32 s0, s26, s0
	s_addc_u32 s1, s27, s1
	v_mov_b32_e32 v0, 0
	global_store_short v0, v1, s[0:1]
.LBB583_39:
	s_endpgm
.LBB583_40:
                                        ; implicit-def: $sgpr13
.LBB583_41:
	s_and_b32 s4, s12, 0xffff
	s_or_b32 s5, s12, 0x10000
	s_cmp_eq_u32 s4, 0
	s_cselect_b32 s13, s12, s5
.LBB583_42:
	s_lshr_b32 s12, s13, 16
.LBB583_43:
	s_mov_b64 s[22:23], exec
	s_or_b64 exec, exec, s[10:11]
	s_and_b64 vcc, exec, s[8:9]
	s_cbranch_vccnz .LBB583_7
.LBB583_44:
	v_mov_b32_e32 v1, s12
	s_and_saveexec_b64 s[0:1], s[22:23]
	s_cbranch_execnz .LBB583_38
	s_branch .LBB583_39
.LBB583_45:
	s_mov_b64 s[4:5], -1
                                        ; implicit-def: $vgpr1
.LBB583_46:
	s_andn2_b64 vcc, exec, s[4:5]
	s_mul_i32 s4, s2, s21
	s_mul_hi_u32 s5, s2, s20
	s_mul_i32 s8, s3, s20
	s_mul_i32 s6, s2, s20
	s_cbranch_vccnz .LBB583_57
; %bb.47:
	s_add_i32 s2, s5, s4
	s_add_i32 s7, s2, s8
	s_lshl_b64 s[2:3], s[6:7], 1
	s_add_u32 s2, s26, s2
	s_addc_u32 s3, s27, s3
	v_mov_b32_e32 v1, 0
	global_load_ushort v1, v1, s[2:3]
	s_mov_b32 s2, 0x7f800000
	s_waitcnt vmcnt(0)
	v_lshlrev_b32_e32 v1, 16, v1
	v_mul_f32_e32 v1, s28, v1
	v_and_b32_e32 v2, 0x7f800000, v1
	v_cmp_eq_u32_e32 vcc, s2, v2
	v_readfirstlane_b32 s7, v1
	s_cbranch_vccnz .LBB583_49
; %bb.48:
	s_bfe_u32 s2, s7, 0x10010
	s_add_i32 s2, s7, s2
	s_add_i32 s9, s2, 0x7fff
	s_mov_b64 s[2:3], 0
	s_branch .LBB583_50
.LBB583_49:
	s_mov_b64 s[2:3], -1
                                        ; implicit-def: $sgpr9
.LBB583_50:
	s_andn2_b64 vcc, exec, s[2:3]
	s_cbranch_vccnz .LBB583_52
; %bb.51:
	s_and_b32 s2, s7, 0xffff
	s_or_b32 s3, s7, 0x10000
	s_cmp_eq_u32 s2, 0
	s_cselect_b32 s9, s7, s3
.LBB583_52:
	s_and_b32 s2, s9, 0xffff0000
	v_add_f32_e32 v0, s2, v0
	s_mov_b32 s2, 0x7f800000
	v_and_b32_e32 v1, 0x7f800000, v0
	v_cmp_ne_u32_e32 vcc, s2, v1
                                        ; implicit-def: $vgpr1
	s_and_saveexec_b64 s[2:3], vcc
	s_xor_b64 s[2:3], exec, s[2:3]
; %bb.53:
	v_bfe_u32 v1, v0, 16, 1
	s_movk_i32 s7, 0x7fff
	v_add3_u32 v1, v0, v1, s7
                                        ; implicit-def: $vgpr0
; %bb.54:
	s_andn2_saveexec_b64 s[2:3], s[2:3]
; %bb.55:
	v_mov_b32_e32 v1, 0
	v_or_b32_e32 v2, 0x10000, v0
	v_cmp_eq_u32_sdwa vcc, v0, v1 src0_sel:WORD_0 src1_sel:DWORD
	s_nop 1
	v_cndmask_b32_e32 v1, v2, v0, vcc
; %bb.56:
	s_or_b64 exec, exec, s[2:3]
.LBB583_57:
	s_add_i32 s2, s5, s4
	v_lshrrev_b32_e32 v1, 16, v1
	s_add_i32 s7, s2, s8
	s_or_b64 s[22:23], s[22:23], exec
	s_or_b64 exec, exec, s[0:1]
	s_and_saveexec_b64 s[0:1], s[22:23]
	s_cbranch_execnz .LBB583_38
	s_branch .LBB583_39
	.section	.rodata,"a",@progbits
	.p2align	6, 0x0
	.amdhsa_kernel _ZL32rocblas_gemvt_warp_reduce_kernelILb1ELi1024El16rocblas_bfloat16fS0_EviiT3_lPKT2_lT1_lS4_lS5_lS1_lPT4_lS5_li
		.amdhsa_group_segment_fixed_size 256
		.amdhsa_private_segment_fixed_size 0
		.amdhsa_kernarg_size 140
		.amdhsa_user_sgpr_count 2
		.amdhsa_user_sgpr_dispatch_ptr 0
		.amdhsa_user_sgpr_queue_ptr 0
		.amdhsa_user_sgpr_kernarg_segment_ptr 1
		.amdhsa_user_sgpr_dispatch_id 0
		.amdhsa_user_sgpr_kernarg_preload_length 0
		.amdhsa_user_sgpr_kernarg_preload_offset 0
		.amdhsa_user_sgpr_private_segment_size 0
		.amdhsa_uses_dynamic_stack 0
		.amdhsa_enable_private_segment 0
		.amdhsa_system_sgpr_workgroup_id_x 1
		.amdhsa_system_sgpr_workgroup_id_y 0
		.amdhsa_system_sgpr_workgroup_id_z 1
		.amdhsa_system_sgpr_workgroup_info 0
		.amdhsa_system_vgpr_workitem_id 0
		.amdhsa_next_free_vgpr 14
		.amdhsa_next_free_sgpr 32
		.amdhsa_accum_offset 16
		.amdhsa_reserve_vcc 1
		.amdhsa_float_round_mode_32 0
		.amdhsa_float_round_mode_16_64 0
		.amdhsa_float_denorm_mode_32 3
		.amdhsa_float_denorm_mode_16_64 3
		.amdhsa_dx10_clamp 1
		.amdhsa_ieee_mode 1
		.amdhsa_fp16_overflow 0
		.amdhsa_tg_split 0
		.amdhsa_exception_fp_ieee_invalid_op 0
		.amdhsa_exception_fp_denorm_src 0
		.amdhsa_exception_fp_ieee_div_zero 0
		.amdhsa_exception_fp_ieee_overflow 0
		.amdhsa_exception_fp_ieee_underflow 0
		.amdhsa_exception_fp_ieee_inexact 0
		.amdhsa_exception_int_div_zero 0
	.end_amdhsa_kernel
	.section	.text._ZL32rocblas_gemvt_warp_reduce_kernelILb1ELi1024El16rocblas_bfloat16fS0_EviiT3_lPKT2_lT1_lS4_lS5_lS1_lPT4_lS5_li,"axG",@progbits,_ZL32rocblas_gemvt_warp_reduce_kernelILb1ELi1024El16rocblas_bfloat16fS0_EviiT3_lPKT2_lT1_lS4_lS5_lS1_lPT4_lS5_li,comdat
.Lfunc_end583:
	.size	_ZL32rocblas_gemvt_warp_reduce_kernelILb1ELi1024El16rocblas_bfloat16fS0_EviiT3_lPKT2_lT1_lS4_lS5_lS1_lPT4_lS5_li, .Lfunc_end583-_ZL32rocblas_gemvt_warp_reduce_kernelILb1ELi1024El16rocblas_bfloat16fS0_EviiT3_lPKT2_lT1_lS4_lS5_lS1_lPT4_lS5_li
                                        ; -- End function
	.section	.AMDGPU.csdata,"",@progbits
; Kernel info:
; codeLenInByte = 2004
; NumSgprs: 38
; NumVgprs: 14
; NumAgprs: 0
; TotalNumVgprs: 14
; ScratchSize: 0
; MemoryBound: 0
; FloatMode: 240
; IeeeMode: 1
; LDSByteSize: 256 bytes/workgroup (compile time only)
; SGPRBlocks: 4
; VGPRBlocks: 1
; NumSGPRsForWavesPerEU: 38
; NumVGPRsForWavesPerEU: 14
; AccumOffset: 16
; Occupancy: 8
; WaveLimiterHint : 1
; COMPUTE_PGM_RSRC2:SCRATCH_EN: 0
; COMPUTE_PGM_RSRC2:USER_SGPR: 2
; COMPUTE_PGM_RSRC2:TRAP_HANDLER: 0
; COMPUTE_PGM_RSRC2:TGID_X_EN: 1
; COMPUTE_PGM_RSRC2:TGID_Y_EN: 0
; COMPUTE_PGM_RSRC2:TGID_Z_EN: 1
; COMPUTE_PGM_RSRC2:TIDIG_COMP_CNT: 0
; COMPUTE_PGM_RSRC3_GFX90A:ACCUM_OFFSET: 3
; COMPUTE_PGM_RSRC3_GFX90A:TG_SPLIT: 0
	.section	.text._ZL34rocblas_gemvn_sm_mn_batched_kernelILi32ELi24EPK16rocblas_bfloat16PKfKPS0_EviiT2_lPKT1_lilSA_lilS7_lPT3_lili,"axG",@progbits,_ZL34rocblas_gemvn_sm_mn_batched_kernelILi32ELi24EPK16rocblas_bfloat16PKfKPS0_EviiT2_lPKT1_lilSA_lilS7_lPT3_lili,comdat
	.globl	_ZL34rocblas_gemvn_sm_mn_batched_kernelILi32ELi24EPK16rocblas_bfloat16PKfKPS0_EviiT2_lPKT1_lilSA_lilS7_lPT3_lili ; -- Begin function _ZL34rocblas_gemvn_sm_mn_batched_kernelILi32ELi24EPK16rocblas_bfloat16PKfKPS0_EviiT2_lPKT1_lilSA_lilS7_lPT3_lili
	.p2align	8
	.type	_ZL34rocblas_gemvn_sm_mn_batched_kernelILi32ELi24EPK16rocblas_bfloat16PKfKPS0_EviiT2_lPKT1_lilSA_lilS7_lPT3_lili,@function
_ZL34rocblas_gemvn_sm_mn_batched_kernelILi32ELi24EPK16rocblas_bfloat16PKfKPS0_EviiT2_lPKT1_lilSA_lilS7_lPT3_lili: ; @_ZL34rocblas_gemvn_sm_mn_batched_kernelILi32ELi24EPK16rocblas_bfloat16PKfKPS0_EviiT2_lPKT1_lilSA_lilS7_lPT3_lili
; %bb.0:
	s_load_dword s3, s[0:1], 0x9c
	s_load_dword s4, s[0:1], 0x88
	v_bfe_u32 v1, v0, 10, 10
	s_waitcnt lgkmcnt(0)
	s_lshr_b32 s3, s3, 16
	s_mul_i32 s2, s2, s3
	v_add_u32_e32 v2, s2, v1
	v_cmp_gt_i32_e32 vcc, s4, v2
	s_and_saveexec_b64 s[2:3], vcc
	s_cbranch_execz .LBB584_135
; %bb.1:
	s_load_dwordx8 s[12:19], s[0:1], 0x8
	s_load_dwordx8 s[4:11], s[0:1], 0x58
	s_waitcnt lgkmcnt(0)
	v_mad_u64_u32 v[8:9], s[2:3], v2, s14, 0
	v_mov_b32_e32 v10, v9
	v_mad_u64_u32 v[10:11], s[2:3], v2, s15, v[10:11]
	v_mov_b32_e32 v4, s12
	v_mov_b32_e32 v5, s13
	;; [unrolled: 1-line block ×3, first 2 shown]
	v_lshl_add_u64 v[4:5], v[8:9], 2, v[4:5]
	global_load_dword v11, v[4:5], off
	v_mad_u64_u32 v[4:5], s[2:3], v2, s6, 0
	v_mov_b32_e32 v8, v5
	v_mad_u64_u32 v[8:9], s[2:3], v2, s7, v[8:9]
	v_mov_b32_e32 v6, s4
	v_mov_b32_e32 v7, s5
	;; [unrolled: 1-line block ×3, first 2 shown]
	v_lshl_add_u64 v[4:5], v[4:5], 2, v[6:7]
	global_load_dword v10, v[4:5], off
	s_waitcnt vmcnt(1)
	v_cmp_neq_f32_e32 vcc, 0, v11
	s_waitcnt vmcnt(0)
	v_cmp_neq_f32_e64 s[2:3], 1.0, v10
	s_or_b64 s[2:3], vcc, s[2:3]
	s_and_b64 exec, exec, s[2:3]
	s_cbranch_execz .LBB584_135
; %bb.2:
	v_mov_b64_e32 v[6:7], 0
	v_mov_b32_e32 v3, 0
	v_cmp_eq_f32_e32 vcc, 0, v11
	v_cmp_neq_f32_e64 s[2:3], 0, v11
	v_mov_b64_e32 v[4:5], v[6:7]
	s_and_saveexec_b64 s[4:5], s[2:3]
	s_cbranch_execz .LBB584_4
; %bb.3:
	v_mov_b32_e32 v4, s16
	v_mov_b32_e32 v5, s17
	v_lshl_add_u64 v[4:5], v[2:3], 3, v[4:5]
	global_load_dwordx2 v[4:5], v[4:5], off
	s_waitcnt vmcnt(0)
	v_lshl_add_u64 v[4:5], s[18:19], 1, v[4:5]
.LBB584_4:
	s_or_b64 exec, exec, s[4:5]
	s_and_saveexec_b64 s[4:5], s[2:3]
	s_cbranch_execz .LBB584_6
; %bb.5:
	s_load_dwordx4 s[12:15], s[0:1], 0x38
	s_waitcnt lgkmcnt(0)
	v_mov_b32_e32 v6, s12
	v_mov_b32_e32 v7, s13
	v_lshl_add_u64 v[6:7], v[2:3], 3, v[6:7]
	global_load_dwordx2 v[6:7], v[6:7], off
	s_waitcnt vmcnt(0)
	v_lshl_add_u64 v[6:7], s[14:15], 1, v[6:7]
.LBB584_6:
	s_or_b64 exec, exec, s[4:5]
	v_mov_b32_e32 v8, s8
	v_mov_b32_e32 v9, s9
	v_lshl_add_u64 v[2:3], v[2:3], 3, v[8:9]
	global_load_dwordx2 v[2:3], v[2:3], off
	s_load_dwordx2 s[4:5], s[0:1], 0x0
	s_load_dword s33, s[0:1], 0x78
	v_and_b32_e32 v8, 0x3ff, v0
	s_waitcnt vmcnt(0)
	v_lshl_add_u64 v[2:3], s[10:11], 1, v[2:3]
	s_and_saveexec_b64 s[2:3], vcc
	s_xor_b64 s[6:7], exec, s[2:3]
	s_cbranch_execz .LBB584_20
; %bb.7:
	v_cmp_eq_f32_e64 s[2:3], 0, v10
	s_waitcnt lgkmcnt(0)
	v_cmp_gt_i32_e32 vcc, s4, v8
	s_and_saveexec_b64 s[8:9], s[2:3]
	s_xor_b64 s[2:3], exec, s[8:9]
	s_cbranch_execz .LBB584_11
; %bb.8:
	s_and_saveexec_b64 s[8:9], vcc
	s_cbranch_execz .LBB584_10
; %bb.9:
	v_mad_i64_i32 v[0:1], s[10:11], s33, v8, 0
	v_lshl_add_u64 v[0:1], v[0:1], 1, v[2:3]
	v_mov_b32_e32 v2, 0
	global_store_short v[0:1], v2, off
.LBB584_10:
	s_or_b64 exec, exec, s[8:9]
                                        ; implicit-def: $vgpr8
                                        ; implicit-def: $vgpr2_vgpr3
                                        ; implicit-def: $vgpr10
.LBB584_11:
	s_andn2_saveexec_b64 s[2:3], s[2:3]
	s_cbranch_execz .LBB584_19
; %bb.12:
	s_and_saveexec_b64 s[8:9], vcc
	s_cbranch_execz .LBB584_18
; %bb.13:
	v_mad_i64_i32 v[0:1], s[10:11], s33, v8, 0
	v_lshl_add_u64 v[0:1], v[0:1], 1, v[2:3]
	global_load_ushort v2, v[0:1], off
	s_mov_b32 s10, 0x7f800000
	s_waitcnt vmcnt(0)
	v_lshlrev_b32_e32 v2, 16, v2
	v_mul_f32_e32 v2, v10, v2
	v_and_b32_e32 v3, 0x7f800000, v2
	v_cmp_ne_u32_e32 vcc, s10, v3
                                        ; implicit-def: $vgpr3
	s_and_saveexec_b64 s[10:11], vcc
	s_xor_b64 s[10:11], exec, s[10:11]
; %bb.14:
	v_bfe_u32 v3, v2, 16, 1
	s_movk_i32 s12, 0x7fff
	v_add3_u32 v3, v2, v3, s12
                                        ; implicit-def: $vgpr2
; %bb.15:
	s_andn2_saveexec_b64 s[10:11], s[10:11]
; %bb.16:
	v_mov_b32_e32 v3, 0
	v_or_b32_e32 v4, 0x10000, v2
	v_cmp_eq_u32_sdwa vcc, v2, v3 src0_sel:WORD_0 src1_sel:DWORD
	s_nop 1
	v_cndmask_b32_e32 v3, v4, v2, vcc
; %bb.17:
	s_or_b64 exec, exec, s[10:11]
	global_store_short_d16_hi v[0:1], v3, off
.LBB584_18:
	s_or_b64 exec, exec, s[8:9]
.LBB584_19:
	s_or_b64 exec, exec, s[2:3]
                                        ; implicit-def: $vgpr8
                                        ; implicit-def: $vgpr2_vgpr3
                                        ; implicit-def: $vgpr1
                                        ; implicit-def: $vgpr6_vgpr7
                                        ; implicit-def: $vgpr11
                                        ; implicit-def: $vgpr4_vgpr5
                                        ; implicit-def: $vgpr10
.LBB584_20:
	s_andn2_saveexec_b64 s[2:3], s[6:7]
	s_cbranch_execz .LBB584_135
; %bb.21:
	v_lshlrev_b32_e32 v9, 7, v1
	s_waitcnt lgkmcnt(0)
	v_cmp_gt_i32_e32 vcc, s5, v8
	s_and_saveexec_b64 s[2:3], vcc
	s_cbranch_execz .LBB584_27
; %bb.22:
	s_load_dword s6, s[0:1], 0x48
	s_waitcnt lgkmcnt(0)
	v_mad_i64_i32 v[0:1], s[6:7], s6, v8, 0
	v_lshl_add_u64 v[0:1], v[0:1], 1, v[6:7]
	flat_load_ushort v0, v[0:1]
	s_mov_b32 s6, 0x7f800000
	s_waitcnt vmcnt(0) lgkmcnt(0)
	v_lshlrev_b32_e32 v0, 16, v0
	v_mul_f32_e32 v0, v11, v0
	v_and_b32_e32 v1, 0x7f800000, v0
	v_cmp_ne_u32_e32 vcc, s6, v1
                                        ; implicit-def: $vgpr1
	s_and_saveexec_b64 s[6:7], vcc
	s_xor_b64 s[6:7], exec, s[6:7]
; %bb.23:
	v_bfe_u32 v1, v0, 16, 1
	s_movk_i32 s8, 0x7fff
	v_add3_u32 v1, v0, v1, s8
                                        ; implicit-def: $vgpr0
; %bb.24:
	s_andn2_saveexec_b64 s[6:7], s[6:7]
; %bb.25:
	v_mov_b32_e32 v1, 0
	v_or_b32_e32 v6, 0x10000, v0
	v_cmp_eq_u32_sdwa vcc, v0, v1 src0_sel:WORD_0 src1_sel:DWORD
	s_nop 1
	v_cndmask_b32_e32 v1, v6, v0, vcc
; %bb.26:
	s_or_b64 exec, exec, s[6:7]
	v_and_b32_e32 v0, 0xffff0000, v1
	v_lshl_add_u32 v1, v8, 2, v9
	ds_write_b32 v1, v0
.LBB584_27:
	s_or_b64 exec, exec, s[2:3]
	v_cmp_gt_i32_e32 vcc, s4, v8
	s_waitcnt lgkmcnt(0)
	s_barrier
	s_and_saveexec_b64 s[2:3], vcc
	s_cbranch_execz .LBB584_135
; %bb.28:
	v_cmp_neq_f32_e32 vcc, 0, v10
	v_mov_b32_e32 v6, 0
	s_and_saveexec_b64 s[2:3], vcc
	s_cbranch_execz .LBB584_34
; %bb.29:
	v_mad_i64_i32 v[0:1], s[6:7], s33, v8, 0
	v_lshl_add_u64 v[0:1], v[0:1], 1, v[2:3]
	global_load_ushort v0, v[0:1], off
	s_mov_b32 s4, 0x7f800000
	s_waitcnt vmcnt(0)
	v_lshlrev_b32_e32 v0, 16, v0
	v_mul_f32_e32 v0, v10, v0
	v_and_b32_e32 v1, 0x7f800000, v0
	v_cmp_ne_u32_e32 vcc, s4, v1
                                        ; implicit-def: $vgpr1
	s_and_saveexec_b64 s[6:7], vcc
	s_xor_b64 s[6:7], exec, s[6:7]
; %bb.30:
	v_bfe_u32 v1, v0, 16, 1
	s_movk_i32 s4, 0x7fff
	v_add3_u32 v1, v0, v1, s4
                                        ; implicit-def: $vgpr0
; %bb.31:
	s_andn2_saveexec_b64 s[6:7], s[6:7]
; %bb.32:
	v_mov_b32_e32 v1, 0
	v_or_b32_e32 v6, 0x10000, v0
	v_cmp_eq_u32_sdwa vcc, v0, v1 src0_sel:WORD_0 src1_sel:DWORD
	s_nop 1
	v_cndmask_b32_e32 v1, v6, v0, vcc
; %bb.33:
	s_or_b64 exec, exec, s[6:7]
	v_and_b32_e32 v6, 0xffff0000, v1
.LBB584_34:
	s_or_b64 exec, exec, s[2:3]
	v_lshlrev_b32_e32 v0, 1, v8
	v_mov_b32_e32 v1, 0
	s_cmp_gt_i32 s5, 0
	v_lshl_add_u64 v[4:5], v[4:5], 0, v[0:1]
	s_cselect_b64 s[2:3], -1, 0
	s_cmp_lt_i32 s5, 1
	v_mov_b32_e32 v12, 0
	s_cbranch_scc1 .LBB584_36
; %bb.35:
	flat_load_ushort v0, v[4:5]
	s_waitcnt vmcnt(0) lgkmcnt(0)
	v_lshlrev_b32_e32 v12, 16, v0
.LBB584_36:
	s_load_dword s38, s[0:1], 0x28
	s_waitcnt lgkmcnt(0)
	s_ashr_i32 s39, s38, 31
	s_cmp_gt_i32 s5, 1
	s_cselect_b64 s[0:1], -1, 0
	s_cmp_lt_i32 s5, 2
	s_cbranch_scc1 .LBB584_38
; %bb.37:
	v_lshl_add_u64 v[0:1], s[38:39], 1, v[4:5]
	flat_load_ushort v0, v[0:1]
	s_waitcnt vmcnt(0) lgkmcnt(0)
	v_lshlrev_b32_e32 v1, 16, v0
.LBB584_38:
	s_cmp_gt_i32 s5, 2
	s_cselect_b64 s[6:7], -1, 0
	s_cmp_lt_i32 s5, 3
	v_mov_b32_e32 v0, 0
	v_mov_b32_e32 v16, 0
	s_cbranch_scc1 .LBB584_40
; %bb.39:
	v_lshl_add_u64 v[10:11], s[38:39], 2, v[4:5]
	flat_load_ushort v7, v[10:11]
	s_waitcnt vmcnt(0) lgkmcnt(0)
	v_lshlrev_b32_e32 v16, 16, v7
.LBB584_40:
	s_cmp_gt_i32 s5, 3
	s_cselect_b64 s[8:9], -1, 0
	s_cmp_lt_i32 s5, 4
	s_cbranch_scc1 .LBB584_42
; %bb.41:
	v_mad_i64_i32 v[10:11], s[10:11], s38, 6, v[4:5]
	flat_load_ushort v0, v[10:11]
	s_waitcnt vmcnt(0) lgkmcnt(0)
	v_lshlrev_b32_e32 v0, 16, v0
.LBB584_42:
	s_cmp_gt_i32 s5, 4
	s_cselect_b64 s[10:11], -1, 0
	s_cmp_lt_i32 s5, 5
	v_mov_b32_e32 v7, 0
	v_mov_b32_e32 v18, 0
	s_cbranch_scc1 .LBB584_44
; %bb.43:
	v_lshl_add_u64 v[10:11], s[38:39], 3, v[4:5]
	flat_load_ushort v10, v[10:11]
	s_waitcnt vmcnt(0) lgkmcnt(0)
	v_lshlrev_b32_e32 v18, 16, v10
.LBB584_44:
	s_cmp_gt_i32 s5, 5
	s_cselect_b64 s[12:13], -1, 0
	s_cmp_lt_i32 s5, 6
	s_cbranch_scc1 .LBB584_46
; %bb.45:
	v_mad_i64_i32 v[10:11], s[14:15], s38, 10, v[4:5]
	flat_load_ushort v7, v[10:11]
	s_waitcnt vmcnt(0) lgkmcnt(0)
	v_lshlrev_b32_e32 v7, 16, v7
.LBB584_46:
	s_cmp_gt_i32 s5, 6
	s_cselect_b64 s[14:15], -1, 0
	s_cmp_lt_i32 s5, 7
	v_mov_b32_e32 v10, 0
	v_mov_b32_e32 v19, 0
	s_cbranch_scc1 .LBB584_48
; %bb.47:
	v_mad_i64_i32 v[14:15], s[16:17], s38, 12, v[4:5]
	flat_load_ushort v11, v[14:15]
	s_waitcnt vmcnt(0) lgkmcnt(0)
	v_lshlrev_b32_e32 v19, 16, v11
.LBB584_48:
	s_cmp_gt_i32 s5, 7
	s_cselect_b64 s[16:17], -1, 0
	s_cmp_lt_i32 s5, 8
	s_cbranch_scc1 .LBB584_50
; %bb.49:
	v_mad_i64_i32 v[10:11], s[18:19], s38, 14, v[4:5]
	flat_load_ushort v10, v[10:11]
	s_waitcnt vmcnt(0) lgkmcnt(0)
	v_lshlrev_b32_e32 v10, 16, v10
.LBB584_50:
	s_cmp_gt_i32 s5, 8
	s_cselect_b64 s[18:19], -1, 0
	s_cmp_lt_i32 s5, 9
	v_mov_b32_e32 v11, 0
	v_mov_b32_e32 v21, 0
	s_cbranch_scc1 .LBB584_52
; %bb.51:
	v_lshl_add_u64 v[14:15], s[38:39], 4, v[4:5]
	flat_load_ushort v13, v[14:15]
	s_waitcnt vmcnt(0) lgkmcnt(0)
	v_lshlrev_b32_e32 v21, 16, v13
.LBB584_52:
	s_cmp_gt_i32 s5, 9
	s_cselect_b64 s[20:21], -1, 0
	s_cmp_lt_i32 s5, 10
	s_cbranch_scc1 .LBB584_54
; %bb.53:
	v_mad_i64_i32 v[14:15], s[22:23], s38, 18, v[4:5]
	flat_load_ushort v11, v[14:15]
	s_waitcnt vmcnt(0) lgkmcnt(0)
	v_lshlrev_b32_e32 v11, 16, v11
.LBB584_54:
	s_cmp_gt_i32 s5, 10
	s_cselect_b64 s[22:23], -1, 0
	s_cmp_lt_i32 s5, 11
	v_mov_b32_e32 v13, 0
	v_mov_b32_e32 v23, 0
	s_cbranch_scc1 .LBB584_56
; %bb.55:
	v_mad_i64_i32 v[14:15], s[24:25], s38, 20, v[4:5]
	flat_load_ushort v14, v[14:15]
	s_waitcnt vmcnt(0) lgkmcnt(0)
	v_lshlrev_b32_e32 v23, 16, v14
.LBB584_56:
	s_cmp_gt_i32 s5, 11
	s_cselect_b64 s[24:25], -1, 0
	s_cmp_lt_i32 s5, 12
	s_cbranch_scc1 .LBB584_58
; %bb.57:
	v_mad_i64_i32 v[14:15], s[26:27], s38, 22, v[4:5]
	flat_load_ushort v13, v[14:15]
	s_waitcnt vmcnt(0) lgkmcnt(0)
	v_lshlrev_b32_e32 v13, 16, v13
.LBB584_58:
	s_cmp_gt_i32 s5, 12
	s_cselect_b64 s[26:27], -1, 0
	s_cmp_lt_i32 s5, 13
	v_mov_b32_e32 v14, 0
	v_mov_b32_e32 v25, 0
	s_cbranch_scc1 .LBB584_60
; %bb.59:
	v_mad_i64_i32 v[24:25], s[28:29], s38, 24, v[4:5]
	flat_load_ushort v15, v[24:25]
	s_waitcnt vmcnt(0) lgkmcnt(0)
	v_lshlrev_b32_e32 v25, 16, v15
.LBB584_60:
	;; [unrolled: 22-line block ×3, first 2 shown]
	s_cmp_gt_i32 s5, 15
	s_cselect_b64 s[34:35], -1, 0
	s_cmp_lt_i32 s5, 16
	s_cbranch_scc1 .LBB584_66
; %bb.65:
	v_mad_i64_i32 v[28:29], s[36:37], s38, 30, v[4:5]
	flat_load_ushort v15, v[28:29]
	s_waitcnt vmcnt(0) lgkmcnt(0)
	v_lshlrev_b32_e32 v15, 16, v15
.LBB584_66:
	s_cmp_gt_i32 s5, 16
	s_cselect_b64 s[36:37], -1, 0
	s_cmp_lt_i32 s5, 17
	v_mov_b32_e32 v17, 0
	v_mov_b32_e32 v30, 0
	s_cbranch_scc1 .LBB584_68
; %bb.67:
	s_lshl_b64 s[40:41], s[38:39], 5
	v_lshl_add_u64 v[28:29], v[4:5], 0, s[40:41]
	flat_load_ushort v20, v[28:29]
	s_waitcnt vmcnt(0) lgkmcnt(0)
	v_lshlrev_b32_e32 v30, 16, v20
.LBB584_68:
	s_cmp_gt_i32 s5, 17
	s_cselect_b64 s[40:41], -1, 0
	s_cmp_lt_i32 s5, 18
	s_cbranch_scc1 .LBB584_70
; %bb.69:
	v_mad_i64_i32 v[28:29], s[42:43], s38, 34, v[4:5]
	flat_load_ushort v17, v[28:29]
	s_waitcnt vmcnt(0) lgkmcnt(0)
	v_lshlrev_b32_e32 v17, 16, v17
.LBB584_70:
	s_cmp_gt_i32 s5, 18
	s_cselect_b64 s[42:43], -1, 0
	s_cmp_lt_i32 s5, 19
	v_mov_b32_e32 v20, 0
	v_mov_b32_e32 v32, 0
	s_cbranch_scc1 .LBB584_72
; %bb.71:
	v_mad_i64_i32 v[28:29], s[44:45], s38, 36, v[4:5]
	flat_load_ushort v22, v[28:29]
	s_waitcnt vmcnt(0) lgkmcnt(0)
	v_lshlrev_b32_e32 v32, 16, v22
.LBB584_72:
	s_cmp_gt_i32 s5, 19
	s_cselect_b64 s[44:45], -1, 0
	s_cmp_lt_i32 s5, 20
	s_cbranch_scc1 .LBB584_74
; %bb.73:
	v_mad_i64_i32 v[28:29], s[46:47], s38, 38, v[4:5]
	flat_load_ushort v20, v[28:29]
	s_waitcnt vmcnt(0) lgkmcnt(0)
	v_lshlrev_b32_e32 v20, 16, v20
.LBB584_74:
	s_cmp_gt_i32 s5, 20
	s_cselect_b64 s[46:47], -1, 0
	s_cmp_lt_i32 s5, 21
	v_mov_b32_e32 v22, 0
	v_mov_b32_e32 v33, 0
	s_cbranch_scc1 .LBB584_76
; %bb.75:
	v_mad_i64_i32 v[28:29], s[48:49], s38, 40, v[4:5]
	flat_load_ushort v24, v[28:29]
	s_waitcnt vmcnt(0) lgkmcnt(0)
	v_lshlrev_b32_e32 v33, 16, v24
.LBB584_76:
	;; [unrolled: 22-line block ×6, first 2 shown]
	s_cmp_gt_i32 s5, 29
	s_cselect_b64 s[64:65], -1, 0
	s_cmp_lt_i32 s5, 30
	s_cbranch_scc1 .LBB584_94
; %bb.93:
	v_mad_i64_i32 v[38:39], s[66:67], s38, 58, v[4:5]
	flat_load_ushort v29, v[38:39]
	s_waitcnt vmcnt(0) lgkmcnt(0)
	v_lshlrev_b32_e32 v29, 16, v29
.LBB584_94:
	s_cmp_gt_i32 s5, 30
	s_cselect_b64 s[66:67], -1, 0
	s_cmp_lt_i32 s5, 31
	v_mov_b32_e32 v31, 0
	v_mov_b32_e32 v38, 0
	s_cbranch_scc0 .LBB584_136
; %bb.95:
	s_cmp_gt_i32 s5, 31
	s_cselect_b64 s[68:69], -1, 0
	s_cmp_lt_i32 s5, 32
	s_cbranch_scc0 .LBB584_137
.LBB584_96:
	s_and_b64 vcc, exec, s[2:3]
	v_mov_b32_e32 v4, 0
	v_mov_b32_e32 v5, 0
	s_cbranch_vccz .LBB584_98
.LBB584_97:
	ds_read_b32 v5, v9
	s_waitcnt lgkmcnt(0)
	v_mul_f32_e32 v5, v12, v5
.LBB584_98:
	s_andn2_b64 vcc, exec, s[0:1]
	s_cbranch_vccz .LBB584_138
; %bb.99:
	s_andn2_b64 vcc, exec, s[6:7]
	v_mov_b32_e32 v1, 0
	v_mov_b32_e32 v12, 0
	s_cbranch_vccz .LBB584_139
.LBB584_100:
	s_andn2_b64 vcc, exec, s[8:9]
	s_cbranch_vccz .LBB584_140
.LBB584_101:
	s_andn2_b64 vcc, exec, s[10:11]
	v_mov_b32_e32 v0, 0
	v_mov_b32_e32 v16, 0
	s_cbranch_vccz .LBB584_141
.LBB584_102:
	s_andn2_b64 vcc, exec, s[12:13]
	s_cbranch_vccz .LBB584_142
.LBB584_103:
	s_andn2_b64 vcc, exec, s[14:15]
	v_mov_b32_e32 v7, 0
	v_mov_b32_e32 v18, 0
	s_cbranch_vccz .LBB584_143
.LBB584_104:
	s_andn2_b64 vcc, exec, s[16:17]
	s_cbranch_vccz .LBB584_144
.LBB584_105:
	s_andn2_b64 vcc, exec, s[18:19]
	v_mov_b32_e32 v10, 0
	v_mov_b32_e32 v19, 0
	s_cbranch_vccz .LBB584_145
.LBB584_106:
	s_andn2_b64 vcc, exec, s[20:21]
	s_cbranch_vccz .LBB584_146
.LBB584_107:
	s_andn2_b64 vcc, exec, s[22:23]
	v_mov_b32_e32 v11, 0
	v_mov_b32_e32 v21, 0
	s_cbranch_vccz .LBB584_147
.LBB584_108:
	s_andn2_b64 vcc, exec, s[24:25]
	s_cbranch_vccz .LBB584_148
.LBB584_109:
	s_andn2_b64 vcc, exec, s[26:27]
	v_mov_b32_e32 v13, 0
	v_mov_b32_e32 v23, 0
	s_cbranch_vccz .LBB584_149
.LBB584_110:
	s_andn2_b64 vcc, exec, s[28:29]
	s_cbranch_vccz .LBB584_150
.LBB584_111:
	s_andn2_b64 vcc, exec, s[30:31]
	v_mov_b32_e32 v14, 0
	v_mov_b32_e32 v25, 0
	s_cbranch_vccz .LBB584_151
.LBB584_112:
	s_andn2_b64 vcc, exec, s[34:35]
	s_cbranch_vccz .LBB584_152
.LBB584_113:
	s_andn2_b64 vcc, exec, s[36:37]
	v_mov_b32_e32 v15, 0
	v_mov_b32_e32 v27, 0
	s_cbranch_vccz .LBB584_153
.LBB584_114:
	s_andn2_b64 vcc, exec, s[40:41]
	s_cbranch_vccz .LBB584_154
.LBB584_115:
	s_andn2_b64 vcc, exec, s[42:43]
	v_mov_b32_e32 v17, 0
	v_mov_b32_e32 v30, 0
	s_cbranch_vccz .LBB584_155
.LBB584_116:
	s_andn2_b64 vcc, exec, s[44:45]
	s_cbranch_vccz .LBB584_156
.LBB584_117:
	s_andn2_b64 vcc, exec, s[46:47]
	v_mov_b32_e32 v20, 0
	v_mov_b32_e32 v32, 0
	s_cbranch_vccz .LBB584_157
.LBB584_118:
	s_andn2_b64 vcc, exec, s[48:49]
	s_cbranch_vccz .LBB584_158
.LBB584_119:
	s_andn2_b64 vcc, exec, s[50:51]
	v_mov_b32_e32 v22, 0
	v_mov_b32_e32 v33, 0
	s_cbranch_vccz .LBB584_159
.LBB584_120:
	s_andn2_b64 vcc, exec, s[52:53]
	s_cbranch_vccz .LBB584_160
.LBB584_121:
	s_andn2_b64 vcc, exec, s[54:55]
	v_mov_b32_e32 v24, 0
	v_mov_b32_e32 v34, 0
	s_cbranch_vccz .LBB584_161
.LBB584_122:
	s_andn2_b64 vcc, exec, s[56:57]
	s_cbranch_vccz .LBB584_162
.LBB584_123:
	s_andn2_b64 vcc, exec, s[58:59]
	v_mov_b32_e32 v26, 0
	v_mov_b32_e32 v35, 0
	s_cbranch_vccz .LBB584_163
.LBB584_124:
	s_andn2_b64 vcc, exec, s[60:61]
	s_cbranch_vccz .LBB584_164
.LBB584_125:
	s_andn2_b64 vcc, exec, s[62:63]
	v_mov_b32_e32 v28, 0
	v_mov_b32_e32 v36, 0
	s_cbranch_vccz .LBB584_165
.LBB584_126:
	s_andn2_b64 vcc, exec, s[64:65]
	s_cbranch_vccz .LBB584_166
.LBB584_127:
	s_andn2_b64 vcc, exec, s[66:67]
	v_mov_b32_e32 v29, 0
	v_mov_b32_e32 v37, 0
	s_cbranch_vccz .LBB584_167
.LBB584_128:
	s_andn2_b64 vcc, exec, s[68:69]
	s_cbranch_vccnz .LBB584_130
.LBB584_129:
	ds_read_b32 v9, v9 offset:124
	s_waitcnt lgkmcnt(0)
	v_mul_f32_e32 v29, v31, v9
.LBB584_130:
	v_add_f32_e32 v5, v6, v5
	v_add_f32_e32 v4, v5, v4
	;; [unrolled: 1-line block ×32, first 2 shown]
	s_mov_b32 s0, 0x7f800000
	v_and_b32_e32 v1, 0x7f800000, v0
	v_cmp_ne_u32_e32 vcc, s0, v1
                                        ; implicit-def: $vgpr1
	s_and_saveexec_b64 s[0:1], vcc
	s_xor_b64 s[0:1], exec, s[0:1]
; %bb.131:
	v_bfe_u32 v1, v0, 16, 1
	s_movk_i32 s2, 0x7fff
	v_add3_u32 v1, v0, v1, s2
                                        ; implicit-def: $vgpr0
; %bb.132:
	s_andn2_saveexec_b64 s[0:1], s[0:1]
; %bb.133:
	v_mov_b32_e32 v1, 0
	v_or_b32_e32 v4, 0x10000, v0
	v_cmp_eq_u32_sdwa vcc, v0, v1 src0_sel:WORD_0 src1_sel:DWORD
	s_nop 1
	v_cndmask_b32_e32 v1, v4, v0, vcc
; %bb.134:
	s_or_b64 exec, exec, s[0:1]
	v_mad_i64_i32 v[4:5], s[0:1], s33, v8, 0
	v_lshl_add_u64 v[2:3], v[4:5], 1, v[2:3]
	global_store_short_d16_hi v[2:3], v1, off
.LBB584_135:
	s_endpgm
.LBB584_136:
	v_mad_i64_i32 v[38:39], s[68:69], s38, 60, v[4:5]
	flat_load_ushort v38, v[38:39]
	s_waitcnt vmcnt(0) lgkmcnt(0)
	v_lshlrev_b32_e32 v38, 16, v38
	s_cmp_gt_i32 s5, 31
	s_cselect_b64 s[68:69], -1, 0
	s_cmp_lt_i32 s5, 32
	s_cbranch_scc1 .LBB584_96
.LBB584_137:
	v_mad_i64_i32 v[4:5], s[4:5], s38, 62, v[4:5]
	flat_load_ushort v4, v[4:5]
	s_waitcnt vmcnt(0) lgkmcnt(0)
	v_lshlrev_b32_e32 v31, 16, v4
	s_and_b64 vcc, exec, s[2:3]
	v_mov_b32_e32 v4, 0
	v_mov_b32_e32 v5, 0
	s_cbranch_vccnz .LBB584_97
	s_branch .LBB584_98
.LBB584_138:
	ds_read_b32 v4, v9 offset:4
	s_waitcnt lgkmcnt(0)
	v_mul_f32_e32 v4, v1, v4
	s_andn2_b64 vcc, exec, s[6:7]
	v_mov_b32_e32 v1, 0
	v_mov_b32_e32 v12, 0
	s_cbranch_vccnz .LBB584_100
.LBB584_139:
	ds_read_b32 v12, v9 offset:8
	s_waitcnt lgkmcnt(0)
	v_mul_f32_e32 v12, v16, v12
	s_andn2_b64 vcc, exec, s[8:9]
	s_cbranch_vccnz .LBB584_101
.LBB584_140:
	ds_read_b32 v1, v9 offset:12
	s_waitcnt lgkmcnt(0)
	v_mul_f32_e32 v1, v0, v1
	s_andn2_b64 vcc, exec, s[10:11]
	v_mov_b32_e32 v0, 0
	v_mov_b32_e32 v16, 0
	s_cbranch_vccnz .LBB584_102
.LBB584_141:
	ds_read_b32 v16, v9 offset:16
	s_waitcnt lgkmcnt(0)
	v_mul_f32_e32 v16, v18, v16
	s_andn2_b64 vcc, exec, s[12:13]
	s_cbranch_vccnz .LBB584_103
.LBB584_142:
	ds_read_b32 v0, v9 offset:20
	s_waitcnt lgkmcnt(0)
	v_mul_f32_e32 v0, v7, v0
	s_andn2_b64 vcc, exec, s[14:15]
	v_mov_b32_e32 v7, 0
	v_mov_b32_e32 v18, 0
	s_cbranch_vccnz .LBB584_104
.LBB584_143:
	ds_read_b32 v18, v9 offset:24
	s_waitcnt lgkmcnt(0)
	v_mul_f32_e32 v18, v19, v18
	s_andn2_b64 vcc, exec, s[16:17]
	s_cbranch_vccnz .LBB584_105
.LBB584_144:
	ds_read_b32 v7, v9 offset:28
	s_waitcnt lgkmcnt(0)
	v_mul_f32_e32 v7, v10, v7
	s_andn2_b64 vcc, exec, s[18:19]
	v_mov_b32_e32 v10, 0
	v_mov_b32_e32 v19, 0
	s_cbranch_vccnz .LBB584_106
.LBB584_145:
	ds_read_b32 v19, v9 offset:32
	s_waitcnt lgkmcnt(0)
	v_mul_f32_e32 v19, v21, v19
	s_andn2_b64 vcc, exec, s[20:21]
	s_cbranch_vccnz .LBB584_107
.LBB584_146:
	ds_read_b32 v10, v9 offset:36
	s_waitcnt lgkmcnt(0)
	v_mul_f32_e32 v10, v11, v10
	s_andn2_b64 vcc, exec, s[22:23]
	v_mov_b32_e32 v11, 0
	v_mov_b32_e32 v21, 0
	s_cbranch_vccnz .LBB584_108
.LBB584_147:
	ds_read_b32 v21, v9 offset:40
	s_waitcnt lgkmcnt(0)
	v_mul_f32_e32 v21, v23, v21
	s_andn2_b64 vcc, exec, s[24:25]
	s_cbranch_vccnz .LBB584_109
.LBB584_148:
	ds_read_b32 v11, v9 offset:44
	s_waitcnt lgkmcnt(0)
	v_mul_f32_e32 v11, v13, v11
	s_andn2_b64 vcc, exec, s[26:27]
	v_mov_b32_e32 v13, 0
	v_mov_b32_e32 v23, 0
	s_cbranch_vccnz .LBB584_110
.LBB584_149:
	ds_read_b32 v23, v9 offset:48
	s_waitcnt lgkmcnt(0)
	v_mul_f32_e32 v23, v25, v23
	s_andn2_b64 vcc, exec, s[28:29]
	s_cbranch_vccnz .LBB584_111
.LBB584_150:
	ds_read_b32 v13, v9 offset:52
	s_waitcnt lgkmcnt(0)
	v_mul_f32_e32 v13, v14, v13
	s_andn2_b64 vcc, exec, s[30:31]
	v_mov_b32_e32 v14, 0
	v_mov_b32_e32 v25, 0
	s_cbranch_vccnz .LBB584_112
.LBB584_151:
	ds_read_b32 v25, v9 offset:56
	s_waitcnt lgkmcnt(0)
	v_mul_f32_e32 v25, v27, v25
	s_andn2_b64 vcc, exec, s[34:35]
	s_cbranch_vccnz .LBB584_113
.LBB584_152:
	ds_read_b32 v14, v9 offset:60
	s_waitcnt lgkmcnt(0)
	v_mul_f32_e32 v14, v15, v14
	s_andn2_b64 vcc, exec, s[36:37]
	v_mov_b32_e32 v15, 0
	v_mov_b32_e32 v27, 0
	s_cbranch_vccnz .LBB584_114
.LBB584_153:
	ds_read_b32 v27, v9 offset:64
	s_waitcnt lgkmcnt(0)
	v_mul_f32_e32 v27, v30, v27
	s_andn2_b64 vcc, exec, s[40:41]
	s_cbranch_vccnz .LBB584_115
.LBB584_154:
	ds_read_b32 v15, v9 offset:68
	s_waitcnt lgkmcnt(0)
	v_mul_f32_e32 v15, v17, v15
	s_andn2_b64 vcc, exec, s[42:43]
	v_mov_b32_e32 v17, 0
	v_mov_b32_e32 v30, 0
	s_cbranch_vccnz .LBB584_116
.LBB584_155:
	ds_read_b32 v30, v9 offset:72
	s_waitcnt lgkmcnt(0)
	v_mul_f32_e32 v30, v32, v30
	s_andn2_b64 vcc, exec, s[44:45]
	s_cbranch_vccnz .LBB584_117
.LBB584_156:
	ds_read_b32 v17, v9 offset:76
	s_waitcnt lgkmcnt(0)
	v_mul_f32_e32 v17, v20, v17
	s_andn2_b64 vcc, exec, s[46:47]
	v_mov_b32_e32 v20, 0
	v_mov_b32_e32 v32, 0
	s_cbranch_vccnz .LBB584_118
.LBB584_157:
	ds_read_b32 v32, v9 offset:80
	s_waitcnt lgkmcnt(0)
	v_mul_f32_e32 v32, v33, v32
	s_andn2_b64 vcc, exec, s[48:49]
	s_cbranch_vccnz .LBB584_119
.LBB584_158:
	ds_read_b32 v20, v9 offset:84
	s_waitcnt lgkmcnt(0)
	v_mul_f32_e32 v20, v22, v20
	s_andn2_b64 vcc, exec, s[50:51]
	v_mov_b32_e32 v22, 0
	v_mov_b32_e32 v33, 0
	s_cbranch_vccnz .LBB584_120
.LBB584_159:
	ds_read_b32 v33, v9 offset:88
	s_waitcnt lgkmcnt(0)
	v_mul_f32_e32 v33, v34, v33
	s_andn2_b64 vcc, exec, s[52:53]
	s_cbranch_vccnz .LBB584_121
.LBB584_160:
	ds_read_b32 v22, v9 offset:92
	s_waitcnt lgkmcnt(0)
	v_mul_f32_e32 v22, v24, v22
	s_andn2_b64 vcc, exec, s[54:55]
	v_mov_b32_e32 v24, 0
	v_mov_b32_e32 v34, 0
	s_cbranch_vccnz .LBB584_122
.LBB584_161:
	ds_read_b32 v34, v9 offset:96
	s_waitcnt lgkmcnt(0)
	v_mul_f32_e32 v34, v35, v34
	s_andn2_b64 vcc, exec, s[56:57]
	s_cbranch_vccnz .LBB584_123
.LBB584_162:
	ds_read_b32 v24, v9 offset:100
	s_waitcnt lgkmcnt(0)
	v_mul_f32_e32 v24, v26, v24
	s_andn2_b64 vcc, exec, s[58:59]
	v_mov_b32_e32 v26, 0
	v_mov_b32_e32 v35, 0
	s_cbranch_vccnz .LBB584_124
.LBB584_163:
	ds_read_b32 v35, v9 offset:104
	s_waitcnt lgkmcnt(0)
	v_mul_f32_e32 v35, v36, v35
	s_andn2_b64 vcc, exec, s[60:61]
	s_cbranch_vccnz .LBB584_125
.LBB584_164:
	ds_read_b32 v26, v9 offset:108
	s_waitcnt lgkmcnt(0)
	v_mul_f32_e32 v26, v28, v26
	s_andn2_b64 vcc, exec, s[62:63]
	v_mov_b32_e32 v28, 0
	v_mov_b32_e32 v36, 0
	s_cbranch_vccnz .LBB584_126
.LBB584_165:
	ds_read_b32 v36, v9 offset:112
	s_waitcnt lgkmcnt(0)
	v_mul_f32_e32 v36, v37, v36
	s_andn2_b64 vcc, exec, s[64:65]
	s_cbranch_vccnz .LBB584_127
.LBB584_166:
	ds_read_b32 v28, v9 offset:116
	s_waitcnt lgkmcnt(0)
	v_mul_f32_e32 v28, v29, v28
	s_andn2_b64 vcc, exec, s[66:67]
	v_mov_b32_e32 v29, 0
	v_mov_b32_e32 v37, 0
	s_cbranch_vccnz .LBB584_128
.LBB584_167:
	ds_read_b32 v37, v9 offset:120
	s_waitcnt lgkmcnt(0)
	v_mul_f32_e32 v37, v38, v37
	s_andn2_b64 vcc, exec, s[68:69]
	s_cbranch_vccz .LBB584_129
	s_branch .LBB584_130
	.section	.rodata,"a",@progbits
	.p2align	6, 0x0
	.amdhsa_kernel _ZL34rocblas_gemvn_sm_mn_batched_kernelILi32ELi24EPK16rocblas_bfloat16PKfKPS0_EviiT2_lPKT1_lilSA_lilS7_lPT3_lili
		.amdhsa_group_segment_fixed_size 3072
		.amdhsa_private_segment_fixed_size 0
		.amdhsa_kernarg_size 400
		.amdhsa_user_sgpr_count 2
		.amdhsa_user_sgpr_dispatch_ptr 0
		.amdhsa_user_sgpr_queue_ptr 0
		.amdhsa_user_sgpr_kernarg_segment_ptr 1
		.amdhsa_user_sgpr_dispatch_id 0
		.amdhsa_user_sgpr_kernarg_preload_length 0
		.amdhsa_user_sgpr_kernarg_preload_offset 0
		.amdhsa_user_sgpr_private_segment_size 0
		.amdhsa_uses_dynamic_stack 0
		.amdhsa_enable_private_segment 0
		.amdhsa_system_sgpr_workgroup_id_x 1
		.amdhsa_system_sgpr_workgroup_id_y 0
		.amdhsa_system_sgpr_workgroup_id_z 0
		.amdhsa_system_sgpr_workgroup_info 0
		.amdhsa_system_vgpr_workitem_id 1
		.amdhsa_next_free_vgpr 40
		.amdhsa_next_free_sgpr 70
		.amdhsa_accum_offset 40
		.amdhsa_reserve_vcc 1
		.amdhsa_float_round_mode_32 0
		.amdhsa_float_round_mode_16_64 0
		.amdhsa_float_denorm_mode_32 3
		.amdhsa_float_denorm_mode_16_64 3
		.amdhsa_dx10_clamp 1
		.amdhsa_ieee_mode 1
		.amdhsa_fp16_overflow 0
		.amdhsa_tg_split 0
		.amdhsa_exception_fp_ieee_invalid_op 0
		.amdhsa_exception_fp_denorm_src 0
		.amdhsa_exception_fp_ieee_div_zero 0
		.amdhsa_exception_fp_ieee_overflow 0
		.amdhsa_exception_fp_ieee_underflow 0
		.amdhsa_exception_fp_ieee_inexact 0
		.amdhsa_exception_int_div_zero 0
	.end_amdhsa_kernel
	.section	.text._ZL34rocblas_gemvn_sm_mn_batched_kernelILi32ELi24EPK16rocblas_bfloat16PKfKPS0_EviiT2_lPKT1_lilSA_lilS7_lPT3_lili,"axG",@progbits,_ZL34rocblas_gemvn_sm_mn_batched_kernelILi32ELi24EPK16rocblas_bfloat16PKfKPS0_EviiT2_lPKT1_lilSA_lilS7_lPT3_lili,comdat
.Lfunc_end584:
	.size	_ZL34rocblas_gemvn_sm_mn_batched_kernelILi32ELi24EPK16rocblas_bfloat16PKfKPS0_EviiT2_lPKT1_lilSA_lilS7_lPT3_lili, .Lfunc_end584-_ZL34rocblas_gemvn_sm_mn_batched_kernelILi32ELi24EPK16rocblas_bfloat16PKfKPS0_EviiT2_lPKT1_lilSA_lilS7_lPT3_lili
                                        ; -- End function
	.section	.AMDGPU.csdata,"",@progbits
; Kernel info:
; codeLenInByte = 3948
; NumSgprs: 76
; NumVgprs: 40
; NumAgprs: 0
; TotalNumVgprs: 40
; ScratchSize: 0
; MemoryBound: 0
; FloatMode: 240
; IeeeMode: 1
; LDSByteSize: 3072 bytes/workgroup (compile time only)
; SGPRBlocks: 9
; VGPRBlocks: 4
; NumSGPRsForWavesPerEU: 76
; NumVGPRsForWavesPerEU: 40
; AccumOffset: 40
; Occupancy: 6
; WaveLimiterHint : 1
; COMPUTE_PGM_RSRC2:SCRATCH_EN: 0
; COMPUTE_PGM_RSRC2:USER_SGPR: 2
; COMPUTE_PGM_RSRC2:TRAP_HANDLER: 0
; COMPUTE_PGM_RSRC2:TGID_X_EN: 1
; COMPUTE_PGM_RSRC2:TGID_Y_EN: 0
; COMPUTE_PGM_RSRC2:TGID_Z_EN: 0
; COMPUTE_PGM_RSRC2:TIDIG_COMP_CNT: 1
; COMPUTE_PGM_RSRC3_GFX90A:ACCUM_OFFSET: 9
; COMPUTE_PGM_RSRC3_GFX90A:TG_SPLIT: 0
	.section	.text._ZL34rocblas_gemvn_sm_mn_batched_kernelILi32ELi24EPK16rocblas_bfloat16fKPS0_EviiT2_lPKT1_lilS8_lilS5_lPT3_lili,"axG",@progbits,_ZL34rocblas_gemvn_sm_mn_batched_kernelILi32ELi24EPK16rocblas_bfloat16fKPS0_EviiT2_lPKT1_lilS8_lilS5_lPT3_lili,comdat
	.globl	_ZL34rocblas_gemvn_sm_mn_batched_kernelILi32ELi24EPK16rocblas_bfloat16fKPS0_EviiT2_lPKT1_lilS8_lilS5_lPT3_lili ; -- Begin function _ZL34rocblas_gemvn_sm_mn_batched_kernelILi32ELi24EPK16rocblas_bfloat16fKPS0_EviiT2_lPKT1_lilS8_lilS5_lPT3_lili
	.p2align	8
	.type	_ZL34rocblas_gemvn_sm_mn_batched_kernelILi32ELi24EPK16rocblas_bfloat16fKPS0_EviiT2_lPKT1_lilS8_lilS5_lPT3_lili,@function
_ZL34rocblas_gemvn_sm_mn_batched_kernelILi32ELi24EPK16rocblas_bfloat16fKPS0_EviiT2_lPKT1_lilS8_lilS5_lPT3_lili: ; @_ZL34rocblas_gemvn_sm_mn_batched_kernelILi32ELi24EPK16rocblas_bfloat16fKPS0_EviiT2_lPKT1_lilS8_lilS5_lPT3_lili
; %bb.0:
	s_load_dword s3, s[0:1], 0x9c
	s_load_dword s4, s[0:1], 0x88
	v_bfe_u32 v9, v0, 10, 10
	s_waitcnt lgkmcnt(0)
	s_lshr_b32 s3, s3, 16
	s_mul_i32 s2, s2, s3
	v_add_u32_e32 v6, s2, v9
	v_cmp_gt_i32_e32 vcc, s4, v6
	s_and_saveexec_b64 s[2:3], vcc
	s_cbranch_execz .LBB585_138
; %bb.1:
	s_load_dwordx4 s[4:7], s[0:1], 0x0
	s_load_dword s14, s[0:1], 0x58
	s_waitcnt lgkmcnt(0)
	v_cmp_eq_f32_e64 s[2:3], s6, 0
	v_cmp_eq_f32_e64 s[8:9], s14, 1.0
	s_and_b64 s[8:9], s[2:3], s[8:9]
	s_and_b64 vcc, exec, s[8:9]
	s_cbranch_vccnz .LBB585_138
; %bb.2:
	v_cmp_neq_f32_e64 s[8:9], s6, 0
	s_and_b64 vcc, exec, s[8:9]
	s_cbranch_vccnz .LBB585_4
; %bb.3:
	v_mov_b32_e32 v7, 0
	s_mov_b64 s[12:13], 0
	v_mov_b64_e32 v[4:5], s[12:13]
	s_cbranch_execz .LBB585_5
	s_branch .LBB585_6
.LBB585_4:
                                        ; implicit-def: $sgpr12_sgpr13
	v_mov_b64_e32 v[4:5], s[12:13]
.LBB585_5:
	s_load_dwordx4 s[16:19], s[0:1], 0x18
	v_mov_b32_e32 v7, 0
	s_waitcnt lgkmcnt(0)
	v_mov_b32_e32 v2, s16
	v_mov_b32_e32 v3, s17
	v_lshl_add_u64 v[2:3], v[6:7], 3, v[2:3]
	global_load_dwordx2 v[2:3], v[2:3], off
	s_waitcnt vmcnt(0)
	v_lshl_add_u64 v[4:5], s[18:19], 1, v[2:3]
.LBB585_6:
	s_andn2_b64 vcc, exec, s[8:9]
	s_cbranch_vccnz .LBB585_8
; %bb.7:
	s_load_dwordx4 s[8:11], s[0:1], 0x38
	s_waitcnt lgkmcnt(0)
	v_mov_b32_e32 v2, s8
	v_mov_b32_e32 v3, s9
	v_lshl_add_u64 v[2:3], v[6:7], 3, v[2:3]
	global_load_dwordx2 v[2:3], v[2:3], off
	s_waitcnt vmcnt(0)
	v_lshl_add_u64 v[2:3], s[10:11], 1, v[2:3]
	s_branch .LBB585_9
.LBB585_8:
	v_mov_b64_e32 v[2:3], 0
.LBB585_9:
	s_load_dwordx4 s[8:11], s[0:1], 0x68
	s_load_dword s33, s[0:1], 0x78
	v_and_b32_e32 v8, 0x3ff, v0
	s_andn2_b64 vcc, exec, s[2:3]
	v_cmp_gt_i32_e64 s[2:3], s4, v8
	s_waitcnt lgkmcnt(0)
	v_mov_b32_e32 v10, s8
	v_mov_b32_e32 v11, s9
	v_lshl_add_u64 v[6:7], v[6:7], 3, v[10:11]
	global_load_dwordx2 v[6:7], v[6:7], off
	s_mov_b64 s[8:9], -1
	s_waitcnt vmcnt(0)
	v_lshl_add_u64 v[0:1], s[10:11], 1, v[6:7]
	s_cbranch_vccnz .LBB585_23
; %bb.10:
	v_cmp_eq_f32_e64 s[8:9], s14, 0
	s_and_b64 vcc, exec, s[8:9]
	s_cbranch_vccz .LBB585_14
; %bb.11:
	s_and_saveexec_b64 s[8:9], s[2:3]
	s_cbranch_execz .LBB585_13
; %bb.12:
	v_mad_i64_i32 v[6:7], s[10:11], s33, v8, 0
	v_lshl_add_u64 v[6:7], v[6:7], 1, v[0:1]
	v_mov_b32_e32 v10, 0
	global_store_short v[6:7], v10, off
.LBB585_13:
	s_or_b64 exec, exec, s[8:9]
	s_cbranch_execz .LBB585_15
	s_branch .LBB585_22
.LBB585_14:
.LBB585_15:
	s_and_saveexec_b64 s[8:9], s[2:3]
	s_cbranch_execz .LBB585_21
; %bb.16:
	v_mad_i64_i32 v[6:7], s[2:3], s33, v8, 0
	v_lshl_add_u64 v[6:7], v[6:7], 1, v[0:1]
	global_load_ushort v10, v[6:7], off
	s_mov_b32 s2, 0x7f800000
	s_waitcnt vmcnt(0)
	v_lshlrev_b32_e32 v10, 16, v10
	v_mul_f32_e32 v10, s14, v10
	v_and_b32_e32 v11, 0x7f800000, v10
	v_cmp_ne_u32_e32 vcc, s2, v11
                                        ; implicit-def: $vgpr11
	s_and_saveexec_b64 s[2:3], vcc
	s_xor_b64 s[2:3], exec, s[2:3]
; %bb.17:
	v_bfe_u32 v11, v10, 16, 1
	s_movk_i32 s7, 0x7fff
	v_add3_u32 v11, v10, v11, s7
                                        ; implicit-def: $vgpr10
; %bb.18:
	s_andn2_saveexec_b64 s[2:3], s[2:3]
; %bb.19:
	v_mov_b32_e32 v11, 0
	v_or_b32_e32 v12, 0x10000, v10
	v_cmp_eq_u32_sdwa vcc, v10, v11 src0_sel:WORD_0 src1_sel:DWORD
	s_nop 1
	v_cndmask_b32_e32 v11, v12, v10, vcc
; %bb.20:
	s_or_b64 exec, exec, s[2:3]
	global_store_short_d16_hi v[6:7], v11, off
.LBB585_21:
	s_or_b64 exec, exec, s[8:9]
.LBB585_22:
	s_mov_b64 s[8:9], 0
.LBB585_23:
	s_andn2_b64 vcc, exec, s[8:9]
	s_cbranch_vccnz .LBB585_138
; %bb.24:
	v_lshlrev_b32_e32 v6, 7, v9
	v_cmp_gt_i32_e32 vcc, s5, v8
	s_and_saveexec_b64 s[2:3], vcc
	s_cbranch_execz .LBB585_30
; %bb.25:
	s_load_dword s7, s[0:1], 0x48
	s_waitcnt lgkmcnt(0)
	v_mad_i64_i32 v[10:11], s[8:9], s7, v8, 0
	v_lshl_add_u64 v[2:3], v[10:11], 1, v[2:3]
	flat_load_ushort v2, v[2:3]
	s_waitcnt vmcnt(0) lgkmcnt(0)
	v_lshlrev_b32_e32 v2, 16, v2
	v_mul_f32_e32 v2, s6, v2
	s_mov_b32 s6, 0x7f800000
	v_and_b32_e32 v3, 0x7f800000, v2
	v_cmp_ne_u32_e32 vcc, s6, v3
                                        ; implicit-def: $vgpr3
	s_and_saveexec_b64 s[6:7], vcc
	s_xor_b64 s[6:7], exec, s[6:7]
; %bb.26:
	v_bfe_u32 v3, v2, 16, 1
	s_movk_i32 s8, 0x7fff
	v_add3_u32 v3, v2, v3, s8
                                        ; implicit-def: $vgpr2
; %bb.27:
	s_andn2_saveexec_b64 s[6:7], s[6:7]
; %bb.28:
	v_mov_b32_e32 v3, 0
	v_or_b32_e32 v7, 0x10000, v2
	v_cmp_eq_u32_sdwa vcc, v2, v3 src0_sel:WORD_0 src1_sel:DWORD
	s_nop 1
	v_cndmask_b32_e32 v3, v7, v2, vcc
; %bb.29:
	s_or_b64 exec, exec, s[6:7]
	v_and_b32_e32 v2, 0xffff0000, v3
	v_lshl_add_u32 v3, v8, 2, v6
	ds_write_b32 v3, v2
.LBB585_30:
	s_or_b64 exec, exec, s[2:3]
	v_cmp_gt_i32_e32 vcc, s4, v8
	s_waitcnt lgkmcnt(0)
	s_barrier
	s_and_b64 exec, exec, vcc
	s_cbranch_execz .LBB585_138
; %bb.31:
	v_cmp_eq_f32_e64 s[2:3], s14, 0
	v_mov_b32_e32 v7, 0
	s_and_b64 vcc, exec, s[2:3]
	s_cbranch_vccnz .LBB585_37
; %bb.32:
	v_mad_i64_i32 v[2:3], s[2:3], s33, v8, 0
	v_lshl_add_u64 v[2:3], v[2:3], 1, v[0:1]
	global_load_ushort v2, v[2:3], off
	s_mov_b32 s2, 0x7f800000
	s_waitcnt vmcnt(0)
	v_lshlrev_b32_e32 v2, 16, v2
	v_mul_f32_e32 v2, s14, v2
	v_and_b32_e32 v3, 0x7f800000, v2
	v_cmp_ne_u32_e32 vcc, s2, v3
                                        ; implicit-def: $vgpr3
	s_and_saveexec_b64 s[2:3], vcc
	s_xor_b64 s[2:3], exec, s[2:3]
; %bb.33:
	v_bfe_u32 v3, v2, 16, 1
	s_movk_i32 s4, 0x7fff
	v_add3_u32 v3, v2, v3, s4
                                        ; implicit-def: $vgpr2
; %bb.34:
	s_andn2_saveexec_b64 s[2:3], s[2:3]
; %bb.35:
	v_mov_b32_e32 v3, 0
	v_or_b32_e32 v7, 0x10000, v2
	v_cmp_eq_u32_sdwa vcc, v2, v3 src0_sel:WORD_0 src1_sel:DWORD
	s_nop 1
	v_cndmask_b32_e32 v3, v7, v2, vcc
; %bb.36:
	s_or_b64 exec, exec, s[2:3]
	v_and_b32_e32 v7, 0xffff0000, v3
.LBB585_37:
	v_lshlrev_b32_e32 v2, 1, v8
	v_mov_b32_e32 v3, 0
	s_cmp_gt_i32 s5, 0
	v_lshl_add_u64 v[4:5], v[4:5], 0, v[2:3]
	s_cselect_b64 s[2:3], -1, 0
	s_cmp_lt_i32 s5, 1
	v_mov_b32_e32 v12, 0
	s_cbranch_scc1 .LBB585_39
; %bb.38:
	flat_load_ushort v2, v[4:5]
	s_waitcnt vmcnt(0) lgkmcnt(0)
	v_lshlrev_b32_e32 v12, 16, v2
.LBB585_39:
	s_load_dword s38, s[0:1], 0x28
	s_waitcnt lgkmcnt(0)
	s_ashr_i32 s39, s38, 31
	s_cmp_gt_i32 s5, 1
	s_cselect_b64 s[0:1], -1, 0
	s_cmp_lt_i32 s5, 2
	s_cbranch_scc1 .LBB585_41
; %bb.40:
	v_lshl_add_u64 v[2:3], s[38:39], 1, v[4:5]
	flat_load_ushort v2, v[2:3]
	s_waitcnt vmcnt(0) lgkmcnt(0)
	v_lshlrev_b32_e32 v3, 16, v2
.LBB585_41:
	s_cmp_gt_i32 s5, 2
	s_cselect_b64 s[6:7], -1, 0
	s_cmp_lt_i32 s5, 3
	v_mov_b32_e32 v2, 0
	v_mov_b32_e32 v16, 0
	s_cbranch_scc1 .LBB585_43
; %bb.42:
	v_lshl_add_u64 v[10:11], s[38:39], 2, v[4:5]
	flat_load_ushort v9, v[10:11]
	s_waitcnt vmcnt(0) lgkmcnt(0)
	v_lshlrev_b32_e32 v16, 16, v9
.LBB585_43:
	s_cmp_gt_i32 s5, 3
	s_cselect_b64 s[8:9], -1, 0
	s_cmp_lt_i32 s5, 4
	s_cbranch_scc1 .LBB585_45
; %bb.44:
	v_mad_i64_i32 v[10:11], s[10:11], s38, 6, v[4:5]
	flat_load_ushort v2, v[10:11]
	s_waitcnt vmcnt(0) lgkmcnt(0)
	v_lshlrev_b32_e32 v2, 16, v2
.LBB585_45:
	s_cmp_gt_i32 s5, 4
	s_cselect_b64 s[10:11], -1, 0
	s_cmp_lt_i32 s5, 5
	v_mov_b32_e32 v9, 0
	v_mov_b32_e32 v18, 0
	s_cbranch_scc1 .LBB585_47
; %bb.46:
	v_lshl_add_u64 v[10:11], s[38:39], 3, v[4:5]
	flat_load_ushort v10, v[10:11]
	s_waitcnt vmcnt(0) lgkmcnt(0)
	v_lshlrev_b32_e32 v18, 16, v10
.LBB585_47:
	s_cmp_gt_i32 s5, 5
	s_cselect_b64 s[12:13], -1, 0
	s_cmp_lt_i32 s5, 6
	s_cbranch_scc1 .LBB585_49
; %bb.48:
	v_mad_i64_i32 v[10:11], s[14:15], s38, 10, v[4:5]
	flat_load_ushort v9, v[10:11]
	s_waitcnt vmcnt(0) lgkmcnt(0)
	v_lshlrev_b32_e32 v9, 16, v9
.LBB585_49:
	s_cmp_gt_i32 s5, 6
	s_cselect_b64 s[14:15], -1, 0
	s_cmp_lt_i32 s5, 7
	v_mov_b32_e32 v10, 0
	v_mov_b32_e32 v19, 0
	s_cbranch_scc1 .LBB585_51
; %bb.50:
	v_mad_i64_i32 v[14:15], s[16:17], s38, 12, v[4:5]
	flat_load_ushort v11, v[14:15]
	s_waitcnt vmcnt(0) lgkmcnt(0)
	v_lshlrev_b32_e32 v19, 16, v11
.LBB585_51:
	s_cmp_gt_i32 s5, 7
	s_cselect_b64 s[16:17], -1, 0
	s_cmp_lt_i32 s5, 8
	s_cbranch_scc1 .LBB585_53
; %bb.52:
	v_mad_i64_i32 v[10:11], s[18:19], s38, 14, v[4:5]
	flat_load_ushort v10, v[10:11]
	s_waitcnt vmcnt(0) lgkmcnt(0)
	v_lshlrev_b32_e32 v10, 16, v10
.LBB585_53:
	s_cmp_gt_i32 s5, 8
	s_cselect_b64 s[18:19], -1, 0
	s_cmp_lt_i32 s5, 9
	v_mov_b32_e32 v11, 0
	v_mov_b32_e32 v21, 0
	s_cbranch_scc1 .LBB585_55
; %bb.54:
	v_lshl_add_u64 v[14:15], s[38:39], 4, v[4:5]
	flat_load_ushort v13, v[14:15]
	s_waitcnt vmcnt(0) lgkmcnt(0)
	v_lshlrev_b32_e32 v21, 16, v13
.LBB585_55:
	s_cmp_gt_i32 s5, 9
	s_cselect_b64 s[20:21], -1, 0
	s_cmp_lt_i32 s5, 10
	s_cbranch_scc1 .LBB585_57
; %bb.56:
	v_mad_i64_i32 v[14:15], s[22:23], s38, 18, v[4:5]
	flat_load_ushort v11, v[14:15]
	s_waitcnt vmcnt(0) lgkmcnt(0)
	v_lshlrev_b32_e32 v11, 16, v11
.LBB585_57:
	s_cmp_gt_i32 s5, 10
	s_cselect_b64 s[22:23], -1, 0
	s_cmp_lt_i32 s5, 11
	v_mov_b32_e32 v13, 0
	v_mov_b32_e32 v23, 0
	s_cbranch_scc1 .LBB585_59
; %bb.58:
	v_mad_i64_i32 v[14:15], s[24:25], s38, 20, v[4:5]
	flat_load_ushort v14, v[14:15]
	s_waitcnt vmcnt(0) lgkmcnt(0)
	v_lshlrev_b32_e32 v23, 16, v14
.LBB585_59:
	s_cmp_gt_i32 s5, 11
	s_cselect_b64 s[24:25], -1, 0
	s_cmp_lt_i32 s5, 12
	s_cbranch_scc1 .LBB585_61
; %bb.60:
	v_mad_i64_i32 v[14:15], s[26:27], s38, 22, v[4:5]
	flat_load_ushort v13, v[14:15]
	s_waitcnt vmcnt(0) lgkmcnt(0)
	v_lshlrev_b32_e32 v13, 16, v13
.LBB585_61:
	s_cmp_gt_i32 s5, 12
	s_cselect_b64 s[26:27], -1, 0
	s_cmp_lt_i32 s5, 13
	v_mov_b32_e32 v14, 0
	v_mov_b32_e32 v25, 0
	s_cbranch_scc1 .LBB585_63
; %bb.62:
	v_mad_i64_i32 v[24:25], s[28:29], s38, 24, v[4:5]
	flat_load_ushort v15, v[24:25]
	s_waitcnt vmcnt(0) lgkmcnt(0)
	v_lshlrev_b32_e32 v25, 16, v15
.LBB585_63:
	;; [unrolled: 22-line block ×3, first 2 shown]
	s_cmp_gt_i32 s5, 15
	s_cselect_b64 s[34:35], -1, 0
	s_cmp_lt_i32 s5, 16
	s_cbranch_scc1 .LBB585_69
; %bb.68:
	v_mad_i64_i32 v[28:29], s[36:37], s38, 30, v[4:5]
	flat_load_ushort v15, v[28:29]
	s_waitcnt vmcnt(0) lgkmcnt(0)
	v_lshlrev_b32_e32 v15, 16, v15
.LBB585_69:
	s_cmp_gt_i32 s5, 16
	s_cselect_b64 s[36:37], -1, 0
	s_cmp_lt_i32 s5, 17
	v_mov_b32_e32 v17, 0
	v_mov_b32_e32 v30, 0
	s_cbranch_scc1 .LBB585_71
; %bb.70:
	s_lshl_b64 s[40:41], s[38:39], 5
	v_lshl_add_u64 v[28:29], v[4:5], 0, s[40:41]
	flat_load_ushort v20, v[28:29]
	s_waitcnt vmcnt(0) lgkmcnt(0)
	v_lshlrev_b32_e32 v30, 16, v20
.LBB585_71:
	s_cmp_gt_i32 s5, 17
	s_cselect_b64 s[40:41], -1, 0
	s_cmp_lt_i32 s5, 18
	s_cbranch_scc1 .LBB585_73
; %bb.72:
	v_mad_i64_i32 v[28:29], s[42:43], s38, 34, v[4:5]
	flat_load_ushort v17, v[28:29]
	s_waitcnt vmcnt(0) lgkmcnt(0)
	v_lshlrev_b32_e32 v17, 16, v17
.LBB585_73:
	s_cmp_gt_i32 s5, 18
	s_cselect_b64 s[42:43], -1, 0
	s_cmp_lt_i32 s5, 19
	v_mov_b32_e32 v20, 0
	v_mov_b32_e32 v32, 0
	s_cbranch_scc1 .LBB585_75
; %bb.74:
	v_mad_i64_i32 v[28:29], s[44:45], s38, 36, v[4:5]
	flat_load_ushort v22, v[28:29]
	s_waitcnt vmcnt(0) lgkmcnt(0)
	v_lshlrev_b32_e32 v32, 16, v22
.LBB585_75:
	s_cmp_gt_i32 s5, 19
	s_cselect_b64 s[44:45], -1, 0
	s_cmp_lt_i32 s5, 20
	s_cbranch_scc1 .LBB585_77
; %bb.76:
	v_mad_i64_i32 v[28:29], s[46:47], s38, 38, v[4:5]
	flat_load_ushort v20, v[28:29]
	s_waitcnt vmcnt(0) lgkmcnt(0)
	v_lshlrev_b32_e32 v20, 16, v20
.LBB585_77:
	s_cmp_gt_i32 s5, 20
	s_cselect_b64 s[46:47], -1, 0
	s_cmp_lt_i32 s5, 21
	v_mov_b32_e32 v22, 0
	v_mov_b32_e32 v33, 0
	s_cbranch_scc1 .LBB585_79
; %bb.78:
	v_mad_i64_i32 v[28:29], s[48:49], s38, 40, v[4:5]
	flat_load_ushort v24, v[28:29]
	s_waitcnt vmcnt(0) lgkmcnt(0)
	v_lshlrev_b32_e32 v33, 16, v24
.LBB585_79:
	;; [unrolled: 22-line block ×6, first 2 shown]
	s_cmp_gt_i32 s5, 29
	s_cselect_b64 s[64:65], -1, 0
	s_cmp_lt_i32 s5, 30
	s_cbranch_scc1 .LBB585_97
; %bb.96:
	v_mad_i64_i32 v[38:39], s[66:67], s38, 58, v[4:5]
	flat_load_ushort v29, v[38:39]
	s_waitcnt vmcnt(0) lgkmcnt(0)
	v_lshlrev_b32_e32 v29, 16, v29
.LBB585_97:
	s_cmp_gt_i32 s5, 30
	s_cselect_b64 s[66:67], -1, 0
	s_cmp_lt_i32 s5, 31
	v_mov_b32_e32 v31, 0
	v_mov_b32_e32 v38, 0
	s_cbranch_scc0 .LBB585_139
; %bb.98:
	s_cmp_gt_i32 s5, 31
	s_cselect_b64 s[68:69], -1, 0
	s_cmp_lt_i32 s5, 32
	s_cbranch_scc0 .LBB585_140
.LBB585_99:
	s_and_b64 vcc, exec, s[2:3]
	v_mov_b32_e32 v4, 0
	v_mov_b32_e32 v5, 0
	s_cbranch_vccz .LBB585_101
.LBB585_100:
	ds_read_b32 v5, v6
	s_waitcnt lgkmcnt(0)
	v_mul_f32_e32 v5, v12, v5
.LBB585_101:
	s_andn2_b64 vcc, exec, s[0:1]
	s_cbranch_vccz .LBB585_141
; %bb.102:
	s_andn2_b64 vcc, exec, s[6:7]
	v_mov_b32_e32 v3, 0
	v_mov_b32_e32 v12, 0
	s_cbranch_vccz .LBB585_142
.LBB585_103:
	s_andn2_b64 vcc, exec, s[8:9]
	s_cbranch_vccz .LBB585_143
.LBB585_104:
	s_andn2_b64 vcc, exec, s[10:11]
	v_mov_b32_e32 v2, 0
	v_mov_b32_e32 v16, 0
	s_cbranch_vccz .LBB585_144
.LBB585_105:
	s_andn2_b64 vcc, exec, s[12:13]
	s_cbranch_vccz .LBB585_145
.LBB585_106:
	s_andn2_b64 vcc, exec, s[14:15]
	v_mov_b32_e32 v9, 0
	v_mov_b32_e32 v18, 0
	s_cbranch_vccz .LBB585_146
.LBB585_107:
	s_andn2_b64 vcc, exec, s[16:17]
	s_cbranch_vccz .LBB585_147
.LBB585_108:
	s_andn2_b64 vcc, exec, s[18:19]
	v_mov_b32_e32 v10, 0
	v_mov_b32_e32 v19, 0
	s_cbranch_vccz .LBB585_148
.LBB585_109:
	s_andn2_b64 vcc, exec, s[20:21]
	s_cbranch_vccz .LBB585_149
.LBB585_110:
	s_andn2_b64 vcc, exec, s[22:23]
	v_mov_b32_e32 v11, 0
	v_mov_b32_e32 v21, 0
	s_cbranch_vccz .LBB585_150
.LBB585_111:
	s_andn2_b64 vcc, exec, s[24:25]
	s_cbranch_vccz .LBB585_151
.LBB585_112:
	s_andn2_b64 vcc, exec, s[26:27]
	v_mov_b32_e32 v13, 0
	v_mov_b32_e32 v23, 0
	s_cbranch_vccz .LBB585_152
.LBB585_113:
	s_andn2_b64 vcc, exec, s[28:29]
	s_cbranch_vccz .LBB585_153
.LBB585_114:
	s_andn2_b64 vcc, exec, s[30:31]
	v_mov_b32_e32 v14, 0
	v_mov_b32_e32 v25, 0
	s_cbranch_vccz .LBB585_154
.LBB585_115:
	s_andn2_b64 vcc, exec, s[34:35]
	s_cbranch_vccz .LBB585_155
.LBB585_116:
	s_andn2_b64 vcc, exec, s[36:37]
	v_mov_b32_e32 v15, 0
	v_mov_b32_e32 v27, 0
	s_cbranch_vccz .LBB585_156
.LBB585_117:
	s_andn2_b64 vcc, exec, s[40:41]
	s_cbranch_vccz .LBB585_157
.LBB585_118:
	s_andn2_b64 vcc, exec, s[42:43]
	v_mov_b32_e32 v17, 0
	v_mov_b32_e32 v30, 0
	s_cbranch_vccz .LBB585_158
.LBB585_119:
	s_andn2_b64 vcc, exec, s[44:45]
	s_cbranch_vccz .LBB585_159
.LBB585_120:
	s_andn2_b64 vcc, exec, s[46:47]
	v_mov_b32_e32 v20, 0
	v_mov_b32_e32 v32, 0
	s_cbranch_vccz .LBB585_160
.LBB585_121:
	s_andn2_b64 vcc, exec, s[48:49]
	s_cbranch_vccz .LBB585_161
.LBB585_122:
	s_andn2_b64 vcc, exec, s[50:51]
	v_mov_b32_e32 v22, 0
	v_mov_b32_e32 v33, 0
	s_cbranch_vccz .LBB585_162
.LBB585_123:
	s_andn2_b64 vcc, exec, s[52:53]
	s_cbranch_vccz .LBB585_163
.LBB585_124:
	s_andn2_b64 vcc, exec, s[54:55]
	v_mov_b32_e32 v24, 0
	v_mov_b32_e32 v34, 0
	s_cbranch_vccz .LBB585_164
.LBB585_125:
	s_andn2_b64 vcc, exec, s[56:57]
	s_cbranch_vccz .LBB585_165
.LBB585_126:
	s_andn2_b64 vcc, exec, s[58:59]
	v_mov_b32_e32 v26, 0
	v_mov_b32_e32 v35, 0
	s_cbranch_vccz .LBB585_166
.LBB585_127:
	s_andn2_b64 vcc, exec, s[60:61]
	s_cbranch_vccz .LBB585_167
.LBB585_128:
	s_andn2_b64 vcc, exec, s[62:63]
	v_mov_b32_e32 v28, 0
	v_mov_b32_e32 v36, 0
	s_cbranch_vccz .LBB585_168
.LBB585_129:
	s_andn2_b64 vcc, exec, s[64:65]
	s_cbranch_vccz .LBB585_169
.LBB585_130:
	s_andn2_b64 vcc, exec, s[66:67]
	v_mov_b32_e32 v29, 0
	v_mov_b32_e32 v37, 0
	s_cbranch_vccz .LBB585_170
.LBB585_131:
	s_andn2_b64 vcc, exec, s[68:69]
	s_cbranch_vccnz .LBB585_133
.LBB585_132:
	ds_read_b32 v6, v6 offset:124
	s_waitcnt lgkmcnt(0)
	v_mul_f32_e32 v29, v31, v6
.LBB585_133:
	v_add_f32_e32 v5, v7, v5
	v_add_f32_e32 v4, v5, v4
	;; [unrolled: 1-line block ×32, first 2 shown]
	s_mov_b32 s0, 0x7f800000
	v_and_b32_e32 v3, 0x7f800000, v2
	v_cmp_ne_u32_e32 vcc, s0, v3
                                        ; implicit-def: $vgpr3
	s_and_saveexec_b64 s[0:1], vcc
	s_xor_b64 s[0:1], exec, s[0:1]
; %bb.134:
	v_bfe_u32 v3, v2, 16, 1
	s_movk_i32 s2, 0x7fff
	v_add3_u32 v3, v2, v3, s2
                                        ; implicit-def: $vgpr2
; %bb.135:
	s_andn2_saveexec_b64 s[0:1], s[0:1]
; %bb.136:
	v_mov_b32_e32 v3, 0
	v_or_b32_e32 v4, 0x10000, v2
	v_cmp_eq_u32_sdwa vcc, v2, v3 src0_sel:WORD_0 src1_sel:DWORD
	s_nop 1
	v_cndmask_b32_e32 v3, v4, v2, vcc
; %bb.137:
	s_or_b64 exec, exec, s[0:1]
	v_mad_i64_i32 v[4:5], s[0:1], s33, v8, 0
	v_lshl_add_u64 v[0:1], v[4:5], 1, v[0:1]
	global_store_short_d16_hi v[0:1], v3, off
.LBB585_138:
	s_endpgm
.LBB585_139:
	v_mad_i64_i32 v[38:39], s[68:69], s38, 60, v[4:5]
	flat_load_ushort v38, v[38:39]
	s_waitcnt vmcnt(0) lgkmcnt(0)
	v_lshlrev_b32_e32 v38, 16, v38
	s_cmp_gt_i32 s5, 31
	s_cselect_b64 s[68:69], -1, 0
	s_cmp_lt_i32 s5, 32
	s_cbranch_scc1 .LBB585_99
.LBB585_140:
	v_mad_i64_i32 v[4:5], s[4:5], s38, 62, v[4:5]
	flat_load_ushort v4, v[4:5]
	s_waitcnt vmcnt(0) lgkmcnt(0)
	v_lshlrev_b32_e32 v31, 16, v4
	s_and_b64 vcc, exec, s[2:3]
	v_mov_b32_e32 v4, 0
	v_mov_b32_e32 v5, 0
	s_cbranch_vccnz .LBB585_100
	s_branch .LBB585_101
.LBB585_141:
	ds_read_b32 v4, v6 offset:4
	s_waitcnt lgkmcnt(0)
	v_mul_f32_e32 v4, v3, v4
	s_andn2_b64 vcc, exec, s[6:7]
	v_mov_b32_e32 v3, 0
	v_mov_b32_e32 v12, 0
	s_cbranch_vccnz .LBB585_103
.LBB585_142:
	ds_read_b32 v12, v6 offset:8
	s_waitcnt lgkmcnt(0)
	v_mul_f32_e32 v12, v16, v12
	s_andn2_b64 vcc, exec, s[8:9]
	s_cbranch_vccnz .LBB585_104
.LBB585_143:
	ds_read_b32 v3, v6 offset:12
	s_waitcnt lgkmcnt(0)
	v_mul_f32_e32 v3, v2, v3
	s_andn2_b64 vcc, exec, s[10:11]
	v_mov_b32_e32 v2, 0
	v_mov_b32_e32 v16, 0
	s_cbranch_vccnz .LBB585_105
.LBB585_144:
	ds_read_b32 v16, v6 offset:16
	s_waitcnt lgkmcnt(0)
	v_mul_f32_e32 v16, v18, v16
	s_andn2_b64 vcc, exec, s[12:13]
	s_cbranch_vccnz .LBB585_106
.LBB585_145:
	ds_read_b32 v2, v6 offset:20
	s_waitcnt lgkmcnt(0)
	v_mul_f32_e32 v2, v9, v2
	s_andn2_b64 vcc, exec, s[14:15]
	v_mov_b32_e32 v9, 0
	v_mov_b32_e32 v18, 0
	s_cbranch_vccnz .LBB585_107
.LBB585_146:
	ds_read_b32 v18, v6 offset:24
	s_waitcnt lgkmcnt(0)
	v_mul_f32_e32 v18, v19, v18
	s_andn2_b64 vcc, exec, s[16:17]
	s_cbranch_vccnz .LBB585_108
.LBB585_147:
	ds_read_b32 v9, v6 offset:28
	s_waitcnt lgkmcnt(0)
	v_mul_f32_e32 v9, v10, v9
	s_andn2_b64 vcc, exec, s[18:19]
	v_mov_b32_e32 v10, 0
	v_mov_b32_e32 v19, 0
	s_cbranch_vccnz .LBB585_109
.LBB585_148:
	ds_read_b32 v19, v6 offset:32
	s_waitcnt lgkmcnt(0)
	v_mul_f32_e32 v19, v21, v19
	s_andn2_b64 vcc, exec, s[20:21]
	s_cbranch_vccnz .LBB585_110
.LBB585_149:
	ds_read_b32 v10, v6 offset:36
	s_waitcnt lgkmcnt(0)
	v_mul_f32_e32 v10, v11, v10
	s_andn2_b64 vcc, exec, s[22:23]
	v_mov_b32_e32 v11, 0
	v_mov_b32_e32 v21, 0
	s_cbranch_vccnz .LBB585_111
.LBB585_150:
	ds_read_b32 v21, v6 offset:40
	s_waitcnt lgkmcnt(0)
	v_mul_f32_e32 v21, v23, v21
	s_andn2_b64 vcc, exec, s[24:25]
	s_cbranch_vccnz .LBB585_112
.LBB585_151:
	ds_read_b32 v11, v6 offset:44
	s_waitcnt lgkmcnt(0)
	v_mul_f32_e32 v11, v13, v11
	s_andn2_b64 vcc, exec, s[26:27]
	v_mov_b32_e32 v13, 0
	v_mov_b32_e32 v23, 0
	s_cbranch_vccnz .LBB585_113
.LBB585_152:
	ds_read_b32 v23, v6 offset:48
	s_waitcnt lgkmcnt(0)
	v_mul_f32_e32 v23, v25, v23
	s_andn2_b64 vcc, exec, s[28:29]
	s_cbranch_vccnz .LBB585_114
.LBB585_153:
	ds_read_b32 v13, v6 offset:52
	s_waitcnt lgkmcnt(0)
	v_mul_f32_e32 v13, v14, v13
	s_andn2_b64 vcc, exec, s[30:31]
	v_mov_b32_e32 v14, 0
	v_mov_b32_e32 v25, 0
	s_cbranch_vccnz .LBB585_115
.LBB585_154:
	ds_read_b32 v25, v6 offset:56
	s_waitcnt lgkmcnt(0)
	v_mul_f32_e32 v25, v27, v25
	s_andn2_b64 vcc, exec, s[34:35]
	s_cbranch_vccnz .LBB585_116
.LBB585_155:
	ds_read_b32 v14, v6 offset:60
	s_waitcnt lgkmcnt(0)
	v_mul_f32_e32 v14, v15, v14
	s_andn2_b64 vcc, exec, s[36:37]
	v_mov_b32_e32 v15, 0
	v_mov_b32_e32 v27, 0
	s_cbranch_vccnz .LBB585_117
.LBB585_156:
	ds_read_b32 v27, v6 offset:64
	s_waitcnt lgkmcnt(0)
	v_mul_f32_e32 v27, v30, v27
	s_andn2_b64 vcc, exec, s[40:41]
	s_cbranch_vccnz .LBB585_118
.LBB585_157:
	ds_read_b32 v15, v6 offset:68
	s_waitcnt lgkmcnt(0)
	v_mul_f32_e32 v15, v17, v15
	s_andn2_b64 vcc, exec, s[42:43]
	v_mov_b32_e32 v17, 0
	v_mov_b32_e32 v30, 0
	s_cbranch_vccnz .LBB585_119
.LBB585_158:
	ds_read_b32 v30, v6 offset:72
	s_waitcnt lgkmcnt(0)
	v_mul_f32_e32 v30, v32, v30
	s_andn2_b64 vcc, exec, s[44:45]
	s_cbranch_vccnz .LBB585_120
.LBB585_159:
	ds_read_b32 v17, v6 offset:76
	s_waitcnt lgkmcnt(0)
	v_mul_f32_e32 v17, v20, v17
	s_andn2_b64 vcc, exec, s[46:47]
	v_mov_b32_e32 v20, 0
	v_mov_b32_e32 v32, 0
	s_cbranch_vccnz .LBB585_121
.LBB585_160:
	ds_read_b32 v32, v6 offset:80
	s_waitcnt lgkmcnt(0)
	v_mul_f32_e32 v32, v33, v32
	s_andn2_b64 vcc, exec, s[48:49]
	s_cbranch_vccnz .LBB585_122
.LBB585_161:
	ds_read_b32 v20, v6 offset:84
	s_waitcnt lgkmcnt(0)
	v_mul_f32_e32 v20, v22, v20
	s_andn2_b64 vcc, exec, s[50:51]
	v_mov_b32_e32 v22, 0
	v_mov_b32_e32 v33, 0
	s_cbranch_vccnz .LBB585_123
.LBB585_162:
	ds_read_b32 v33, v6 offset:88
	s_waitcnt lgkmcnt(0)
	v_mul_f32_e32 v33, v34, v33
	s_andn2_b64 vcc, exec, s[52:53]
	s_cbranch_vccnz .LBB585_124
.LBB585_163:
	ds_read_b32 v22, v6 offset:92
	s_waitcnt lgkmcnt(0)
	v_mul_f32_e32 v22, v24, v22
	s_andn2_b64 vcc, exec, s[54:55]
	v_mov_b32_e32 v24, 0
	v_mov_b32_e32 v34, 0
	s_cbranch_vccnz .LBB585_125
.LBB585_164:
	ds_read_b32 v34, v6 offset:96
	s_waitcnt lgkmcnt(0)
	v_mul_f32_e32 v34, v35, v34
	s_andn2_b64 vcc, exec, s[56:57]
	s_cbranch_vccnz .LBB585_126
.LBB585_165:
	ds_read_b32 v24, v6 offset:100
	s_waitcnt lgkmcnt(0)
	v_mul_f32_e32 v24, v26, v24
	s_andn2_b64 vcc, exec, s[58:59]
	v_mov_b32_e32 v26, 0
	v_mov_b32_e32 v35, 0
	s_cbranch_vccnz .LBB585_127
.LBB585_166:
	ds_read_b32 v35, v6 offset:104
	s_waitcnt lgkmcnt(0)
	v_mul_f32_e32 v35, v36, v35
	s_andn2_b64 vcc, exec, s[60:61]
	s_cbranch_vccnz .LBB585_128
.LBB585_167:
	ds_read_b32 v26, v6 offset:108
	s_waitcnt lgkmcnt(0)
	v_mul_f32_e32 v26, v28, v26
	s_andn2_b64 vcc, exec, s[62:63]
	v_mov_b32_e32 v28, 0
	v_mov_b32_e32 v36, 0
	s_cbranch_vccnz .LBB585_129
.LBB585_168:
	ds_read_b32 v36, v6 offset:112
	s_waitcnt lgkmcnt(0)
	v_mul_f32_e32 v36, v37, v36
	s_andn2_b64 vcc, exec, s[64:65]
	s_cbranch_vccnz .LBB585_130
.LBB585_169:
	ds_read_b32 v28, v6 offset:116
	s_waitcnt lgkmcnt(0)
	v_mul_f32_e32 v28, v29, v28
	s_andn2_b64 vcc, exec, s[66:67]
	v_mov_b32_e32 v29, 0
	v_mov_b32_e32 v37, 0
	s_cbranch_vccnz .LBB585_131
.LBB585_170:
	ds_read_b32 v37, v6 offset:120
	s_waitcnt lgkmcnt(0)
	v_mul_f32_e32 v37, v38, v37
	s_andn2_b64 vcc, exec, s[68:69]
	s_cbranch_vccz .LBB585_132
	s_branch .LBB585_133
	.section	.rodata,"a",@progbits
	.p2align	6, 0x0
	.amdhsa_kernel _ZL34rocblas_gemvn_sm_mn_batched_kernelILi32ELi24EPK16rocblas_bfloat16fKPS0_EviiT2_lPKT1_lilS8_lilS5_lPT3_lili
		.amdhsa_group_segment_fixed_size 3072
		.amdhsa_private_segment_fixed_size 0
		.amdhsa_kernarg_size 400
		.amdhsa_user_sgpr_count 2
		.amdhsa_user_sgpr_dispatch_ptr 0
		.amdhsa_user_sgpr_queue_ptr 0
		.amdhsa_user_sgpr_kernarg_segment_ptr 1
		.amdhsa_user_sgpr_dispatch_id 0
		.amdhsa_user_sgpr_kernarg_preload_length 0
		.amdhsa_user_sgpr_kernarg_preload_offset 0
		.amdhsa_user_sgpr_private_segment_size 0
		.amdhsa_uses_dynamic_stack 0
		.amdhsa_enable_private_segment 0
		.amdhsa_system_sgpr_workgroup_id_x 1
		.amdhsa_system_sgpr_workgroup_id_y 0
		.amdhsa_system_sgpr_workgroup_id_z 0
		.amdhsa_system_sgpr_workgroup_info 0
		.amdhsa_system_vgpr_workitem_id 1
		.amdhsa_next_free_vgpr 40
		.amdhsa_next_free_sgpr 70
		.amdhsa_accum_offset 40
		.amdhsa_reserve_vcc 1
		.amdhsa_float_round_mode_32 0
		.amdhsa_float_round_mode_16_64 0
		.amdhsa_float_denorm_mode_32 3
		.amdhsa_float_denorm_mode_16_64 3
		.amdhsa_dx10_clamp 1
		.amdhsa_ieee_mode 1
		.amdhsa_fp16_overflow 0
		.amdhsa_tg_split 0
		.amdhsa_exception_fp_ieee_invalid_op 0
		.amdhsa_exception_fp_denorm_src 0
		.amdhsa_exception_fp_ieee_div_zero 0
		.amdhsa_exception_fp_ieee_overflow 0
		.amdhsa_exception_fp_ieee_underflow 0
		.amdhsa_exception_fp_ieee_inexact 0
		.amdhsa_exception_int_div_zero 0
	.end_amdhsa_kernel
	.section	.text._ZL34rocblas_gemvn_sm_mn_batched_kernelILi32ELi24EPK16rocblas_bfloat16fKPS0_EviiT2_lPKT1_lilS8_lilS5_lPT3_lili,"axG",@progbits,_ZL34rocblas_gemvn_sm_mn_batched_kernelILi32ELi24EPK16rocblas_bfloat16fKPS0_EviiT2_lPKT1_lilS8_lilS5_lPT3_lili,comdat
.Lfunc_end585:
	.size	_ZL34rocblas_gemvn_sm_mn_batched_kernelILi32ELi24EPK16rocblas_bfloat16fKPS0_EviiT2_lPKT1_lilS8_lilS5_lPT3_lili, .Lfunc_end585-_ZL34rocblas_gemvn_sm_mn_batched_kernelILi32ELi24EPK16rocblas_bfloat16fKPS0_EviiT2_lPKT1_lilS8_lilS5_lPT3_lili
                                        ; -- End function
	.section	.AMDGPU.csdata,"",@progbits
; Kernel info:
; codeLenInByte = 3868
; NumSgprs: 76
; NumVgprs: 40
; NumAgprs: 0
; TotalNumVgprs: 40
; ScratchSize: 0
; MemoryBound: 0
; FloatMode: 240
; IeeeMode: 1
; LDSByteSize: 3072 bytes/workgroup (compile time only)
; SGPRBlocks: 9
; VGPRBlocks: 4
; NumSGPRsForWavesPerEU: 76
; NumVGPRsForWavesPerEU: 40
; AccumOffset: 40
; Occupancy: 6
; WaveLimiterHint : 1
; COMPUTE_PGM_RSRC2:SCRATCH_EN: 0
; COMPUTE_PGM_RSRC2:USER_SGPR: 2
; COMPUTE_PGM_RSRC2:TRAP_HANDLER: 0
; COMPUTE_PGM_RSRC2:TGID_X_EN: 1
; COMPUTE_PGM_RSRC2:TGID_Y_EN: 0
; COMPUTE_PGM_RSRC2:TGID_Z_EN: 0
; COMPUTE_PGM_RSRC2:TIDIG_COMP_CNT: 1
; COMPUTE_PGM_RSRC3_GFX90A:ACCUM_OFFSET: 9
; COMPUTE_PGM_RSRC3_GFX90A:TG_SPLIT: 0
	.section	.text._ZL20rocblas_gemvn_kernelILi64ELi4EiPK16rocblas_bfloat16PKfKPS0_EviiT3_lPKT2_lT1_lSA_lSB_lS7_lPT4_lSB_li,"axG",@progbits,_ZL20rocblas_gemvn_kernelILi64ELi4EiPK16rocblas_bfloat16PKfKPS0_EviiT3_lPKT2_lT1_lSA_lSB_lS7_lPT4_lSB_li,comdat
	.globl	_ZL20rocblas_gemvn_kernelILi64ELi4EiPK16rocblas_bfloat16PKfKPS0_EviiT3_lPKT2_lT1_lSA_lSB_lS7_lPT4_lSB_li ; -- Begin function _ZL20rocblas_gemvn_kernelILi64ELi4EiPK16rocblas_bfloat16PKfKPS0_EviiT3_lPKT2_lT1_lSA_lSB_lS7_lPT4_lSB_li
	.p2align	8
	.type	_ZL20rocblas_gemvn_kernelILi64ELi4EiPK16rocblas_bfloat16PKfKPS0_EviiT3_lPKT2_lT1_lSA_lSB_lS7_lPT4_lSB_li,@function
_ZL20rocblas_gemvn_kernelILi64ELi4EiPK16rocblas_bfloat16PKfKPS0_EviiT3_lPKT2_lT1_lSA_lSB_lS7_lPT4_lSB_li: ; @_ZL20rocblas_gemvn_kernelILi64ELi4EiPK16rocblas_bfloat16PKfKPS0_EviiT3_lPKT2_lT1_lSA_lSB_lS7_lPT4_lSB_li
; %bb.0:
	s_load_dwordx2 s[4:5], s[0:1], 0x9c
	s_mov_b32 s22, s3
	s_waitcnt lgkmcnt(0)
	s_and_b32 s3, s5, 0xffff
	s_lshr_b32 s5, s4, 16
	s_and_b32 s4, s4, 0xffff
	s_mul_i32 s4, s5, s4
	s_mul_i32 s4, s4, s3
	s_cmpk_lg_i32 s4, 0x100
	s_cbranch_scc1 .LBB586_73
; %bb.1:
	s_load_dwordx8 s[12:19], s[0:1], 0x8
	s_load_dwordx8 s[4:11], s[0:1], 0x58
	s_waitcnt lgkmcnt(0)
	s_mul_i32 s3, s22, s15
	s_mul_hi_u32 s15, s22, s14
	s_mul_i32 s14, s22, s14
	s_add_i32 s15, s15, s3
	s_lshl_b64 s[14:15], s[14:15], 2
	s_mul_i32 s7, s22, s7
	s_add_u32 s12, s12, s14
	s_mul_hi_u32 s3, s22, s6
	s_addc_u32 s13, s13, s15
	s_add_i32 s7, s3, s7
	s_mul_i32 s6, s22, s6
	s_lshl_b64 s[6:7], s[6:7], 2
	s_add_u32 s4, s4, s6
	s_addc_u32 s5, s5, s7
	s_load_dword s29, s[12:13], 0x0
	s_load_dword s28, s[4:5], 0x0
	s_waitcnt lgkmcnt(0)
	v_cmp_eq_f32_e64 s[4:5], s29, 0
	v_cmp_eq_f32_e64 s[6:7], s28, 1.0
	s_and_b64 s[6:7], s[4:5], s[6:7]
	s_and_b64 vcc, exec, s[6:7]
	s_cbranch_vccnz .LBB586_73
; %bb.2:
	s_mov_b32 s23, 0
	v_cmp_neq_f32_e64 s[6:7], s29, 0
	s_mov_b64 s[20:21], 0
	s_and_b64 vcc, exec, s[4:5]
	s_mov_b64 s[14:15], 0
	s_cbranch_vccnz .LBB586_4
; %bb.3:
	s_lshl_b64 s[12:13], s[22:23], 3
	s_add_u32 s12, s16, s12
	s_addc_u32 s13, s17, s13
	s_load_dwordx2 s[12:13], s[12:13], 0x0
	s_lshl_b64 s[14:15], s[18:19], 1
	s_waitcnt lgkmcnt(0)
	s_add_u32 s14, s12, s14
	s_addc_u32 s15, s13, s15
.LBB586_4:
	s_andn2_b64 vcc, exec, s[6:7]
	s_cbranch_vccnz .LBB586_6
; %bb.5:
	s_load_dwordx4 s[16:19], s[0:1], 0x38
	s_lshl_b64 s[6:7], s[22:23], 3
	s_waitcnt lgkmcnt(0)
	s_add_u32 s6, s16, s6
	s_addc_u32 s7, s17, s7
	s_load_dwordx2 s[6:7], s[6:7], 0x0
	s_lshl_b64 s[12:13], s[18:19], 1
	s_waitcnt lgkmcnt(0)
	s_add_u32 s20, s6, s12
	s_addc_u32 s21, s7, s13
.LBB586_6:
	s_lshl_b64 s[6:7], s[22:23], 3
	s_add_u32 s6, s8, s6
	s_addc_u32 s7, s9, s7
	s_load_dwordx2 s[8:9], s[6:7], 0x0
	s_load_dwordx2 s[12:13], s[0:1], 0x0
	s_load_dword s30, s[0:1], 0x78
	s_lshl_b64 s[6:7], s[10:11], 1
	v_and_b32_e32 v2, 0x3ff, v0
	s_waitcnt lgkmcnt(0)
	s_add_u32 s8, s8, s6
	v_bfe_u32 v18, v0, 10, 10
	s_addc_u32 s9, s9, s7
	s_andn2_b64 vcc, exec, s[4:5]
	v_lshl_add_u32 v3, v18, 6, v2
	s_cbranch_vccnz .LBB586_17
; %bb.7:
	s_movk_i32 s3, 0x100
	v_cmp_gt_u32_e32 vcc, s3, v3
	s_mov_b64 s[4:5], 0
	s_mov_b64 s[10:11], 0
                                        ; implicit-def: $vgpr5
                                        ; implicit-def: $vgpr0_vgpr1
	s_and_saveexec_b64 s[6:7], vcc
	s_cbranch_execz .LBB586_18
; %bb.8:
	v_lshl_or_b32 v4, s2, 8, v3
	v_mov_b32_e32 v5, 0
	s_ashr_i32 s11, s12, 31
	s_mov_b32 s10, s12
	v_cmp_gt_i64_e32 vcc, s[10:11], v[4:5]
	s_mov_b64 s[16:17], 0
                                        ; implicit-def: $vgpr0_vgpr1
	s_and_saveexec_b64 s[10:11], vcc
	s_cbranch_execz .LBB586_16
; %bb.9:
	v_mad_u64_u32 v[0:1], s[18:19], s30, v4, 0
	s_ashr_i32 s3, s30, 31
	v_mov_b32_e32 v6, v1
	v_cmp_eq_f32_e64 s[16:17], s28, 0
	v_mad_u64_u32 v[6:7], s[18:19], s3, v4, v[6:7]
	v_mov_b32_e32 v1, v6
	s_and_b64 vcc, exec, s[16:17]
	s_cbranch_vccnz .LBB586_15
; %bb.10:
	v_lshl_add_u64 v[4:5], v[0:1], 1, s[8:9]
	global_load_ushort v4, v[4:5], off
	s_mov_b32 s3, 0x7f800000
	s_waitcnt vmcnt(0)
	v_lshlrev_b32_e32 v4, 16, v4
	v_mul_f32_e32 v4, s28, v4
	v_and_b32_e32 v5, 0x7f800000, v4
	v_cmp_ne_u32_e32 vcc, s3, v5
                                        ; implicit-def: $vgpr5
	s_and_saveexec_b64 s[16:17], vcc
	s_xor_b64 s[16:17], exec, s[16:17]
; %bb.11:
	v_bfe_u32 v5, v4, 16, 1
	s_movk_i32 s3, 0x7fff
	v_add3_u32 v5, v4, v5, s3
                                        ; implicit-def: $vgpr4
; %bb.12:
	s_andn2_saveexec_b64 s[16:17], s[16:17]
; %bb.13:
	v_mov_b32_e32 v5, 0
	v_or_b32_e32 v6, 0x10000, v4
	v_cmp_eq_u32_sdwa vcc, v4, v5 src0_sel:WORD_0 src1_sel:DWORD
	s_nop 1
	v_cndmask_b32_e32 v5, v6, v4, vcc
; %bb.14:
	s_or_b64 exec, exec, s[16:17]
	v_lshrrev_b32_e32 v5, 16, v5
.LBB586_15:
	s_mov_b64 s[16:17], exec
.LBB586_16:
	s_or_b64 exec, exec, s[10:11]
	s_and_b64 s[10:11], s[16:17], exec
	s_or_b64 exec, exec, s[6:7]
	s_and_b64 vcc, exec, s[4:5]
	s_cbranch_vccnz .LBB586_19
	s_branch .LBB586_71
.LBB586_17:
	s_mov_b64 s[10:11], 0
                                        ; implicit-def: $vgpr5
                                        ; implicit-def: $vgpr0_vgpr1
	s_cbranch_execnz .LBB586_19
	s_branch .LBB586_71
.LBB586_18:
	s_or_b64 exec, exec, s[6:7]
	s_and_b64 vcc, exec, s[4:5]
	s_cbranch_vccz .LBB586_71
.LBB586_19:
	s_load_dword s33, s[0:1], 0x28
	s_load_dword s34, s[0:1], 0x48
	s_ashr_i32 s0, s13, 31
	s_lshr_b32 s0, s0, 28
	s_add_i32 s0, s13, s0
	s_lshl_b32 s31, s2, 8
	s_and_b32 s35, s0, -16
	v_lshlrev_b32_e32 v24, 2, v18
	v_add_u32_e32 v23, s31, v2
	v_cmp_gt_i32_e32 vcc, s35, v24
	v_mov_b32_e32 v19, 0
	v_mov_b32_e32 v20, 0
	;; [unrolled: 1-line block ×4, first 2 shown]
	s_and_saveexec_b64 s[16:17], vcc
	s_cbranch_execz .LBB586_31
; %bb.20:
	v_add_u32_e32 v0, 64, v23
	v_cmp_gt_i32_e64 s[0:1], s12, v0
	v_add_u32_e32 v0, 0x80, v23
	v_cmp_gt_i32_e64 s[2:3], s12, v0
	;; [unrolled: 2-line block ×3, first 2 shown]
	s_waitcnt lgkmcnt(0)
	v_mul_lo_u32 v0, s33, v24
	v_add_u32_e32 v6, 2, v24
	v_add_u32_e32 v7, 3, v24
	v_add3_u32 v25, v0, s33, v2
	v_mad_u64_u32 v[0:1], s[6:7], s33, v6, v[2:3]
	v_mad_u64_u32 v[4:5], s[6:7], s33, v7, v[2:3]
	v_mul_lo_u32 v1, v18, s33
	v_mul_lo_u32 v5, s34, v24
	;; [unrolled: 1-line block ×4, first 2 shown]
	v_cmp_gt_i32_e32 vcc, s12, v23
	s_lshl_b32 s36, s33, 4
	v_lshl_add_u32 v1, v1, 2, v2
	v_add_u32_e32 v5, s34, v5
	s_lshl_b32 s37, s34, 4
	v_mul_lo_u32 v27, s34, v7
	v_lshlrev_b32_e32 v28, 2, v6
	s_mov_b32 s38, 0
	s_mov_b64 s[18:19], 0
	v_mov_b32_e32 v19, 0
	v_mov_b32_e32 v20, 0
	;; [unrolled: 1-line block ×4, first 2 shown]
	s_branch .LBB586_25
.LBB586_21:                             ;   in Loop: Header=BB586_25 Depth=1
	s_or_b64 exec, exec, s[26:27]
	s_waitcnt vmcnt(0) lgkmcnt(0)
	v_lshlrev_b32_e32 v10, 16, v40
	v_fmac_f32_e32 v21, v8, v10
	v_lshlrev_b32_e32 v10, 16, v39
	v_fmac_f32_e32 v21, v9, v10
	;; [unrolled: 2-line block ×4, first 2 shown]
.LBB586_22:                             ;   in Loop: Header=BB586_25 Depth=1
	s_or_b64 exec, exec, s[24:25]
	s_waitcnt vmcnt(0) lgkmcnt(0)
	v_lshlrev_b32_e32 v10, 16, v36
	v_fmac_f32_e32 v20, v8, v10
	v_lshlrev_b32_e32 v10, 16, v35
	v_fmac_f32_e32 v20, v9, v10
	v_lshlrev_b32_e32 v10, 16, v34
	v_fmac_f32_e32 v20, v6, v10
	v_lshlrev_b32_e32 v10, 16, v33
	v_fmac_f32_e32 v20, v7, v10
.LBB586_23:                             ;   in Loop: Header=BB586_25 Depth=1
	s_or_b64 exec, exec, s[22:23]
	v_lshlrev_b32_e32 v10, 16, v32
	v_fmac_f32_e32 v19, v8, v10
	v_lshlrev_b32_e32 v8, 16, v31
	v_fmac_f32_e32 v19, v9, v8
	;; [unrolled: 2-line block ×4, first 2 shown]
.LBB586_24:                             ;   in Loop: Header=BB586_25 Depth=1
	s_or_b64 exec, exec, s[6:7]
	v_add_u32_e32 v24, 16, v24
	s_add_i32 s38, s38, s37
	v_cmp_le_i32_e64 s[6:7], s35, v24
	v_add_u32_e32 v25, s36, v25
	v_add_u32_e32 v0, s36, v0
	;; [unrolled: 1-line block ×3, first 2 shown]
	s_or_b64 s[18:19], s[6:7], s[18:19]
	v_add_u32_e32 v1, s36, v1
	s_andn2_b64 exec, exec, s[18:19]
	s_cbranch_execz .LBB586_30
.LBB586_25:                             ; =>This Inner Loop Header: Depth=1
	s_and_saveexec_b64 s[6:7], vcc
	s_cbranch_execz .LBB586_24
; %bb.26:                               ;   in Loop: Header=BB586_25 Depth=1
	v_add_u32_e32 v6, s38, v28
	v_ashrrev_i32_e32 v7, 31, v6
	v_add_u32_e32 v8, s38, v5
	v_add_u32_e32 v10, s38, v26
	;; [unrolled: 1-line block ×3, first 2 shown]
	v_lshl_add_u64 v[6:7], v[6:7], 1, s[20:21]
	v_ashrrev_i32_e32 v9, 31, v8
	v_ashrrev_i32_e32 v11, 31, v10
	;; [unrolled: 1-line block ×3, first 2 shown]
	v_lshl_add_u64 v[8:9], v[8:9], 1, s[20:21]
	v_lshl_add_u64 v[10:11], v[10:11], 1, s[20:21]
	v_lshl_add_u64 v[12:13], v[12:13], 1, s[20:21]
	flat_load_ushort v33, v[6:7]
	flat_load_ushort v34, v[8:9]
	;; [unrolled: 1-line block ×4, first 2 shown]
	v_add_u32_e32 v6, s31, v1
	v_ashrrev_i32_e32 v7, 31, v6
	v_lshl_add_u64 v[10:11], v[6:7], 1, s[14:15]
	v_add_u32_e32 v6, s31, v25
	v_ashrrev_i32_e32 v7, 31, v6
	v_lshl_add_u64 v[12:13], v[6:7], 1, s[14:15]
	;; [unrolled: 3-line block ×4, first 2 shown]
	flat_load_ushort v32, v[10:11]
	flat_load_ushort v31, v[12:13]
	flat_load_ushort v30, v[14:15]
	flat_load_ushort v29, v[16:17]
	s_waitcnt vmcnt(0) lgkmcnt(0)
	v_lshlrev_b32_e32 v8, 16, v33
	v_lshlrev_b32_e32 v9, 16, v34
	;; [unrolled: 1-line block ×4, first 2 shown]
	s_and_saveexec_b64 s[22:23], s[0:1]
	s_cbranch_execz .LBB586_23
; %bb.27:                               ;   in Loop: Header=BB586_25 Depth=1
	flat_load_ushort v36, v[10:11] offset:128
	flat_load_ushort v35, v[12:13] offset:128
	flat_load_ushort v34, v[14:15] offset:128
	flat_load_ushort v33, v[16:17] offset:128
	s_and_saveexec_b64 s[24:25], s[2:3]
	s_cbranch_execz .LBB586_22
; %bb.28:                               ;   in Loop: Header=BB586_25 Depth=1
	flat_load_ushort v40, v[10:11] offset:256
	flat_load_ushort v39, v[12:13] offset:256
	flat_load_ushort v38, v[14:15] offset:256
	flat_load_ushort v37, v[16:17] offset:256
	;; [unrolled: 7-line block ×3, first 2 shown]
	s_waitcnt vmcnt(0) lgkmcnt(0)
	v_lshlrev_b32_e32 v11, 16, v41
	v_lshlrev_b32_e32 v10, 16, v42
	v_pk_mul_f32 v[10:11], v[8:9], v[10:11]
	v_lshlrev_b32_e32 v13, 16, v43
	v_lshlrev_b32_e32 v12, 16, v44
	v_add_f32_e32 v10, v22, v10
	v_add_f32_e32 v14, v10, v11
	v_pk_mul_f32 v[10:11], v[6:7], v[12:13]
	s_nop 0
	v_add_f32_e32 v10, v14, v10
	v_add_f32_e32 v22, v10, v11
	s_branch .LBB586_21
.LBB586_30:
	s_or_b64 exec, exec, s[18:19]
.LBB586_31:
	s_or_b64 exec, exec, s[16:17]
	s_sub_i32 s0, s13, s35
	s_cmp_lt_i32 s0, 1
	s_cbranch_scc1 .LBB586_49
; %bb.32:
	v_cmp_gt_i32_e32 vcc, s13, v24
	v_mov_b32_e32 v10, 0
	v_or_b32_e32 v4, 1, v24
	v_mov_b32_e32 v11, 0
	v_mov_b32_e32 v12, 0
	;; [unrolled: 1-line block ×3, first 2 shown]
	s_and_saveexec_b64 s[2:3], vcc
	s_cbranch_execz .LBB586_40
; %bb.33:
	s_waitcnt lgkmcnt(0)
	v_mul_lo_u32 v0, v24, s34
	v_ashrrev_i32_e32 v1, 31, v0
	v_lshl_add_u64 v[0:1], v[0:1], 1, s[20:21]
	flat_load_ushort v0, v[0:1]
	v_cmp_gt_i32_e64 s[0:1], s13, v4
	v_mov_b32_e32 v12, 0
	v_mov_b32_e32 v11, 0
	;; [unrolled: 1-line block ×3, first 2 shown]
	s_and_saveexec_b64 s[4:5], s[0:1]
	s_cbranch_execz .LBB586_39
; %bb.34:
	v_mul_lo_u32 v6, v4, s34
	v_ashrrev_i32_e32 v7, 31, v6
	v_lshl_add_u64 v[6:7], v[6:7], 1, s[20:21]
	flat_load_ushort v1, v[6:7]
	v_or_b32_e32 v5, 2, v24
	v_cmp_gt_i32_e64 s[0:1], s13, v5
	v_mov_b32_e32 v11, 0
	v_mov_b32_e32 v10, 0
	s_and_saveexec_b64 s[6:7], s[0:1]
	s_cbranch_execz .LBB586_38
; %bb.35:
	v_mul_lo_u32 v6, v5, s34
	v_ashrrev_i32_e32 v7, 31, v6
	v_lshl_add_u64 v[6:7], v[6:7], 1, s[20:21]
	flat_load_ushort v5, v[6:7]
	v_or_b32_e32 v6, 3, v24
	v_cmp_gt_i32_e64 s[0:1], s13, v6
	v_mov_b32_e32 v10, 0
	s_and_saveexec_b64 s[16:17], s[0:1]
	s_cbranch_execz .LBB586_37
; %bb.36:
	v_mul_lo_u32 v6, v6, s34
	v_ashrrev_i32_e32 v7, 31, v6
	v_lshl_add_u64 v[6:7], v[6:7], 1, s[20:21]
	flat_load_ushort v6, v[6:7]
	s_waitcnt vmcnt(0) lgkmcnt(0)
	v_lshlrev_b32_e32 v10, 16, v6
.LBB586_37:
	s_or_b64 exec, exec, s[16:17]
	s_waitcnt vmcnt(0) lgkmcnt(0)
	v_lshlrev_b32_e32 v11, 16, v5
.LBB586_38:
	s_or_b64 exec, exec, s[6:7]
	s_waitcnt vmcnt(0) lgkmcnt(0)
	v_lshlrev_b32_e32 v12, 16, v1
.LBB586_39:
	s_or_b64 exec, exec, s[4:5]
	s_waitcnt vmcnt(0) lgkmcnt(0)
	v_lshlrev_b32_e32 v13, 16, v0
.LBB586_40:
	s_or_b64 exec, exec, s[2:3]
	v_cmp_gt_i32_e64 s[0:1], s12, v23
	s_and_saveexec_b64 s[2:3], s[0:1]
	s_cbranch_execz .LBB586_48
; %bb.41:
	s_waitcnt lgkmcnt(0)
	v_mul_lo_u32 v0, v24, s33
	v_cndmask_b32_e32 v0, 0, v0, vcc
	v_mul_lo_u32 v5, v4, s33
	v_cmp_gt_i32_e32 vcc, s13, v4
	v_or_b32_e32 v6, 2, v24
	v_add_u32_e32 v0, v0, v23
	v_cndmask_b32_e32 v4, 0, v5, vcc
	v_mul_lo_u32 v7, v6, s33
	v_cmp_gt_i32_e32 vcc, s13, v6
	v_or_b32_e32 v8, 3, v24
	v_ashrrev_i32_e32 v1, 31, v0
	v_add_u32_e32 v4, v4, v23
	v_cndmask_b32_e32 v6, 0, v7, vcc
	v_mul_lo_u32 v9, v8, s33
	v_cmp_gt_i32_e32 vcc, s13, v8
	v_lshl_add_u64 v[0:1], v[0:1], 1, s[14:15]
	v_ashrrev_i32_e32 v5, 31, v4
	v_add_u32_e32 v6, v6, v23
	v_cndmask_b32_e32 v8, 0, v9, vcc
	v_lshl_add_u64 v[4:5], v[4:5], 1, s[14:15]
	v_ashrrev_i32_e32 v7, 31, v6
	v_add_u32_e32 v8, v8, v23
	flat_load_ushort v14, v[0:1]
	flat_load_ushort v15, v[4:5]
	v_lshl_add_u64 v[6:7], v[6:7], 1, s[14:15]
	v_ashrrev_i32_e32 v9, 31, v8
	v_lshl_add_u64 v[8:9], v[8:9], 1, s[14:15]
	flat_load_ushort v16, v[6:7]
	flat_load_ushort v17, v[8:9]
	v_add_u32_e32 v24, 64, v23
	v_cmp_gt_i32_e32 vcc, s12, v24
	s_waitcnt vmcnt(0) lgkmcnt(0)
	v_lshlrev_b32_e32 v14, 16, v14
	v_lshlrev_b32_e32 v15, 16, v15
	v_fmac_f32_e32 v19, v13, v14
	v_fmac_f32_e32 v19, v12, v15
	v_lshlrev_b32_e32 v16, 16, v16
	v_lshlrev_b32_e32 v14, 16, v17
	v_fmac_f32_e32 v19, v11, v16
	s_and_saveexec_b64 s[0:1], vcc
	s_cbranch_execz .LBB586_47
; %bb.42:
	flat_load_ushort v15, v[0:1] offset:128
	flat_load_ushort v16, v[4:5] offset:128
	flat_load_ushort v17, v[6:7] offset:128
	flat_load_ushort v24, v[8:9] offset:128
	v_add_u32_e32 v25, 0x80, v23
	v_cmp_gt_i32_e32 vcc, s12, v25
	s_waitcnt vmcnt(0) lgkmcnt(0)
	v_lshlrev_b32_e32 v26, 16, v15
	v_lshlrev_b32_e32 v16, 16, v16
	v_fmac_f32_e32 v20, v13, v26
	v_lshlrev_b32_e32 v17, 16, v17
	v_fmac_f32_e32 v20, v12, v16
	;; [unrolled: 2-line block ×3, first 2 shown]
	s_and_saveexec_b64 s[4:5], vcc
	s_cbranch_execz .LBB586_46
; %bb.43:
	flat_load_ushort v16, v[0:1] offset:256
	flat_load_ushort v17, v[4:5] offset:256
	;; [unrolled: 1-line block ×4, first 2 shown]
	v_add_u32_e32 v23, 0xc0, v23
	v_cmp_gt_i32_e32 vcc, s12, v23
	s_waitcnt vmcnt(0) lgkmcnt(0)
	v_lshlrev_b32_e32 v26, 16, v16
	v_lshlrev_b32_e32 v17, 16, v17
	v_fmac_f32_e32 v21, v13, v26
	v_lshlrev_b32_e32 v24, 16, v24
	v_fmac_f32_e32 v21, v12, v17
	;; [unrolled: 2-line block ×3, first 2 shown]
	s_and_saveexec_b64 s[6:7], vcc
	s_cbranch_execz .LBB586_45
; %bb.44:
	flat_load_ushort v17, v[0:1] offset:384
	flat_load_ushort v23, v[4:5] offset:384
	;; [unrolled: 1-line block ×4, first 2 shown]
	s_waitcnt vmcnt(0) lgkmcnt(0)
	v_lshlrev_b32_e32 v0, 16, v17
	v_lshlrev_b32_e32 v1, 16, v23
	v_fmac_f32_e32 v22, v13, v0
	v_lshlrev_b32_e32 v4, 16, v24
	v_fmac_f32_e32 v22, v12, v1
	v_fmac_f32_e32 v22, v11, v4
	v_lshlrev_b32_e32 v0, 16, v25
	v_fmac_f32_e32 v22, v10, v0
.LBB586_45:
	s_or_b64 exec, exec, s[6:7]
	v_fmac_f32_e32 v21, v10, v16
.LBB586_46:
	s_or_b64 exec, exec, s[4:5]
	v_fmac_f32_e32 v20, v10, v15
.LBB586_47:
	s_or_b64 exec, exec, s[0:1]
	v_fmac_f32_e32 v19, v10, v14
.LBB586_48:
	s_or_b64 exec, exec, s[2:3]
.LBB586_49:
	v_lshlrev_b32_e32 v0, 8, v18
	s_movk_i32 s0, 0x100
	v_add_lshl_u32 v0, v0, v2, 2
	v_cmp_gt_u32_e32 vcc, s0, v3
	ds_write2st64_b32 v0, v19, v20 offset1:1
	ds_write2st64_b32 v0, v21, v22 offset0:2 offset1:3
	s_waitcnt lgkmcnt(0)
	s_barrier
	s_waitcnt lgkmcnt(0)
                                        ; implicit-def: $vgpr5
                                        ; implicit-def: $vgpr0_vgpr1
	s_and_saveexec_b64 s[0:1], vcc
	s_cbranch_execz .LBB586_70
; %bb.50:
	v_lshlrev_b32_e32 v5, 2, v3
	ds_read2st64_b32 v[0:1], v5 offset1:4
	ds_read2st64_b32 v[6:7], v5 offset0:8 offset1:12
	v_or_b32_e32 v4, s31, v3
	v_cmp_gt_i32_e32 vcc, s12, v4
	s_mov_b64 s[4:5], s[10:11]
	s_waitcnt lgkmcnt(1)
	v_add_f32_e32 v0, v0, v1
	s_waitcnt lgkmcnt(0)
	v_add_f32_e32 v0, v6, v0
	v_add_f32_e32 v2, v7, v0
	ds_write_b32 v5, v2
                                        ; implicit-def: $vgpr5
                                        ; implicit-def: $vgpr0_vgpr1
	s_and_saveexec_b64 s[2:3], vcc
	s_cbranch_execz .LBB586_69
; %bb.51:
	v_cmp_eq_f32_e64 s[4:5], s28, 0
	v_mul_f32_e32 v2, s29, v2
	s_and_b64 vcc, exec, s[4:5]
	s_cbranch_vccz .LBB586_57
; %bb.52:
	s_mov_b32 s4, 0x7f800000
	v_and_b32_e32 v0, 0x7f800000, v2
	v_cmp_ne_u32_e32 vcc, s4, v0
                                        ; implicit-def: $vgpr3
	s_and_saveexec_b64 s[4:5], vcc
	s_xor_b64 s[4:5], exec, s[4:5]
; %bb.53:
	v_bfe_u32 v0, v2, 16, 1
	s_movk_i32 s6, 0x7fff
	v_add3_u32 v3, v2, v0, s6
; %bb.54:
	s_andn2_saveexec_b64 s[4:5], s[4:5]
; %bb.55:
	v_mov_b32_e32 v0, 0
	v_or_b32_e32 v1, 0x10000, v2
	v_cmp_eq_u32_sdwa vcc, v2, v0 src0_sel:WORD_0 src1_sel:DWORD
	s_nop 1
	v_cndmask_b32_e32 v3, v1, v2, vcc
; %bb.56:
	s_or_b64 exec, exec, s[4:5]
	s_mov_b64 s[4:5], 0
	s_branch .LBB586_58
.LBB586_57:
	s_mov_b64 s[4:5], -1
                                        ; implicit-def: $vgpr3
.LBB586_58:
	v_mul_lo_u32 v0, v4, s30
	s_andn2_b64 vcc, exec, s[4:5]
	v_ashrrev_i32_e32 v1, 31, v0
	s_cbranch_vccnz .LBB586_68
; %bb.59:
	v_lshl_add_u64 v[4:5], v[0:1], 1, s[8:9]
	global_load_ushort v3, v[4:5], off
	s_mov_b32 s4, 0x7f800000
	s_waitcnt vmcnt(0)
	v_lshlrev_b32_e32 v3, 16, v3
	v_mul_f32_e32 v3, s28, v3
	v_and_b32_e32 v4, 0x7f800000, v3
	v_cmp_ne_u32_e32 vcc, s4, v4
                                        ; implicit-def: $vgpr4
	s_and_saveexec_b64 s[4:5], vcc
	s_xor_b64 s[4:5], exec, s[4:5]
; %bb.60:
	v_bfe_u32 v4, v3, 16, 1
	s_movk_i32 s6, 0x7fff
	v_add3_u32 v4, v3, v4, s6
                                        ; implicit-def: $vgpr3
; %bb.61:
	s_andn2_saveexec_b64 s[4:5], s[4:5]
; %bb.62:
	v_mov_b32_e32 v4, 0
	v_or_b32_e32 v5, 0x10000, v3
	v_cmp_eq_u32_sdwa vcc, v3, v4 src0_sel:WORD_0 src1_sel:DWORD
	s_nop 1
	v_cndmask_b32_e32 v4, v5, v3, vcc
; %bb.63:
	s_or_b64 exec, exec, s[4:5]
	v_and_b32_e32 v3, 0xffff0000, v4
	v_add_f32_e32 v2, v2, v3
	s_mov_b32 s4, 0x7f800000
	v_and_b32_e32 v3, 0x7f800000, v2
	v_cmp_ne_u32_e32 vcc, s4, v3
                                        ; implicit-def: $vgpr3
	s_and_saveexec_b64 s[4:5], vcc
	s_xor_b64 s[4:5], exec, s[4:5]
; %bb.64:
	v_bfe_u32 v3, v2, 16, 1
	s_movk_i32 s6, 0x7fff
	v_add3_u32 v3, v2, v3, s6
                                        ; implicit-def: $vgpr2
; %bb.65:
	s_andn2_saveexec_b64 s[4:5], s[4:5]
; %bb.66:
	v_mov_b32_e32 v3, 0
	v_or_b32_e32 v4, 0x10000, v2
	v_cmp_eq_u32_sdwa vcc, v2, v3 src0_sel:WORD_0 src1_sel:DWORD
	s_nop 1
	v_cndmask_b32_e32 v3, v4, v2, vcc
; %bb.67:
	s_or_b64 exec, exec, s[4:5]
.LBB586_68:
	v_lshrrev_b32_e32 v5, 16, v3
	s_or_b64 s[4:5], s[10:11], exec
.LBB586_69:
	s_or_b64 exec, exec, s[2:3]
	s_andn2_b64 s[2:3], s[10:11], exec
	s_and_b64 s[4:5], s[4:5], exec
	s_or_b64 s[10:11], s[2:3], s[4:5]
.LBB586_70:
	s_or_b64 exec, exec, s[0:1]
.LBB586_71:
	s_and_saveexec_b64 s[0:1], s[10:11]
	s_cbranch_execz .LBB586_73
; %bb.72:
	v_lshl_add_u64 v[0:1], v[0:1], 1, s[8:9]
	global_store_short v[0:1], v5, off
.LBB586_73:
	s_endpgm
	.section	.rodata,"a",@progbits
	.p2align	6, 0x0
	.amdhsa_kernel _ZL20rocblas_gemvn_kernelILi64ELi4EiPK16rocblas_bfloat16PKfKPS0_EviiT3_lPKT2_lT1_lSA_lSB_lS7_lPT4_lSB_li
		.amdhsa_group_segment_fixed_size 4096
		.amdhsa_private_segment_fixed_size 0
		.amdhsa_kernarg_size 400
		.amdhsa_user_sgpr_count 2
		.amdhsa_user_sgpr_dispatch_ptr 0
		.amdhsa_user_sgpr_queue_ptr 0
		.amdhsa_user_sgpr_kernarg_segment_ptr 1
		.amdhsa_user_sgpr_dispatch_id 0
		.amdhsa_user_sgpr_kernarg_preload_length 0
		.amdhsa_user_sgpr_kernarg_preload_offset 0
		.amdhsa_user_sgpr_private_segment_size 0
		.amdhsa_uses_dynamic_stack 0
		.amdhsa_enable_private_segment 0
		.amdhsa_system_sgpr_workgroup_id_x 1
		.amdhsa_system_sgpr_workgroup_id_y 0
		.amdhsa_system_sgpr_workgroup_id_z 1
		.amdhsa_system_sgpr_workgroup_info 0
		.amdhsa_system_vgpr_workitem_id 1
		.amdhsa_next_free_vgpr 45
		.amdhsa_next_free_sgpr 39
		.amdhsa_accum_offset 48
		.amdhsa_reserve_vcc 1
		.amdhsa_float_round_mode_32 0
		.amdhsa_float_round_mode_16_64 0
		.amdhsa_float_denorm_mode_32 3
		.amdhsa_float_denorm_mode_16_64 3
		.amdhsa_dx10_clamp 1
		.amdhsa_ieee_mode 1
		.amdhsa_fp16_overflow 0
		.amdhsa_tg_split 0
		.amdhsa_exception_fp_ieee_invalid_op 0
		.amdhsa_exception_fp_denorm_src 0
		.amdhsa_exception_fp_ieee_div_zero 0
		.amdhsa_exception_fp_ieee_overflow 0
		.amdhsa_exception_fp_ieee_underflow 0
		.amdhsa_exception_fp_ieee_inexact 0
		.amdhsa_exception_int_div_zero 0
	.end_amdhsa_kernel
	.section	.text._ZL20rocblas_gemvn_kernelILi64ELi4EiPK16rocblas_bfloat16PKfKPS0_EviiT3_lPKT2_lT1_lSA_lSB_lS7_lPT4_lSB_li,"axG",@progbits,_ZL20rocblas_gemvn_kernelILi64ELi4EiPK16rocblas_bfloat16PKfKPS0_EviiT3_lPKT2_lT1_lSA_lSB_lS7_lPT4_lSB_li,comdat
.Lfunc_end586:
	.size	_ZL20rocblas_gemvn_kernelILi64ELi4EiPK16rocblas_bfloat16PKfKPS0_EviiT3_lPKT2_lT1_lSA_lSB_lS7_lPT4_lSB_li, .Lfunc_end586-_ZL20rocblas_gemvn_kernelILi64ELi4EiPK16rocblas_bfloat16PKfKPS0_EviiT3_lPKT2_lT1_lSA_lSB_lS7_lPT4_lSB_li
                                        ; -- End function
	.section	.AMDGPU.csdata,"",@progbits
; Kernel info:
; codeLenInByte = 2788
; NumSgprs: 45
; NumVgprs: 45
; NumAgprs: 0
; TotalNumVgprs: 45
; ScratchSize: 0
; MemoryBound: 0
; FloatMode: 240
; IeeeMode: 1
; LDSByteSize: 4096 bytes/workgroup (compile time only)
; SGPRBlocks: 5
; VGPRBlocks: 5
; NumSGPRsForWavesPerEU: 45
; NumVGPRsForWavesPerEU: 45
; AccumOffset: 48
; Occupancy: 8
; WaveLimiterHint : 1
; COMPUTE_PGM_RSRC2:SCRATCH_EN: 0
; COMPUTE_PGM_RSRC2:USER_SGPR: 2
; COMPUTE_PGM_RSRC2:TRAP_HANDLER: 0
; COMPUTE_PGM_RSRC2:TGID_X_EN: 1
; COMPUTE_PGM_RSRC2:TGID_Y_EN: 0
; COMPUTE_PGM_RSRC2:TGID_Z_EN: 1
; COMPUTE_PGM_RSRC2:TIDIG_COMP_CNT: 1
; COMPUTE_PGM_RSRC3_GFX90A:ACCUM_OFFSET: 11
; COMPUTE_PGM_RSRC3_GFX90A:TG_SPLIT: 0
	.section	.text._ZL20rocblas_gemvn_kernelILi64ELi4ElPK16rocblas_bfloat16PKfKPS0_EviiT3_lPKT2_lT1_lSA_lSB_lS7_lPT4_lSB_li,"axG",@progbits,_ZL20rocblas_gemvn_kernelILi64ELi4ElPK16rocblas_bfloat16PKfKPS0_EviiT3_lPKT2_lT1_lSA_lSB_lS7_lPT4_lSB_li,comdat
	.globl	_ZL20rocblas_gemvn_kernelILi64ELi4ElPK16rocblas_bfloat16PKfKPS0_EviiT3_lPKT2_lT1_lSA_lSB_lS7_lPT4_lSB_li ; -- Begin function _ZL20rocblas_gemvn_kernelILi64ELi4ElPK16rocblas_bfloat16PKfKPS0_EviiT3_lPKT2_lT1_lSA_lSB_lS7_lPT4_lSB_li
	.p2align	8
	.type	_ZL20rocblas_gemvn_kernelILi64ELi4ElPK16rocblas_bfloat16PKfKPS0_EviiT3_lPKT2_lT1_lSA_lSB_lS7_lPT4_lSB_li,@function
_ZL20rocblas_gemvn_kernelILi64ELi4ElPK16rocblas_bfloat16PKfKPS0_EviiT3_lPKT2_lT1_lSA_lSB_lS7_lPT4_lSB_li: ; @_ZL20rocblas_gemvn_kernelILi64ELi4ElPK16rocblas_bfloat16PKfKPS0_EviiT3_lPKT2_lT1_lSA_lSB_lS7_lPT4_lSB_li
; %bb.0:
	s_load_dwordx2 s[4:5], s[0:1], 0x9c
	s_mov_b32 s26, s3
	s_waitcnt lgkmcnt(0)
	s_and_b32 s3, s5, 0xffff
	s_lshr_b32 s5, s4, 16
	s_and_b32 s4, s4, 0xffff
	s_mul_i32 s4, s5, s4
	s_mul_i32 s4, s4, s3
	s_cmpk_lg_i32 s4, 0x100
	s_cbranch_scc1 .LBB587_73
; %bb.1:
	s_load_dwordx8 s[12:19], s[0:1], 0x8
	s_load_dwordx8 s[4:11], s[0:1], 0x58
	s_waitcnt lgkmcnt(0)
	s_mul_i32 s3, s26, s15
	s_mul_hi_u32 s15, s26, s14
	s_mul_i32 s14, s26, s14
	s_add_i32 s15, s15, s3
	s_lshl_b64 s[14:15], s[14:15], 2
	s_mul_i32 s7, s26, s7
	s_add_u32 s12, s12, s14
	s_mul_hi_u32 s3, s26, s6
	s_addc_u32 s13, s13, s15
	s_add_i32 s7, s3, s7
	s_mul_i32 s6, s26, s6
	s_lshl_b64 s[6:7], s[6:7], 2
	s_add_u32 s4, s4, s6
	s_addc_u32 s5, s5, s7
	s_load_dword s42, s[12:13], 0x0
	s_load_dword s33, s[4:5], 0x0
	s_waitcnt lgkmcnt(0)
	v_cmp_eq_f32_e64 s[28:29], s42, 0
	v_cmp_eq_f32_e64 s[4:5], s33, 1.0
	s_and_b64 s[4:5], s[28:29], s[4:5]
	s_and_b64 vcc, exec, s[4:5]
	s_cbranch_vccnz .LBB587_73
; %bb.2:
	s_load_dwordx2 s[20:21], s[0:1], 0x28
	s_load_dwordx2 s[12:13], s[0:1], 0x78
	s_mov_b32 s27, 0
	v_cmp_neq_f32_e64 s[14:15], s42, 0
	s_mov_b64 s[24:25], 0
	s_and_b64 vcc, exec, s[28:29]
	s_mov_b64 s[22:23], 0
	s_cbranch_vccnz .LBB587_4
; %bb.3:
	s_lshl_b64 s[4:5], s[26:27], 3
	s_add_u32 s4, s16, s4
	s_addc_u32 s5, s17, s5
	s_load_dwordx2 s[4:5], s[4:5], 0x0
	s_lshl_b64 s[6:7], s[18:19], 1
	s_waitcnt lgkmcnt(0)
	s_add_u32 s22, s4, s6
	s_addc_u32 s23, s5, s7
.LBB587_4:
	s_load_dwordx4 s[4:7], s[0:1], 0x38
	s_load_dwordx2 s[16:17], s[0:1], 0x48
	s_andn2_b64 vcc, exec, s[14:15]
	s_cbranch_vccnz .LBB587_6
; %bb.5:
	s_lshl_b64 s[14:15], s[26:27], 3
	s_waitcnt lgkmcnt(0)
	s_add_u32 s4, s4, s14
	s_addc_u32 s5, s5, s15
	s_load_dwordx2 s[4:5], s[4:5], 0x0
	s_lshl_b64 s[6:7], s[6:7], 1
	s_waitcnt lgkmcnt(0)
	s_add_u32 s24, s4, s6
	s_addc_u32 s25, s5, s7
.LBB587_6:
	s_waitcnt lgkmcnt(0)
	s_lshl_b64 s[4:5], s[26:27], 3
	s_add_u32 s4, s8, s4
	s_addc_u32 s5, s9, s5
	s_load_dwordx2 s[6:7], s[4:5], 0x0
	s_load_dwordx2 s[14:15], s[0:1], 0x0
	s_lshl_b64 s[0:1], s[10:11], 1
	v_and_b32_e32 v33, 0x3ff, v0
	v_bfe_u32 v34, v0, 10, 10
	s_waitcnt lgkmcnt(0)
	s_add_u32 s8, s6, s0
	s_addc_u32 s9, s7, s1
	s_andn2_b64 vcc, exec, s[28:29]
	v_lshl_add_u32 v32, v34, 6, v33
	s_cbranch_vccnz .LBB587_17
; %bb.7:
	s_movk_i32 s0, 0x100
	v_cmp_gt_u32_e32 vcc, s0, v32
	s_mov_b64 s[0:1], 0
	s_mov_b64 s[10:11], 0
                                        ; implicit-def: $vgpr3
                                        ; implicit-def: $vgpr0_vgpr1
	s_and_saveexec_b64 s[4:5], vcc
	s_cbranch_execz .LBB587_18
; %bb.8:
	v_lshl_or_b32 v2, s2, 8, v32
	v_mov_b32_e32 v3, 0
	s_ashr_i32 s7, s14, 31
	s_mov_b32 s6, s14
	v_cmp_gt_i64_e32 vcc, s[6:7], v[2:3]
                                        ; implicit-def: $vgpr0_vgpr1
	s_and_saveexec_b64 s[6:7], vcc
	s_cbranch_execz .LBB587_16
; %bb.9:
	v_mad_u64_u32 v[0:1], s[18:19], v2, s12, 0
	v_mov_b32_e32 v4, v1
	v_cmp_eq_f32_e64 s[10:11], s33, 0
	v_mad_u64_u32 v[4:5], s[18:19], v2, s13, v[4:5]
	v_mov_b32_e32 v1, v4
	s_and_b64 vcc, exec, s[10:11]
	s_cbranch_vccnz .LBB587_15
; %bb.10:
	v_lshl_add_u64 v[2:3], v[0:1], 1, s[8:9]
	global_load_ushort v2, v[2:3], off
	s_mov_b32 s3, 0x7f800000
	s_waitcnt vmcnt(0)
	v_lshlrev_b32_e32 v2, 16, v2
	v_mul_f32_e32 v2, s33, v2
	v_and_b32_e32 v3, 0x7f800000, v2
	v_cmp_ne_u32_e32 vcc, s3, v3
                                        ; implicit-def: $vgpr3
	s_and_saveexec_b64 s[10:11], vcc
	s_xor_b64 s[10:11], exec, s[10:11]
; %bb.11:
	v_bfe_u32 v3, v2, 16, 1
	s_movk_i32 s3, 0x7fff
	v_add3_u32 v3, v2, v3, s3
                                        ; implicit-def: $vgpr2
; %bb.12:
	s_andn2_saveexec_b64 s[10:11], s[10:11]
; %bb.13:
	v_mov_b32_e32 v3, 0
	v_or_b32_e32 v4, 0x10000, v2
	v_cmp_eq_u32_sdwa vcc, v2, v3 src0_sel:WORD_0 src1_sel:DWORD
	s_nop 1
	v_cndmask_b32_e32 v3, v4, v2, vcc
; %bb.14:
	s_or_b64 exec, exec, s[10:11]
	v_lshrrev_b32_e32 v3, 16, v3
.LBB587_15:
	s_mov_b64 s[10:11], exec
.LBB587_16:
	s_or_b64 exec, exec, s[6:7]
	s_and_b64 s[10:11], s[10:11], exec
	s_or_b64 exec, exec, s[4:5]
	s_and_b64 vcc, exec, s[0:1]
	s_cbranch_vccnz .LBB587_19
	s_branch .LBB587_71
.LBB587_17:
	s_mov_b64 s[10:11], 0
                                        ; implicit-def: $vgpr3
                                        ; implicit-def: $vgpr0_vgpr1
	s_cbranch_execnz .LBB587_19
	s_branch .LBB587_71
.LBB587_18:
	s_or_b64 exec, exec, s[4:5]
	s_and_b64 vcc, exec, s[0:1]
	s_cbranch_vccz .LBB587_71
.LBB587_19:
	s_ashr_i32 s0, s15, 31
	s_lshr_b32 s0, s0, 28
	s_add_i32 s0, s15, s0
	s_lshl_b32 s43, s2, 8
	s_and_b32 s44, s0, -16
	v_lshlrev_b32_e32 v39, 2, v34
	v_add_u32_e32 v0, s43, v33
	v_cmp_gt_i32_e32 vcc, s44, v39
	v_mov_b32_e32 v35, 0
	v_mov_b32_e32 v36, 0
	;; [unrolled: 1-line block ×4, first 2 shown]
	s_and_saveexec_b64 s[18:19], vcc
	s_cbranch_execz .LBB587_31
; %bb.20:
	v_add_u32_e32 v2, 64, v0
	v_cmp_gt_i32_e64 s[0:1], s14, v2
	v_add_u32_e32 v2, 0x80, v0
	v_ashrrev_i32_e32 v1, 31, v0
	v_cmp_gt_i32_e64 s[2:3], s14, v2
	v_add_u32_e32 v2, 0xc0, v0
	v_cmp_gt_i32_e64 s[4:5], s14, v2
	v_lshlrev_b64 v[2:3], 1, v[0:1]
	v_lshlrev_b32_e32 v1, 2, v34
	v_or_b32_e32 v15, 3, v1
	v_mad_u64_u32 v[4:5], s[6:7], s20, v15, 0
	v_mov_b32_e32 v6, v5
	v_mad_u64_u32 v[6:7], s[6:7], s21, v15, v[6:7]
	v_mov_b32_e32 v5, v6
	;; [unrolled: 2-line block ×6, first 2 shown]
	v_mov_b64_e32 v[10:11], s[16:17]
	v_mad_u64_u32 v[10:11], s[6:7], s16, v1, v[10:11]
	v_mov_b32_e32 v12, v11
	v_mad_u64_u32 v[12:13], s[6:7], s17, v1, v[12:13]
	v_mov_b32_e32 v11, v12
	;; [unrolled: 2-line block ×3, first 2 shown]
	v_mad_u64_u32 v[14:15], s[6:7], s17, v15, v[14:15]
	v_or_b32_e32 v21, 2, v1
	v_mov_b32_e32 v13, v14
	v_mad_u64_u32 v[14:15], s[6:7], s20, v21, 0
	v_mov_b32_e32 v16, v15
	v_mad_u64_u32 v[16:17], s[6:7], s21, v21, v[16:17]
	v_mov_b32_e32 v15, v16
	v_mov_b64_e32 v[16:17], s[20:21]
	v_mad_u64_u32 v[16:17], s[6:7], s20, v1, v[16:17]
	v_mov_b32_e32 v18, v17
	v_mad_u64_u32 v[18:19], s[6:7], s21, v1, v[18:19]
	v_mov_b32_e32 v17, v18
	v_mad_u64_u32 v[18:19], s[6:7], s16, v21, 0
	v_mov_b32_e32 v20, v19
	v_mad_u64_u32 v[20:21], s[6:7], s17, v21, v[20:21]
	v_mov_b32_e32 v19, v20
	v_cmp_gt_i32_e32 vcc, s14, v0
	v_lshl_add_u64 v[4:5], v[4:5], 1, s[22:23]
	s_lshl_b64 s[26:27], s[20:21], 5
	v_lshlrev_b64 v[6:7], 3, v[6:7]
	s_lshl_b64 s[28:29], s[16:17], 5
	v_lshl_add_u64 v[8:9], v[8:9], 3, s[22:23]
	v_lshlrev_b64 v[10:11], 1, v[10:11]
	v_lshlrev_b64 v[12:13], 1, v[12:13]
	v_lshl_add_u64 v[14:15], v[14:15], 1, s[22:23]
	v_lshl_add_u64 v[16:17], v[16:17], 1, s[22:23]
	v_lshlrev_b64 v[18:19], 1, v[18:19]
	s_mov_b64 s[30:31], 0
	v_mov_b32_e32 v35, 0
	s_mov_b64 s[34:35], s[24:25]
	v_mov_b32_e32 v36, 0
	v_mov_b32_e32 v37, 0
	;; [unrolled: 1-line block ×3, first 2 shown]
	s_branch .LBB587_25
.LBB587_21:                             ;   in Loop: Header=BB587_25 Depth=1
	s_or_b64 exec, exec, s[40:41]
	s_waitcnt vmcnt(0) lgkmcnt(0)
	v_lshlrev_b32_e32 v24, 16, v50
	v_fmac_f32_e32 v37, v22, v24
	v_lshlrev_b32_e32 v24, 16, v49
	v_fmac_f32_e32 v37, v23, v24
	;; [unrolled: 2-line block ×4, first 2 shown]
.LBB587_22:                             ;   in Loop: Header=BB587_25 Depth=1
	s_or_b64 exec, exec, s[38:39]
	s_waitcnt vmcnt(0) lgkmcnt(0)
	v_lshlrev_b32_e32 v24, 16, v46
	v_fmac_f32_e32 v36, v22, v24
	v_lshlrev_b32_e32 v24, 16, v45
	v_fmac_f32_e32 v36, v23, v24
	;; [unrolled: 2-line block ×4, first 2 shown]
.LBB587_23:                             ;   in Loop: Header=BB587_25 Depth=1
	s_or_b64 exec, exec, s[36:37]
	v_lshlrev_b32_e32 v24, 16, v42
	v_fmac_f32_e32 v35, v22, v24
	v_lshlrev_b32_e32 v22, 16, v41
	v_fmac_f32_e32 v35, v23, v22
	;; [unrolled: 2-line block ×4, first 2 shown]
.LBB587_24:                             ;   in Loop: Header=BB587_25 Depth=1
	s_or_b64 exec, exec, s[6:7]
	v_add_u32_e32 v39, 16, v39
	s_add_u32 s34, s34, s28
	s_addc_u32 s35, s35, s29
	v_cmp_le_i32_e64 s[6:7], s44, v39
	v_lshl_add_u64 v[4:5], v[4:5], 0, s[26:27]
	v_lshl_add_u64 v[8:9], v[8:9], 0, s[26:27]
	;; [unrolled: 1-line block ×3, first 2 shown]
	s_or_b64 s[30:31], s[6:7], s[30:31]
	v_lshl_add_u64 v[16:17], v[16:17], 0, s[26:27]
	s_andn2_b64 exec, exec, s[30:31]
	s_cbranch_execz .LBB587_30
.LBB587_25:                             ; =>This Inner Loop Header: Depth=1
	s_and_saveexec_b64 s[6:7], vcc
	s_cbranch_execz .LBB587_24
; %bb.26:                               ;   in Loop: Header=BB587_25 Depth=1
	v_lshl_add_u64 v[20:21], s[34:35], 0, v[6:7]
	v_lshl_add_u64 v[24:25], s[34:35], 0, v[18:19]
	;; [unrolled: 1-line block ×4, first 2 shown]
	flat_load_ushort v43, v[20:21]
	flat_load_ushort v44, v[22:23]
	;; [unrolled: 1-line block ×4, first 2 shown]
	v_lshl_add_u64 v[24:25], v[8:9], 0, v[2:3]
	v_lshl_add_u64 v[28:29], v[16:17], 0, v[2:3]
	;; [unrolled: 1-line block ×4, first 2 shown]
	flat_load_ushort v42, v[24:25]
	flat_load_ushort v41, v[28:29]
	;; [unrolled: 1-line block ×4, first 2 shown]
	s_waitcnt vmcnt(0) lgkmcnt(0)
	v_lshlrev_b32_e32 v22, 16, v43
	v_lshlrev_b32_e32 v23, 16, v44
	;; [unrolled: 1-line block ×4, first 2 shown]
	s_and_saveexec_b64 s[36:37], s[0:1]
	s_cbranch_execz .LBB587_23
; %bb.27:                               ;   in Loop: Header=BB587_25 Depth=1
	flat_load_ushort v46, v[24:25] offset:128
	flat_load_ushort v45, v[28:29] offset:128
	flat_load_ushort v44, v[26:27] offset:128
	flat_load_ushort v43, v[30:31] offset:128
	s_and_saveexec_b64 s[38:39], s[2:3]
	s_cbranch_execz .LBB587_22
; %bb.28:                               ;   in Loop: Header=BB587_25 Depth=1
	flat_load_ushort v50, v[24:25] offset:256
	flat_load_ushort v49, v[28:29] offset:256
	flat_load_ushort v48, v[26:27] offset:256
	flat_load_ushort v47, v[30:31] offset:256
	s_and_saveexec_b64 s[40:41], s[4:5]
	s_cbranch_execz .LBB587_21
; %bb.29:                               ;   in Loop: Header=BB587_25 Depth=1
	flat_load_ushort v51, v[28:29] offset:384
	flat_load_ushort v52, v[24:25] offset:384
	flat_load_ushort v53, v[30:31] offset:384
	flat_load_ushort v54, v[26:27] offset:384
	s_waitcnt vmcnt(0) lgkmcnt(0)
	v_lshlrev_b32_e32 v25, 16, v51
	v_lshlrev_b32_e32 v24, 16, v52
	v_pk_mul_f32 v[24:25], v[22:23], v[24:25]
	v_lshlrev_b32_e32 v27, 16, v53
	v_lshlrev_b32_e32 v26, 16, v54
	v_add_f32_e32 v24, v38, v24
	v_add_f32_e32 v28, v24, v25
	v_pk_mul_f32 v[24:25], v[20:21], v[26:27]
	s_nop 0
	v_add_f32_e32 v24, v28, v24
	v_add_f32_e32 v38, v24, v25
	s_branch .LBB587_21
.LBB587_30:
	s_or_b64 exec, exec, s[30:31]
.LBB587_31:
	s_or_b64 exec, exec, s[18:19]
	s_sub_i32 s0, s15, s44
	s_cmp_lt_i32 s0, 1
	s_cbranch_scc1 .LBB587_49
; %bb.32:
	v_cmp_gt_i32_e32 vcc, s15, v39
	v_mov_b32_e32 v10, 0
	v_or_b32_e32 v4, 1, v39
	v_mov_b32_e32 v11, 0
	v_mov_b32_e32 v12, 0
	;; [unrolled: 1-line block ×3, first 2 shown]
	s_and_saveexec_b64 s[2:3], vcc
	s_cbranch_execz .LBB587_40
; %bb.33:
	v_mad_u64_u32 v[2:3], s[0:1], v39, s16, 0
	v_mov_b32_e32 v6, v3
	v_mad_u64_u32 v[6:7], s[0:1], v39, s17, v[6:7]
	v_mov_b32_e32 v3, v6
	v_lshl_add_u64 v[2:3], v[2:3], 1, s[24:25]
	flat_load_ushort v1, v[2:3]
	v_cmp_gt_i32_e64 s[0:1], s15, v4
	v_mov_b32_e32 v12, 0
	v_mov_b32_e32 v11, 0
	v_mov_b32_e32 v10, 0
	s_and_saveexec_b64 s[4:5], s[0:1]
	s_cbranch_execz .LBB587_39
; %bb.34:
	v_mad_u64_u32 v[2:3], s[0:1], v4, s16, 0
	v_mov_b32_e32 v6, v3
	v_mad_u64_u32 v[6:7], s[0:1], v4, s17, v[6:7]
	v_mov_b32_e32 v3, v6
	v_lshl_add_u64 v[2:3], v[2:3], 1, s[24:25]
	flat_load_ushort v2, v[2:3]
	v_or_b32_e32 v3, 2, v39
	v_cmp_gt_i32_e64 s[0:1], s15, v3
	v_mov_b32_e32 v11, 0
	v_mov_b32_e32 v10, 0
	s_and_saveexec_b64 s[6:7], s[0:1]
	s_cbranch_execz .LBB587_38
; %bb.35:
	v_mad_u64_u32 v[6:7], s[0:1], v3, s16, 0
	v_mov_b32_e32 v8, v7
	v_mad_u64_u32 v[8:9], s[0:1], v3, s17, v[8:9]
	v_mov_b32_e32 v7, v8
	v_lshl_add_u64 v[6:7], v[6:7], 1, s[24:25]
	flat_load_ushort v3, v[6:7]
	v_or_b32_e32 v5, 3, v39
	v_cmp_gt_i32_e64 s[0:1], s15, v5
	v_mov_b32_e32 v10, 0
	s_and_saveexec_b64 s[18:19], s[0:1]
	s_cbranch_execz .LBB587_37
; %bb.36:
	v_mad_u64_u32 v[6:7], s[0:1], v5, s16, 0
	v_mov_b32_e32 v8, v7
	v_mad_u64_u32 v[8:9], s[0:1], v5, s17, v[8:9]
	v_mov_b32_e32 v7, v8
	v_lshl_add_u64 v[6:7], v[6:7], 1, s[24:25]
	flat_load_ushort v5, v[6:7]
	s_waitcnt vmcnt(0) lgkmcnt(0)
	v_lshlrev_b32_e32 v10, 16, v5
.LBB587_37:
	s_or_b64 exec, exec, s[18:19]
	s_waitcnt vmcnt(0) lgkmcnt(0)
	v_lshlrev_b32_e32 v11, 16, v3
.LBB587_38:
	s_or_b64 exec, exec, s[6:7]
	s_waitcnt vmcnt(0) lgkmcnt(0)
	v_lshlrev_b32_e32 v12, 16, v2
.LBB587_39:
	s_or_b64 exec, exec, s[4:5]
	s_waitcnt vmcnt(0) lgkmcnt(0)
	v_lshlrev_b32_e32 v13, 16, v1
.LBB587_40:
	s_or_b64 exec, exec, s[2:3]
	v_cmp_gt_i32_e64 s[0:1], s14, v0
	s_and_saveexec_b64 s[2:3], s[0:1]
	s_cbranch_execz .LBB587_48
; %bb.41:
	v_mad_u64_u32 v[2:3], s[0:1], v39, s20, 0
	v_mov_b32_e32 v6, v3
	v_mad_u64_u32 v[6:7], s[0:1], v39, s21, v[6:7]
	v_ashrrev_i32_e32 v1, 31, v0
	v_cndmask_b32_e32 v3, 0, v6, vcc
	v_mad_u64_u32 v[6:7], s[0:1], v4, s20, 0
	v_cndmask_b32_e32 v2, 0, v2, vcc
	v_lshlrev_b64 v[8:9], 1, v[0:1]
	v_mov_b32_e32 v14, v7
	v_cmp_gt_i32_e32 vcc, s15, v4
	v_or_b32_e32 v1, 2, v39
	v_mad_u64_u32 v[14:15], s[0:1], v4, s21, v[14:15]
	v_cndmask_b32_e32 v4, 0, v6, vcc
	v_mad_u64_u32 v[6:7], s[0:1], v1, s20, 0
	v_cndmask_b32_e32 v5, 0, v14, vcc
	v_mov_b32_e32 v14, v7
	v_mad_u64_u32 v[14:15], s[0:1], v1, s21, v[14:15]
	v_cmp_gt_i32_e32 vcc, s15, v1
	v_or_b32_e32 v1, 3, v39
	v_lshl_add_u64 v[2:3], v[2:3], 1, s[22:23]
	v_cndmask_b32_e32 v7, 0, v14, vcc
	v_mad_u64_u32 v[14:15], s[0:1], v1, s20, 0
	v_mov_b32_e32 v16, v15
	v_lshl_add_u64 v[2:3], v[2:3], 0, v[8:9]
	v_lshl_add_u64 v[4:5], v[4:5], 1, s[22:23]
	v_cndmask_b32_e32 v6, 0, v6, vcc
	v_mad_u64_u32 v[16:17], s[0:1], v1, s21, v[16:17]
	v_cmp_gt_i32_e32 vcc, s15, v1
	v_lshl_add_u64 v[4:5], v[4:5], 0, v[8:9]
	v_lshl_add_u64 v[6:7], v[6:7], 1, s[22:23]
	v_cndmask_b32_e32 v14, 0, v14, vcc
	v_cndmask_b32_e32 v15, 0, v16, vcc
	flat_load_ushort v1, v[2:3]
	flat_load_ushort v16, v[4:5]
	v_lshl_add_u64 v[6:7], v[6:7], 0, v[8:9]
	v_lshl_add_u64 v[14:15], v[14:15], 1, s[22:23]
	;; [unrolled: 1-line block ×3, first 2 shown]
	flat_load_ushort v14, v[6:7]
	flat_load_ushort v15, v[8:9]
	v_add_u32_e32 v17, 64, v0
	v_cmp_gt_i32_e32 vcc, s14, v17
	s_waitcnt vmcnt(0) lgkmcnt(0)
	v_lshlrev_b32_e32 v1, 16, v1
	v_lshlrev_b32_e32 v16, 16, v16
	v_fmac_f32_e32 v35, v13, v1
	v_fmac_f32_e32 v35, v12, v16
	v_lshlrev_b32_e32 v14, 16, v14
	v_lshlrev_b32_e32 v1, 16, v15
	v_fmac_f32_e32 v35, v11, v14
	s_and_saveexec_b64 s[0:1], vcc
	s_cbranch_execz .LBB587_47
; %bb.42:
	flat_load_ushort v14, v[2:3] offset:128
	flat_load_ushort v15, v[4:5] offset:128
	;; [unrolled: 1-line block ×4, first 2 shown]
	v_add_u32_e32 v18, 0x80, v0
	v_cmp_gt_i32_e32 vcc, s14, v18
	s_waitcnt vmcnt(0) lgkmcnt(0)
	v_lshlrev_b32_e32 v19, 16, v14
	v_lshlrev_b32_e32 v15, 16, v15
	v_fmac_f32_e32 v36, v13, v19
	v_lshlrev_b32_e32 v16, 16, v16
	v_fmac_f32_e32 v36, v12, v15
	;; [unrolled: 2-line block ×3, first 2 shown]
	s_and_saveexec_b64 s[4:5], vcc
	s_cbranch_execz .LBB587_46
; %bb.43:
	flat_load_ushort v15, v[2:3] offset:256
	flat_load_ushort v16, v[4:5] offset:256
	;; [unrolled: 1-line block ×4, first 2 shown]
	v_add_u32_e32 v19, 0xc0, v0
	v_cmp_gt_i32_e32 vcc, s14, v19
	s_waitcnt vmcnt(0) lgkmcnt(0)
	v_lshlrev_b32_e32 v15, 16, v15
	v_lshlrev_b32_e32 v16, 16, v16
	v_fmac_f32_e32 v37, v13, v15
	v_lshlrev_b32_e32 v17, 16, v17
	v_fmac_f32_e32 v37, v12, v16
	;; [unrolled: 2-line block ×3, first 2 shown]
	s_and_saveexec_b64 s[6:7], vcc
	s_cbranch_execz .LBB587_45
; %bb.44:
	flat_load_ushort v15, v[2:3] offset:384
	flat_load_ushort v16, v[4:5] offset:384
	;; [unrolled: 1-line block ×4, first 2 shown]
	s_waitcnt vmcnt(0) lgkmcnt(0)
	v_lshlrev_b32_e32 v2, 16, v15
	v_lshlrev_b32_e32 v3, 16, v16
	v_fmac_f32_e32 v38, v13, v2
	v_lshlrev_b32_e32 v4, 16, v17
	v_fmac_f32_e32 v38, v12, v3
	v_fmac_f32_e32 v38, v11, v4
	v_lshlrev_b32_e32 v2, 16, v18
	v_fmac_f32_e32 v38, v10, v2
.LBB587_45:
	s_or_b64 exec, exec, s[6:7]
	v_fmac_f32_e32 v37, v10, v0
.LBB587_46:
	s_or_b64 exec, exec, s[4:5]
	v_fmac_f32_e32 v36, v10, v14
.LBB587_47:
	s_or_b64 exec, exec, s[0:1]
	v_fmac_f32_e32 v35, v10, v1
.LBB587_48:
	s_or_b64 exec, exec, s[2:3]
.LBB587_49:
	v_lshlrev_b32_e32 v0, 8, v34
	s_movk_i32 s0, 0x100
	v_add_lshl_u32 v0, v0, v33, 2
	v_cmp_gt_u32_e32 vcc, s0, v32
	ds_write2st64_b32 v0, v35, v36 offset1:1
	ds_write2st64_b32 v0, v37, v38 offset0:2 offset1:3
	s_waitcnt lgkmcnt(0)
	s_barrier
	s_waitcnt lgkmcnt(0)
                                        ; implicit-def: $vgpr3
                                        ; implicit-def: $vgpr0_vgpr1
	s_and_saveexec_b64 s[0:1], vcc
	s_cbranch_execz .LBB587_70
; %bb.50:
	v_lshlrev_b32_e32 v3, 2, v32
	ds_read2st64_b32 v[0:1], v3 offset1:4
	ds_read2st64_b32 v[4:5], v3 offset0:8 offset1:12
	v_or_b32_e32 v2, s43, v32
	v_cmp_gt_i32_e32 vcc, s14, v2
	s_mov_b64 s[4:5], s[10:11]
	s_waitcnt lgkmcnt(1)
	v_add_f32_e32 v0, v0, v1
	s_waitcnt lgkmcnt(0)
	v_add_f32_e32 v0, v4, v0
	v_add_f32_e32 v4, v5, v0
	ds_write_b32 v3, v4
                                        ; implicit-def: $vgpr3
                                        ; implicit-def: $vgpr0_vgpr1
	s_and_saveexec_b64 s[2:3], vcc
	s_cbranch_execz .LBB587_69
; %bb.51:
	v_cmp_eq_f32_e64 s[4:5], s33, 0
	v_mul_f32_e32 v0, s42, v4
	s_and_b64 vcc, exec, s[4:5]
	s_cbranch_vccz .LBB587_57
; %bb.52:
	s_mov_b32 s4, 0x7f800000
	v_and_b32_e32 v1, 0x7f800000, v0
	v_cmp_ne_u32_e32 vcc, s4, v1
                                        ; implicit-def: $vgpr1
	s_and_saveexec_b64 s[4:5], vcc
	s_xor_b64 s[4:5], exec, s[4:5]
; %bb.53:
	v_bfe_u32 v1, v0, 16, 1
	s_movk_i32 s6, 0x7fff
	v_add3_u32 v1, v0, v1, s6
; %bb.54:
	s_andn2_saveexec_b64 s[4:5], s[4:5]
; %bb.55:
	v_mov_b32_e32 v1, 0
	v_or_b32_e32 v3, 0x10000, v0
	v_cmp_eq_u32_sdwa vcc, v0, v1 src0_sel:WORD_0 src1_sel:DWORD
	s_nop 1
	v_cndmask_b32_e32 v1, v3, v0, vcc
; %bb.56:
	s_or_b64 exec, exec, s[4:5]
	s_mov_b64 s[4:5], 0
	s_branch .LBB587_58
.LBB587_57:
	s_mov_b64 s[4:5], -1
                                        ; implicit-def: $vgpr1
.LBB587_58:
	v_ashrrev_i32_e32 v3, 31, v2
	s_andn2_b64 vcc, exec, s[4:5]
	v_mul_lo_u32 v4, v2, s13
	v_mul_lo_u32 v5, v3, s12
	s_cbranch_vccnz .LBB587_68
; %bb.59:
	v_mad_u64_u32 v[6:7], s[4:5], v2, s12, 0
	v_add3_u32 v7, v7, v4, v5
	v_lshl_add_u64 v[6:7], v[6:7], 1, s[8:9]
	global_load_ushort v1, v[6:7], off
	s_mov_b32 s4, 0x7f800000
	s_waitcnt vmcnt(0)
	v_lshlrev_b32_e32 v1, 16, v1
	v_mul_f32_e32 v1, s33, v1
	v_and_b32_e32 v3, 0x7f800000, v1
	v_cmp_ne_u32_e32 vcc, s4, v3
                                        ; implicit-def: $vgpr3
	s_and_saveexec_b64 s[4:5], vcc
	s_xor_b64 s[4:5], exec, s[4:5]
; %bb.60:
	v_bfe_u32 v3, v1, 16, 1
	s_movk_i32 s6, 0x7fff
	v_add3_u32 v3, v1, v3, s6
                                        ; implicit-def: $vgpr1
; %bb.61:
	s_andn2_saveexec_b64 s[4:5], s[4:5]
; %bb.62:
	v_mov_b32_e32 v3, 0
	v_or_b32_e32 v6, 0x10000, v1
	v_cmp_eq_u32_sdwa vcc, v1, v3 src0_sel:WORD_0 src1_sel:DWORD
	s_nop 1
	v_cndmask_b32_e32 v3, v6, v1, vcc
; %bb.63:
	s_or_b64 exec, exec, s[4:5]
	v_and_b32_e32 v1, 0xffff0000, v3
	v_add_f32_e32 v0, v0, v1
	s_mov_b32 s4, 0x7f800000
	v_and_b32_e32 v1, 0x7f800000, v0
	v_cmp_ne_u32_e32 vcc, s4, v1
                                        ; implicit-def: $vgpr1
	s_and_saveexec_b64 s[4:5], vcc
	s_xor_b64 s[4:5], exec, s[4:5]
; %bb.64:
	v_bfe_u32 v1, v0, 16, 1
	s_movk_i32 s6, 0x7fff
	v_add3_u32 v1, v0, v1, s6
                                        ; implicit-def: $vgpr0
; %bb.65:
	s_andn2_saveexec_b64 s[4:5], s[4:5]
; %bb.66:
	v_mov_b32_e32 v1, 0
	v_or_b32_e32 v3, 0x10000, v0
	v_cmp_eq_u32_sdwa vcc, v0, v1 src0_sel:WORD_0 src1_sel:DWORD
	s_nop 1
	v_cndmask_b32_e32 v1, v3, v0, vcc
; %bb.67:
	s_or_b64 exec, exec, s[4:5]
.LBB587_68:
	v_lshrrev_b32_e32 v3, 16, v1
	v_mad_u64_u32 v[0:1], s[4:5], v2, s12, 0
	v_add3_u32 v1, v1, v4, v5
	s_or_b64 s[4:5], s[10:11], exec
.LBB587_69:
	s_or_b64 exec, exec, s[2:3]
	s_andn2_b64 s[2:3], s[10:11], exec
	s_and_b64 s[4:5], s[4:5], exec
	s_or_b64 s[10:11], s[2:3], s[4:5]
.LBB587_70:
	s_or_b64 exec, exec, s[0:1]
.LBB587_71:
	s_and_saveexec_b64 s[0:1], s[10:11]
	s_cbranch_execz .LBB587_73
; %bb.72:
	v_lshl_add_u64 v[0:1], v[0:1], 1, s[8:9]
	global_store_short v[0:1], v3, off
.LBB587_73:
	s_endpgm
	.section	.rodata,"a",@progbits
	.p2align	6, 0x0
	.amdhsa_kernel _ZL20rocblas_gemvn_kernelILi64ELi4ElPK16rocblas_bfloat16PKfKPS0_EviiT3_lPKT2_lT1_lSA_lSB_lS7_lPT4_lSB_li
		.amdhsa_group_segment_fixed_size 4096
		.amdhsa_private_segment_fixed_size 0
		.amdhsa_kernarg_size 400
		.amdhsa_user_sgpr_count 2
		.amdhsa_user_sgpr_dispatch_ptr 0
		.amdhsa_user_sgpr_queue_ptr 0
		.amdhsa_user_sgpr_kernarg_segment_ptr 1
		.amdhsa_user_sgpr_dispatch_id 0
		.amdhsa_user_sgpr_kernarg_preload_length 0
		.amdhsa_user_sgpr_kernarg_preload_offset 0
		.amdhsa_user_sgpr_private_segment_size 0
		.amdhsa_uses_dynamic_stack 0
		.amdhsa_enable_private_segment 0
		.amdhsa_system_sgpr_workgroup_id_x 1
		.amdhsa_system_sgpr_workgroup_id_y 0
		.amdhsa_system_sgpr_workgroup_id_z 1
		.amdhsa_system_sgpr_workgroup_info 0
		.amdhsa_system_vgpr_workitem_id 1
		.amdhsa_next_free_vgpr 55
		.amdhsa_next_free_sgpr 45
		.amdhsa_accum_offset 56
		.amdhsa_reserve_vcc 1
		.amdhsa_float_round_mode_32 0
		.amdhsa_float_round_mode_16_64 0
		.amdhsa_float_denorm_mode_32 3
		.amdhsa_float_denorm_mode_16_64 3
		.amdhsa_dx10_clamp 1
		.amdhsa_ieee_mode 1
		.amdhsa_fp16_overflow 0
		.amdhsa_tg_split 0
		.amdhsa_exception_fp_ieee_invalid_op 0
		.amdhsa_exception_fp_denorm_src 0
		.amdhsa_exception_fp_ieee_div_zero 0
		.amdhsa_exception_fp_ieee_overflow 0
		.amdhsa_exception_fp_ieee_underflow 0
		.amdhsa_exception_fp_ieee_inexact 0
		.amdhsa_exception_int_div_zero 0
	.end_amdhsa_kernel
	.section	.text._ZL20rocblas_gemvn_kernelILi64ELi4ElPK16rocblas_bfloat16PKfKPS0_EviiT3_lPKT2_lT1_lSA_lSB_lS7_lPT4_lSB_li,"axG",@progbits,_ZL20rocblas_gemvn_kernelILi64ELi4ElPK16rocblas_bfloat16PKfKPS0_EviiT3_lPKT2_lT1_lSA_lSB_lS7_lPT4_lSB_li,comdat
.Lfunc_end587:
	.size	_ZL20rocblas_gemvn_kernelILi64ELi4ElPK16rocblas_bfloat16PKfKPS0_EviiT3_lPKT2_lT1_lSA_lSB_lS7_lPT4_lSB_li, .Lfunc_end587-_ZL20rocblas_gemvn_kernelILi64ELi4ElPK16rocblas_bfloat16PKfKPS0_EviiT3_lPKT2_lT1_lSA_lSB_lS7_lPT4_lSB_li
                                        ; -- End function
	.section	.AMDGPU.csdata,"",@progbits
; Kernel info:
; codeLenInByte = 3084
; NumSgprs: 51
; NumVgprs: 55
; NumAgprs: 0
; TotalNumVgprs: 55
; ScratchSize: 0
; MemoryBound: 0
; FloatMode: 240
; IeeeMode: 1
; LDSByteSize: 4096 bytes/workgroup (compile time only)
; SGPRBlocks: 6
; VGPRBlocks: 6
; NumSGPRsForWavesPerEU: 51
; NumVGPRsForWavesPerEU: 55
; AccumOffset: 56
; Occupancy: 8
; WaveLimiterHint : 1
; COMPUTE_PGM_RSRC2:SCRATCH_EN: 0
; COMPUTE_PGM_RSRC2:USER_SGPR: 2
; COMPUTE_PGM_RSRC2:TRAP_HANDLER: 0
; COMPUTE_PGM_RSRC2:TGID_X_EN: 1
; COMPUTE_PGM_RSRC2:TGID_Y_EN: 0
; COMPUTE_PGM_RSRC2:TGID_Z_EN: 1
; COMPUTE_PGM_RSRC2:TIDIG_COMP_CNT: 1
; COMPUTE_PGM_RSRC3_GFX90A:ACCUM_OFFSET: 13
; COMPUTE_PGM_RSRC3_GFX90A:TG_SPLIT: 0
	.section	.text._ZL20rocblas_gemvn_kernelILi64ELi4EiPK16rocblas_bfloat16fKPS0_EviiT3_lPKT2_lT1_lS8_lS9_lS5_lPT4_lS9_li,"axG",@progbits,_ZL20rocblas_gemvn_kernelILi64ELi4EiPK16rocblas_bfloat16fKPS0_EviiT3_lPKT2_lT1_lS8_lS9_lS5_lPT4_lS9_li,comdat
	.globl	_ZL20rocblas_gemvn_kernelILi64ELi4EiPK16rocblas_bfloat16fKPS0_EviiT3_lPKT2_lT1_lS8_lS9_lS5_lPT4_lS9_li ; -- Begin function _ZL20rocblas_gemvn_kernelILi64ELi4EiPK16rocblas_bfloat16fKPS0_EviiT3_lPKT2_lT1_lS8_lS9_lS5_lPT4_lS9_li
	.p2align	8
	.type	_ZL20rocblas_gemvn_kernelILi64ELi4EiPK16rocblas_bfloat16fKPS0_EviiT3_lPKT2_lT1_lS8_lS9_lS5_lPT4_lS9_li,@function
_ZL20rocblas_gemvn_kernelILi64ELi4EiPK16rocblas_bfloat16fKPS0_EviiT3_lPKT2_lT1_lS8_lS9_lS5_lPT4_lS9_li: ; @_ZL20rocblas_gemvn_kernelILi64ELi4EiPK16rocblas_bfloat16fKPS0_EviiT3_lPKT2_lT1_lS8_lS9_lS5_lPT4_lS9_li
; %bb.0:
	s_load_dwordx2 s[4:5], s[0:1], 0x9c
	s_mov_b32 s6, s3
	s_waitcnt lgkmcnt(0)
	s_and_b32 s3, s5, 0xffff
	s_lshr_b32 s5, s4, 16
	s_and_b32 s4, s4, 0xffff
	s_mul_i32 s4, s5, s4
	s_mul_i32 s4, s4, s3
	s_cmpk_lg_i32 s4, 0x100
	s_cbranch_scc1 .LBB588_75
; %bb.1:
	s_load_dwordx4 s[8:11], s[0:1], 0x0
	s_waitcnt lgkmcnt(0)
	s_load_dword s11, s[0:1], 0x58
	v_cmp_eq_f32_e64 s[4:5], s10, 0
	s_waitcnt lgkmcnt(0)
	v_cmp_eq_f32_e64 s[12:13], s11, 1.0
	s_and_b64 s[12:13], s[4:5], s[12:13]
	s_and_b64 vcc, exec, s[12:13]
	s_cbranch_vccnz .LBB588_75
; %bb.2:
	v_cmp_neq_f32_e64 s[12:13], s10, 0
	s_mov_b32 s7, 0
	s_and_b64 vcc, exec, s[12:13]
	s_cbranch_vccnz .LBB588_4
; %bb.3:
	s_mov_b64 s[16:17], 0
	s_cbranch_execz .LBB588_5
	s_branch .LBB588_6
.LBB588_4:
                                        ; implicit-def: $sgpr16_sgpr17
.LBB588_5:
	s_load_dwordx4 s[16:19], s[0:1], 0x18
	s_lshl_b64 s[14:15], s[6:7], 3
	s_waitcnt lgkmcnt(0)
	s_add_u32 s14, s16, s14
	s_addc_u32 s15, s17, s15
	s_load_dwordx2 s[14:15], s[14:15], 0x0
	s_lshl_b64 s[16:17], s[18:19], 1
	s_waitcnt lgkmcnt(0)
	s_add_u32 s16, s14, s16
	s_addc_u32 s17, s15, s17
.LBB588_6:
	s_mov_b64 s[14:15], 0
	s_andn2_b64 vcc, exec, s[12:13]
	s_mov_b64 s[18:19], 0
	s_cbranch_vccnz .LBB588_8
; %bb.7:
	s_load_dwordx4 s[20:23], s[0:1], 0x38
	s_lshl_b64 s[12:13], s[6:7], 3
	s_waitcnt lgkmcnt(0)
	s_add_u32 s12, s20, s12
	s_addc_u32 s13, s21, s13
	s_load_dwordx2 s[12:13], s[12:13], 0x0
	s_lshl_b64 s[18:19], s[22:23], 1
	s_waitcnt lgkmcnt(0)
	s_add_u32 s18, s12, s18
	s_addc_u32 s19, s13, s19
.LBB588_8:
	s_load_dwordx4 s[20:23], s[0:1], 0x68
	s_load_dword s30, s[0:1], 0x78
	s_lshl_b64 s[6:7], s[6:7], 3
	v_and_b32_e32 v2, 0x3ff, v0
	v_bfe_u32 v18, v0, 10, 10
	s_waitcnt lgkmcnt(0)
	s_add_u32 s6, s20, s6
	s_addc_u32 s7, s21, s7
	s_load_dwordx2 s[6:7], s[6:7], 0x0
	s_lshl_b64 s[12:13], s[22:23], 1
	v_lshl_add_u32 v3, v18, 6, v2
	s_waitcnt lgkmcnt(0)
	s_add_u32 s12, s6, s12
	s_addc_u32 s13, s7, s13
	s_andn2_b64 vcc, exec, s[4:5]
	s_cbranch_vccnz .LBB588_19
; %bb.9:
	s_movk_i32 s3, 0x100
	v_cmp_gt_u32_e32 vcc, s3, v3
	s_mov_b64 s[4:5], 0
                                        ; implicit-def: $vgpr5
                                        ; implicit-def: $vgpr0_vgpr1
	s_and_saveexec_b64 s[6:7], vcc
	s_cbranch_execz .LBB588_20
; %bb.10:
	v_lshl_or_b32 v4, s2, 8, v3
	v_mov_b32_e32 v5, 0
	s_ashr_i32 s15, s8, 31
	s_mov_b32 s14, s8
	v_cmp_gt_i64_e32 vcc, s[14:15], v[4:5]
	s_mov_b64 s[20:21], 0
                                        ; implicit-def: $vgpr0_vgpr1
	s_and_saveexec_b64 s[14:15], vcc
	s_cbranch_execz .LBB588_18
; %bb.11:
	v_mad_u64_u32 v[0:1], s[22:23], s30, v4, 0
	s_ashr_i32 s3, s30, 31
	v_mov_b32_e32 v6, v1
	v_cmp_eq_f32_e64 s[20:21], s11, 0
	v_mad_u64_u32 v[6:7], s[22:23], s3, v4, v[6:7]
	v_mov_b32_e32 v1, v6
	s_and_b64 vcc, exec, s[20:21]
	s_cbranch_vccnz .LBB588_17
; %bb.12:
	v_lshl_add_u64 v[4:5], v[0:1], 1, s[12:13]
	global_load_ushort v4, v[4:5], off
	s_mov_b32 s3, 0x7f800000
	s_waitcnt vmcnt(0)
	v_lshlrev_b32_e32 v4, 16, v4
	v_mul_f32_e32 v4, s11, v4
	v_and_b32_e32 v5, 0x7f800000, v4
	v_cmp_ne_u32_e32 vcc, s3, v5
                                        ; implicit-def: $vgpr5
	s_and_saveexec_b64 s[20:21], vcc
	s_xor_b64 s[20:21], exec, s[20:21]
; %bb.13:
	v_bfe_u32 v5, v4, 16, 1
	s_movk_i32 s3, 0x7fff
	v_add3_u32 v5, v4, v5, s3
                                        ; implicit-def: $vgpr4
; %bb.14:
	s_andn2_saveexec_b64 s[20:21], s[20:21]
; %bb.15:
	v_mov_b32_e32 v5, 0
	v_or_b32_e32 v6, 0x10000, v4
	v_cmp_eq_u32_sdwa vcc, v4, v5 src0_sel:WORD_0 src1_sel:DWORD
	s_nop 1
	v_cndmask_b32_e32 v5, v6, v4, vcc
; %bb.16:
	s_or_b64 exec, exec, s[20:21]
	v_lshrrev_b32_e32 v5, 16, v5
.LBB588_17:
	s_mov_b64 s[20:21], exec
.LBB588_18:
	s_or_b64 exec, exec, s[14:15]
	s_and_b64 s[14:15], s[20:21], exec
	s_or_b64 exec, exec, s[6:7]
	s_and_b64 vcc, exec, s[4:5]
	s_cbranch_vccnz .LBB588_21
	s_branch .LBB588_73
.LBB588_19:
                                        ; implicit-def: $vgpr5
                                        ; implicit-def: $vgpr0_vgpr1
	s_cbranch_execnz .LBB588_21
	s_branch .LBB588_73
.LBB588_20:
	s_or_b64 exec, exec, s[6:7]
	s_and_b64 vcc, exec, s[4:5]
	s_cbranch_vccz .LBB588_73
.LBB588_21:
	s_load_dword s33, s[0:1], 0x28
	s_load_dword s34, s[0:1], 0x48
	s_ashr_i32 s0, s9, 31
	s_lshr_b32 s0, s0, 28
	s_add_i32 s0, s9, s0
	s_lshl_b32 s31, s2, 8
	s_and_b32 s35, s0, -16
	v_lshlrev_b32_e32 v24, 2, v18
	v_add_u32_e32 v23, s31, v2
	v_cmp_gt_i32_e32 vcc, s35, v24
	v_mov_b32_e32 v19, 0
	v_mov_b32_e32 v20, 0
	;; [unrolled: 1-line block ×4, first 2 shown]
	s_and_saveexec_b64 s[20:21], vcc
	s_cbranch_execz .LBB588_33
; %bb.22:
	v_add_u32_e32 v0, 64, v23
	v_cmp_gt_i32_e64 s[0:1], s8, v0
	v_add_u32_e32 v0, 0x80, v23
	v_cmp_gt_i32_e64 s[2:3], s8, v0
	v_add_u32_e32 v0, 0xc0, v23
	v_cmp_gt_i32_e64 s[4:5], s8, v0
	s_waitcnt lgkmcnt(0)
	v_mul_lo_u32 v0, s33, v24
	v_add_u32_e32 v6, 2, v24
	v_add_u32_e32 v7, 3, v24
	v_add3_u32 v25, v0, s33, v2
	v_mad_u64_u32 v[0:1], s[6:7], s33, v6, v[2:3]
	v_mad_u64_u32 v[4:5], s[6:7], s33, v7, v[2:3]
	v_mul_lo_u32 v1, v18, s33
	v_mul_lo_u32 v5, s34, v24
	;; [unrolled: 1-line block ×4, first 2 shown]
	v_cmp_gt_i32_e32 vcc, s8, v23
	s_lshl_b32 s36, s33, 4
	v_lshl_add_u32 v1, v1, 2, v2
	v_add_u32_e32 v5, s34, v5
	s_lshl_b32 s37, s34, 4
	v_mul_lo_u32 v27, s34, v7
	v_lshlrev_b32_e32 v28, 2, v6
	s_mov_b32 s38, 0
	s_mov_b64 s[22:23], 0
	v_mov_b32_e32 v19, 0
	v_mov_b32_e32 v20, 0
	;; [unrolled: 1-line block ×4, first 2 shown]
	s_branch .LBB588_27
.LBB588_23:                             ;   in Loop: Header=BB588_27 Depth=1
	s_or_b64 exec, exec, s[28:29]
	s_waitcnt vmcnt(0) lgkmcnt(0)
	v_lshlrev_b32_e32 v10, 16, v40
	v_fmac_f32_e32 v21, v8, v10
	v_lshlrev_b32_e32 v10, 16, v39
	v_fmac_f32_e32 v21, v9, v10
	v_lshlrev_b32_e32 v10, 16, v38
	v_fmac_f32_e32 v21, v6, v10
	v_lshlrev_b32_e32 v10, 16, v37
	v_fmac_f32_e32 v21, v7, v10
.LBB588_24:                             ;   in Loop: Header=BB588_27 Depth=1
	s_or_b64 exec, exec, s[26:27]
	s_waitcnt vmcnt(0) lgkmcnt(0)
	v_lshlrev_b32_e32 v10, 16, v36
	v_fmac_f32_e32 v20, v8, v10
	v_lshlrev_b32_e32 v10, 16, v35
	v_fmac_f32_e32 v20, v9, v10
	;; [unrolled: 2-line block ×4, first 2 shown]
.LBB588_25:                             ;   in Loop: Header=BB588_27 Depth=1
	s_or_b64 exec, exec, s[24:25]
	v_lshlrev_b32_e32 v10, 16, v32
	v_fmac_f32_e32 v19, v8, v10
	v_lshlrev_b32_e32 v8, 16, v31
	v_fmac_f32_e32 v19, v9, v8
	;; [unrolled: 2-line block ×4, first 2 shown]
.LBB588_26:                             ;   in Loop: Header=BB588_27 Depth=1
	s_or_b64 exec, exec, s[6:7]
	v_add_u32_e32 v24, 16, v24
	s_add_i32 s38, s38, s37
	v_cmp_le_i32_e64 s[6:7], s35, v24
	v_add_u32_e32 v25, s36, v25
	v_add_u32_e32 v0, s36, v0
	;; [unrolled: 1-line block ×3, first 2 shown]
	s_or_b64 s[22:23], s[6:7], s[22:23]
	v_add_u32_e32 v1, s36, v1
	s_andn2_b64 exec, exec, s[22:23]
	s_cbranch_execz .LBB588_32
.LBB588_27:                             ; =>This Inner Loop Header: Depth=1
	s_and_saveexec_b64 s[6:7], vcc
	s_cbranch_execz .LBB588_26
; %bb.28:                               ;   in Loop: Header=BB588_27 Depth=1
	v_add_u32_e32 v6, s38, v28
	v_ashrrev_i32_e32 v7, 31, v6
	v_add_u32_e32 v8, s38, v5
	v_add_u32_e32 v10, s38, v26
	;; [unrolled: 1-line block ×3, first 2 shown]
	v_lshl_add_u64 v[6:7], v[6:7], 1, s[18:19]
	v_ashrrev_i32_e32 v9, 31, v8
	v_ashrrev_i32_e32 v11, 31, v10
	;; [unrolled: 1-line block ×3, first 2 shown]
	v_lshl_add_u64 v[8:9], v[8:9], 1, s[18:19]
	v_lshl_add_u64 v[10:11], v[10:11], 1, s[18:19]
	;; [unrolled: 1-line block ×3, first 2 shown]
	flat_load_ushort v33, v[6:7]
	flat_load_ushort v34, v[8:9]
	flat_load_ushort v35, v[10:11]
	flat_load_ushort v36, v[12:13]
	v_add_u32_e32 v6, s31, v1
	v_ashrrev_i32_e32 v7, 31, v6
	v_lshl_add_u64 v[10:11], v[6:7], 1, s[16:17]
	v_add_u32_e32 v6, s31, v25
	v_ashrrev_i32_e32 v7, 31, v6
	v_lshl_add_u64 v[12:13], v[6:7], 1, s[16:17]
	;; [unrolled: 3-line block ×4, first 2 shown]
	flat_load_ushort v32, v[10:11]
	flat_load_ushort v31, v[12:13]
	;; [unrolled: 1-line block ×4, first 2 shown]
	s_waitcnt vmcnt(0) lgkmcnt(0)
	v_lshlrev_b32_e32 v8, 16, v33
	v_lshlrev_b32_e32 v9, 16, v34
	;; [unrolled: 1-line block ×4, first 2 shown]
	s_and_saveexec_b64 s[24:25], s[0:1]
	s_cbranch_execz .LBB588_25
; %bb.29:                               ;   in Loop: Header=BB588_27 Depth=1
	flat_load_ushort v36, v[10:11] offset:128
	flat_load_ushort v35, v[12:13] offset:128
	flat_load_ushort v34, v[14:15] offset:128
	flat_load_ushort v33, v[16:17] offset:128
	s_and_saveexec_b64 s[26:27], s[2:3]
	s_cbranch_execz .LBB588_24
; %bb.30:                               ;   in Loop: Header=BB588_27 Depth=1
	flat_load_ushort v40, v[10:11] offset:256
	flat_load_ushort v39, v[12:13] offset:256
	flat_load_ushort v38, v[14:15] offset:256
	flat_load_ushort v37, v[16:17] offset:256
	;; [unrolled: 7-line block ×3, first 2 shown]
	s_waitcnt vmcnt(0) lgkmcnt(0)
	v_lshlrev_b32_e32 v11, 16, v41
	v_lshlrev_b32_e32 v10, 16, v42
	v_pk_mul_f32 v[10:11], v[8:9], v[10:11]
	v_lshlrev_b32_e32 v13, 16, v43
	v_lshlrev_b32_e32 v12, 16, v44
	v_add_f32_e32 v10, v22, v10
	v_add_f32_e32 v14, v10, v11
	v_pk_mul_f32 v[10:11], v[6:7], v[12:13]
	s_nop 0
	v_add_f32_e32 v10, v14, v10
	v_add_f32_e32 v22, v10, v11
	s_branch .LBB588_23
.LBB588_32:
	s_or_b64 exec, exec, s[22:23]
.LBB588_33:
	s_or_b64 exec, exec, s[20:21]
	s_sub_i32 s0, s9, s35
	s_cmp_lt_i32 s0, 1
	s_cbranch_scc1 .LBB588_51
; %bb.34:
	v_cmp_gt_i32_e32 vcc, s9, v24
	v_mov_b32_e32 v10, 0
	v_or_b32_e32 v4, 1, v24
	v_mov_b32_e32 v11, 0
	v_mov_b32_e32 v12, 0
	;; [unrolled: 1-line block ×3, first 2 shown]
	s_and_saveexec_b64 s[2:3], vcc
	s_cbranch_execz .LBB588_42
; %bb.35:
	s_waitcnt lgkmcnt(0)
	v_mul_lo_u32 v0, v24, s34
	v_ashrrev_i32_e32 v1, 31, v0
	v_lshl_add_u64 v[0:1], v[0:1], 1, s[18:19]
	flat_load_ushort v0, v[0:1]
	v_cmp_gt_i32_e64 s[0:1], s9, v4
	v_mov_b32_e32 v12, 0
	v_mov_b32_e32 v11, 0
	v_mov_b32_e32 v10, 0
	s_and_saveexec_b64 s[4:5], s[0:1]
	s_cbranch_execz .LBB588_41
; %bb.36:
	v_mul_lo_u32 v6, v4, s34
	v_ashrrev_i32_e32 v7, 31, v6
	v_lshl_add_u64 v[6:7], v[6:7], 1, s[18:19]
	flat_load_ushort v1, v[6:7]
	v_or_b32_e32 v5, 2, v24
	v_cmp_gt_i32_e64 s[0:1], s9, v5
	v_mov_b32_e32 v11, 0
	v_mov_b32_e32 v10, 0
	s_and_saveexec_b64 s[6:7], s[0:1]
	s_cbranch_execz .LBB588_40
; %bb.37:
	v_mul_lo_u32 v6, v5, s34
	v_ashrrev_i32_e32 v7, 31, v6
	v_lshl_add_u64 v[6:7], v[6:7], 1, s[18:19]
	flat_load_ushort v5, v[6:7]
	v_or_b32_e32 v6, 3, v24
	v_cmp_gt_i32_e64 s[0:1], s9, v6
	v_mov_b32_e32 v10, 0
	s_and_saveexec_b64 s[20:21], s[0:1]
	s_cbranch_execz .LBB588_39
; %bb.38:
	v_mul_lo_u32 v6, v6, s34
	v_ashrrev_i32_e32 v7, 31, v6
	v_lshl_add_u64 v[6:7], v[6:7], 1, s[18:19]
	flat_load_ushort v6, v[6:7]
	s_waitcnt vmcnt(0) lgkmcnt(0)
	v_lshlrev_b32_e32 v10, 16, v6
.LBB588_39:
	s_or_b64 exec, exec, s[20:21]
	s_waitcnt vmcnt(0) lgkmcnt(0)
	v_lshlrev_b32_e32 v11, 16, v5
.LBB588_40:
	s_or_b64 exec, exec, s[6:7]
	s_waitcnt vmcnt(0) lgkmcnt(0)
	v_lshlrev_b32_e32 v12, 16, v1
.LBB588_41:
	s_or_b64 exec, exec, s[4:5]
	s_waitcnt vmcnt(0) lgkmcnt(0)
	v_lshlrev_b32_e32 v13, 16, v0
.LBB588_42:
	s_or_b64 exec, exec, s[2:3]
	v_cmp_gt_i32_e64 s[0:1], s8, v23
	s_and_saveexec_b64 s[2:3], s[0:1]
	s_cbranch_execz .LBB588_50
; %bb.43:
	s_waitcnt lgkmcnt(0)
	v_mul_lo_u32 v0, v24, s33
	v_cndmask_b32_e32 v0, 0, v0, vcc
	v_mul_lo_u32 v5, v4, s33
	v_cmp_gt_i32_e32 vcc, s9, v4
	v_or_b32_e32 v6, 2, v24
	v_add_u32_e32 v0, v0, v23
	v_cndmask_b32_e32 v4, 0, v5, vcc
	v_mul_lo_u32 v7, v6, s33
	v_cmp_gt_i32_e32 vcc, s9, v6
	v_or_b32_e32 v8, 3, v24
	v_ashrrev_i32_e32 v1, 31, v0
	v_add_u32_e32 v4, v4, v23
	v_cndmask_b32_e32 v6, 0, v7, vcc
	v_mul_lo_u32 v9, v8, s33
	v_cmp_gt_i32_e32 vcc, s9, v8
	v_lshl_add_u64 v[0:1], v[0:1], 1, s[16:17]
	v_ashrrev_i32_e32 v5, 31, v4
	v_add_u32_e32 v6, v6, v23
	v_cndmask_b32_e32 v8, 0, v9, vcc
	v_lshl_add_u64 v[4:5], v[4:5], 1, s[16:17]
	v_ashrrev_i32_e32 v7, 31, v6
	v_add_u32_e32 v8, v8, v23
	flat_load_ushort v14, v[0:1]
	flat_load_ushort v15, v[4:5]
	v_lshl_add_u64 v[6:7], v[6:7], 1, s[16:17]
	v_ashrrev_i32_e32 v9, 31, v8
	v_lshl_add_u64 v[8:9], v[8:9], 1, s[16:17]
	flat_load_ushort v16, v[6:7]
	flat_load_ushort v17, v[8:9]
	v_add_u32_e32 v24, 64, v23
	v_cmp_gt_i32_e32 vcc, s8, v24
	s_waitcnt vmcnt(0) lgkmcnt(0)
	v_lshlrev_b32_e32 v14, 16, v14
	v_lshlrev_b32_e32 v15, 16, v15
	v_fmac_f32_e32 v19, v13, v14
	v_fmac_f32_e32 v19, v12, v15
	v_lshlrev_b32_e32 v16, 16, v16
	v_lshlrev_b32_e32 v14, 16, v17
	v_fmac_f32_e32 v19, v11, v16
	s_and_saveexec_b64 s[0:1], vcc
	s_cbranch_execz .LBB588_49
; %bb.44:
	flat_load_ushort v15, v[0:1] offset:128
	flat_load_ushort v16, v[4:5] offset:128
	;; [unrolled: 1-line block ×4, first 2 shown]
	v_add_u32_e32 v25, 0x80, v23
	v_cmp_gt_i32_e32 vcc, s8, v25
	s_waitcnt vmcnt(0) lgkmcnt(0)
	v_lshlrev_b32_e32 v26, 16, v15
	v_lshlrev_b32_e32 v16, 16, v16
	v_fmac_f32_e32 v20, v13, v26
	v_lshlrev_b32_e32 v17, 16, v17
	v_fmac_f32_e32 v20, v12, v16
	;; [unrolled: 2-line block ×3, first 2 shown]
	s_and_saveexec_b64 s[4:5], vcc
	s_cbranch_execz .LBB588_48
; %bb.45:
	flat_load_ushort v16, v[0:1] offset:256
	flat_load_ushort v17, v[4:5] offset:256
	;; [unrolled: 1-line block ×4, first 2 shown]
	v_add_u32_e32 v23, 0xc0, v23
	v_cmp_gt_i32_e32 vcc, s8, v23
	s_waitcnt vmcnt(0) lgkmcnt(0)
	v_lshlrev_b32_e32 v26, 16, v16
	v_lshlrev_b32_e32 v17, 16, v17
	v_fmac_f32_e32 v21, v13, v26
	v_lshlrev_b32_e32 v24, 16, v24
	v_fmac_f32_e32 v21, v12, v17
	;; [unrolled: 2-line block ×3, first 2 shown]
	s_and_saveexec_b64 s[6:7], vcc
	s_cbranch_execz .LBB588_47
; %bb.46:
	flat_load_ushort v17, v[0:1] offset:384
	flat_load_ushort v23, v[4:5] offset:384
	;; [unrolled: 1-line block ×4, first 2 shown]
	s_waitcnt vmcnt(0) lgkmcnt(0)
	v_lshlrev_b32_e32 v0, 16, v17
	v_lshlrev_b32_e32 v1, 16, v23
	v_fmac_f32_e32 v22, v13, v0
	v_lshlrev_b32_e32 v4, 16, v24
	v_fmac_f32_e32 v22, v12, v1
	v_fmac_f32_e32 v22, v11, v4
	v_lshlrev_b32_e32 v0, 16, v25
	v_fmac_f32_e32 v22, v10, v0
.LBB588_47:
	s_or_b64 exec, exec, s[6:7]
	v_fmac_f32_e32 v21, v10, v16
.LBB588_48:
	s_or_b64 exec, exec, s[4:5]
	v_fmac_f32_e32 v20, v10, v15
.LBB588_49:
	s_or_b64 exec, exec, s[0:1]
	v_fmac_f32_e32 v19, v10, v14
.LBB588_50:
	s_or_b64 exec, exec, s[2:3]
.LBB588_51:
	v_lshlrev_b32_e32 v0, 8, v18
	s_movk_i32 s0, 0x100
	v_add_lshl_u32 v0, v0, v2, 2
	v_cmp_gt_u32_e32 vcc, s0, v3
	ds_write2st64_b32 v0, v19, v20 offset1:1
	ds_write2st64_b32 v0, v21, v22 offset0:2 offset1:3
	s_waitcnt lgkmcnt(0)
	s_barrier
	s_waitcnt lgkmcnt(0)
                                        ; implicit-def: $vgpr5
                                        ; implicit-def: $vgpr0_vgpr1
	s_and_saveexec_b64 s[0:1], vcc
	s_cbranch_execz .LBB588_72
; %bb.52:
	v_lshlrev_b32_e32 v5, 2, v3
	ds_read2st64_b32 v[0:1], v5 offset1:4
	ds_read2st64_b32 v[6:7], v5 offset0:8 offset1:12
	v_or_b32_e32 v4, s31, v3
	v_cmp_gt_i32_e32 vcc, s8, v4
	s_mov_b64 s[4:5], s[14:15]
	s_waitcnt lgkmcnt(1)
	v_add_f32_e32 v0, v0, v1
	s_waitcnt lgkmcnt(0)
	v_add_f32_e32 v0, v6, v0
	v_add_f32_e32 v2, v7, v0
	ds_write_b32 v5, v2
                                        ; implicit-def: $vgpr5
                                        ; implicit-def: $vgpr0_vgpr1
	s_and_saveexec_b64 s[2:3], vcc
	s_cbranch_execz .LBB588_71
; %bb.53:
	v_cmp_eq_f32_e64 s[4:5], s11, 0
	v_mul_f32_e32 v2, s10, v2
	s_and_b64 vcc, exec, s[4:5]
	s_cbranch_vccz .LBB588_59
; %bb.54:
	s_mov_b32 s4, 0x7f800000
	v_and_b32_e32 v0, 0x7f800000, v2
	v_cmp_ne_u32_e32 vcc, s4, v0
                                        ; implicit-def: $vgpr3
	s_and_saveexec_b64 s[4:5], vcc
	s_xor_b64 s[4:5], exec, s[4:5]
; %bb.55:
	v_bfe_u32 v0, v2, 16, 1
	s_movk_i32 s6, 0x7fff
	v_add3_u32 v3, v2, v0, s6
; %bb.56:
	s_andn2_saveexec_b64 s[4:5], s[4:5]
; %bb.57:
	v_mov_b32_e32 v0, 0
	v_or_b32_e32 v1, 0x10000, v2
	v_cmp_eq_u32_sdwa vcc, v2, v0 src0_sel:WORD_0 src1_sel:DWORD
	s_nop 1
	v_cndmask_b32_e32 v3, v1, v2, vcc
; %bb.58:
	s_or_b64 exec, exec, s[4:5]
	s_mov_b64 s[4:5], 0
	s_branch .LBB588_60
.LBB588_59:
	s_mov_b64 s[4:5], -1
                                        ; implicit-def: $vgpr3
.LBB588_60:
	v_mul_lo_u32 v0, v4, s30
	s_andn2_b64 vcc, exec, s[4:5]
	v_ashrrev_i32_e32 v1, 31, v0
	s_cbranch_vccnz .LBB588_70
; %bb.61:
	v_lshl_add_u64 v[4:5], v[0:1], 1, s[12:13]
	global_load_ushort v3, v[4:5], off
	s_mov_b32 s4, 0x7f800000
	s_waitcnt vmcnt(0)
	v_lshlrev_b32_e32 v3, 16, v3
	v_mul_f32_e32 v3, s11, v3
	v_and_b32_e32 v4, 0x7f800000, v3
	v_cmp_ne_u32_e32 vcc, s4, v4
                                        ; implicit-def: $vgpr4
	s_and_saveexec_b64 s[4:5], vcc
	s_xor_b64 s[4:5], exec, s[4:5]
; %bb.62:
	v_bfe_u32 v4, v3, 16, 1
	s_movk_i32 s6, 0x7fff
	v_add3_u32 v4, v3, v4, s6
                                        ; implicit-def: $vgpr3
; %bb.63:
	s_andn2_saveexec_b64 s[4:5], s[4:5]
; %bb.64:
	v_mov_b32_e32 v4, 0
	v_or_b32_e32 v5, 0x10000, v3
	v_cmp_eq_u32_sdwa vcc, v3, v4 src0_sel:WORD_0 src1_sel:DWORD
	s_nop 1
	v_cndmask_b32_e32 v4, v5, v3, vcc
; %bb.65:
	s_or_b64 exec, exec, s[4:5]
	v_and_b32_e32 v3, 0xffff0000, v4
	v_add_f32_e32 v2, v2, v3
	s_mov_b32 s4, 0x7f800000
	v_and_b32_e32 v3, 0x7f800000, v2
	v_cmp_ne_u32_e32 vcc, s4, v3
                                        ; implicit-def: $vgpr3
	s_and_saveexec_b64 s[4:5], vcc
	s_xor_b64 s[4:5], exec, s[4:5]
; %bb.66:
	v_bfe_u32 v3, v2, 16, 1
	s_movk_i32 s6, 0x7fff
	v_add3_u32 v3, v2, v3, s6
                                        ; implicit-def: $vgpr2
; %bb.67:
	s_andn2_saveexec_b64 s[4:5], s[4:5]
; %bb.68:
	v_mov_b32_e32 v3, 0
	v_or_b32_e32 v4, 0x10000, v2
	v_cmp_eq_u32_sdwa vcc, v2, v3 src0_sel:WORD_0 src1_sel:DWORD
	s_nop 1
	v_cndmask_b32_e32 v3, v4, v2, vcc
; %bb.69:
	s_or_b64 exec, exec, s[4:5]
.LBB588_70:
	v_lshrrev_b32_e32 v5, 16, v3
	s_or_b64 s[4:5], s[14:15], exec
.LBB588_71:
	s_or_b64 exec, exec, s[2:3]
	s_andn2_b64 s[2:3], s[14:15], exec
	s_and_b64 s[4:5], s[4:5], exec
	s_or_b64 s[14:15], s[2:3], s[4:5]
.LBB588_72:
	s_or_b64 exec, exec, s[0:1]
.LBB588_73:
	s_and_saveexec_b64 s[0:1], s[14:15]
	s_cbranch_execz .LBB588_75
; %bb.74:
	v_lshl_add_u64 v[0:1], v[0:1], 1, s[12:13]
	global_store_short v[0:1], v5, off
.LBB588_75:
	s_endpgm
	.section	.rodata,"a",@progbits
	.p2align	6, 0x0
	.amdhsa_kernel _ZL20rocblas_gemvn_kernelILi64ELi4EiPK16rocblas_bfloat16fKPS0_EviiT3_lPKT2_lT1_lS8_lS9_lS5_lPT4_lS9_li
		.amdhsa_group_segment_fixed_size 4096
		.amdhsa_private_segment_fixed_size 0
		.amdhsa_kernarg_size 400
		.amdhsa_user_sgpr_count 2
		.amdhsa_user_sgpr_dispatch_ptr 0
		.amdhsa_user_sgpr_queue_ptr 0
		.amdhsa_user_sgpr_kernarg_segment_ptr 1
		.amdhsa_user_sgpr_dispatch_id 0
		.amdhsa_user_sgpr_kernarg_preload_length 0
		.amdhsa_user_sgpr_kernarg_preload_offset 0
		.amdhsa_user_sgpr_private_segment_size 0
		.amdhsa_uses_dynamic_stack 0
		.amdhsa_enable_private_segment 0
		.amdhsa_system_sgpr_workgroup_id_x 1
		.amdhsa_system_sgpr_workgroup_id_y 0
		.amdhsa_system_sgpr_workgroup_id_z 1
		.amdhsa_system_sgpr_workgroup_info 0
		.amdhsa_system_vgpr_workitem_id 1
		.amdhsa_next_free_vgpr 45
		.amdhsa_next_free_sgpr 39
		.amdhsa_accum_offset 48
		.amdhsa_reserve_vcc 1
		.amdhsa_float_round_mode_32 0
		.amdhsa_float_round_mode_16_64 0
		.amdhsa_float_denorm_mode_32 3
		.amdhsa_float_denorm_mode_16_64 3
		.amdhsa_dx10_clamp 1
		.amdhsa_ieee_mode 1
		.amdhsa_fp16_overflow 0
		.amdhsa_tg_split 0
		.amdhsa_exception_fp_ieee_invalid_op 0
		.amdhsa_exception_fp_denorm_src 0
		.amdhsa_exception_fp_ieee_div_zero 0
		.amdhsa_exception_fp_ieee_overflow 0
		.amdhsa_exception_fp_ieee_underflow 0
		.amdhsa_exception_fp_ieee_inexact 0
		.amdhsa_exception_int_div_zero 0
	.end_amdhsa_kernel
	.section	.text._ZL20rocblas_gemvn_kernelILi64ELi4EiPK16rocblas_bfloat16fKPS0_EviiT3_lPKT2_lT1_lS8_lS9_lS5_lPT4_lS9_li,"axG",@progbits,_ZL20rocblas_gemvn_kernelILi64ELi4EiPK16rocblas_bfloat16fKPS0_EviiT3_lPKT2_lT1_lS8_lS9_lS5_lPT4_lS9_li,comdat
.Lfunc_end588:
	.size	_ZL20rocblas_gemvn_kernelILi64ELi4EiPK16rocblas_bfloat16fKPS0_EviiT3_lPKT2_lT1_lS8_lS9_lS5_lPT4_lS9_li, .Lfunc_end588-_ZL20rocblas_gemvn_kernelILi64ELi4EiPK16rocblas_bfloat16fKPS0_EviiT3_lPKT2_lT1_lS8_lS9_lS5_lPT4_lS9_li
                                        ; -- End function
	.section	.AMDGPU.csdata,"",@progbits
; Kernel info:
; codeLenInByte = 2736
; NumSgprs: 45
; NumVgprs: 45
; NumAgprs: 0
; TotalNumVgprs: 45
; ScratchSize: 0
; MemoryBound: 0
; FloatMode: 240
; IeeeMode: 1
; LDSByteSize: 4096 bytes/workgroup (compile time only)
; SGPRBlocks: 5
; VGPRBlocks: 5
; NumSGPRsForWavesPerEU: 45
; NumVGPRsForWavesPerEU: 45
; AccumOffset: 48
; Occupancy: 8
; WaveLimiterHint : 1
; COMPUTE_PGM_RSRC2:SCRATCH_EN: 0
; COMPUTE_PGM_RSRC2:USER_SGPR: 2
; COMPUTE_PGM_RSRC2:TRAP_HANDLER: 0
; COMPUTE_PGM_RSRC2:TGID_X_EN: 1
; COMPUTE_PGM_RSRC2:TGID_Y_EN: 0
; COMPUTE_PGM_RSRC2:TGID_Z_EN: 1
; COMPUTE_PGM_RSRC2:TIDIG_COMP_CNT: 1
; COMPUTE_PGM_RSRC3_GFX90A:ACCUM_OFFSET: 11
; COMPUTE_PGM_RSRC3_GFX90A:TG_SPLIT: 0
	.section	.text._ZL20rocblas_gemvn_kernelILi64ELi4ElPK16rocblas_bfloat16fKPS0_EviiT3_lPKT2_lT1_lS8_lS9_lS5_lPT4_lS9_li,"axG",@progbits,_ZL20rocblas_gemvn_kernelILi64ELi4ElPK16rocblas_bfloat16fKPS0_EviiT3_lPKT2_lT1_lS8_lS9_lS5_lPT4_lS9_li,comdat
	.globl	_ZL20rocblas_gemvn_kernelILi64ELi4ElPK16rocblas_bfloat16fKPS0_EviiT3_lPKT2_lT1_lS8_lS9_lS5_lPT4_lS9_li ; -- Begin function _ZL20rocblas_gemvn_kernelILi64ELi4ElPK16rocblas_bfloat16fKPS0_EviiT3_lPKT2_lT1_lS8_lS9_lS5_lPT4_lS9_li
	.p2align	8
	.type	_ZL20rocblas_gemvn_kernelILi64ELi4ElPK16rocblas_bfloat16fKPS0_EviiT3_lPKT2_lT1_lS8_lS9_lS5_lPT4_lS9_li,@function
_ZL20rocblas_gemvn_kernelILi64ELi4ElPK16rocblas_bfloat16fKPS0_EviiT3_lPKT2_lT1_lS8_lS9_lS5_lPT4_lS9_li: ; @_ZL20rocblas_gemvn_kernelILi64ELi4ElPK16rocblas_bfloat16fKPS0_EviiT3_lPKT2_lT1_lS8_lS9_lS5_lPT4_lS9_li
; %bb.0:
	s_load_dwordx2 s[4:5], s[0:1], 0x9c
	s_mov_b32 s12, s3
	s_waitcnt lgkmcnt(0)
	s_and_b32 s3, s5, 0xffff
	s_lshr_b32 s5, s4, 16
	s_and_b32 s4, s4, 0xffff
	s_mul_i32 s4, s5, s4
	s_mul_i32 s4, s4, s3
	s_cmpk_lg_i32 s4, 0x100
	s_cbranch_scc1 .LBB589_75
; %bb.1:
	s_load_dwordx4 s[8:11], s[0:1], 0x0
	s_waitcnt lgkmcnt(0)
	s_load_dword s11, s[0:1], 0x58
	v_cmp_eq_f32_e64 s[26:27], s10, 0
	s_waitcnt lgkmcnt(0)
	v_cmp_eq_f32_e64 s[4:5], s11, 1.0
	s_and_b64 s[4:5], s[26:27], s[4:5]
	s_and_b64 vcc, exec, s[4:5]
	s_cbranch_vccnz .LBB589_75
; %bb.2:
	s_load_dwordx4 s[4:7], s[0:1], 0x18
	s_load_dwordx2 s[18:19], s[0:1], 0x28
	v_cmp_neq_f32_e64 s[14:15], s10, 0
	s_mov_b32 s13, 0
	s_and_b64 vcc, exec, s[14:15]
	s_cbranch_vccnz .LBB589_4
; %bb.3:
	s_mov_b64 s[20:21], 0
	s_cbranch_execz .LBB589_5
	s_branch .LBB589_6
.LBB589_4:
                                        ; implicit-def: $sgpr20_sgpr21
.LBB589_5:
	s_lshl_b64 s[16:17], s[12:13], 3
	s_waitcnt lgkmcnt(0)
	s_add_u32 s4, s4, s16
	s_addc_u32 s5, s5, s17
	s_load_dwordx2 s[4:5], s[4:5], 0x0
	s_lshl_b64 s[6:7], s[6:7], 1
	s_waitcnt lgkmcnt(0)
	s_add_u32 s20, s4, s6
	s_addc_u32 s21, s5, s7
.LBB589_6:
	s_waitcnt lgkmcnt(0)
	s_load_dwordx4 s[4:7], s[0:1], 0x38
	s_load_dwordx2 s[22:23], s[0:1], 0x48
	s_mov_b64 s[16:17], 0
	s_andn2_b64 vcc, exec, s[14:15]
	s_mov_b64 s[24:25], 0
	s_cbranch_vccnz .LBB589_8
; %bb.7:
	s_lshl_b64 s[14:15], s[12:13], 3
	s_waitcnt lgkmcnt(0)
	s_add_u32 s4, s4, s14
	s_addc_u32 s5, s5, s15
	s_load_dwordx2 s[4:5], s[4:5], 0x0
	s_lshl_b64 s[6:7], s[6:7], 1
	s_waitcnt lgkmcnt(0)
	s_add_u32 s24, s4, s6
	s_addc_u32 s25, s5, s7
.LBB589_8:
	s_waitcnt lgkmcnt(0)
	s_load_dwordx4 s[4:7], s[0:1], 0x68
	s_load_dwordx2 s[14:15], s[0:1], 0x78
	s_lshl_b64 s[0:1], s[12:13], 3
	v_and_b32_e32 v33, 0x3ff, v0
	v_bfe_u32 v34, v0, 10, 10
	s_waitcnt lgkmcnt(0)
	s_add_u32 s0, s4, s0
	s_addc_u32 s1, s5, s1
	s_load_dwordx2 s[0:1], s[0:1], 0x0
	s_lshl_b64 s[4:5], s[6:7], 1
	v_lshl_add_u32 v32, v34, 6, v33
	s_waitcnt lgkmcnt(0)
	s_add_u32 s12, s0, s4
	s_addc_u32 s13, s1, s5
	s_andn2_b64 vcc, exec, s[26:27]
	s_cbranch_vccnz .LBB589_19
; %bb.9:
	s_movk_i32 s0, 0x100
	v_cmp_gt_u32_e32 vcc, s0, v32
	s_mov_b64 s[0:1], 0
                                        ; implicit-def: $vgpr3
                                        ; implicit-def: $vgpr0_vgpr1
	s_and_saveexec_b64 s[4:5], vcc
	s_cbranch_execz .LBB589_20
; %bb.10:
	v_lshl_or_b32 v2, s2, 8, v32
	v_mov_b32_e32 v3, 0
	s_ashr_i32 s7, s8, 31
	s_mov_b32 s6, s8
	v_cmp_gt_i64_e32 vcc, s[6:7], v[2:3]
                                        ; implicit-def: $vgpr0_vgpr1
	s_and_saveexec_b64 s[6:7], vcc
	s_cbranch_execz .LBB589_18
; %bb.11:
	v_mad_u64_u32 v[0:1], s[26:27], v2, s14, 0
	v_mov_b32_e32 v4, v1
	v_cmp_eq_f32_e64 s[16:17], s11, 0
	v_mad_u64_u32 v[4:5], s[26:27], v2, s15, v[4:5]
	v_mov_b32_e32 v1, v4
	s_and_b64 vcc, exec, s[16:17]
	s_cbranch_vccnz .LBB589_17
; %bb.12:
	v_lshl_add_u64 v[2:3], v[0:1], 1, s[12:13]
	global_load_ushort v2, v[2:3], off
	s_mov_b32 s3, 0x7f800000
	s_waitcnt vmcnt(0)
	v_lshlrev_b32_e32 v2, 16, v2
	v_mul_f32_e32 v2, s11, v2
	v_and_b32_e32 v3, 0x7f800000, v2
	v_cmp_ne_u32_e32 vcc, s3, v3
                                        ; implicit-def: $vgpr3
	s_and_saveexec_b64 s[16:17], vcc
	s_xor_b64 s[16:17], exec, s[16:17]
; %bb.13:
	v_bfe_u32 v3, v2, 16, 1
	s_movk_i32 s3, 0x7fff
	v_add3_u32 v3, v2, v3, s3
                                        ; implicit-def: $vgpr2
; %bb.14:
	s_andn2_saveexec_b64 s[16:17], s[16:17]
; %bb.15:
	v_mov_b32_e32 v3, 0
	v_or_b32_e32 v4, 0x10000, v2
	v_cmp_eq_u32_sdwa vcc, v2, v3 src0_sel:WORD_0 src1_sel:DWORD
	s_nop 1
	v_cndmask_b32_e32 v3, v4, v2, vcc
; %bb.16:
	s_or_b64 exec, exec, s[16:17]
	v_lshrrev_b32_e32 v3, 16, v3
.LBB589_17:
	s_mov_b64 s[16:17], exec
.LBB589_18:
	s_or_b64 exec, exec, s[6:7]
	s_and_b64 s[16:17], s[16:17], exec
	s_or_b64 exec, exec, s[4:5]
	s_and_b64 vcc, exec, s[0:1]
	s_cbranch_vccnz .LBB589_21
	s_branch .LBB589_73
.LBB589_19:
                                        ; implicit-def: $vgpr3
                                        ; implicit-def: $vgpr0_vgpr1
	s_cbranch_execnz .LBB589_21
	s_branch .LBB589_73
.LBB589_20:
	s_or_b64 exec, exec, s[4:5]
	s_and_b64 vcc, exec, s[0:1]
	s_cbranch_vccz .LBB589_73
.LBB589_21:
	s_ashr_i32 s0, s9, 31
	s_lshr_b32 s0, s0, 28
	s_add_i32 s0, s9, s0
	s_lshl_b32 s33, s2, 8
	s_and_b32 s44, s0, -16
	v_lshlrev_b32_e32 v39, 2, v34
	v_add_u32_e32 v0, s33, v33
	v_cmp_gt_i32_e32 vcc, s44, v39
	v_mov_b32_e32 v35, 0
	v_mov_b32_e32 v36, 0
	;; [unrolled: 1-line block ×4, first 2 shown]
	s_and_saveexec_b64 s[26:27], vcc
	s_cbranch_execz .LBB589_33
; %bb.22:
	v_add_u32_e32 v2, 64, v0
	v_cmp_gt_i32_e64 s[0:1], s8, v2
	v_add_u32_e32 v2, 0x80, v0
	v_ashrrev_i32_e32 v1, 31, v0
	v_cmp_gt_i32_e64 s[2:3], s8, v2
	v_add_u32_e32 v2, 0xc0, v0
	v_cmp_gt_i32_e64 s[4:5], s8, v2
	v_lshlrev_b64 v[2:3], 1, v[0:1]
	v_lshlrev_b32_e32 v1, 2, v34
	v_or_b32_e32 v15, 3, v1
	v_mad_u64_u32 v[4:5], s[6:7], s18, v15, 0
	v_mov_b32_e32 v6, v5
	v_mad_u64_u32 v[6:7], s[6:7], s19, v15, v[6:7]
	v_mov_b32_e32 v5, v6
	v_mad_u64_u32 v[6:7], s[6:7], s22, v34, 0
	v_mov_b32_e32 v8, v7
	v_mad_u64_u32 v[8:9], s[6:7], s23, v34, v[8:9]
	v_mov_b32_e32 v7, v8
	v_mad_u64_u32 v[8:9], s[6:7], s18, v34, 0
	v_mov_b32_e32 v10, v9
	v_mad_u64_u32 v[10:11], s[6:7], s19, v34, v[10:11]
	v_mov_b32_e32 v9, v10
	v_mov_b64_e32 v[10:11], s[22:23]
	v_mad_u64_u32 v[10:11], s[6:7], s22, v1, v[10:11]
	v_mov_b32_e32 v12, v11
	v_mad_u64_u32 v[12:13], s[6:7], s23, v1, v[12:13]
	v_mov_b32_e32 v11, v12
	;; [unrolled: 2-line block ×3, first 2 shown]
	v_mad_u64_u32 v[14:15], s[6:7], s23, v15, v[14:15]
	v_or_b32_e32 v21, 2, v1
	v_mov_b32_e32 v13, v14
	v_mad_u64_u32 v[14:15], s[6:7], s18, v21, 0
	v_mov_b32_e32 v16, v15
	v_mad_u64_u32 v[16:17], s[6:7], s19, v21, v[16:17]
	v_mov_b32_e32 v15, v16
	v_mov_b64_e32 v[16:17], s[18:19]
	v_mad_u64_u32 v[16:17], s[6:7], s18, v1, v[16:17]
	v_mov_b32_e32 v18, v17
	v_mad_u64_u32 v[18:19], s[6:7], s19, v1, v[18:19]
	v_mov_b32_e32 v17, v18
	;; [unrolled: 2-line block ×4, first 2 shown]
	v_cmp_gt_i32_e32 vcc, s8, v0
	v_lshl_add_u64 v[4:5], v[4:5], 1, s[20:21]
	s_lshl_b64 s[28:29], s[18:19], 5
	v_lshlrev_b64 v[6:7], 3, v[6:7]
	s_lshl_b64 s[30:31], s[22:23], 5
	v_lshl_add_u64 v[8:9], v[8:9], 3, s[20:21]
	v_lshlrev_b64 v[10:11], 1, v[10:11]
	v_lshlrev_b64 v[12:13], 1, v[12:13]
	v_lshl_add_u64 v[14:15], v[14:15], 1, s[20:21]
	v_lshl_add_u64 v[16:17], v[16:17], 1, s[20:21]
	v_lshlrev_b64 v[18:19], 1, v[18:19]
	s_mov_b64 s[34:35], 0
	v_mov_b32_e32 v35, 0
	s_mov_b64 s[36:37], s[24:25]
	v_mov_b32_e32 v36, 0
	v_mov_b32_e32 v37, 0
	;; [unrolled: 1-line block ×3, first 2 shown]
	s_branch .LBB589_27
.LBB589_23:                             ;   in Loop: Header=BB589_27 Depth=1
	s_or_b64 exec, exec, s[42:43]
	s_waitcnt vmcnt(0) lgkmcnt(0)
	v_lshlrev_b32_e32 v24, 16, v50
	v_fmac_f32_e32 v37, v22, v24
	v_lshlrev_b32_e32 v24, 16, v49
	v_fmac_f32_e32 v37, v23, v24
	;; [unrolled: 2-line block ×4, first 2 shown]
.LBB589_24:                             ;   in Loop: Header=BB589_27 Depth=1
	s_or_b64 exec, exec, s[40:41]
	s_waitcnt vmcnt(0) lgkmcnt(0)
	v_lshlrev_b32_e32 v24, 16, v46
	v_fmac_f32_e32 v36, v22, v24
	v_lshlrev_b32_e32 v24, 16, v45
	v_fmac_f32_e32 v36, v23, v24
	;; [unrolled: 2-line block ×4, first 2 shown]
.LBB589_25:                             ;   in Loop: Header=BB589_27 Depth=1
	s_or_b64 exec, exec, s[38:39]
	v_lshlrev_b32_e32 v24, 16, v42
	v_fmac_f32_e32 v35, v22, v24
	v_lshlrev_b32_e32 v22, 16, v41
	v_fmac_f32_e32 v35, v23, v22
	;; [unrolled: 2-line block ×4, first 2 shown]
.LBB589_26:                             ;   in Loop: Header=BB589_27 Depth=1
	s_or_b64 exec, exec, s[6:7]
	v_add_u32_e32 v39, 16, v39
	s_add_u32 s36, s36, s30
	s_addc_u32 s37, s37, s31
	v_cmp_le_i32_e64 s[6:7], s44, v39
	v_lshl_add_u64 v[4:5], v[4:5], 0, s[28:29]
	v_lshl_add_u64 v[8:9], v[8:9], 0, s[28:29]
	;; [unrolled: 1-line block ×3, first 2 shown]
	s_or_b64 s[34:35], s[6:7], s[34:35]
	v_lshl_add_u64 v[16:17], v[16:17], 0, s[28:29]
	s_andn2_b64 exec, exec, s[34:35]
	s_cbranch_execz .LBB589_32
.LBB589_27:                             ; =>This Inner Loop Header: Depth=1
	s_and_saveexec_b64 s[6:7], vcc
	s_cbranch_execz .LBB589_26
; %bb.28:                               ;   in Loop: Header=BB589_27 Depth=1
	v_lshl_add_u64 v[20:21], s[36:37], 0, v[6:7]
	v_lshl_add_u64 v[24:25], s[36:37], 0, v[18:19]
	;; [unrolled: 1-line block ×4, first 2 shown]
	flat_load_ushort v43, v[20:21]
	flat_load_ushort v44, v[22:23]
	flat_load_ushort v45, v[24:25]
	flat_load_ushort v46, v[26:27]
	v_lshl_add_u64 v[24:25], v[8:9], 0, v[2:3]
	v_lshl_add_u64 v[26:27], v[16:17], 0, v[2:3]
	;; [unrolled: 1-line block ×4, first 2 shown]
	flat_load_ushort v42, v[24:25]
	flat_load_ushort v41, v[26:27]
	;; [unrolled: 1-line block ×4, first 2 shown]
	s_waitcnt vmcnt(0) lgkmcnt(0)
	v_lshlrev_b32_e32 v22, 16, v43
	v_lshlrev_b32_e32 v23, 16, v44
	;; [unrolled: 1-line block ×4, first 2 shown]
	s_and_saveexec_b64 s[38:39], s[0:1]
	s_cbranch_execz .LBB589_25
; %bb.29:                               ;   in Loop: Header=BB589_27 Depth=1
	flat_load_ushort v46, v[24:25] offset:128
	flat_load_ushort v45, v[26:27] offset:128
	flat_load_ushort v44, v[30:31] offset:128
	flat_load_ushort v43, v[28:29] offset:128
	s_and_saveexec_b64 s[40:41], s[2:3]
	s_cbranch_execz .LBB589_24
; %bb.30:                               ;   in Loop: Header=BB589_27 Depth=1
	flat_load_ushort v50, v[24:25] offset:256
	flat_load_ushort v49, v[26:27] offset:256
	flat_load_ushort v48, v[30:31] offset:256
	flat_load_ushort v47, v[28:29] offset:256
	;; [unrolled: 7-line block ×3, first 2 shown]
	s_waitcnt vmcnt(0) lgkmcnt(0)
	v_lshlrev_b32_e32 v25, 16, v51
	v_lshlrev_b32_e32 v24, 16, v52
	v_pk_mul_f32 v[24:25], v[22:23], v[24:25]
	v_lshlrev_b32_e32 v27, 16, v53
	v_lshlrev_b32_e32 v26, 16, v54
	v_add_f32_e32 v24, v38, v24
	v_add_f32_e32 v28, v24, v25
	v_pk_mul_f32 v[24:25], v[20:21], v[26:27]
	s_nop 0
	v_add_f32_e32 v24, v28, v24
	v_add_f32_e32 v38, v24, v25
	s_branch .LBB589_23
.LBB589_32:
	s_or_b64 exec, exec, s[34:35]
.LBB589_33:
	s_or_b64 exec, exec, s[26:27]
	s_sub_i32 s0, s9, s44
	s_cmp_lt_i32 s0, 1
	s_cbranch_scc1 .LBB589_51
; %bb.34:
	v_cmp_gt_i32_e32 vcc, s9, v39
	v_mov_b32_e32 v10, 0
	v_or_b32_e32 v4, 1, v39
	v_mov_b32_e32 v11, 0
	v_mov_b32_e32 v12, 0
	;; [unrolled: 1-line block ×3, first 2 shown]
	s_and_saveexec_b64 s[2:3], vcc
	s_cbranch_execz .LBB589_42
; %bb.35:
	v_mad_u64_u32 v[2:3], s[0:1], v39, s22, 0
	v_mov_b32_e32 v6, v3
	v_mad_u64_u32 v[6:7], s[0:1], v39, s23, v[6:7]
	v_mov_b32_e32 v3, v6
	v_lshl_add_u64 v[2:3], v[2:3], 1, s[24:25]
	flat_load_ushort v1, v[2:3]
	v_cmp_gt_i32_e64 s[0:1], s9, v4
	v_mov_b32_e32 v12, 0
	v_mov_b32_e32 v11, 0
	v_mov_b32_e32 v10, 0
	s_and_saveexec_b64 s[4:5], s[0:1]
	s_cbranch_execz .LBB589_41
; %bb.36:
	v_mad_u64_u32 v[2:3], s[0:1], v4, s22, 0
	v_mov_b32_e32 v6, v3
	v_mad_u64_u32 v[6:7], s[0:1], v4, s23, v[6:7]
	v_mov_b32_e32 v3, v6
	v_lshl_add_u64 v[2:3], v[2:3], 1, s[24:25]
	flat_load_ushort v2, v[2:3]
	v_or_b32_e32 v3, 2, v39
	v_cmp_gt_i32_e64 s[0:1], s9, v3
	v_mov_b32_e32 v11, 0
	v_mov_b32_e32 v10, 0
	s_and_saveexec_b64 s[6:7], s[0:1]
	s_cbranch_execz .LBB589_40
; %bb.37:
	v_mad_u64_u32 v[6:7], s[0:1], v3, s22, 0
	v_mov_b32_e32 v8, v7
	v_mad_u64_u32 v[8:9], s[0:1], v3, s23, v[8:9]
	v_mov_b32_e32 v7, v8
	v_lshl_add_u64 v[6:7], v[6:7], 1, s[24:25]
	flat_load_ushort v3, v[6:7]
	v_or_b32_e32 v5, 3, v39
	v_cmp_gt_i32_e64 s[0:1], s9, v5
	v_mov_b32_e32 v10, 0
	s_and_saveexec_b64 s[26:27], s[0:1]
	s_cbranch_execz .LBB589_39
; %bb.38:
	v_mad_u64_u32 v[6:7], s[0:1], v5, s22, 0
	v_mov_b32_e32 v8, v7
	v_mad_u64_u32 v[8:9], s[0:1], v5, s23, v[8:9]
	v_mov_b32_e32 v7, v8
	v_lshl_add_u64 v[6:7], v[6:7], 1, s[24:25]
	flat_load_ushort v5, v[6:7]
	s_waitcnt vmcnt(0) lgkmcnt(0)
	v_lshlrev_b32_e32 v10, 16, v5
.LBB589_39:
	s_or_b64 exec, exec, s[26:27]
	s_waitcnt vmcnt(0) lgkmcnt(0)
	v_lshlrev_b32_e32 v11, 16, v3
.LBB589_40:
	s_or_b64 exec, exec, s[6:7]
	s_waitcnt vmcnt(0) lgkmcnt(0)
	v_lshlrev_b32_e32 v12, 16, v2
.LBB589_41:
	s_or_b64 exec, exec, s[4:5]
	s_waitcnt vmcnt(0) lgkmcnt(0)
	v_lshlrev_b32_e32 v13, 16, v1
.LBB589_42:
	s_or_b64 exec, exec, s[2:3]
	v_cmp_gt_i32_e64 s[0:1], s8, v0
	s_and_saveexec_b64 s[2:3], s[0:1]
	s_cbranch_execz .LBB589_50
; %bb.43:
	v_mad_u64_u32 v[2:3], s[0:1], v39, s18, 0
	v_mov_b32_e32 v6, v3
	v_mad_u64_u32 v[6:7], s[0:1], v39, s19, v[6:7]
	v_ashrrev_i32_e32 v1, 31, v0
	v_cndmask_b32_e32 v3, 0, v6, vcc
	v_mad_u64_u32 v[6:7], s[0:1], v4, s18, 0
	v_cndmask_b32_e32 v2, 0, v2, vcc
	v_lshlrev_b64 v[8:9], 1, v[0:1]
	v_mov_b32_e32 v14, v7
	v_cmp_gt_i32_e32 vcc, s9, v4
	v_or_b32_e32 v1, 2, v39
	v_mad_u64_u32 v[14:15], s[0:1], v4, s19, v[14:15]
	v_cndmask_b32_e32 v4, 0, v6, vcc
	v_mad_u64_u32 v[6:7], s[0:1], v1, s18, 0
	v_cndmask_b32_e32 v5, 0, v14, vcc
	v_mov_b32_e32 v14, v7
	v_mad_u64_u32 v[14:15], s[0:1], v1, s19, v[14:15]
	v_cmp_gt_i32_e32 vcc, s9, v1
	v_or_b32_e32 v1, 3, v39
	v_lshl_add_u64 v[2:3], v[2:3], 1, s[20:21]
	v_cndmask_b32_e32 v7, 0, v14, vcc
	v_mad_u64_u32 v[14:15], s[0:1], v1, s18, 0
	v_mov_b32_e32 v16, v15
	v_lshl_add_u64 v[2:3], v[2:3], 0, v[8:9]
	v_lshl_add_u64 v[4:5], v[4:5], 1, s[20:21]
	v_cndmask_b32_e32 v6, 0, v6, vcc
	v_mad_u64_u32 v[16:17], s[0:1], v1, s19, v[16:17]
	v_cmp_gt_i32_e32 vcc, s9, v1
	v_lshl_add_u64 v[4:5], v[4:5], 0, v[8:9]
	v_lshl_add_u64 v[6:7], v[6:7], 1, s[20:21]
	v_cndmask_b32_e32 v14, 0, v14, vcc
	v_cndmask_b32_e32 v15, 0, v16, vcc
	flat_load_ushort v1, v[2:3]
	flat_load_ushort v16, v[4:5]
	v_lshl_add_u64 v[6:7], v[6:7], 0, v[8:9]
	v_lshl_add_u64 v[14:15], v[14:15], 1, s[20:21]
	;; [unrolled: 1-line block ×3, first 2 shown]
	flat_load_ushort v14, v[6:7]
	flat_load_ushort v15, v[8:9]
	v_add_u32_e32 v17, 64, v0
	v_cmp_gt_i32_e32 vcc, s8, v17
	s_waitcnt vmcnt(0) lgkmcnt(0)
	v_lshlrev_b32_e32 v1, 16, v1
	v_lshlrev_b32_e32 v16, 16, v16
	v_fmac_f32_e32 v35, v13, v1
	v_fmac_f32_e32 v35, v12, v16
	v_lshlrev_b32_e32 v14, 16, v14
	v_lshlrev_b32_e32 v1, 16, v15
	v_fmac_f32_e32 v35, v11, v14
	s_and_saveexec_b64 s[0:1], vcc
	s_cbranch_execz .LBB589_49
; %bb.44:
	flat_load_ushort v14, v[2:3] offset:128
	flat_load_ushort v15, v[4:5] offset:128
	;; [unrolled: 1-line block ×4, first 2 shown]
	v_add_u32_e32 v18, 0x80, v0
	v_cmp_gt_i32_e32 vcc, s8, v18
	s_waitcnt vmcnt(0) lgkmcnt(0)
	v_lshlrev_b32_e32 v19, 16, v14
	v_lshlrev_b32_e32 v15, 16, v15
	v_fmac_f32_e32 v36, v13, v19
	v_lshlrev_b32_e32 v16, 16, v16
	v_fmac_f32_e32 v36, v12, v15
	v_lshlrev_b32_e32 v14, 16, v17
	v_fmac_f32_e32 v36, v11, v16
	s_and_saveexec_b64 s[4:5], vcc
	s_cbranch_execz .LBB589_48
; %bb.45:
	flat_load_ushort v15, v[2:3] offset:256
	flat_load_ushort v16, v[4:5] offset:256
	flat_load_ushort v17, v[6:7] offset:256
	flat_load_ushort v18, v[8:9] offset:256
	v_add_u32_e32 v19, 0xc0, v0
	v_cmp_gt_i32_e32 vcc, s8, v19
	s_waitcnt vmcnt(0) lgkmcnt(0)
	v_lshlrev_b32_e32 v15, 16, v15
	v_lshlrev_b32_e32 v16, 16, v16
	v_fmac_f32_e32 v37, v13, v15
	v_lshlrev_b32_e32 v17, 16, v17
	v_fmac_f32_e32 v37, v12, v16
	;; [unrolled: 2-line block ×3, first 2 shown]
	s_and_saveexec_b64 s[6:7], vcc
	s_cbranch_execz .LBB589_47
; %bb.46:
	flat_load_ushort v15, v[2:3] offset:384
	flat_load_ushort v16, v[4:5] offset:384
	;; [unrolled: 1-line block ×4, first 2 shown]
	s_waitcnt vmcnt(0) lgkmcnt(0)
	v_lshlrev_b32_e32 v2, 16, v15
	v_lshlrev_b32_e32 v3, 16, v16
	v_fmac_f32_e32 v38, v13, v2
	v_lshlrev_b32_e32 v4, 16, v17
	v_fmac_f32_e32 v38, v12, v3
	v_fmac_f32_e32 v38, v11, v4
	v_lshlrev_b32_e32 v2, 16, v18
	v_fmac_f32_e32 v38, v10, v2
.LBB589_47:
	s_or_b64 exec, exec, s[6:7]
	v_fmac_f32_e32 v37, v10, v0
.LBB589_48:
	s_or_b64 exec, exec, s[4:5]
	v_fmac_f32_e32 v36, v10, v14
.LBB589_49:
	s_or_b64 exec, exec, s[0:1]
	v_fmac_f32_e32 v35, v10, v1
.LBB589_50:
	s_or_b64 exec, exec, s[2:3]
.LBB589_51:
	v_lshlrev_b32_e32 v0, 8, v34
	s_movk_i32 s0, 0x100
	v_add_lshl_u32 v0, v0, v33, 2
	v_cmp_gt_u32_e32 vcc, s0, v32
	ds_write2st64_b32 v0, v35, v36 offset1:1
	ds_write2st64_b32 v0, v37, v38 offset0:2 offset1:3
	s_waitcnt lgkmcnt(0)
	s_barrier
	s_waitcnt lgkmcnt(0)
                                        ; implicit-def: $vgpr3
                                        ; implicit-def: $vgpr0_vgpr1
	s_and_saveexec_b64 s[0:1], vcc
	s_cbranch_execz .LBB589_72
; %bb.52:
	v_lshlrev_b32_e32 v3, 2, v32
	ds_read2st64_b32 v[0:1], v3 offset1:4
	ds_read2st64_b32 v[4:5], v3 offset0:8 offset1:12
	v_or_b32_e32 v2, s33, v32
	v_cmp_gt_i32_e32 vcc, s8, v2
	s_mov_b64 s[4:5], s[16:17]
	s_waitcnt lgkmcnt(1)
	v_add_f32_e32 v0, v0, v1
	s_waitcnt lgkmcnt(0)
	v_add_f32_e32 v0, v4, v0
	v_add_f32_e32 v4, v5, v0
	ds_write_b32 v3, v4
                                        ; implicit-def: $vgpr3
                                        ; implicit-def: $vgpr0_vgpr1
	s_and_saveexec_b64 s[2:3], vcc
	s_cbranch_execz .LBB589_71
; %bb.53:
	v_cmp_eq_f32_e64 s[4:5], s11, 0
	v_mul_f32_e32 v0, s10, v4
	s_and_b64 vcc, exec, s[4:5]
	s_cbranch_vccz .LBB589_59
; %bb.54:
	s_mov_b32 s4, 0x7f800000
	v_and_b32_e32 v1, 0x7f800000, v0
	v_cmp_ne_u32_e32 vcc, s4, v1
                                        ; implicit-def: $vgpr1
	s_and_saveexec_b64 s[4:5], vcc
	s_xor_b64 s[4:5], exec, s[4:5]
; %bb.55:
	v_bfe_u32 v1, v0, 16, 1
	s_movk_i32 s6, 0x7fff
	v_add3_u32 v1, v0, v1, s6
; %bb.56:
	s_andn2_saveexec_b64 s[4:5], s[4:5]
; %bb.57:
	v_mov_b32_e32 v1, 0
	v_or_b32_e32 v3, 0x10000, v0
	v_cmp_eq_u32_sdwa vcc, v0, v1 src0_sel:WORD_0 src1_sel:DWORD
	s_nop 1
	v_cndmask_b32_e32 v1, v3, v0, vcc
; %bb.58:
	s_or_b64 exec, exec, s[4:5]
	s_mov_b64 s[4:5], 0
	s_branch .LBB589_60
.LBB589_59:
	s_mov_b64 s[4:5], -1
                                        ; implicit-def: $vgpr1
.LBB589_60:
	v_ashrrev_i32_e32 v3, 31, v2
	s_andn2_b64 vcc, exec, s[4:5]
	v_mul_lo_u32 v4, v2, s15
	v_mul_lo_u32 v5, v3, s14
	s_cbranch_vccnz .LBB589_70
; %bb.61:
	v_mad_u64_u32 v[6:7], s[4:5], v2, s14, 0
	v_add3_u32 v7, v7, v4, v5
	v_lshl_add_u64 v[6:7], v[6:7], 1, s[12:13]
	global_load_ushort v1, v[6:7], off
	s_mov_b32 s4, 0x7f800000
	s_waitcnt vmcnt(0)
	v_lshlrev_b32_e32 v1, 16, v1
	v_mul_f32_e32 v1, s11, v1
	v_and_b32_e32 v3, 0x7f800000, v1
	v_cmp_ne_u32_e32 vcc, s4, v3
                                        ; implicit-def: $vgpr3
	s_and_saveexec_b64 s[4:5], vcc
	s_xor_b64 s[4:5], exec, s[4:5]
; %bb.62:
	v_bfe_u32 v3, v1, 16, 1
	s_movk_i32 s6, 0x7fff
	v_add3_u32 v3, v1, v3, s6
                                        ; implicit-def: $vgpr1
; %bb.63:
	s_andn2_saveexec_b64 s[4:5], s[4:5]
; %bb.64:
	v_mov_b32_e32 v3, 0
	v_or_b32_e32 v6, 0x10000, v1
	v_cmp_eq_u32_sdwa vcc, v1, v3 src0_sel:WORD_0 src1_sel:DWORD
	s_nop 1
	v_cndmask_b32_e32 v3, v6, v1, vcc
; %bb.65:
	s_or_b64 exec, exec, s[4:5]
	v_and_b32_e32 v1, 0xffff0000, v3
	v_add_f32_e32 v0, v0, v1
	s_mov_b32 s4, 0x7f800000
	v_and_b32_e32 v1, 0x7f800000, v0
	v_cmp_ne_u32_e32 vcc, s4, v1
                                        ; implicit-def: $vgpr1
	s_and_saveexec_b64 s[4:5], vcc
	s_xor_b64 s[4:5], exec, s[4:5]
; %bb.66:
	v_bfe_u32 v1, v0, 16, 1
	s_movk_i32 s6, 0x7fff
	v_add3_u32 v1, v0, v1, s6
                                        ; implicit-def: $vgpr0
; %bb.67:
	s_andn2_saveexec_b64 s[4:5], s[4:5]
; %bb.68:
	v_mov_b32_e32 v1, 0
	v_or_b32_e32 v3, 0x10000, v0
	v_cmp_eq_u32_sdwa vcc, v0, v1 src0_sel:WORD_0 src1_sel:DWORD
	s_nop 1
	v_cndmask_b32_e32 v1, v3, v0, vcc
; %bb.69:
	s_or_b64 exec, exec, s[4:5]
.LBB589_70:
	v_lshrrev_b32_e32 v3, 16, v1
	v_mad_u64_u32 v[0:1], s[4:5], v2, s14, 0
	v_add3_u32 v1, v1, v4, v5
	s_or_b64 s[4:5], s[16:17], exec
.LBB589_71:
	s_or_b64 exec, exec, s[2:3]
	s_andn2_b64 s[2:3], s[16:17], exec
	s_and_b64 s[4:5], s[4:5], exec
	s_or_b64 s[16:17], s[2:3], s[4:5]
.LBB589_72:
	s_or_b64 exec, exec, s[0:1]
.LBB589_73:
	s_and_saveexec_b64 s[0:1], s[16:17]
	s_cbranch_execz .LBB589_75
; %bb.74:
	v_lshl_add_u64 v[0:1], v[0:1], 1, s[12:13]
	global_store_short v[0:1], v3, off
.LBB589_75:
	s_endpgm
	.section	.rodata,"a",@progbits
	.p2align	6, 0x0
	.amdhsa_kernel _ZL20rocblas_gemvn_kernelILi64ELi4ElPK16rocblas_bfloat16fKPS0_EviiT3_lPKT2_lT1_lS8_lS9_lS5_lPT4_lS9_li
		.amdhsa_group_segment_fixed_size 4096
		.amdhsa_private_segment_fixed_size 0
		.amdhsa_kernarg_size 400
		.amdhsa_user_sgpr_count 2
		.amdhsa_user_sgpr_dispatch_ptr 0
		.amdhsa_user_sgpr_queue_ptr 0
		.amdhsa_user_sgpr_kernarg_segment_ptr 1
		.amdhsa_user_sgpr_dispatch_id 0
		.amdhsa_user_sgpr_kernarg_preload_length 0
		.amdhsa_user_sgpr_kernarg_preload_offset 0
		.amdhsa_user_sgpr_private_segment_size 0
		.amdhsa_uses_dynamic_stack 0
		.amdhsa_enable_private_segment 0
		.amdhsa_system_sgpr_workgroup_id_x 1
		.amdhsa_system_sgpr_workgroup_id_y 0
		.amdhsa_system_sgpr_workgroup_id_z 1
		.amdhsa_system_sgpr_workgroup_info 0
		.amdhsa_system_vgpr_workitem_id 1
		.amdhsa_next_free_vgpr 55
		.amdhsa_next_free_sgpr 45
		.amdhsa_accum_offset 56
		.amdhsa_reserve_vcc 1
		.amdhsa_float_round_mode_32 0
		.amdhsa_float_round_mode_16_64 0
		.amdhsa_float_denorm_mode_32 3
		.amdhsa_float_denorm_mode_16_64 3
		.amdhsa_dx10_clamp 1
		.amdhsa_ieee_mode 1
		.amdhsa_fp16_overflow 0
		.amdhsa_tg_split 0
		.amdhsa_exception_fp_ieee_invalid_op 0
		.amdhsa_exception_fp_denorm_src 0
		.amdhsa_exception_fp_ieee_div_zero 0
		.amdhsa_exception_fp_ieee_overflow 0
		.amdhsa_exception_fp_ieee_underflow 0
		.amdhsa_exception_fp_ieee_inexact 0
		.amdhsa_exception_int_div_zero 0
	.end_amdhsa_kernel
	.section	.text._ZL20rocblas_gemvn_kernelILi64ELi4ElPK16rocblas_bfloat16fKPS0_EviiT3_lPKT2_lT1_lS8_lS9_lS5_lPT4_lS9_li,"axG",@progbits,_ZL20rocblas_gemvn_kernelILi64ELi4ElPK16rocblas_bfloat16fKPS0_EviiT3_lPKT2_lT1_lS8_lS9_lS5_lPT4_lS9_li,comdat
.Lfunc_end589:
	.size	_ZL20rocblas_gemvn_kernelILi64ELi4ElPK16rocblas_bfloat16fKPS0_EviiT3_lPKT2_lT1_lS8_lS9_lS5_lPT4_lS9_li, .Lfunc_end589-_ZL20rocblas_gemvn_kernelILi64ELi4ElPK16rocblas_bfloat16fKPS0_EviiT3_lPKT2_lT1_lS8_lS9_lS5_lPT4_lS9_li
                                        ; -- End function
	.section	.AMDGPU.csdata,"",@progbits
; Kernel info:
; codeLenInByte = 3036
; NumSgprs: 51
; NumVgprs: 55
; NumAgprs: 0
; TotalNumVgprs: 55
; ScratchSize: 0
; MemoryBound: 0
; FloatMode: 240
; IeeeMode: 1
; LDSByteSize: 4096 bytes/workgroup (compile time only)
; SGPRBlocks: 6
; VGPRBlocks: 6
; NumSGPRsForWavesPerEU: 51
; NumVGPRsForWavesPerEU: 55
; AccumOffset: 56
; Occupancy: 8
; WaveLimiterHint : 1
; COMPUTE_PGM_RSRC2:SCRATCH_EN: 0
; COMPUTE_PGM_RSRC2:USER_SGPR: 2
; COMPUTE_PGM_RSRC2:TRAP_HANDLER: 0
; COMPUTE_PGM_RSRC2:TGID_X_EN: 1
; COMPUTE_PGM_RSRC2:TGID_Y_EN: 0
; COMPUTE_PGM_RSRC2:TGID_Z_EN: 1
; COMPUTE_PGM_RSRC2:TIDIG_COMP_CNT: 1
; COMPUTE_PGM_RSRC3_GFX90A:ACCUM_OFFSET: 13
; COMPUTE_PGM_RSRC3_GFX90A:TG_SPLIT: 0
	.section	.text._ZL20rocblas_gemvn_kernelILi32ELi16EiPK16rocblas_bfloat16PKfKPS0_EviiT3_lPKT2_lT1_lSA_lSB_lS7_lPT4_lSB_li,"axG",@progbits,_ZL20rocblas_gemvn_kernelILi32ELi16EiPK16rocblas_bfloat16PKfKPS0_EviiT3_lPKT2_lT1_lSA_lSB_lS7_lPT4_lSB_li,comdat
	.globl	_ZL20rocblas_gemvn_kernelILi32ELi16EiPK16rocblas_bfloat16PKfKPS0_EviiT3_lPKT2_lT1_lSA_lSB_lS7_lPT4_lSB_li ; -- Begin function _ZL20rocblas_gemvn_kernelILi32ELi16EiPK16rocblas_bfloat16PKfKPS0_EviiT3_lPKT2_lT1_lSA_lSB_lS7_lPT4_lSB_li
	.p2align	8
	.type	_ZL20rocblas_gemvn_kernelILi32ELi16EiPK16rocblas_bfloat16PKfKPS0_EviiT3_lPKT2_lT1_lSA_lSB_lS7_lPT4_lSB_li,@function
_ZL20rocblas_gemvn_kernelILi32ELi16EiPK16rocblas_bfloat16PKfKPS0_EviiT3_lPKT2_lT1_lSA_lSB_lS7_lPT4_lSB_li: ; @_ZL20rocblas_gemvn_kernelILi32ELi16EiPK16rocblas_bfloat16PKfKPS0_EviiT3_lPKT2_lT1_lSA_lSB_lS7_lPT4_lSB_li
; %bb.0:
	s_load_dwordx2 s[4:5], s[0:1], 0x9c
	s_mov_b32 s22, s3
	s_waitcnt lgkmcnt(0)
	s_and_b32 s3, s5, 0xffff
	s_lshr_b32 s5, s4, 16
	s_and_b32 s4, s4, 0xffff
	s_mul_i32 s4, s5, s4
	s_mul_i32 s4, s4, s3
	s_cmpk_lg_i32 s4, 0x200
	s_cbranch_scc1 .LBB590_73
; %bb.1:
	s_load_dwordx8 s[12:19], s[0:1], 0x8
	s_load_dwordx8 s[4:11], s[0:1], 0x58
	s_waitcnt lgkmcnt(0)
	s_mul_i32 s3, s22, s15
	s_mul_hi_u32 s15, s22, s14
	s_mul_i32 s14, s22, s14
	s_add_i32 s15, s15, s3
	s_lshl_b64 s[14:15], s[14:15], 2
	s_mul_i32 s7, s22, s7
	s_add_u32 s12, s12, s14
	s_mul_hi_u32 s3, s22, s6
	s_addc_u32 s13, s13, s15
	s_add_i32 s7, s3, s7
	s_mul_i32 s6, s22, s6
	s_lshl_b64 s[6:7], s[6:7], 2
	s_add_u32 s4, s4, s6
	s_addc_u32 s5, s5, s7
	s_load_dword s29, s[12:13], 0x0
	s_load_dword s28, s[4:5], 0x0
	s_waitcnt lgkmcnt(0)
	v_cmp_eq_f32_e64 s[4:5], s29, 0
	v_cmp_eq_f32_e64 s[6:7], s28, 1.0
	s_and_b64 s[6:7], s[4:5], s[6:7]
	s_and_b64 vcc, exec, s[6:7]
	s_cbranch_vccnz .LBB590_73
; %bb.2:
	s_mov_b32 s23, 0
	v_cmp_neq_f32_e64 s[6:7], s29, 0
	s_mov_b64 s[20:21], 0
	s_and_b64 vcc, exec, s[4:5]
	s_mov_b64 s[14:15], 0
	s_cbranch_vccnz .LBB590_4
; %bb.3:
	s_lshl_b64 s[12:13], s[22:23], 3
	s_add_u32 s12, s16, s12
	s_addc_u32 s13, s17, s13
	s_load_dwordx2 s[12:13], s[12:13], 0x0
	s_lshl_b64 s[14:15], s[18:19], 1
	s_waitcnt lgkmcnt(0)
	s_add_u32 s14, s12, s14
	s_addc_u32 s15, s13, s15
.LBB590_4:
	s_andn2_b64 vcc, exec, s[6:7]
	s_cbranch_vccnz .LBB590_6
; %bb.5:
	s_load_dwordx4 s[16:19], s[0:1], 0x38
	s_lshl_b64 s[6:7], s[22:23], 3
	s_waitcnt lgkmcnt(0)
	s_add_u32 s6, s16, s6
	s_addc_u32 s7, s17, s7
	s_load_dwordx2 s[6:7], s[6:7], 0x0
	s_lshl_b64 s[12:13], s[18:19], 1
	s_waitcnt lgkmcnt(0)
	s_add_u32 s20, s6, s12
	s_addc_u32 s21, s7, s13
.LBB590_6:
	s_lshl_b64 s[6:7], s[22:23], 3
	s_add_u32 s6, s8, s6
	s_addc_u32 s7, s9, s7
	s_load_dwordx2 s[8:9], s[6:7], 0x0
	s_load_dwordx2 s[12:13], s[0:1], 0x0
	s_load_dword s30, s[0:1], 0x78
	s_lshl_b64 s[6:7], s[10:11], 1
	v_and_b32_e32 v2, 0x3ff, v0
	s_waitcnt lgkmcnt(0)
	s_add_u32 s8, s8, s6
	v_bfe_u32 v18, v0, 10, 10
	s_addc_u32 s9, s9, s7
	s_andn2_b64 vcc, exec, s[4:5]
	v_lshl_add_u32 v3, v18, 5, v2
	s_cbranch_vccnz .LBB590_17
; %bb.7:
	s_movk_i32 s3, 0x80
	v_cmp_gt_u32_e32 vcc, s3, v3
	s_mov_b64 s[4:5], 0
	s_mov_b64 s[10:11], 0
                                        ; implicit-def: $vgpr5
                                        ; implicit-def: $vgpr0_vgpr1
	s_and_saveexec_b64 s[6:7], vcc
	s_cbranch_execz .LBB590_18
; %bb.8:
	v_lshl_or_b32 v4, s2, 7, v3
	v_mov_b32_e32 v5, 0
	s_ashr_i32 s11, s12, 31
	s_mov_b32 s10, s12
	v_cmp_gt_i64_e32 vcc, s[10:11], v[4:5]
	s_mov_b64 s[16:17], 0
                                        ; implicit-def: $vgpr0_vgpr1
	s_and_saveexec_b64 s[10:11], vcc
	s_cbranch_execz .LBB590_16
; %bb.9:
	v_mad_u64_u32 v[0:1], s[18:19], s30, v4, 0
	s_ashr_i32 s3, s30, 31
	v_mov_b32_e32 v6, v1
	v_cmp_eq_f32_e64 s[16:17], s28, 0
	v_mad_u64_u32 v[6:7], s[18:19], s3, v4, v[6:7]
	v_mov_b32_e32 v1, v6
	s_and_b64 vcc, exec, s[16:17]
	s_cbranch_vccnz .LBB590_15
; %bb.10:
	v_lshl_add_u64 v[4:5], v[0:1], 1, s[8:9]
	global_load_ushort v4, v[4:5], off
	s_mov_b32 s3, 0x7f800000
	s_waitcnt vmcnt(0)
	v_lshlrev_b32_e32 v4, 16, v4
	v_mul_f32_e32 v4, s28, v4
	v_and_b32_e32 v5, 0x7f800000, v4
	v_cmp_ne_u32_e32 vcc, s3, v5
                                        ; implicit-def: $vgpr5
	s_and_saveexec_b64 s[16:17], vcc
	s_xor_b64 s[16:17], exec, s[16:17]
; %bb.11:
	v_bfe_u32 v5, v4, 16, 1
	s_movk_i32 s3, 0x7fff
	v_add3_u32 v5, v4, v5, s3
                                        ; implicit-def: $vgpr4
; %bb.12:
	s_andn2_saveexec_b64 s[16:17], s[16:17]
; %bb.13:
	v_mov_b32_e32 v5, 0
	v_or_b32_e32 v6, 0x10000, v4
	v_cmp_eq_u32_sdwa vcc, v4, v5 src0_sel:WORD_0 src1_sel:DWORD
	s_nop 1
	v_cndmask_b32_e32 v5, v6, v4, vcc
; %bb.14:
	s_or_b64 exec, exec, s[16:17]
	v_lshrrev_b32_e32 v5, 16, v5
.LBB590_15:
	s_mov_b64 s[16:17], exec
.LBB590_16:
	s_or_b64 exec, exec, s[10:11]
	s_and_b64 s[10:11], s[16:17], exec
	s_or_b64 exec, exec, s[6:7]
	s_and_b64 vcc, exec, s[4:5]
	s_cbranch_vccnz .LBB590_19
	s_branch .LBB590_71
.LBB590_17:
	s_mov_b64 s[10:11], 0
                                        ; implicit-def: $vgpr5
                                        ; implicit-def: $vgpr0_vgpr1
	s_cbranch_execnz .LBB590_19
	s_branch .LBB590_71
.LBB590_18:
	s_or_b64 exec, exec, s[6:7]
	s_and_b64 vcc, exec, s[4:5]
	s_cbranch_vccz .LBB590_71
.LBB590_19:
	s_load_dword s33, s[0:1], 0x28
	s_load_dword s34, s[0:1], 0x48
	s_ashr_i32 s0, s13, 31
	s_lshr_b32 s0, s0, 26
	s_add_i32 s35, s13, s0
	s_lshl_b32 s31, s2, 7
	s_andn2_b32 s35, s35, 63
	v_lshlrev_b32_e32 v24, 2, v18
	v_add_u32_e32 v23, s31, v2
	v_cmp_gt_i32_e32 vcc, s35, v24
	v_mov_b32_e32 v19, 0
	v_mov_b32_e32 v20, 0
	;; [unrolled: 1-line block ×4, first 2 shown]
	s_and_saveexec_b64 s[16:17], vcc
	s_cbranch_execz .LBB590_31
; %bb.20:
	v_add_u32_e32 v0, 32, v23
	v_cmp_gt_i32_e64 s[0:1], s12, v0
	v_add_u32_e32 v0, 64, v23
	v_cmp_gt_i32_e64 s[2:3], s12, v0
	;; [unrolled: 2-line block ×3, first 2 shown]
	s_waitcnt lgkmcnt(0)
	v_mul_lo_u32 v0, s33, v24
	v_add_u32_e32 v6, 2, v24
	v_add_u32_e32 v7, 3, v24
	v_add3_u32 v25, v0, s33, v2
	v_mad_u64_u32 v[0:1], s[6:7], s33, v6, v[2:3]
	v_mad_u64_u32 v[4:5], s[6:7], s33, v7, v[2:3]
	v_mul_lo_u32 v1, v18, s33
	v_mul_lo_u32 v5, s34, v24
	;; [unrolled: 1-line block ×4, first 2 shown]
	v_cmp_gt_i32_e32 vcc, s12, v23
	s_lshl_b32 s36, s33, 6
	v_lshl_add_u32 v1, v1, 2, v2
	v_add_u32_e32 v5, s34, v5
	s_lshl_b32 s37, s34, 6
	v_mul_lo_u32 v27, s34, v7
	v_lshlrev_b32_e32 v28, 2, v6
	s_mov_b32 s38, 0
	s_mov_b64 s[18:19], 0
	v_mov_b32_e32 v19, 0
	v_mov_b32_e32 v20, 0
	;; [unrolled: 1-line block ×4, first 2 shown]
	s_branch .LBB590_25
.LBB590_21:                             ;   in Loop: Header=BB590_25 Depth=1
	s_or_b64 exec, exec, s[26:27]
	s_waitcnt vmcnt(0) lgkmcnt(0)
	v_lshlrev_b32_e32 v10, 16, v40
	v_fmac_f32_e32 v21, v8, v10
	v_lshlrev_b32_e32 v10, 16, v39
	v_fmac_f32_e32 v21, v9, v10
	;; [unrolled: 2-line block ×4, first 2 shown]
.LBB590_22:                             ;   in Loop: Header=BB590_25 Depth=1
	s_or_b64 exec, exec, s[24:25]
	s_waitcnt vmcnt(0) lgkmcnt(0)
	v_lshlrev_b32_e32 v10, 16, v36
	v_fmac_f32_e32 v20, v8, v10
	v_lshlrev_b32_e32 v10, 16, v35
	v_fmac_f32_e32 v20, v9, v10
	;; [unrolled: 2-line block ×4, first 2 shown]
.LBB590_23:                             ;   in Loop: Header=BB590_25 Depth=1
	s_or_b64 exec, exec, s[22:23]
	v_lshlrev_b32_e32 v10, 16, v32
	v_fmac_f32_e32 v19, v8, v10
	v_lshlrev_b32_e32 v8, 16, v31
	v_fmac_f32_e32 v19, v9, v8
	;; [unrolled: 2-line block ×4, first 2 shown]
.LBB590_24:                             ;   in Loop: Header=BB590_25 Depth=1
	s_or_b64 exec, exec, s[6:7]
	v_add_u32_e32 v24, 64, v24
	s_add_i32 s38, s38, s37
	v_cmp_le_i32_e64 s[6:7], s35, v24
	v_add_u32_e32 v25, s36, v25
	v_add_u32_e32 v0, s36, v0
	;; [unrolled: 1-line block ×3, first 2 shown]
	s_or_b64 s[18:19], s[6:7], s[18:19]
	v_add_u32_e32 v1, s36, v1
	s_andn2_b64 exec, exec, s[18:19]
	s_cbranch_execz .LBB590_30
.LBB590_25:                             ; =>This Inner Loop Header: Depth=1
	s_and_saveexec_b64 s[6:7], vcc
	s_cbranch_execz .LBB590_24
; %bb.26:                               ;   in Loop: Header=BB590_25 Depth=1
	v_add_u32_e32 v6, s38, v28
	v_ashrrev_i32_e32 v7, 31, v6
	v_add_u32_e32 v8, s38, v5
	v_add_u32_e32 v10, s38, v26
	;; [unrolled: 1-line block ×3, first 2 shown]
	v_lshl_add_u64 v[6:7], v[6:7], 1, s[20:21]
	v_ashrrev_i32_e32 v9, 31, v8
	v_ashrrev_i32_e32 v11, 31, v10
	;; [unrolled: 1-line block ×3, first 2 shown]
	v_lshl_add_u64 v[8:9], v[8:9], 1, s[20:21]
	v_lshl_add_u64 v[10:11], v[10:11], 1, s[20:21]
	;; [unrolled: 1-line block ×3, first 2 shown]
	flat_load_ushort v33, v[6:7]
	flat_load_ushort v34, v[8:9]
	;; [unrolled: 1-line block ×4, first 2 shown]
	v_add_u32_e32 v6, s31, v1
	v_ashrrev_i32_e32 v7, 31, v6
	v_lshl_add_u64 v[10:11], v[6:7], 1, s[14:15]
	v_add_u32_e32 v6, s31, v25
	v_ashrrev_i32_e32 v7, 31, v6
	v_lshl_add_u64 v[12:13], v[6:7], 1, s[14:15]
	;; [unrolled: 3-line block ×4, first 2 shown]
	flat_load_ushort v32, v[10:11]
	flat_load_ushort v31, v[12:13]
	;; [unrolled: 1-line block ×4, first 2 shown]
	s_waitcnt vmcnt(0) lgkmcnt(0)
	v_lshlrev_b32_e32 v8, 16, v33
	v_lshlrev_b32_e32 v9, 16, v34
	;; [unrolled: 1-line block ×4, first 2 shown]
	s_and_saveexec_b64 s[22:23], s[0:1]
	s_cbranch_execz .LBB590_23
; %bb.27:                               ;   in Loop: Header=BB590_25 Depth=1
	flat_load_ushort v36, v[10:11] offset:64
	flat_load_ushort v35, v[12:13] offset:64
	flat_load_ushort v34, v[14:15] offset:64
	flat_load_ushort v33, v[16:17] offset:64
	s_and_saveexec_b64 s[24:25], s[2:3]
	s_cbranch_execz .LBB590_22
; %bb.28:                               ;   in Loop: Header=BB590_25 Depth=1
	flat_load_ushort v40, v[10:11] offset:128
	flat_load_ushort v39, v[12:13] offset:128
	flat_load_ushort v38, v[14:15] offset:128
	flat_load_ushort v37, v[16:17] offset:128
	s_and_saveexec_b64 s[26:27], s[4:5]
	s_cbranch_execz .LBB590_21
; %bb.29:                               ;   in Loop: Header=BB590_25 Depth=1
	flat_load_ushort v41, v[12:13] offset:192
	flat_load_ushort v42, v[10:11] offset:192
	flat_load_ushort v43, v[16:17] offset:192
	flat_load_ushort v44, v[14:15] offset:192
	s_waitcnt vmcnt(0) lgkmcnt(0)
	v_lshlrev_b32_e32 v11, 16, v41
	v_lshlrev_b32_e32 v10, 16, v42
	v_pk_mul_f32 v[10:11], v[8:9], v[10:11]
	v_lshlrev_b32_e32 v13, 16, v43
	v_lshlrev_b32_e32 v12, 16, v44
	v_add_f32_e32 v10, v22, v10
	v_add_f32_e32 v14, v10, v11
	v_pk_mul_f32 v[10:11], v[6:7], v[12:13]
	s_nop 0
	v_add_f32_e32 v10, v14, v10
	v_add_f32_e32 v22, v10, v11
	s_branch .LBB590_21
.LBB590_30:
	s_or_b64 exec, exec, s[18:19]
.LBB590_31:
	s_or_b64 exec, exec, s[16:17]
	s_sub_i32 s0, s13, s35
	s_cmp_lt_i32 s0, 1
	s_cbranch_scc1 .LBB590_49
; %bb.32:
	v_cmp_gt_i32_e32 vcc, s13, v24
	v_mov_b32_e32 v10, 0
	v_or_b32_e32 v4, 1, v24
	v_mov_b32_e32 v11, 0
	v_mov_b32_e32 v12, 0
	;; [unrolled: 1-line block ×3, first 2 shown]
	s_and_saveexec_b64 s[2:3], vcc
	s_cbranch_execz .LBB590_40
; %bb.33:
	s_waitcnt lgkmcnt(0)
	v_mul_lo_u32 v0, v24, s34
	v_ashrrev_i32_e32 v1, 31, v0
	v_lshl_add_u64 v[0:1], v[0:1], 1, s[20:21]
	flat_load_ushort v0, v[0:1]
	v_cmp_gt_i32_e64 s[0:1], s13, v4
	v_mov_b32_e32 v12, 0
	v_mov_b32_e32 v11, 0
	;; [unrolled: 1-line block ×3, first 2 shown]
	s_and_saveexec_b64 s[4:5], s[0:1]
	s_cbranch_execz .LBB590_39
; %bb.34:
	v_mul_lo_u32 v6, v4, s34
	v_ashrrev_i32_e32 v7, 31, v6
	v_lshl_add_u64 v[6:7], v[6:7], 1, s[20:21]
	flat_load_ushort v1, v[6:7]
	v_or_b32_e32 v5, 2, v24
	v_cmp_gt_i32_e64 s[0:1], s13, v5
	v_mov_b32_e32 v11, 0
	v_mov_b32_e32 v10, 0
	s_and_saveexec_b64 s[6:7], s[0:1]
	s_cbranch_execz .LBB590_38
; %bb.35:
	v_mul_lo_u32 v6, v5, s34
	v_ashrrev_i32_e32 v7, 31, v6
	v_lshl_add_u64 v[6:7], v[6:7], 1, s[20:21]
	flat_load_ushort v5, v[6:7]
	v_or_b32_e32 v6, 3, v24
	v_cmp_gt_i32_e64 s[0:1], s13, v6
	v_mov_b32_e32 v10, 0
	s_and_saveexec_b64 s[16:17], s[0:1]
	s_cbranch_execz .LBB590_37
; %bb.36:
	v_mul_lo_u32 v6, v6, s34
	v_ashrrev_i32_e32 v7, 31, v6
	v_lshl_add_u64 v[6:7], v[6:7], 1, s[20:21]
	flat_load_ushort v6, v[6:7]
	s_waitcnt vmcnt(0) lgkmcnt(0)
	v_lshlrev_b32_e32 v10, 16, v6
.LBB590_37:
	s_or_b64 exec, exec, s[16:17]
	s_waitcnt vmcnt(0) lgkmcnt(0)
	v_lshlrev_b32_e32 v11, 16, v5
.LBB590_38:
	s_or_b64 exec, exec, s[6:7]
	s_waitcnt vmcnt(0) lgkmcnt(0)
	v_lshlrev_b32_e32 v12, 16, v1
.LBB590_39:
	s_or_b64 exec, exec, s[4:5]
	s_waitcnt vmcnt(0) lgkmcnt(0)
	v_lshlrev_b32_e32 v13, 16, v0
.LBB590_40:
	s_or_b64 exec, exec, s[2:3]
	v_cmp_gt_i32_e64 s[0:1], s12, v23
	s_and_saveexec_b64 s[2:3], s[0:1]
	s_cbranch_execz .LBB590_48
; %bb.41:
	s_waitcnt lgkmcnt(0)
	v_mul_lo_u32 v0, v24, s33
	v_cndmask_b32_e32 v0, 0, v0, vcc
	v_mul_lo_u32 v5, v4, s33
	v_cmp_gt_i32_e32 vcc, s13, v4
	v_or_b32_e32 v6, 2, v24
	v_add_u32_e32 v0, v0, v23
	v_cndmask_b32_e32 v4, 0, v5, vcc
	v_mul_lo_u32 v7, v6, s33
	v_cmp_gt_i32_e32 vcc, s13, v6
	v_or_b32_e32 v8, 3, v24
	v_ashrrev_i32_e32 v1, 31, v0
	v_add_u32_e32 v4, v4, v23
	v_cndmask_b32_e32 v6, 0, v7, vcc
	v_mul_lo_u32 v9, v8, s33
	v_cmp_gt_i32_e32 vcc, s13, v8
	v_lshl_add_u64 v[0:1], v[0:1], 1, s[14:15]
	v_ashrrev_i32_e32 v5, 31, v4
	v_add_u32_e32 v6, v6, v23
	v_cndmask_b32_e32 v8, 0, v9, vcc
	v_lshl_add_u64 v[4:5], v[4:5], 1, s[14:15]
	v_ashrrev_i32_e32 v7, 31, v6
	v_add_u32_e32 v8, v8, v23
	flat_load_ushort v14, v[0:1]
	flat_load_ushort v15, v[4:5]
	v_lshl_add_u64 v[6:7], v[6:7], 1, s[14:15]
	v_ashrrev_i32_e32 v9, 31, v8
	v_lshl_add_u64 v[8:9], v[8:9], 1, s[14:15]
	flat_load_ushort v16, v[6:7]
	flat_load_ushort v17, v[8:9]
	v_add_u32_e32 v24, 32, v23
	v_cmp_gt_i32_e32 vcc, s12, v24
	s_waitcnt vmcnt(0) lgkmcnt(0)
	v_lshlrev_b32_e32 v14, 16, v14
	v_lshlrev_b32_e32 v15, 16, v15
	v_fmac_f32_e32 v19, v13, v14
	v_fmac_f32_e32 v19, v12, v15
	v_lshlrev_b32_e32 v16, 16, v16
	v_lshlrev_b32_e32 v14, 16, v17
	v_fmac_f32_e32 v19, v11, v16
	s_and_saveexec_b64 s[0:1], vcc
	s_cbranch_execz .LBB590_47
; %bb.42:
	flat_load_ushort v15, v[0:1] offset:64
	flat_load_ushort v16, v[4:5] offset:64
	;; [unrolled: 1-line block ×4, first 2 shown]
	v_add_u32_e32 v25, 64, v23
	v_cmp_gt_i32_e32 vcc, s12, v25
	s_waitcnt vmcnt(0) lgkmcnt(0)
	v_lshlrev_b32_e32 v26, 16, v15
	v_lshlrev_b32_e32 v16, 16, v16
	v_fmac_f32_e32 v20, v13, v26
	v_lshlrev_b32_e32 v17, 16, v17
	v_fmac_f32_e32 v20, v12, v16
	;; [unrolled: 2-line block ×3, first 2 shown]
	s_and_saveexec_b64 s[4:5], vcc
	s_cbranch_execz .LBB590_46
; %bb.43:
	flat_load_ushort v16, v[0:1] offset:128
	flat_load_ushort v17, v[4:5] offset:128
	;; [unrolled: 1-line block ×4, first 2 shown]
	v_add_u32_e32 v23, 0x60, v23
	v_cmp_gt_i32_e32 vcc, s12, v23
	s_waitcnt vmcnt(0) lgkmcnt(0)
	v_lshlrev_b32_e32 v26, 16, v16
	v_lshlrev_b32_e32 v17, 16, v17
	v_fmac_f32_e32 v21, v13, v26
	v_lshlrev_b32_e32 v24, 16, v24
	v_fmac_f32_e32 v21, v12, v17
	;; [unrolled: 2-line block ×3, first 2 shown]
	s_and_saveexec_b64 s[6:7], vcc
	s_cbranch_execz .LBB590_45
; %bb.44:
	flat_load_ushort v17, v[0:1] offset:192
	flat_load_ushort v23, v[4:5] offset:192
	;; [unrolled: 1-line block ×4, first 2 shown]
	s_waitcnt vmcnt(0) lgkmcnt(0)
	v_lshlrev_b32_e32 v0, 16, v17
	v_lshlrev_b32_e32 v1, 16, v23
	v_fmac_f32_e32 v22, v13, v0
	v_lshlrev_b32_e32 v4, 16, v24
	v_fmac_f32_e32 v22, v12, v1
	v_fmac_f32_e32 v22, v11, v4
	v_lshlrev_b32_e32 v0, 16, v25
	v_fmac_f32_e32 v22, v10, v0
.LBB590_45:
	s_or_b64 exec, exec, s[6:7]
	v_fmac_f32_e32 v21, v10, v16
.LBB590_46:
	s_or_b64 exec, exec, s[4:5]
	v_fmac_f32_e32 v20, v10, v15
.LBB590_47:
	s_or_b64 exec, exec, s[0:1]
	v_fmac_f32_e32 v19, v10, v14
.LBB590_48:
	s_or_b64 exec, exec, s[2:3]
.LBB590_49:
	v_lshlrev_b32_e32 v0, 7, v18
	s_movk_i32 s0, 0x80
	v_add_lshl_u32 v0, v0, v2, 2
	v_cmp_gt_u32_e32 vcc, s0, v3
	ds_write2_b32 v0, v19, v20 offset1:32
	ds_write2_b32 v0, v21, v22 offset0:64 offset1:96
	s_waitcnt lgkmcnt(0)
	s_barrier
	s_waitcnt lgkmcnt(0)
                                        ; implicit-def: $vgpr5
                                        ; implicit-def: $vgpr0_vgpr1
	s_and_saveexec_b64 s[0:1], vcc
	s_cbranch_execz .LBB590_70
; %bb.50:
	v_lshlrev_b32_e32 v12, 2, v3
	ds_read2st64_b32 v[0:1], v12 offset1:2
	ds_read2st64_b32 v[4:5], v12 offset0:4 offset1:6
	ds_read2st64_b32 v[6:7], v12 offset0:8 offset1:10
	;; [unrolled: 1-line block ×4, first 2 shown]
	s_waitcnt lgkmcnt(4)
	v_add_f32_e32 v0, v0, v1
	s_waitcnt lgkmcnt(3)
	v_add_f32_e32 v0, v4, v0
	v_add_f32_e32 v0, v5, v0
	s_waitcnt lgkmcnt(2)
	v_add_f32_e32 v0, v6, v0
	;; [unrolled: 3-line block ×3, first 2 shown]
	v_add_f32_e32 v2, v9, v0
	ds_read2st64_b32 v[0:1], v12 offset0:20 offset1:22
	ds_read2st64_b32 v[4:5], v12 offset0:24 offset1:26
	s_waitcnt lgkmcnt(2)
	v_add_f32_e32 v2, v10, v2
	v_add_f32_e32 v2, v11, v2
	ds_read2st64_b32 v[6:7], v12 offset0:28 offset1:30
	s_waitcnt lgkmcnt(2)
	v_add_f32_e32 v0, v0, v2
	v_add_f32_e32 v0, v1, v0
	s_waitcnt lgkmcnt(1)
	v_add_f32_e32 v0, v4, v0
	v_add_f32_e32 v0, v5, v0
	s_waitcnt lgkmcnt(0)
	v_add_f32_e32 v0, v6, v0
	v_or_b32_e32 v4, s31, v3
	v_add_f32_e32 v2, v7, v0
	v_cmp_gt_i32_e32 vcc, s12, v4
	s_mov_b64 s[4:5], s[10:11]
	ds_write_b32 v12, v2
                                        ; implicit-def: $vgpr5
                                        ; implicit-def: $vgpr0_vgpr1
	s_and_saveexec_b64 s[2:3], vcc
	s_cbranch_execz .LBB590_69
; %bb.51:
	v_cmp_eq_f32_e64 s[4:5], s28, 0
	v_mul_f32_e32 v2, s29, v2
	s_and_b64 vcc, exec, s[4:5]
	s_cbranch_vccz .LBB590_57
; %bb.52:
	s_mov_b32 s4, 0x7f800000
	v_and_b32_e32 v0, 0x7f800000, v2
	v_cmp_ne_u32_e32 vcc, s4, v0
                                        ; implicit-def: $vgpr3
	s_and_saveexec_b64 s[4:5], vcc
	s_xor_b64 s[4:5], exec, s[4:5]
; %bb.53:
	v_bfe_u32 v0, v2, 16, 1
	s_movk_i32 s6, 0x7fff
	v_add3_u32 v3, v2, v0, s6
; %bb.54:
	s_andn2_saveexec_b64 s[4:5], s[4:5]
; %bb.55:
	v_mov_b32_e32 v0, 0
	v_or_b32_e32 v1, 0x10000, v2
	v_cmp_eq_u32_sdwa vcc, v2, v0 src0_sel:WORD_0 src1_sel:DWORD
	s_nop 1
	v_cndmask_b32_e32 v3, v1, v2, vcc
; %bb.56:
	s_or_b64 exec, exec, s[4:5]
	s_mov_b64 s[4:5], 0
	s_branch .LBB590_58
.LBB590_57:
	s_mov_b64 s[4:5], -1
                                        ; implicit-def: $vgpr3
.LBB590_58:
	v_mul_lo_u32 v0, v4, s30
	s_andn2_b64 vcc, exec, s[4:5]
	v_ashrrev_i32_e32 v1, 31, v0
	s_cbranch_vccnz .LBB590_68
; %bb.59:
	v_lshl_add_u64 v[4:5], v[0:1], 1, s[8:9]
	global_load_ushort v3, v[4:5], off
	s_mov_b32 s4, 0x7f800000
	s_waitcnt vmcnt(0)
	v_lshlrev_b32_e32 v3, 16, v3
	v_mul_f32_e32 v3, s28, v3
	v_and_b32_e32 v4, 0x7f800000, v3
	v_cmp_ne_u32_e32 vcc, s4, v4
                                        ; implicit-def: $vgpr4
	s_and_saveexec_b64 s[4:5], vcc
	s_xor_b64 s[4:5], exec, s[4:5]
; %bb.60:
	v_bfe_u32 v4, v3, 16, 1
	s_movk_i32 s6, 0x7fff
	v_add3_u32 v4, v3, v4, s6
                                        ; implicit-def: $vgpr3
; %bb.61:
	s_andn2_saveexec_b64 s[4:5], s[4:5]
; %bb.62:
	v_mov_b32_e32 v4, 0
	v_or_b32_e32 v5, 0x10000, v3
	v_cmp_eq_u32_sdwa vcc, v3, v4 src0_sel:WORD_0 src1_sel:DWORD
	s_nop 1
	v_cndmask_b32_e32 v4, v5, v3, vcc
; %bb.63:
	s_or_b64 exec, exec, s[4:5]
	v_and_b32_e32 v3, 0xffff0000, v4
	v_add_f32_e32 v2, v2, v3
	s_mov_b32 s4, 0x7f800000
	v_and_b32_e32 v3, 0x7f800000, v2
	v_cmp_ne_u32_e32 vcc, s4, v3
                                        ; implicit-def: $vgpr3
	s_and_saveexec_b64 s[4:5], vcc
	s_xor_b64 s[4:5], exec, s[4:5]
; %bb.64:
	v_bfe_u32 v3, v2, 16, 1
	s_movk_i32 s6, 0x7fff
	v_add3_u32 v3, v2, v3, s6
                                        ; implicit-def: $vgpr2
; %bb.65:
	s_andn2_saveexec_b64 s[4:5], s[4:5]
; %bb.66:
	v_mov_b32_e32 v3, 0
	v_or_b32_e32 v4, 0x10000, v2
	v_cmp_eq_u32_sdwa vcc, v2, v3 src0_sel:WORD_0 src1_sel:DWORD
	s_nop 1
	v_cndmask_b32_e32 v3, v4, v2, vcc
; %bb.67:
	s_or_b64 exec, exec, s[4:5]
.LBB590_68:
	v_lshrrev_b32_e32 v5, 16, v3
	s_or_b64 s[4:5], s[10:11], exec
.LBB590_69:
	s_or_b64 exec, exec, s[2:3]
	s_andn2_b64 s[2:3], s[10:11], exec
	s_and_b64 s[4:5], s[4:5], exec
	s_or_b64 s[10:11], s[2:3], s[4:5]
.LBB590_70:
	s_or_b64 exec, exec, s[0:1]
.LBB590_71:
	s_and_saveexec_b64 s[0:1], s[10:11]
	s_cbranch_execz .LBB590_73
; %bb.72:
	v_lshl_add_u64 v[0:1], v[0:1], 1, s[8:9]
	global_store_short v[0:1], v5, off
.LBB590_73:
	s_endpgm
	.section	.rodata,"a",@progbits
	.p2align	6, 0x0
	.amdhsa_kernel _ZL20rocblas_gemvn_kernelILi32ELi16EiPK16rocblas_bfloat16PKfKPS0_EviiT3_lPKT2_lT1_lSA_lSB_lS7_lPT4_lSB_li
		.amdhsa_group_segment_fixed_size 8192
		.amdhsa_private_segment_fixed_size 0
		.amdhsa_kernarg_size 400
		.amdhsa_user_sgpr_count 2
		.amdhsa_user_sgpr_dispatch_ptr 0
		.amdhsa_user_sgpr_queue_ptr 0
		.amdhsa_user_sgpr_kernarg_segment_ptr 1
		.amdhsa_user_sgpr_dispatch_id 0
		.amdhsa_user_sgpr_kernarg_preload_length 0
		.amdhsa_user_sgpr_kernarg_preload_offset 0
		.amdhsa_user_sgpr_private_segment_size 0
		.amdhsa_uses_dynamic_stack 0
		.amdhsa_enable_private_segment 0
		.amdhsa_system_sgpr_workgroup_id_x 1
		.amdhsa_system_sgpr_workgroup_id_y 0
		.amdhsa_system_sgpr_workgroup_id_z 1
		.amdhsa_system_sgpr_workgroup_info 0
		.amdhsa_system_vgpr_workitem_id 1
		.amdhsa_next_free_vgpr 45
		.amdhsa_next_free_sgpr 39
		.amdhsa_accum_offset 48
		.amdhsa_reserve_vcc 1
		.amdhsa_float_round_mode_32 0
		.amdhsa_float_round_mode_16_64 0
		.amdhsa_float_denorm_mode_32 3
		.amdhsa_float_denorm_mode_16_64 3
		.amdhsa_dx10_clamp 1
		.amdhsa_ieee_mode 1
		.amdhsa_fp16_overflow 0
		.amdhsa_tg_split 0
		.amdhsa_exception_fp_ieee_invalid_op 0
		.amdhsa_exception_fp_denorm_src 0
		.amdhsa_exception_fp_ieee_div_zero 0
		.amdhsa_exception_fp_ieee_overflow 0
		.amdhsa_exception_fp_ieee_underflow 0
		.amdhsa_exception_fp_ieee_inexact 0
		.amdhsa_exception_int_div_zero 0
	.end_amdhsa_kernel
	.section	.text._ZL20rocblas_gemvn_kernelILi32ELi16EiPK16rocblas_bfloat16PKfKPS0_EviiT3_lPKT2_lT1_lSA_lSB_lS7_lPT4_lSB_li,"axG",@progbits,_ZL20rocblas_gemvn_kernelILi32ELi16EiPK16rocblas_bfloat16PKfKPS0_EviiT3_lPKT2_lT1_lSA_lSB_lS7_lPT4_lSB_li,comdat
.Lfunc_end590:
	.size	_ZL20rocblas_gemvn_kernelILi32ELi16EiPK16rocblas_bfloat16PKfKPS0_EviiT3_lPKT2_lT1_lSA_lSB_lS7_lPT4_lSB_li, .Lfunc_end590-_ZL20rocblas_gemvn_kernelILi32ELi16EiPK16rocblas_bfloat16PKfKPS0_EviiT3_lPKT2_lT1_lSA_lSB_lS7_lPT4_lSB_li
                                        ; -- End function
	.section	.AMDGPU.csdata,"",@progbits
; Kernel info:
; codeLenInByte = 2900
; NumSgprs: 45
; NumVgprs: 45
; NumAgprs: 0
; TotalNumVgprs: 45
; ScratchSize: 0
; MemoryBound: 0
; FloatMode: 240
; IeeeMode: 1
; LDSByteSize: 8192 bytes/workgroup (compile time only)
; SGPRBlocks: 5
; VGPRBlocks: 5
; NumSGPRsForWavesPerEU: 45
; NumVGPRsForWavesPerEU: 45
; AccumOffset: 48
; Occupancy: 8
; WaveLimiterHint : 1
; COMPUTE_PGM_RSRC2:SCRATCH_EN: 0
; COMPUTE_PGM_RSRC2:USER_SGPR: 2
; COMPUTE_PGM_RSRC2:TRAP_HANDLER: 0
; COMPUTE_PGM_RSRC2:TGID_X_EN: 1
; COMPUTE_PGM_RSRC2:TGID_Y_EN: 0
; COMPUTE_PGM_RSRC2:TGID_Z_EN: 1
; COMPUTE_PGM_RSRC2:TIDIG_COMP_CNT: 1
; COMPUTE_PGM_RSRC3_GFX90A:ACCUM_OFFSET: 11
; COMPUTE_PGM_RSRC3_GFX90A:TG_SPLIT: 0
	.section	.text._ZL20rocblas_gemvn_kernelILi32ELi16ElPK16rocblas_bfloat16PKfKPS0_EviiT3_lPKT2_lT1_lSA_lSB_lS7_lPT4_lSB_li,"axG",@progbits,_ZL20rocblas_gemvn_kernelILi32ELi16ElPK16rocblas_bfloat16PKfKPS0_EviiT3_lPKT2_lT1_lSA_lSB_lS7_lPT4_lSB_li,comdat
	.globl	_ZL20rocblas_gemvn_kernelILi32ELi16ElPK16rocblas_bfloat16PKfKPS0_EviiT3_lPKT2_lT1_lSA_lSB_lS7_lPT4_lSB_li ; -- Begin function _ZL20rocblas_gemvn_kernelILi32ELi16ElPK16rocblas_bfloat16PKfKPS0_EviiT3_lPKT2_lT1_lSA_lSB_lS7_lPT4_lSB_li
	.p2align	8
	.type	_ZL20rocblas_gemvn_kernelILi32ELi16ElPK16rocblas_bfloat16PKfKPS0_EviiT3_lPKT2_lT1_lSA_lSB_lS7_lPT4_lSB_li,@function
_ZL20rocblas_gemvn_kernelILi32ELi16ElPK16rocblas_bfloat16PKfKPS0_EviiT3_lPKT2_lT1_lSA_lSB_lS7_lPT4_lSB_li: ; @_ZL20rocblas_gemvn_kernelILi32ELi16ElPK16rocblas_bfloat16PKfKPS0_EviiT3_lPKT2_lT1_lSA_lSB_lS7_lPT4_lSB_li
; %bb.0:
	s_load_dwordx2 s[4:5], s[0:1], 0x9c
	s_mov_b32 s26, s3
	s_waitcnt lgkmcnt(0)
	s_and_b32 s3, s5, 0xffff
	s_lshr_b32 s5, s4, 16
	s_and_b32 s4, s4, 0xffff
	s_mul_i32 s4, s5, s4
	s_mul_i32 s4, s4, s3
	s_cmpk_lg_i32 s4, 0x200
	s_cbranch_scc1 .LBB591_73
; %bb.1:
	s_load_dwordx8 s[12:19], s[0:1], 0x8
	s_load_dwordx8 s[4:11], s[0:1], 0x58
	s_waitcnt lgkmcnt(0)
	s_mul_i32 s3, s26, s15
	s_mul_hi_u32 s15, s26, s14
	s_mul_i32 s14, s26, s14
	s_add_i32 s15, s15, s3
	s_lshl_b64 s[14:15], s[14:15], 2
	s_mul_i32 s7, s26, s7
	s_add_u32 s12, s12, s14
	s_mul_hi_u32 s3, s26, s6
	s_addc_u32 s13, s13, s15
	s_add_i32 s7, s3, s7
	s_mul_i32 s6, s26, s6
	s_lshl_b64 s[6:7], s[6:7], 2
	s_add_u32 s4, s4, s6
	s_addc_u32 s5, s5, s7
	s_load_dword s42, s[12:13], 0x0
	s_load_dword s33, s[4:5], 0x0
	s_waitcnt lgkmcnt(0)
	v_cmp_eq_f32_e64 s[28:29], s42, 0
	v_cmp_eq_f32_e64 s[4:5], s33, 1.0
	s_and_b64 s[4:5], s[28:29], s[4:5]
	s_and_b64 vcc, exec, s[4:5]
	s_cbranch_vccnz .LBB591_73
; %bb.2:
	s_load_dwordx2 s[20:21], s[0:1], 0x28
	s_load_dwordx2 s[12:13], s[0:1], 0x78
	s_mov_b32 s27, 0
	v_cmp_neq_f32_e64 s[14:15], s42, 0
	s_mov_b64 s[24:25], 0
	s_and_b64 vcc, exec, s[28:29]
	s_mov_b64 s[22:23], 0
	s_cbranch_vccnz .LBB591_4
; %bb.3:
	s_lshl_b64 s[4:5], s[26:27], 3
	s_add_u32 s4, s16, s4
	s_addc_u32 s5, s17, s5
	s_load_dwordx2 s[4:5], s[4:5], 0x0
	s_lshl_b64 s[6:7], s[18:19], 1
	s_waitcnt lgkmcnt(0)
	s_add_u32 s22, s4, s6
	s_addc_u32 s23, s5, s7
.LBB591_4:
	s_load_dwordx4 s[4:7], s[0:1], 0x38
	s_load_dwordx2 s[16:17], s[0:1], 0x48
	s_andn2_b64 vcc, exec, s[14:15]
	s_cbranch_vccnz .LBB591_6
; %bb.5:
	s_lshl_b64 s[14:15], s[26:27], 3
	s_waitcnt lgkmcnt(0)
	s_add_u32 s4, s4, s14
	s_addc_u32 s5, s5, s15
	s_load_dwordx2 s[4:5], s[4:5], 0x0
	s_lshl_b64 s[6:7], s[6:7], 1
	s_waitcnt lgkmcnt(0)
	s_add_u32 s24, s4, s6
	s_addc_u32 s25, s5, s7
.LBB591_6:
	s_waitcnt lgkmcnt(0)
	s_lshl_b64 s[4:5], s[26:27], 3
	s_add_u32 s4, s8, s4
	s_addc_u32 s5, s9, s5
	s_load_dwordx2 s[6:7], s[4:5], 0x0
	s_load_dwordx2 s[14:15], s[0:1], 0x0
	s_lshl_b64 s[0:1], s[10:11], 1
	v_and_b32_e32 v33, 0x3ff, v0
	v_bfe_u32 v34, v0, 10, 10
	s_waitcnt lgkmcnt(0)
	s_add_u32 s8, s6, s0
	s_addc_u32 s9, s7, s1
	s_andn2_b64 vcc, exec, s[28:29]
	v_lshl_add_u32 v32, v34, 5, v33
	s_cbranch_vccnz .LBB591_17
; %bb.7:
	s_movk_i32 s0, 0x80
	v_cmp_gt_u32_e32 vcc, s0, v32
	s_mov_b64 s[0:1], 0
	s_mov_b64 s[10:11], 0
                                        ; implicit-def: $vgpr3
                                        ; implicit-def: $vgpr0_vgpr1
	s_and_saveexec_b64 s[4:5], vcc
	s_cbranch_execz .LBB591_18
; %bb.8:
	v_lshl_or_b32 v2, s2, 7, v32
	v_mov_b32_e32 v3, 0
	s_ashr_i32 s7, s14, 31
	s_mov_b32 s6, s14
	v_cmp_gt_i64_e32 vcc, s[6:7], v[2:3]
                                        ; implicit-def: $vgpr0_vgpr1
	s_and_saveexec_b64 s[6:7], vcc
	s_cbranch_execz .LBB591_16
; %bb.9:
	v_mad_u64_u32 v[0:1], s[18:19], v2, s12, 0
	v_mov_b32_e32 v4, v1
	v_cmp_eq_f32_e64 s[10:11], s33, 0
	v_mad_u64_u32 v[4:5], s[18:19], v2, s13, v[4:5]
	v_mov_b32_e32 v1, v4
	s_and_b64 vcc, exec, s[10:11]
	s_cbranch_vccnz .LBB591_15
; %bb.10:
	v_lshl_add_u64 v[2:3], v[0:1], 1, s[8:9]
	global_load_ushort v2, v[2:3], off
	s_mov_b32 s3, 0x7f800000
	s_waitcnt vmcnt(0)
	v_lshlrev_b32_e32 v2, 16, v2
	v_mul_f32_e32 v2, s33, v2
	v_and_b32_e32 v3, 0x7f800000, v2
	v_cmp_ne_u32_e32 vcc, s3, v3
                                        ; implicit-def: $vgpr3
	s_and_saveexec_b64 s[10:11], vcc
	s_xor_b64 s[10:11], exec, s[10:11]
; %bb.11:
	v_bfe_u32 v3, v2, 16, 1
	s_movk_i32 s3, 0x7fff
	v_add3_u32 v3, v2, v3, s3
                                        ; implicit-def: $vgpr2
; %bb.12:
	s_andn2_saveexec_b64 s[10:11], s[10:11]
; %bb.13:
	v_mov_b32_e32 v3, 0
	v_or_b32_e32 v4, 0x10000, v2
	v_cmp_eq_u32_sdwa vcc, v2, v3 src0_sel:WORD_0 src1_sel:DWORD
	s_nop 1
	v_cndmask_b32_e32 v3, v4, v2, vcc
; %bb.14:
	s_or_b64 exec, exec, s[10:11]
	v_lshrrev_b32_e32 v3, 16, v3
.LBB591_15:
	s_mov_b64 s[10:11], exec
.LBB591_16:
	s_or_b64 exec, exec, s[6:7]
	s_and_b64 s[10:11], s[10:11], exec
	s_or_b64 exec, exec, s[4:5]
	s_and_b64 vcc, exec, s[0:1]
	s_cbranch_vccnz .LBB591_19
	s_branch .LBB591_71
.LBB591_17:
	s_mov_b64 s[10:11], 0
                                        ; implicit-def: $vgpr3
                                        ; implicit-def: $vgpr0_vgpr1
	s_cbranch_execnz .LBB591_19
	s_branch .LBB591_71
.LBB591_18:
	s_or_b64 exec, exec, s[4:5]
	s_and_b64 vcc, exec, s[0:1]
	s_cbranch_vccz .LBB591_71
.LBB591_19:
	s_ashr_i32 s0, s15, 31
	s_lshr_b32 s0, s0, 26
	s_add_i32 s44, s15, s0
	s_lshl_b32 s43, s2, 7
	s_andn2_b32 s44, s44, 63
	v_lshlrev_b32_e32 v39, 2, v34
	v_add_u32_e32 v0, s43, v33
	v_cmp_gt_i32_e32 vcc, s44, v39
	v_mov_b32_e32 v35, 0
	v_mov_b32_e32 v36, 0
	;; [unrolled: 1-line block ×4, first 2 shown]
	s_and_saveexec_b64 s[18:19], vcc
	s_cbranch_execz .LBB591_31
; %bb.20:
	v_add_u32_e32 v2, 32, v0
	v_cmp_gt_i32_e64 s[0:1], s14, v2
	v_add_u32_e32 v2, 64, v0
	v_ashrrev_i32_e32 v1, 31, v0
	v_cmp_gt_i32_e64 s[2:3], s14, v2
	v_add_u32_e32 v2, 0x60, v0
	v_cmp_gt_i32_e64 s[4:5], s14, v2
	v_lshlrev_b64 v[2:3], 1, v[0:1]
	v_lshlrev_b32_e32 v1, 2, v34
	v_or_b32_e32 v15, 3, v1
	v_mad_u64_u32 v[4:5], s[6:7], s20, v15, 0
	v_mov_b32_e32 v6, v5
	v_mad_u64_u32 v[6:7], s[6:7], s21, v15, v[6:7]
	v_mov_b32_e32 v5, v6
	;; [unrolled: 2-line block ×6, first 2 shown]
	v_mov_b64_e32 v[10:11], s[16:17]
	v_mad_u64_u32 v[10:11], s[6:7], s16, v1, v[10:11]
	v_mov_b32_e32 v12, v11
	v_mad_u64_u32 v[12:13], s[6:7], s17, v1, v[12:13]
	v_mov_b32_e32 v11, v12
	;; [unrolled: 2-line block ×3, first 2 shown]
	v_mad_u64_u32 v[14:15], s[6:7], s17, v15, v[14:15]
	v_or_b32_e32 v21, 2, v1
	v_mov_b32_e32 v13, v14
	v_mad_u64_u32 v[14:15], s[6:7], s20, v21, 0
	v_mov_b32_e32 v16, v15
	v_mad_u64_u32 v[16:17], s[6:7], s21, v21, v[16:17]
	v_mov_b32_e32 v15, v16
	v_mov_b64_e32 v[16:17], s[20:21]
	v_mad_u64_u32 v[16:17], s[6:7], s20, v1, v[16:17]
	v_mov_b32_e32 v18, v17
	v_mad_u64_u32 v[18:19], s[6:7], s21, v1, v[18:19]
	v_mov_b32_e32 v17, v18
	;; [unrolled: 2-line block ×4, first 2 shown]
	v_cmp_gt_i32_e32 vcc, s14, v0
	v_lshl_add_u64 v[4:5], v[4:5], 1, s[22:23]
	s_lshl_b64 s[26:27], s[20:21], 7
	v_lshlrev_b64 v[6:7], 3, v[6:7]
	s_lshl_b64 s[28:29], s[16:17], 7
	v_lshl_add_u64 v[8:9], v[8:9], 3, s[22:23]
	v_lshlrev_b64 v[10:11], 1, v[10:11]
	v_lshlrev_b64 v[12:13], 1, v[12:13]
	v_lshl_add_u64 v[14:15], v[14:15], 1, s[22:23]
	v_lshl_add_u64 v[16:17], v[16:17], 1, s[22:23]
	v_lshlrev_b64 v[18:19], 1, v[18:19]
	s_mov_b64 s[30:31], 0
	v_mov_b32_e32 v35, 0
	s_mov_b64 s[34:35], s[24:25]
	v_mov_b32_e32 v36, 0
	v_mov_b32_e32 v37, 0
	;; [unrolled: 1-line block ×3, first 2 shown]
	s_branch .LBB591_25
.LBB591_21:                             ;   in Loop: Header=BB591_25 Depth=1
	s_or_b64 exec, exec, s[40:41]
	s_waitcnt vmcnt(0) lgkmcnt(0)
	v_lshlrev_b32_e32 v24, 16, v50
	v_fmac_f32_e32 v37, v22, v24
	v_lshlrev_b32_e32 v24, 16, v49
	v_fmac_f32_e32 v37, v23, v24
	;; [unrolled: 2-line block ×4, first 2 shown]
.LBB591_22:                             ;   in Loop: Header=BB591_25 Depth=1
	s_or_b64 exec, exec, s[38:39]
	s_waitcnt vmcnt(0) lgkmcnt(0)
	v_lshlrev_b32_e32 v24, 16, v46
	v_fmac_f32_e32 v36, v22, v24
	v_lshlrev_b32_e32 v24, 16, v45
	v_fmac_f32_e32 v36, v23, v24
	;; [unrolled: 2-line block ×4, first 2 shown]
.LBB591_23:                             ;   in Loop: Header=BB591_25 Depth=1
	s_or_b64 exec, exec, s[36:37]
	v_lshlrev_b32_e32 v24, 16, v42
	v_fmac_f32_e32 v35, v22, v24
	v_lshlrev_b32_e32 v22, 16, v41
	v_fmac_f32_e32 v35, v23, v22
	;; [unrolled: 2-line block ×4, first 2 shown]
.LBB591_24:                             ;   in Loop: Header=BB591_25 Depth=1
	s_or_b64 exec, exec, s[6:7]
	v_add_u32_e32 v39, 64, v39
	s_add_u32 s34, s34, s28
	s_addc_u32 s35, s35, s29
	v_cmp_le_i32_e64 s[6:7], s44, v39
	v_lshl_add_u64 v[4:5], v[4:5], 0, s[26:27]
	v_lshl_add_u64 v[8:9], v[8:9], 0, s[26:27]
	;; [unrolled: 1-line block ×3, first 2 shown]
	s_or_b64 s[30:31], s[6:7], s[30:31]
	v_lshl_add_u64 v[16:17], v[16:17], 0, s[26:27]
	s_andn2_b64 exec, exec, s[30:31]
	s_cbranch_execz .LBB591_30
.LBB591_25:                             ; =>This Inner Loop Header: Depth=1
	s_and_saveexec_b64 s[6:7], vcc
	s_cbranch_execz .LBB591_24
; %bb.26:                               ;   in Loop: Header=BB591_25 Depth=1
	v_lshl_add_u64 v[20:21], s[34:35], 0, v[6:7]
	v_lshl_add_u64 v[24:25], s[34:35], 0, v[18:19]
	;; [unrolled: 1-line block ×4, first 2 shown]
	flat_load_ushort v43, v[20:21]
	flat_load_ushort v44, v[22:23]
	;; [unrolled: 1-line block ×4, first 2 shown]
	v_lshl_add_u64 v[24:25], v[8:9], 0, v[2:3]
	v_lshl_add_u64 v[28:29], v[16:17], 0, v[2:3]
	;; [unrolled: 1-line block ×4, first 2 shown]
	flat_load_ushort v42, v[24:25]
	flat_load_ushort v41, v[28:29]
	;; [unrolled: 1-line block ×4, first 2 shown]
	s_waitcnt vmcnt(0) lgkmcnt(0)
	v_lshlrev_b32_e32 v22, 16, v43
	v_lshlrev_b32_e32 v23, 16, v44
	;; [unrolled: 1-line block ×4, first 2 shown]
	s_and_saveexec_b64 s[36:37], s[0:1]
	s_cbranch_execz .LBB591_23
; %bb.27:                               ;   in Loop: Header=BB591_25 Depth=1
	flat_load_ushort v46, v[24:25] offset:64
	flat_load_ushort v45, v[28:29] offset:64
	flat_load_ushort v44, v[26:27] offset:64
	flat_load_ushort v43, v[30:31] offset:64
	s_and_saveexec_b64 s[38:39], s[2:3]
	s_cbranch_execz .LBB591_22
; %bb.28:                               ;   in Loop: Header=BB591_25 Depth=1
	flat_load_ushort v50, v[24:25] offset:128
	flat_load_ushort v49, v[28:29] offset:128
	flat_load_ushort v48, v[26:27] offset:128
	flat_load_ushort v47, v[30:31] offset:128
	;; [unrolled: 7-line block ×3, first 2 shown]
	s_waitcnt vmcnt(0) lgkmcnt(0)
	v_lshlrev_b32_e32 v25, 16, v51
	v_lshlrev_b32_e32 v24, 16, v52
	v_pk_mul_f32 v[24:25], v[22:23], v[24:25]
	v_lshlrev_b32_e32 v27, 16, v53
	v_lshlrev_b32_e32 v26, 16, v54
	v_add_f32_e32 v24, v38, v24
	v_add_f32_e32 v28, v24, v25
	v_pk_mul_f32 v[24:25], v[20:21], v[26:27]
	s_nop 0
	v_add_f32_e32 v24, v28, v24
	v_add_f32_e32 v38, v24, v25
	s_branch .LBB591_21
.LBB591_30:
	s_or_b64 exec, exec, s[30:31]
.LBB591_31:
	s_or_b64 exec, exec, s[18:19]
	s_sub_i32 s0, s15, s44
	s_cmp_lt_i32 s0, 1
	s_cbranch_scc1 .LBB591_49
; %bb.32:
	v_cmp_gt_i32_e32 vcc, s15, v39
	v_mov_b32_e32 v10, 0
	v_or_b32_e32 v4, 1, v39
	v_mov_b32_e32 v11, 0
	v_mov_b32_e32 v12, 0
	;; [unrolled: 1-line block ×3, first 2 shown]
	s_and_saveexec_b64 s[2:3], vcc
	s_cbranch_execz .LBB591_40
; %bb.33:
	v_mad_u64_u32 v[2:3], s[0:1], v39, s16, 0
	v_mov_b32_e32 v6, v3
	v_mad_u64_u32 v[6:7], s[0:1], v39, s17, v[6:7]
	v_mov_b32_e32 v3, v6
	v_lshl_add_u64 v[2:3], v[2:3], 1, s[24:25]
	flat_load_ushort v1, v[2:3]
	v_cmp_gt_i32_e64 s[0:1], s15, v4
	v_mov_b32_e32 v12, 0
	v_mov_b32_e32 v11, 0
	;; [unrolled: 1-line block ×3, first 2 shown]
	s_and_saveexec_b64 s[4:5], s[0:1]
	s_cbranch_execz .LBB591_39
; %bb.34:
	v_mad_u64_u32 v[2:3], s[0:1], v4, s16, 0
	v_mov_b32_e32 v6, v3
	v_mad_u64_u32 v[6:7], s[0:1], v4, s17, v[6:7]
	v_mov_b32_e32 v3, v6
	v_lshl_add_u64 v[2:3], v[2:3], 1, s[24:25]
	flat_load_ushort v2, v[2:3]
	v_or_b32_e32 v3, 2, v39
	v_cmp_gt_i32_e64 s[0:1], s15, v3
	v_mov_b32_e32 v11, 0
	v_mov_b32_e32 v10, 0
	s_and_saveexec_b64 s[6:7], s[0:1]
	s_cbranch_execz .LBB591_38
; %bb.35:
	v_mad_u64_u32 v[6:7], s[0:1], v3, s16, 0
	v_mov_b32_e32 v8, v7
	v_mad_u64_u32 v[8:9], s[0:1], v3, s17, v[8:9]
	v_mov_b32_e32 v7, v8
	v_lshl_add_u64 v[6:7], v[6:7], 1, s[24:25]
	flat_load_ushort v3, v[6:7]
	v_or_b32_e32 v5, 3, v39
	v_cmp_gt_i32_e64 s[0:1], s15, v5
	v_mov_b32_e32 v10, 0
	s_and_saveexec_b64 s[18:19], s[0:1]
	s_cbranch_execz .LBB591_37
; %bb.36:
	v_mad_u64_u32 v[6:7], s[0:1], v5, s16, 0
	v_mov_b32_e32 v8, v7
	v_mad_u64_u32 v[8:9], s[0:1], v5, s17, v[8:9]
	v_mov_b32_e32 v7, v8
	v_lshl_add_u64 v[6:7], v[6:7], 1, s[24:25]
	flat_load_ushort v5, v[6:7]
	s_waitcnt vmcnt(0) lgkmcnt(0)
	v_lshlrev_b32_e32 v10, 16, v5
.LBB591_37:
	s_or_b64 exec, exec, s[18:19]
	s_waitcnt vmcnt(0) lgkmcnt(0)
	v_lshlrev_b32_e32 v11, 16, v3
.LBB591_38:
	s_or_b64 exec, exec, s[6:7]
	s_waitcnt vmcnt(0) lgkmcnt(0)
	v_lshlrev_b32_e32 v12, 16, v2
.LBB591_39:
	s_or_b64 exec, exec, s[4:5]
	s_waitcnt vmcnt(0) lgkmcnt(0)
	v_lshlrev_b32_e32 v13, 16, v1
.LBB591_40:
	s_or_b64 exec, exec, s[2:3]
	v_cmp_gt_i32_e64 s[0:1], s14, v0
	s_and_saveexec_b64 s[2:3], s[0:1]
	s_cbranch_execz .LBB591_48
; %bb.41:
	v_mad_u64_u32 v[2:3], s[0:1], v39, s20, 0
	v_mov_b32_e32 v6, v3
	v_mad_u64_u32 v[6:7], s[0:1], v39, s21, v[6:7]
	v_ashrrev_i32_e32 v1, 31, v0
	v_cndmask_b32_e32 v3, 0, v6, vcc
	v_mad_u64_u32 v[6:7], s[0:1], v4, s20, 0
	v_cndmask_b32_e32 v2, 0, v2, vcc
	v_lshlrev_b64 v[8:9], 1, v[0:1]
	v_mov_b32_e32 v14, v7
	v_cmp_gt_i32_e32 vcc, s15, v4
	v_or_b32_e32 v1, 2, v39
	v_mad_u64_u32 v[14:15], s[0:1], v4, s21, v[14:15]
	v_cndmask_b32_e32 v4, 0, v6, vcc
	v_mad_u64_u32 v[6:7], s[0:1], v1, s20, 0
	v_cndmask_b32_e32 v5, 0, v14, vcc
	v_mov_b32_e32 v14, v7
	v_mad_u64_u32 v[14:15], s[0:1], v1, s21, v[14:15]
	v_cmp_gt_i32_e32 vcc, s15, v1
	v_or_b32_e32 v1, 3, v39
	v_lshl_add_u64 v[2:3], v[2:3], 1, s[22:23]
	v_cndmask_b32_e32 v7, 0, v14, vcc
	v_mad_u64_u32 v[14:15], s[0:1], v1, s20, 0
	v_mov_b32_e32 v16, v15
	v_lshl_add_u64 v[2:3], v[2:3], 0, v[8:9]
	v_lshl_add_u64 v[4:5], v[4:5], 1, s[22:23]
	v_cndmask_b32_e32 v6, 0, v6, vcc
	v_mad_u64_u32 v[16:17], s[0:1], v1, s21, v[16:17]
	v_cmp_gt_i32_e32 vcc, s15, v1
	v_lshl_add_u64 v[4:5], v[4:5], 0, v[8:9]
	v_lshl_add_u64 v[6:7], v[6:7], 1, s[22:23]
	v_cndmask_b32_e32 v14, 0, v14, vcc
	v_cndmask_b32_e32 v15, 0, v16, vcc
	flat_load_ushort v1, v[2:3]
	flat_load_ushort v16, v[4:5]
	v_lshl_add_u64 v[6:7], v[6:7], 0, v[8:9]
	v_lshl_add_u64 v[14:15], v[14:15], 1, s[22:23]
	;; [unrolled: 1-line block ×3, first 2 shown]
	flat_load_ushort v14, v[6:7]
	flat_load_ushort v15, v[8:9]
	v_add_u32_e32 v17, 32, v0
	v_cmp_gt_i32_e32 vcc, s14, v17
	s_waitcnt vmcnt(0) lgkmcnt(0)
	v_lshlrev_b32_e32 v1, 16, v1
	v_lshlrev_b32_e32 v16, 16, v16
	v_fmac_f32_e32 v35, v13, v1
	v_fmac_f32_e32 v35, v12, v16
	v_lshlrev_b32_e32 v14, 16, v14
	v_lshlrev_b32_e32 v1, 16, v15
	v_fmac_f32_e32 v35, v11, v14
	s_and_saveexec_b64 s[0:1], vcc
	s_cbranch_execz .LBB591_47
; %bb.42:
	flat_load_ushort v14, v[2:3] offset:64
	flat_load_ushort v15, v[4:5] offset:64
	;; [unrolled: 1-line block ×4, first 2 shown]
	v_add_u32_e32 v18, 64, v0
	v_cmp_gt_i32_e32 vcc, s14, v18
	s_waitcnt vmcnt(0) lgkmcnt(0)
	v_lshlrev_b32_e32 v19, 16, v14
	v_lshlrev_b32_e32 v15, 16, v15
	v_fmac_f32_e32 v36, v13, v19
	v_lshlrev_b32_e32 v16, 16, v16
	v_fmac_f32_e32 v36, v12, v15
	;; [unrolled: 2-line block ×3, first 2 shown]
	s_and_saveexec_b64 s[4:5], vcc
	s_cbranch_execz .LBB591_46
; %bb.43:
	flat_load_ushort v15, v[2:3] offset:128
	flat_load_ushort v16, v[4:5] offset:128
	;; [unrolled: 1-line block ×4, first 2 shown]
	v_add_u32_e32 v19, 0x60, v0
	v_cmp_gt_i32_e32 vcc, s14, v19
	s_waitcnt vmcnt(0) lgkmcnt(0)
	v_lshlrev_b32_e32 v15, 16, v15
	v_lshlrev_b32_e32 v16, 16, v16
	v_fmac_f32_e32 v37, v13, v15
	v_lshlrev_b32_e32 v17, 16, v17
	v_fmac_f32_e32 v37, v12, v16
	;; [unrolled: 2-line block ×3, first 2 shown]
	s_and_saveexec_b64 s[6:7], vcc
	s_cbranch_execz .LBB591_45
; %bb.44:
	flat_load_ushort v15, v[2:3] offset:192
	flat_load_ushort v16, v[4:5] offset:192
	;; [unrolled: 1-line block ×4, first 2 shown]
	s_waitcnt vmcnt(0) lgkmcnt(0)
	v_lshlrev_b32_e32 v2, 16, v15
	v_lshlrev_b32_e32 v3, 16, v16
	v_fmac_f32_e32 v38, v13, v2
	v_lshlrev_b32_e32 v4, 16, v17
	v_fmac_f32_e32 v38, v12, v3
	v_fmac_f32_e32 v38, v11, v4
	v_lshlrev_b32_e32 v2, 16, v18
	v_fmac_f32_e32 v38, v10, v2
.LBB591_45:
	s_or_b64 exec, exec, s[6:7]
	v_fmac_f32_e32 v37, v10, v0
.LBB591_46:
	s_or_b64 exec, exec, s[4:5]
	v_fmac_f32_e32 v36, v10, v14
.LBB591_47:
	s_or_b64 exec, exec, s[0:1]
	v_fmac_f32_e32 v35, v10, v1
.LBB591_48:
	s_or_b64 exec, exec, s[2:3]
.LBB591_49:
	v_lshlrev_b32_e32 v0, 7, v34
	s_movk_i32 s0, 0x80
	v_add_lshl_u32 v0, v0, v33, 2
	v_cmp_gt_u32_e32 vcc, s0, v32
	ds_write2_b32 v0, v35, v36 offset1:32
	ds_write2_b32 v0, v37, v38 offset0:64 offset1:96
	s_waitcnt lgkmcnt(0)
	s_barrier
	s_waitcnt lgkmcnt(0)
                                        ; implicit-def: $vgpr3
                                        ; implicit-def: $vgpr0_vgpr1
	s_and_saveexec_b64 s[0:1], vcc
	s_cbranch_execz .LBB591_70
; %bb.50:
	v_lshlrev_b32_e32 v10, 2, v32
	ds_read2st64_b32 v[0:1], v10 offset1:2
	ds_read2st64_b32 v[2:3], v10 offset0:4 offset1:6
	ds_read2st64_b32 v[4:5], v10 offset0:8 offset1:10
	;; [unrolled: 1-line block ×4, first 2 shown]
	s_waitcnt lgkmcnt(4)
	v_add_f32_e32 v0, v0, v1
	s_waitcnt lgkmcnt(3)
	v_add_f32_e32 v0, v2, v0
	v_add_f32_e32 v0, v3, v0
	s_waitcnt lgkmcnt(2)
	v_add_f32_e32 v0, v4, v0
	;; [unrolled: 3-line block ×3, first 2 shown]
	v_add_f32_e32 v2, v7, v0
	ds_read2st64_b32 v[0:1], v10 offset0:20 offset1:22
	s_waitcnt lgkmcnt(1)
	v_add_f32_e32 v4, v8, v2
	ds_read2st64_b32 v[2:3], v10 offset0:24 offset1:26
	v_add_f32_e32 v6, v9, v4
	ds_read2st64_b32 v[4:5], v10 offset0:28 offset1:30
	s_waitcnt lgkmcnt(2)
	v_add_f32_e32 v0, v0, v6
	v_add_f32_e32 v0, v1, v0
	s_waitcnt lgkmcnt(1)
	v_add_f32_e32 v0, v2, v0
	v_add_f32_e32 v0, v3, v0
	s_waitcnt lgkmcnt(0)
	v_add_f32_e32 v0, v4, v0
	v_or_b32_e32 v2, s43, v32
	v_add_f32_e32 v4, v5, v0
	v_cmp_gt_i32_e32 vcc, s14, v2
	s_mov_b64 s[4:5], s[10:11]
	ds_write_b32 v10, v4
                                        ; implicit-def: $vgpr3
                                        ; implicit-def: $vgpr0_vgpr1
	s_and_saveexec_b64 s[2:3], vcc
	s_cbranch_execz .LBB591_69
; %bb.51:
	v_cmp_eq_f32_e64 s[4:5], s33, 0
	v_mul_f32_e32 v0, s42, v4
	s_and_b64 vcc, exec, s[4:5]
	s_cbranch_vccz .LBB591_57
; %bb.52:
	s_mov_b32 s4, 0x7f800000
	v_and_b32_e32 v1, 0x7f800000, v0
	v_cmp_ne_u32_e32 vcc, s4, v1
                                        ; implicit-def: $vgpr1
	s_and_saveexec_b64 s[4:5], vcc
	s_xor_b64 s[4:5], exec, s[4:5]
; %bb.53:
	v_bfe_u32 v1, v0, 16, 1
	s_movk_i32 s6, 0x7fff
	v_add3_u32 v1, v0, v1, s6
; %bb.54:
	s_andn2_saveexec_b64 s[4:5], s[4:5]
; %bb.55:
	v_mov_b32_e32 v1, 0
	v_or_b32_e32 v3, 0x10000, v0
	v_cmp_eq_u32_sdwa vcc, v0, v1 src0_sel:WORD_0 src1_sel:DWORD
	s_nop 1
	v_cndmask_b32_e32 v1, v3, v0, vcc
; %bb.56:
	s_or_b64 exec, exec, s[4:5]
	s_mov_b64 s[4:5], 0
	s_branch .LBB591_58
.LBB591_57:
	s_mov_b64 s[4:5], -1
                                        ; implicit-def: $vgpr1
.LBB591_58:
	v_ashrrev_i32_e32 v3, 31, v2
	s_andn2_b64 vcc, exec, s[4:5]
	v_mul_lo_u32 v4, v2, s13
	v_mul_lo_u32 v5, v3, s12
	s_cbranch_vccnz .LBB591_68
; %bb.59:
	v_mad_u64_u32 v[6:7], s[4:5], v2, s12, 0
	v_add3_u32 v7, v7, v4, v5
	v_lshl_add_u64 v[6:7], v[6:7], 1, s[8:9]
	global_load_ushort v1, v[6:7], off
	s_mov_b32 s4, 0x7f800000
	s_waitcnt vmcnt(0)
	v_lshlrev_b32_e32 v1, 16, v1
	v_mul_f32_e32 v1, s33, v1
	v_and_b32_e32 v3, 0x7f800000, v1
	v_cmp_ne_u32_e32 vcc, s4, v3
                                        ; implicit-def: $vgpr3
	s_and_saveexec_b64 s[4:5], vcc
	s_xor_b64 s[4:5], exec, s[4:5]
; %bb.60:
	v_bfe_u32 v3, v1, 16, 1
	s_movk_i32 s6, 0x7fff
	v_add3_u32 v3, v1, v3, s6
                                        ; implicit-def: $vgpr1
; %bb.61:
	s_andn2_saveexec_b64 s[4:5], s[4:5]
; %bb.62:
	v_mov_b32_e32 v3, 0
	v_or_b32_e32 v6, 0x10000, v1
	v_cmp_eq_u32_sdwa vcc, v1, v3 src0_sel:WORD_0 src1_sel:DWORD
	s_nop 1
	v_cndmask_b32_e32 v3, v6, v1, vcc
; %bb.63:
	s_or_b64 exec, exec, s[4:5]
	v_and_b32_e32 v1, 0xffff0000, v3
	v_add_f32_e32 v0, v0, v1
	s_mov_b32 s4, 0x7f800000
	v_and_b32_e32 v1, 0x7f800000, v0
	v_cmp_ne_u32_e32 vcc, s4, v1
                                        ; implicit-def: $vgpr1
	s_and_saveexec_b64 s[4:5], vcc
	s_xor_b64 s[4:5], exec, s[4:5]
; %bb.64:
	v_bfe_u32 v1, v0, 16, 1
	s_movk_i32 s6, 0x7fff
	v_add3_u32 v1, v0, v1, s6
                                        ; implicit-def: $vgpr0
; %bb.65:
	s_andn2_saveexec_b64 s[4:5], s[4:5]
; %bb.66:
	v_mov_b32_e32 v1, 0
	v_or_b32_e32 v3, 0x10000, v0
	v_cmp_eq_u32_sdwa vcc, v0, v1 src0_sel:WORD_0 src1_sel:DWORD
	s_nop 1
	v_cndmask_b32_e32 v1, v3, v0, vcc
; %bb.67:
	s_or_b64 exec, exec, s[4:5]
.LBB591_68:
	v_lshrrev_b32_e32 v3, 16, v1
	v_mad_u64_u32 v[0:1], s[4:5], v2, s12, 0
	v_add3_u32 v1, v1, v4, v5
	s_or_b64 s[4:5], s[10:11], exec
.LBB591_69:
	s_or_b64 exec, exec, s[2:3]
	s_andn2_b64 s[2:3], s[10:11], exec
	s_and_b64 s[4:5], s[4:5], exec
	s_or_b64 s[10:11], s[2:3], s[4:5]
.LBB591_70:
	s_or_b64 exec, exec, s[0:1]
.LBB591_71:
	s_and_saveexec_b64 s[0:1], s[10:11]
	s_cbranch_execz .LBB591_73
; %bb.72:
	v_lshl_add_u64 v[0:1], v[0:1], 1, s[8:9]
	global_store_short v[0:1], v3, off
.LBB591_73:
	s_endpgm
	.section	.rodata,"a",@progbits
	.p2align	6, 0x0
	.amdhsa_kernel _ZL20rocblas_gemvn_kernelILi32ELi16ElPK16rocblas_bfloat16PKfKPS0_EviiT3_lPKT2_lT1_lSA_lSB_lS7_lPT4_lSB_li
		.amdhsa_group_segment_fixed_size 8192
		.amdhsa_private_segment_fixed_size 0
		.amdhsa_kernarg_size 400
		.amdhsa_user_sgpr_count 2
		.amdhsa_user_sgpr_dispatch_ptr 0
		.amdhsa_user_sgpr_queue_ptr 0
		.amdhsa_user_sgpr_kernarg_segment_ptr 1
		.amdhsa_user_sgpr_dispatch_id 0
		.amdhsa_user_sgpr_kernarg_preload_length 0
		.amdhsa_user_sgpr_kernarg_preload_offset 0
		.amdhsa_user_sgpr_private_segment_size 0
		.amdhsa_uses_dynamic_stack 0
		.amdhsa_enable_private_segment 0
		.amdhsa_system_sgpr_workgroup_id_x 1
		.amdhsa_system_sgpr_workgroup_id_y 0
		.amdhsa_system_sgpr_workgroup_id_z 1
		.amdhsa_system_sgpr_workgroup_info 0
		.amdhsa_system_vgpr_workitem_id 1
		.amdhsa_next_free_vgpr 55
		.amdhsa_next_free_sgpr 45
		.amdhsa_accum_offset 56
		.amdhsa_reserve_vcc 1
		.amdhsa_float_round_mode_32 0
		.amdhsa_float_round_mode_16_64 0
		.amdhsa_float_denorm_mode_32 3
		.amdhsa_float_denorm_mode_16_64 3
		.amdhsa_dx10_clamp 1
		.amdhsa_ieee_mode 1
		.amdhsa_fp16_overflow 0
		.amdhsa_tg_split 0
		.amdhsa_exception_fp_ieee_invalid_op 0
		.amdhsa_exception_fp_denorm_src 0
		.amdhsa_exception_fp_ieee_div_zero 0
		.amdhsa_exception_fp_ieee_overflow 0
		.amdhsa_exception_fp_ieee_underflow 0
		.amdhsa_exception_fp_ieee_inexact 0
		.amdhsa_exception_int_div_zero 0
	.end_amdhsa_kernel
	.section	.text._ZL20rocblas_gemvn_kernelILi32ELi16ElPK16rocblas_bfloat16PKfKPS0_EviiT3_lPKT2_lT1_lSA_lSB_lS7_lPT4_lSB_li,"axG",@progbits,_ZL20rocblas_gemvn_kernelILi32ELi16ElPK16rocblas_bfloat16PKfKPS0_EviiT3_lPKT2_lT1_lSA_lSB_lS7_lPT4_lSB_li,comdat
.Lfunc_end591:
	.size	_ZL20rocblas_gemvn_kernelILi32ELi16ElPK16rocblas_bfloat16PKfKPS0_EviiT3_lPKT2_lT1_lSA_lSB_lS7_lPT4_lSB_li, .Lfunc_end591-_ZL20rocblas_gemvn_kernelILi32ELi16ElPK16rocblas_bfloat16PKfKPS0_EviiT3_lPKT2_lT1_lSA_lSB_lS7_lPT4_lSB_li
                                        ; -- End function
	.section	.AMDGPU.csdata,"",@progbits
; Kernel info:
; codeLenInByte = 3196
; NumSgprs: 51
; NumVgprs: 55
; NumAgprs: 0
; TotalNumVgprs: 55
; ScratchSize: 0
; MemoryBound: 0
; FloatMode: 240
; IeeeMode: 1
; LDSByteSize: 8192 bytes/workgroup (compile time only)
; SGPRBlocks: 6
; VGPRBlocks: 6
; NumSGPRsForWavesPerEU: 51
; NumVGPRsForWavesPerEU: 55
; AccumOffset: 56
; Occupancy: 8
; WaveLimiterHint : 1
; COMPUTE_PGM_RSRC2:SCRATCH_EN: 0
; COMPUTE_PGM_RSRC2:USER_SGPR: 2
; COMPUTE_PGM_RSRC2:TRAP_HANDLER: 0
; COMPUTE_PGM_RSRC2:TGID_X_EN: 1
; COMPUTE_PGM_RSRC2:TGID_Y_EN: 0
; COMPUTE_PGM_RSRC2:TGID_Z_EN: 1
; COMPUTE_PGM_RSRC2:TIDIG_COMP_CNT: 1
; COMPUTE_PGM_RSRC3_GFX90A:ACCUM_OFFSET: 13
; COMPUTE_PGM_RSRC3_GFX90A:TG_SPLIT: 0
	.section	.text._ZL20rocblas_gemvn_kernelILi32ELi16EiPK16rocblas_bfloat16fKPS0_EviiT3_lPKT2_lT1_lS8_lS9_lS5_lPT4_lS9_li,"axG",@progbits,_ZL20rocblas_gemvn_kernelILi32ELi16EiPK16rocblas_bfloat16fKPS0_EviiT3_lPKT2_lT1_lS8_lS9_lS5_lPT4_lS9_li,comdat
	.globl	_ZL20rocblas_gemvn_kernelILi32ELi16EiPK16rocblas_bfloat16fKPS0_EviiT3_lPKT2_lT1_lS8_lS9_lS5_lPT4_lS9_li ; -- Begin function _ZL20rocblas_gemvn_kernelILi32ELi16EiPK16rocblas_bfloat16fKPS0_EviiT3_lPKT2_lT1_lS8_lS9_lS5_lPT4_lS9_li
	.p2align	8
	.type	_ZL20rocblas_gemvn_kernelILi32ELi16EiPK16rocblas_bfloat16fKPS0_EviiT3_lPKT2_lT1_lS8_lS9_lS5_lPT4_lS9_li,@function
_ZL20rocblas_gemvn_kernelILi32ELi16EiPK16rocblas_bfloat16fKPS0_EviiT3_lPKT2_lT1_lS8_lS9_lS5_lPT4_lS9_li: ; @_ZL20rocblas_gemvn_kernelILi32ELi16EiPK16rocblas_bfloat16fKPS0_EviiT3_lPKT2_lT1_lS8_lS9_lS5_lPT4_lS9_li
; %bb.0:
	s_load_dwordx2 s[4:5], s[0:1], 0x9c
	s_mov_b32 s6, s3
	s_waitcnt lgkmcnt(0)
	s_and_b32 s3, s5, 0xffff
	s_lshr_b32 s5, s4, 16
	s_and_b32 s4, s4, 0xffff
	s_mul_i32 s4, s5, s4
	s_mul_i32 s4, s4, s3
	s_cmpk_lg_i32 s4, 0x200
	s_cbranch_scc1 .LBB592_75
; %bb.1:
	s_load_dwordx4 s[8:11], s[0:1], 0x0
	s_waitcnt lgkmcnt(0)
	s_load_dword s11, s[0:1], 0x58
	v_cmp_eq_f32_e64 s[4:5], s10, 0
	s_waitcnt lgkmcnt(0)
	v_cmp_eq_f32_e64 s[12:13], s11, 1.0
	s_and_b64 s[12:13], s[4:5], s[12:13]
	s_and_b64 vcc, exec, s[12:13]
	s_cbranch_vccnz .LBB592_75
; %bb.2:
	v_cmp_neq_f32_e64 s[12:13], s10, 0
	s_mov_b32 s7, 0
	s_and_b64 vcc, exec, s[12:13]
	s_cbranch_vccnz .LBB592_4
; %bb.3:
	s_mov_b64 s[16:17], 0
	s_cbranch_execz .LBB592_5
	s_branch .LBB592_6
.LBB592_4:
                                        ; implicit-def: $sgpr16_sgpr17
.LBB592_5:
	s_load_dwordx4 s[16:19], s[0:1], 0x18
	s_lshl_b64 s[14:15], s[6:7], 3
	s_waitcnt lgkmcnt(0)
	s_add_u32 s14, s16, s14
	s_addc_u32 s15, s17, s15
	s_load_dwordx2 s[14:15], s[14:15], 0x0
	s_lshl_b64 s[16:17], s[18:19], 1
	s_waitcnt lgkmcnt(0)
	s_add_u32 s16, s14, s16
	s_addc_u32 s17, s15, s17
.LBB592_6:
	s_mov_b64 s[14:15], 0
	s_andn2_b64 vcc, exec, s[12:13]
	s_mov_b64 s[18:19], 0
	s_cbranch_vccnz .LBB592_8
; %bb.7:
	s_load_dwordx4 s[20:23], s[0:1], 0x38
	s_lshl_b64 s[12:13], s[6:7], 3
	s_waitcnt lgkmcnt(0)
	s_add_u32 s12, s20, s12
	s_addc_u32 s13, s21, s13
	s_load_dwordx2 s[12:13], s[12:13], 0x0
	s_lshl_b64 s[18:19], s[22:23], 1
	s_waitcnt lgkmcnt(0)
	s_add_u32 s18, s12, s18
	s_addc_u32 s19, s13, s19
.LBB592_8:
	s_load_dwordx4 s[20:23], s[0:1], 0x68
	s_load_dword s30, s[0:1], 0x78
	s_lshl_b64 s[6:7], s[6:7], 3
	v_and_b32_e32 v2, 0x3ff, v0
	v_bfe_u32 v18, v0, 10, 10
	s_waitcnt lgkmcnt(0)
	s_add_u32 s6, s20, s6
	s_addc_u32 s7, s21, s7
	s_load_dwordx2 s[6:7], s[6:7], 0x0
	s_lshl_b64 s[12:13], s[22:23], 1
	v_lshl_add_u32 v3, v18, 5, v2
	s_waitcnt lgkmcnt(0)
	s_add_u32 s12, s6, s12
	s_addc_u32 s13, s7, s13
	s_andn2_b64 vcc, exec, s[4:5]
	s_cbranch_vccnz .LBB592_19
; %bb.9:
	s_movk_i32 s3, 0x80
	v_cmp_gt_u32_e32 vcc, s3, v3
	s_mov_b64 s[4:5], 0
                                        ; implicit-def: $vgpr5
                                        ; implicit-def: $vgpr0_vgpr1
	s_and_saveexec_b64 s[6:7], vcc
	s_cbranch_execz .LBB592_20
; %bb.10:
	v_lshl_or_b32 v4, s2, 7, v3
	v_mov_b32_e32 v5, 0
	s_ashr_i32 s15, s8, 31
	s_mov_b32 s14, s8
	v_cmp_gt_i64_e32 vcc, s[14:15], v[4:5]
	s_mov_b64 s[20:21], 0
                                        ; implicit-def: $vgpr0_vgpr1
	s_and_saveexec_b64 s[14:15], vcc
	s_cbranch_execz .LBB592_18
; %bb.11:
	v_mad_u64_u32 v[0:1], s[22:23], s30, v4, 0
	s_ashr_i32 s3, s30, 31
	v_mov_b32_e32 v6, v1
	v_cmp_eq_f32_e64 s[20:21], s11, 0
	v_mad_u64_u32 v[6:7], s[22:23], s3, v4, v[6:7]
	v_mov_b32_e32 v1, v6
	s_and_b64 vcc, exec, s[20:21]
	s_cbranch_vccnz .LBB592_17
; %bb.12:
	v_lshl_add_u64 v[4:5], v[0:1], 1, s[12:13]
	global_load_ushort v4, v[4:5], off
	s_mov_b32 s3, 0x7f800000
	s_waitcnt vmcnt(0)
	v_lshlrev_b32_e32 v4, 16, v4
	v_mul_f32_e32 v4, s11, v4
	v_and_b32_e32 v5, 0x7f800000, v4
	v_cmp_ne_u32_e32 vcc, s3, v5
                                        ; implicit-def: $vgpr5
	s_and_saveexec_b64 s[20:21], vcc
	s_xor_b64 s[20:21], exec, s[20:21]
; %bb.13:
	v_bfe_u32 v5, v4, 16, 1
	s_movk_i32 s3, 0x7fff
	v_add3_u32 v5, v4, v5, s3
                                        ; implicit-def: $vgpr4
; %bb.14:
	s_andn2_saveexec_b64 s[20:21], s[20:21]
; %bb.15:
	v_mov_b32_e32 v5, 0
	v_or_b32_e32 v6, 0x10000, v4
	v_cmp_eq_u32_sdwa vcc, v4, v5 src0_sel:WORD_0 src1_sel:DWORD
	s_nop 1
	v_cndmask_b32_e32 v5, v6, v4, vcc
; %bb.16:
	s_or_b64 exec, exec, s[20:21]
	v_lshrrev_b32_e32 v5, 16, v5
.LBB592_17:
	s_mov_b64 s[20:21], exec
.LBB592_18:
	s_or_b64 exec, exec, s[14:15]
	s_and_b64 s[14:15], s[20:21], exec
	s_or_b64 exec, exec, s[6:7]
	s_and_b64 vcc, exec, s[4:5]
	s_cbranch_vccnz .LBB592_21
	s_branch .LBB592_73
.LBB592_19:
                                        ; implicit-def: $vgpr5
                                        ; implicit-def: $vgpr0_vgpr1
	s_cbranch_execnz .LBB592_21
	s_branch .LBB592_73
.LBB592_20:
	s_or_b64 exec, exec, s[6:7]
	s_and_b64 vcc, exec, s[4:5]
	s_cbranch_vccz .LBB592_73
.LBB592_21:
	s_load_dword s33, s[0:1], 0x28
	s_load_dword s34, s[0:1], 0x48
	s_ashr_i32 s0, s9, 31
	s_lshr_b32 s0, s0, 26
	s_add_i32 s35, s9, s0
	s_lshl_b32 s31, s2, 7
	s_andn2_b32 s35, s35, 63
	v_lshlrev_b32_e32 v24, 2, v18
	v_add_u32_e32 v23, s31, v2
	v_cmp_gt_i32_e32 vcc, s35, v24
	v_mov_b32_e32 v19, 0
	v_mov_b32_e32 v20, 0
	;; [unrolled: 1-line block ×4, first 2 shown]
	s_and_saveexec_b64 s[20:21], vcc
	s_cbranch_execz .LBB592_33
; %bb.22:
	v_add_u32_e32 v0, 32, v23
	v_cmp_gt_i32_e64 s[0:1], s8, v0
	v_add_u32_e32 v0, 64, v23
	v_cmp_gt_i32_e64 s[2:3], s8, v0
	;; [unrolled: 2-line block ×3, first 2 shown]
	s_waitcnt lgkmcnt(0)
	v_mul_lo_u32 v0, s33, v24
	v_add_u32_e32 v6, 2, v24
	v_add_u32_e32 v7, 3, v24
	v_add3_u32 v25, v0, s33, v2
	v_mad_u64_u32 v[0:1], s[6:7], s33, v6, v[2:3]
	v_mad_u64_u32 v[4:5], s[6:7], s33, v7, v[2:3]
	v_mul_lo_u32 v1, v18, s33
	v_mul_lo_u32 v5, s34, v24
	;; [unrolled: 1-line block ×4, first 2 shown]
	v_cmp_gt_i32_e32 vcc, s8, v23
	s_lshl_b32 s36, s33, 6
	v_lshl_add_u32 v1, v1, 2, v2
	v_add_u32_e32 v5, s34, v5
	s_lshl_b32 s37, s34, 6
	v_mul_lo_u32 v27, s34, v7
	v_lshlrev_b32_e32 v28, 2, v6
	s_mov_b32 s38, 0
	s_mov_b64 s[22:23], 0
	v_mov_b32_e32 v19, 0
	v_mov_b32_e32 v20, 0
	;; [unrolled: 1-line block ×4, first 2 shown]
	s_branch .LBB592_27
.LBB592_23:                             ;   in Loop: Header=BB592_27 Depth=1
	s_or_b64 exec, exec, s[28:29]
	s_waitcnt vmcnt(0) lgkmcnt(0)
	v_lshlrev_b32_e32 v10, 16, v40
	v_fmac_f32_e32 v21, v8, v10
	v_lshlrev_b32_e32 v10, 16, v39
	v_fmac_f32_e32 v21, v9, v10
	;; [unrolled: 2-line block ×4, first 2 shown]
.LBB592_24:                             ;   in Loop: Header=BB592_27 Depth=1
	s_or_b64 exec, exec, s[26:27]
	s_waitcnt vmcnt(0) lgkmcnt(0)
	v_lshlrev_b32_e32 v10, 16, v36
	v_fmac_f32_e32 v20, v8, v10
	v_lshlrev_b32_e32 v10, 16, v35
	v_fmac_f32_e32 v20, v9, v10
	;; [unrolled: 2-line block ×4, first 2 shown]
.LBB592_25:                             ;   in Loop: Header=BB592_27 Depth=1
	s_or_b64 exec, exec, s[24:25]
	v_lshlrev_b32_e32 v10, 16, v32
	v_fmac_f32_e32 v19, v8, v10
	v_lshlrev_b32_e32 v8, 16, v31
	v_fmac_f32_e32 v19, v9, v8
	;; [unrolled: 2-line block ×4, first 2 shown]
.LBB592_26:                             ;   in Loop: Header=BB592_27 Depth=1
	s_or_b64 exec, exec, s[6:7]
	v_add_u32_e32 v24, 64, v24
	s_add_i32 s38, s38, s37
	v_cmp_le_i32_e64 s[6:7], s35, v24
	v_add_u32_e32 v25, s36, v25
	v_add_u32_e32 v0, s36, v0
	v_add_u32_e32 v4, s36, v4
	s_or_b64 s[22:23], s[6:7], s[22:23]
	v_add_u32_e32 v1, s36, v1
	s_andn2_b64 exec, exec, s[22:23]
	s_cbranch_execz .LBB592_32
.LBB592_27:                             ; =>This Inner Loop Header: Depth=1
	s_and_saveexec_b64 s[6:7], vcc
	s_cbranch_execz .LBB592_26
; %bb.28:                               ;   in Loop: Header=BB592_27 Depth=1
	v_add_u32_e32 v6, s38, v28
	v_ashrrev_i32_e32 v7, 31, v6
	v_add_u32_e32 v8, s38, v5
	v_add_u32_e32 v10, s38, v26
	;; [unrolled: 1-line block ×3, first 2 shown]
	v_lshl_add_u64 v[6:7], v[6:7], 1, s[18:19]
	v_ashrrev_i32_e32 v9, 31, v8
	v_ashrrev_i32_e32 v11, 31, v10
	;; [unrolled: 1-line block ×3, first 2 shown]
	v_lshl_add_u64 v[8:9], v[8:9], 1, s[18:19]
	v_lshl_add_u64 v[10:11], v[10:11], 1, s[18:19]
	;; [unrolled: 1-line block ×3, first 2 shown]
	flat_load_ushort v33, v[6:7]
	flat_load_ushort v34, v[8:9]
	flat_load_ushort v35, v[10:11]
	flat_load_ushort v36, v[12:13]
	v_add_u32_e32 v6, s31, v1
	v_ashrrev_i32_e32 v7, 31, v6
	v_lshl_add_u64 v[10:11], v[6:7], 1, s[16:17]
	v_add_u32_e32 v6, s31, v25
	v_ashrrev_i32_e32 v7, 31, v6
	v_lshl_add_u64 v[12:13], v[6:7], 1, s[16:17]
	;; [unrolled: 3-line block ×4, first 2 shown]
	flat_load_ushort v32, v[10:11]
	flat_load_ushort v31, v[12:13]
	flat_load_ushort v30, v[14:15]
	flat_load_ushort v29, v[16:17]
	s_waitcnt vmcnt(0) lgkmcnt(0)
	v_lshlrev_b32_e32 v8, 16, v33
	v_lshlrev_b32_e32 v9, 16, v34
	;; [unrolled: 1-line block ×4, first 2 shown]
	s_and_saveexec_b64 s[24:25], s[0:1]
	s_cbranch_execz .LBB592_25
; %bb.29:                               ;   in Loop: Header=BB592_27 Depth=1
	flat_load_ushort v36, v[10:11] offset:64
	flat_load_ushort v35, v[12:13] offset:64
	flat_load_ushort v34, v[14:15] offset:64
	flat_load_ushort v33, v[16:17] offset:64
	s_and_saveexec_b64 s[26:27], s[2:3]
	s_cbranch_execz .LBB592_24
; %bb.30:                               ;   in Loop: Header=BB592_27 Depth=1
	flat_load_ushort v40, v[10:11] offset:128
	flat_load_ushort v39, v[12:13] offset:128
	flat_load_ushort v38, v[14:15] offset:128
	flat_load_ushort v37, v[16:17] offset:128
	;; [unrolled: 7-line block ×3, first 2 shown]
	s_waitcnt vmcnt(0) lgkmcnt(0)
	v_lshlrev_b32_e32 v11, 16, v41
	v_lshlrev_b32_e32 v10, 16, v42
	v_pk_mul_f32 v[10:11], v[8:9], v[10:11]
	v_lshlrev_b32_e32 v13, 16, v43
	v_lshlrev_b32_e32 v12, 16, v44
	v_add_f32_e32 v10, v22, v10
	v_add_f32_e32 v14, v10, v11
	v_pk_mul_f32 v[10:11], v[6:7], v[12:13]
	s_nop 0
	v_add_f32_e32 v10, v14, v10
	v_add_f32_e32 v22, v10, v11
	s_branch .LBB592_23
.LBB592_32:
	s_or_b64 exec, exec, s[22:23]
.LBB592_33:
	s_or_b64 exec, exec, s[20:21]
	s_sub_i32 s0, s9, s35
	s_cmp_lt_i32 s0, 1
	s_cbranch_scc1 .LBB592_51
; %bb.34:
	v_cmp_gt_i32_e32 vcc, s9, v24
	v_mov_b32_e32 v10, 0
	v_or_b32_e32 v4, 1, v24
	v_mov_b32_e32 v11, 0
	v_mov_b32_e32 v12, 0
	;; [unrolled: 1-line block ×3, first 2 shown]
	s_and_saveexec_b64 s[2:3], vcc
	s_cbranch_execz .LBB592_42
; %bb.35:
	s_waitcnt lgkmcnt(0)
	v_mul_lo_u32 v0, v24, s34
	v_ashrrev_i32_e32 v1, 31, v0
	v_lshl_add_u64 v[0:1], v[0:1], 1, s[18:19]
	flat_load_ushort v0, v[0:1]
	v_cmp_gt_i32_e64 s[0:1], s9, v4
	v_mov_b32_e32 v12, 0
	v_mov_b32_e32 v11, 0
	;; [unrolled: 1-line block ×3, first 2 shown]
	s_and_saveexec_b64 s[4:5], s[0:1]
	s_cbranch_execz .LBB592_41
; %bb.36:
	v_mul_lo_u32 v6, v4, s34
	v_ashrrev_i32_e32 v7, 31, v6
	v_lshl_add_u64 v[6:7], v[6:7], 1, s[18:19]
	flat_load_ushort v1, v[6:7]
	v_or_b32_e32 v5, 2, v24
	v_cmp_gt_i32_e64 s[0:1], s9, v5
	v_mov_b32_e32 v11, 0
	v_mov_b32_e32 v10, 0
	s_and_saveexec_b64 s[6:7], s[0:1]
	s_cbranch_execz .LBB592_40
; %bb.37:
	v_mul_lo_u32 v6, v5, s34
	v_ashrrev_i32_e32 v7, 31, v6
	v_lshl_add_u64 v[6:7], v[6:7], 1, s[18:19]
	flat_load_ushort v5, v[6:7]
	v_or_b32_e32 v6, 3, v24
	v_cmp_gt_i32_e64 s[0:1], s9, v6
	v_mov_b32_e32 v10, 0
	s_and_saveexec_b64 s[20:21], s[0:1]
	s_cbranch_execz .LBB592_39
; %bb.38:
	v_mul_lo_u32 v6, v6, s34
	v_ashrrev_i32_e32 v7, 31, v6
	v_lshl_add_u64 v[6:7], v[6:7], 1, s[18:19]
	flat_load_ushort v6, v[6:7]
	s_waitcnt vmcnt(0) lgkmcnt(0)
	v_lshlrev_b32_e32 v10, 16, v6
.LBB592_39:
	s_or_b64 exec, exec, s[20:21]
	s_waitcnt vmcnt(0) lgkmcnt(0)
	v_lshlrev_b32_e32 v11, 16, v5
.LBB592_40:
	s_or_b64 exec, exec, s[6:7]
	s_waitcnt vmcnt(0) lgkmcnt(0)
	v_lshlrev_b32_e32 v12, 16, v1
.LBB592_41:
	s_or_b64 exec, exec, s[4:5]
	s_waitcnt vmcnt(0) lgkmcnt(0)
	v_lshlrev_b32_e32 v13, 16, v0
.LBB592_42:
	s_or_b64 exec, exec, s[2:3]
	v_cmp_gt_i32_e64 s[0:1], s8, v23
	s_and_saveexec_b64 s[2:3], s[0:1]
	s_cbranch_execz .LBB592_50
; %bb.43:
	s_waitcnt lgkmcnt(0)
	v_mul_lo_u32 v0, v24, s33
	v_cndmask_b32_e32 v0, 0, v0, vcc
	v_mul_lo_u32 v5, v4, s33
	v_cmp_gt_i32_e32 vcc, s9, v4
	v_or_b32_e32 v6, 2, v24
	v_add_u32_e32 v0, v0, v23
	v_cndmask_b32_e32 v4, 0, v5, vcc
	v_mul_lo_u32 v7, v6, s33
	v_cmp_gt_i32_e32 vcc, s9, v6
	v_or_b32_e32 v8, 3, v24
	v_ashrrev_i32_e32 v1, 31, v0
	v_add_u32_e32 v4, v4, v23
	v_cndmask_b32_e32 v6, 0, v7, vcc
	v_mul_lo_u32 v9, v8, s33
	v_cmp_gt_i32_e32 vcc, s9, v8
	v_lshl_add_u64 v[0:1], v[0:1], 1, s[16:17]
	v_ashrrev_i32_e32 v5, 31, v4
	v_add_u32_e32 v6, v6, v23
	v_cndmask_b32_e32 v8, 0, v9, vcc
	v_lshl_add_u64 v[4:5], v[4:5], 1, s[16:17]
	v_ashrrev_i32_e32 v7, 31, v6
	v_add_u32_e32 v8, v8, v23
	flat_load_ushort v14, v[0:1]
	flat_load_ushort v15, v[4:5]
	v_lshl_add_u64 v[6:7], v[6:7], 1, s[16:17]
	v_ashrrev_i32_e32 v9, 31, v8
	v_lshl_add_u64 v[8:9], v[8:9], 1, s[16:17]
	flat_load_ushort v16, v[6:7]
	flat_load_ushort v17, v[8:9]
	v_add_u32_e32 v24, 32, v23
	v_cmp_gt_i32_e32 vcc, s8, v24
	s_waitcnt vmcnt(0) lgkmcnt(0)
	v_lshlrev_b32_e32 v14, 16, v14
	v_lshlrev_b32_e32 v15, 16, v15
	v_fmac_f32_e32 v19, v13, v14
	v_fmac_f32_e32 v19, v12, v15
	v_lshlrev_b32_e32 v16, 16, v16
	v_lshlrev_b32_e32 v14, 16, v17
	v_fmac_f32_e32 v19, v11, v16
	s_and_saveexec_b64 s[0:1], vcc
	s_cbranch_execz .LBB592_49
; %bb.44:
	flat_load_ushort v15, v[0:1] offset:64
	flat_load_ushort v16, v[4:5] offset:64
	flat_load_ushort v17, v[6:7] offset:64
	flat_load_ushort v24, v[8:9] offset:64
	v_add_u32_e32 v25, 64, v23
	v_cmp_gt_i32_e32 vcc, s8, v25
	s_waitcnt vmcnt(0) lgkmcnt(0)
	v_lshlrev_b32_e32 v26, 16, v15
	v_lshlrev_b32_e32 v16, 16, v16
	v_fmac_f32_e32 v20, v13, v26
	v_lshlrev_b32_e32 v17, 16, v17
	v_fmac_f32_e32 v20, v12, v16
	;; [unrolled: 2-line block ×3, first 2 shown]
	s_and_saveexec_b64 s[4:5], vcc
	s_cbranch_execz .LBB592_48
; %bb.45:
	flat_load_ushort v16, v[0:1] offset:128
	flat_load_ushort v17, v[4:5] offset:128
	;; [unrolled: 1-line block ×4, first 2 shown]
	v_add_u32_e32 v23, 0x60, v23
	v_cmp_gt_i32_e32 vcc, s8, v23
	s_waitcnt vmcnt(0) lgkmcnt(0)
	v_lshlrev_b32_e32 v26, 16, v16
	v_lshlrev_b32_e32 v17, 16, v17
	v_fmac_f32_e32 v21, v13, v26
	v_lshlrev_b32_e32 v24, 16, v24
	v_fmac_f32_e32 v21, v12, v17
	;; [unrolled: 2-line block ×3, first 2 shown]
	s_and_saveexec_b64 s[6:7], vcc
	s_cbranch_execz .LBB592_47
; %bb.46:
	flat_load_ushort v17, v[0:1] offset:192
	flat_load_ushort v23, v[4:5] offset:192
	;; [unrolled: 1-line block ×4, first 2 shown]
	s_waitcnt vmcnt(0) lgkmcnt(0)
	v_lshlrev_b32_e32 v0, 16, v17
	v_lshlrev_b32_e32 v1, 16, v23
	v_fmac_f32_e32 v22, v13, v0
	v_lshlrev_b32_e32 v4, 16, v24
	v_fmac_f32_e32 v22, v12, v1
	v_fmac_f32_e32 v22, v11, v4
	v_lshlrev_b32_e32 v0, 16, v25
	v_fmac_f32_e32 v22, v10, v0
.LBB592_47:
	s_or_b64 exec, exec, s[6:7]
	v_fmac_f32_e32 v21, v10, v16
.LBB592_48:
	s_or_b64 exec, exec, s[4:5]
	v_fmac_f32_e32 v20, v10, v15
.LBB592_49:
	s_or_b64 exec, exec, s[0:1]
	v_fmac_f32_e32 v19, v10, v14
.LBB592_50:
	s_or_b64 exec, exec, s[2:3]
.LBB592_51:
	v_lshlrev_b32_e32 v0, 7, v18
	s_movk_i32 s0, 0x80
	v_add_lshl_u32 v0, v0, v2, 2
	v_cmp_gt_u32_e32 vcc, s0, v3
	ds_write2_b32 v0, v19, v20 offset1:32
	ds_write2_b32 v0, v21, v22 offset0:64 offset1:96
	s_waitcnt lgkmcnt(0)
	s_barrier
	s_waitcnt lgkmcnt(0)
                                        ; implicit-def: $vgpr5
                                        ; implicit-def: $vgpr0_vgpr1
	s_and_saveexec_b64 s[0:1], vcc
	s_cbranch_execz .LBB592_72
; %bb.52:
	v_lshlrev_b32_e32 v12, 2, v3
	ds_read2st64_b32 v[0:1], v12 offset1:2
	ds_read2st64_b32 v[4:5], v12 offset0:4 offset1:6
	ds_read2st64_b32 v[6:7], v12 offset0:8 offset1:10
	;; [unrolled: 1-line block ×4, first 2 shown]
	s_waitcnt lgkmcnt(4)
	v_add_f32_e32 v0, v0, v1
	s_waitcnt lgkmcnt(3)
	v_add_f32_e32 v0, v4, v0
	v_add_f32_e32 v0, v5, v0
	s_waitcnt lgkmcnt(2)
	v_add_f32_e32 v0, v6, v0
	;; [unrolled: 3-line block ×3, first 2 shown]
	v_add_f32_e32 v2, v9, v0
	ds_read2st64_b32 v[0:1], v12 offset0:20 offset1:22
	ds_read2st64_b32 v[4:5], v12 offset0:24 offset1:26
	s_waitcnt lgkmcnt(2)
	v_add_f32_e32 v2, v10, v2
	v_add_f32_e32 v2, v11, v2
	ds_read2st64_b32 v[6:7], v12 offset0:28 offset1:30
	s_waitcnt lgkmcnt(2)
	v_add_f32_e32 v0, v0, v2
	v_add_f32_e32 v0, v1, v0
	s_waitcnt lgkmcnt(1)
	v_add_f32_e32 v0, v4, v0
	v_add_f32_e32 v0, v5, v0
	s_waitcnt lgkmcnt(0)
	v_add_f32_e32 v0, v6, v0
	v_or_b32_e32 v4, s31, v3
	v_add_f32_e32 v2, v7, v0
	v_cmp_gt_i32_e32 vcc, s8, v4
	s_mov_b64 s[4:5], s[14:15]
	ds_write_b32 v12, v2
                                        ; implicit-def: $vgpr5
                                        ; implicit-def: $vgpr0_vgpr1
	s_and_saveexec_b64 s[2:3], vcc
	s_cbranch_execz .LBB592_71
; %bb.53:
	v_cmp_eq_f32_e64 s[4:5], s11, 0
	v_mul_f32_e32 v2, s10, v2
	s_and_b64 vcc, exec, s[4:5]
	s_cbranch_vccz .LBB592_59
; %bb.54:
	s_mov_b32 s4, 0x7f800000
	v_and_b32_e32 v0, 0x7f800000, v2
	v_cmp_ne_u32_e32 vcc, s4, v0
                                        ; implicit-def: $vgpr3
	s_and_saveexec_b64 s[4:5], vcc
	s_xor_b64 s[4:5], exec, s[4:5]
; %bb.55:
	v_bfe_u32 v0, v2, 16, 1
	s_movk_i32 s6, 0x7fff
	v_add3_u32 v3, v2, v0, s6
; %bb.56:
	s_andn2_saveexec_b64 s[4:5], s[4:5]
; %bb.57:
	v_mov_b32_e32 v0, 0
	v_or_b32_e32 v1, 0x10000, v2
	v_cmp_eq_u32_sdwa vcc, v2, v0 src0_sel:WORD_0 src1_sel:DWORD
	s_nop 1
	v_cndmask_b32_e32 v3, v1, v2, vcc
; %bb.58:
	s_or_b64 exec, exec, s[4:5]
	s_mov_b64 s[4:5], 0
	s_branch .LBB592_60
.LBB592_59:
	s_mov_b64 s[4:5], -1
                                        ; implicit-def: $vgpr3
.LBB592_60:
	v_mul_lo_u32 v0, v4, s30
	s_andn2_b64 vcc, exec, s[4:5]
	v_ashrrev_i32_e32 v1, 31, v0
	s_cbranch_vccnz .LBB592_70
; %bb.61:
	v_lshl_add_u64 v[4:5], v[0:1], 1, s[12:13]
	global_load_ushort v3, v[4:5], off
	s_mov_b32 s4, 0x7f800000
	s_waitcnt vmcnt(0)
	v_lshlrev_b32_e32 v3, 16, v3
	v_mul_f32_e32 v3, s11, v3
	v_and_b32_e32 v4, 0x7f800000, v3
	v_cmp_ne_u32_e32 vcc, s4, v4
                                        ; implicit-def: $vgpr4
	s_and_saveexec_b64 s[4:5], vcc
	s_xor_b64 s[4:5], exec, s[4:5]
; %bb.62:
	v_bfe_u32 v4, v3, 16, 1
	s_movk_i32 s6, 0x7fff
	v_add3_u32 v4, v3, v4, s6
                                        ; implicit-def: $vgpr3
; %bb.63:
	s_andn2_saveexec_b64 s[4:5], s[4:5]
; %bb.64:
	v_mov_b32_e32 v4, 0
	v_or_b32_e32 v5, 0x10000, v3
	v_cmp_eq_u32_sdwa vcc, v3, v4 src0_sel:WORD_0 src1_sel:DWORD
	s_nop 1
	v_cndmask_b32_e32 v4, v5, v3, vcc
; %bb.65:
	s_or_b64 exec, exec, s[4:5]
	v_and_b32_e32 v3, 0xffff0000, v4
	v_add_f32_e32 v2, v2, v3
	s_mov_b32 s4, 0x7f800000
	v_and_b32_e32 v3, 0x7f800000, v2
	v_cmp_ne_u32_e32 vcc, s4, v3
                                        ; implicit-def: $vgpr3
	s_and_saveexec_b64 s[4:5], vcc
	s_xor_b64 s[4:5], exec, s[4:5]
; %bb.66:
	v_bfe_u32 v3, v2, 16, 1
	s_movk_i32 s6, 0x7fff
	v_add3_u32 v3, v2, v3, s6
                                        ; implicit-def: $vgpr2
; %bb.67:
	s_andn2_saveexec_b64 s[4:5], s[4:5]
; %bb.68:
	v_mov_b32_e32 v3, 0
	v_or_b32_e32 v4, 0x10000, v2
	v_cmp_eq_u32_sdwa vcc, v2, v3 src0_sel:WORD_0 src1_sel:DWORD
	s_nop 1
	v_cndmask_b32_e32 v3, v4, v2, vcc
; %bb.69:
	s_or_b64 exec, exec, s[4:5]
.LBB592_70:
	v_lshrrev_b32_e32 v5, 16, v3
	s_or_b64 s[4:5], s[14:15], exec
.LBB592_71:
	s_or_b64 exec, exec, s[2:3]
	s_andn2_b64 s[2:3], s[14:15], exec
	s_and_b64 s[4:5], s[4:5], exec
	s_or_b64 s[14:15], s[2:3], s[4:5]
.LBB592_72:
	s_or_b64 exec, exec, s[0:1]
.LBB592_73:
	s_and_saveexec_b64 s[0:1], s[14:15]
	s_cbranch_execz .LBB592_75
; %bb.74:
	v_lshl_add_u64 v[0:1], v[0:1], 1, s[12:13]
	global_store_short v[0:1], v5, off
.LBB592_75:
	s_endpgm
	.section	.rodata,"a",@progbits
	.p2align	6, 0x0
	.amdhsa_kernel _ZL20rocblas_gemvn_kernelILi32ELi16EiPK16rocblas_bfloat16fKPS0_EviiT3_lPKT2_lT1_lS8_lS9_lS5_lPT4_lS9_li
		.amdhsa_group_segment_fixed_size 8192
		.amdhsa_private_segment_fixed_size 0
		.amdhsa_kernarg_size 400
		.amdhsa_user_sgpr_count 2
		.amdhsa_user_sgpr_dispatch_ptr 0
		.amdhsa_user_sgpr_queue_ptr 0
		.amdhsa_user_sgpr_kernarg_segment_ptr 1
		.amdhsa_user_sgpr_dispatch_id 0
		.amdhsa_user_sgpr_kernarg_preload_length 0
		.amdhsa_user_sgpr_kernarg_preload_offset 0
		.amdhsa_user_sgpr_private_segment_size 0
		.amdhsa_uses_dynamic_stack 0
		.amdhsa_enable_private_segment 0
		.amdhsa_system_sgpr_workgroup_id_x 1
		.amdhsa_system_sgpr_workgroup_id_y 0
		.amdhsa_system_sgpr_workgroup_id_z 1
		.amdhsa_system_sgpr_workgroup_info 0
		.amdhsa_system_vgpr_workitem_id 1
		.amdhsa_next_free_vgpr 45
		.amdhsa_next_free_sgpr 39
		.amdhsa_accum_offset 48
		.amdhsa_reserve_vcc 1
		.amdhsa_float_round_mode_32 0
		.amdhsa_float_round_mode_16_64 0
		.amdhsa_float_denorm_mode_32 3
		.amdhsa_float_denorm_mode_16_64 3
		.amdhsa_dx10_clamp 1
		.amdhsa_ieee_mode 1
		.amdhsa_fp16_overflow 0
		.amdhsa_tg_split 0
		.amdhsa_exception_fp_ieee_invalid_op 0
		.amdhsa_exception_fp_denorm_src 0
		.amdhsa_exception_fp_ieee_div_zero 0
		.amdhsa_exception_fp_ieee_overflow 0
		.amdhsa_exception_fp_ieee_underflow 0
		.amdhsa_exception_fp_ieee_inexact 0
		.amdhsa_exception_int_div_zero 0
	.end_amdhsa_kernel
	.section	.text._ZL20rocblas_gemvn_kernelILi32ELi16EiPK16rocblas_bfloat16fKPS0_EviiT3_lPKT2_lT1_lS8_lS9_lS5_lPT4_lS9_li,"axG",@progbits,_ZL20rocblas_gemvn_kernelILi32ELi16EiPK16rocblas_bfloat16fKPS0_EviiT3_lPKT2_lT1_lS8_lS9_lS5_lPT4_lS9_li,comdat
.Lfunc_end592:
	.size	_ZL20rocblas_gemvn_kernelILi32ELi16EiPK16rocblas_bfloat16fKPS0_EviiT3_lPKT2_lT1_lS8_lS9_lS5_lPT4_lS9_li, .Lfunc_end592-_ZL20rocblas_gemvn_kernelILi32ELi16EiPK16rocblas_bfloat16fKPS0_EviiT3_lPKT2_lT1_lS8_lS9_lS5_lPT4_lS9_li
                                        ; -- End function
	.section	.AMDGPU.csdata,"",@progbits
; Kernel info:
; codeLenInByte = 2848
; NumSgprs: 45
; NumVgprs: 45
; NumAgprs: 0
; TotalNumVgprs: 45
; ScratchSize: 0
; MemoryBound: 0
; FloatMode: 240
; IeeeMode: 1
; LDSByteSize: 8192 bytes/workgroup (compile time only)
; SGPRBlocks: 5
; VGPRBlocks: 5
; NumSGPRsForWavesPerEU: 45
; NumVGPRsForWavesPerEU: 45
; AccumOffset: 48
; Occupancy: 8
; WaveLimiterHint : 1
; COMPUTE_PGM_RSRC2:SCRATCH_EN: 0
; COMPUTE_PGM_RSRC2:USER_SGPR: 2
; COMPUTE_PGM_RSRC2:TRAP_HANDLER: 0
; COMPUTE_PGM_RSRC2:TGID_X_EN: 1
; COMPUTE_PGM_RSRC2:TGID_Y_EN: 0
; COMPUTE_PGM_RSRC2:TGID_Z_EN: 1
; COMPUTE_PGM_RSRC2:TIDIG_COMP_CNT: 1
; COMPUTE_PGM_RSRC3_GFX90A:ACCUM_OFFSET: 11
; COMPUTE_PGM_RSRC3_GFX90A:TG_SPLIT: 0
	.section	.text._ZL20rocblas_gemvn_kernelILi32ELi16ElPK16rocblas_bfloat16fKPS0_EviiT3_lPKT2_lT1_lS8_lS9_lS5_lPT4_lS9_li,"axG",@progbits,_ZL20rocblas_gemvn_kernelILi32ELi16ElPK16rocblas_bfloat16fKPS0_EviiT3_lPKT2_lT1_lS8_lS9_lS5_lPT4_lS9_li,comdat
	.globl	_ZL20rocblas_gemvn_kernelILi32ELi16ElPK16rocblas_bfloat16fKPS0_EviiT3_lPKT2_lT1_lS8_lS9_lS5_lPT4_lS9_li ; -- Begin function _ZL20rocblas_gemvn_kernelILi32ELi16ElPK16rocblas_bfloat16fKPS0_EviiT3_lPKT2_lT1_lS8_lS9_lS5_lPT4_lS9_li
	.p2align	8
	.type	_ZL20rocblas_gemvn_kernelILi32ELi16ElPK16rocblas_bfloat16fKPS0_EviiT3_lPKT2_lT1_lS8_lS9_lS5_lPT4_lS9_li,@function
_ZL20rocblas_gemvn_kernelILi32ELi16ElPK16rocblas_bfloat16fKPS0_EviiT3_lPKT2_lT1_lS8_lS9_lS5_lPT4_lS9_li: ; @_ZL20rocblas_gemvn_kernelILi32ELi16ElPK16rocblas_bfloat16fKPS0_EviiT3_lPKT2_lT1_lS8_lS9_lS5_lPT4_lS9_li
; %bb.0:
	s_load_dwordx2 s[4:5], s[0:1], 0x9c
	s_mov_b32 s12, s3
	s_waitcnt lgkmcnt(0)
	s_and_b32 s3, s5, 0xffff
	s_lshr_b32 s5, s4, 16
	s_and_b32 s4, s4, 0xffff
	s_mul_i32 s4, s5, s4
	s_mul_i32 s4, s4, s3
	s_cmpk_lg_i32 s4, 0x200
	s_cbranch_scc1 .LBB593_75
; %bb.1:
	s_load_dwordx4 s[8:11], s[0:1], 0x0
	s_waitcnt lgkmcnt(0)
	s_load_dword s11, s[0:1], 0x58
	v_cmp_eq_f32_e64 s[26:27], s10, 0
	s_waitcnt lgkmcnt(0)
	v_cmp_eq_f32_e64 s[4:5], s11, 1.0
	s_and_b64 s[4:5], s[26:27], s[4:5]
	s_and_b64 vcc, exec, s[4:5]
	s_cbranch_vccnz .LBB593_75
; %bb.2:
	s_load_dwordx4 s[4:7], s[0:1], 0x18
	s_load_dwordx2 s[18:19], s[0:1], 0x28
	v_cmp_neq_f32_e64 s[14:15], s10, 0
	s_mov_b32 s13, 0
	s_and_b64 vcc, exec, s[14:15]
	s_cbranch_vccnz .LBB593_4
; %bb.3:
	s_mov_b64 s[20:21], 0
	s_cbranch_execz .LBB593_5
	s_branch .LBB593_6
.LBB593_4:
                                        ; implicit-def: $sgpr20_sgpr21
.LBB593_5:
	s_lshl_b64 s[16:17], s[12:13], 3
	s_waitcnt lgkmcnt(0)
	s_add_u32 s4, s4, s16
	s_addc_u32 s5, s5, s17
	s_load_dwordx2 s[4:5], s[4:5], 0x0
	s_lshl_b64 s[6:7], s[6:7], 1
	s_waitcnt lgkmcnt(0)
	s_add_u32 s20, s4, s6
	s_addc_u32 s21, s5, s7
.LBB593_6:
	s_waitcnt lgkmcnt(0)
	s_load_dwordx4 s[4:7], s[0:1], 0x38
	s_load_dwordx2 s[22:23], s[0:1], 0x48
	s_mov_b64 s[16:17], 0
	s_andn2_b64 vcc, exec, s[14:15]
	s_mov_b64 s[24:25], 0
	s_cbranch_vccnz .LBB593_8
; %bb.7:
	s_lshl_b64 s[14:15], s[12:13], 3
	s_waitcnt lgkmcnt(0)
	s_add_u32 s4, s4, s14
	s_addc_u32 s5, s5, s15
	s_load_dwordx2 s[4:5], s[4:5], 0x0
	s_lshl_b64 s[6:7], s[6:7], 1
	s_waitcnt lgkmcnt(0)
	s_add_u32 s24, s4, s6
	s_addc_u32 s25, s5, s7
.LBB593_8:
	s_waitcnt lgkmcnt(0)
	s_load_dwordx4 s[4:7], s[0:1], 0x68
	s_load_dwordx2 s[14:15], s[0:1], 0x78
	s_lshl_b64 s[0:1], s[12:13], 3
	v_and_b32_e32 v33, 0x3ff, v0
	v_bfe_u32 v34, v0, 10, 10
	s_waitcnt lgkmcnt(0)
	s_add_u32 s0, s4, s0
	s_addc_u32 s1, s5, s1
	s_load_dwordx2 s[0:1], s[0:1], 0x0
	s_lshl_b64 s[4:5], s[6:7], 1
	v_lshl_add_u32 v32, v34, 5, v33
	s_waitcnt lgkmcnt(0)
	s_add_u32 s12, s0, s4
	s_addc_u32 s13, s1, s5
	s_andn2_b64 vcc, exec, s[26:27]
	s_cbranch_vccnz .LBB593_19
; %bb.9:
	s_movk_i32 s0, 0x80
	v_cmp_gt_u32_e32 vcc, s0, v32
	s_mov_b64 s[0:1], 0
                                        ; implicit-def: $vgpr3
                                        ; implicit-def: $vgpr0_vgpr1
	s_and_saveexec_b64 s[4:5], vcc
	s_cbranch_execz .LBB593_20
; %bb.10:
	v_lshl_or_b32 v2, s2, 7, v32
	v_mov_b32_e32 v3, 0
	s_ashr_i32 s7, s8, 31
	s_mov_b32 s6, s8
	v_cmp_gt_i64_e32 vcc, s[6:7], v[2:3]
                                        ; implicit-def: $vgpr0_vgpr1
	s_and_saveexec_b64 s[6:7], vcc
	s_cbranch_execz .LBB593_18
; %bb.11:
	v_mad_u64_u32 v[0:1], s[26:27], v2, s14, 0
	v_mov_b32_e32 v4, v1
	v_cmp_eq_f32_e64 s[16:17], s11, 0
	v_mad_u64_u32 v[4:5], s[26:27], v2, s15, v[4:5]
	v_mov_b32_e32 v1, v4
	s_and_b64 vcc, exec, s[16:17]
	s_cbranch_vccnz .LBB593_17
; %bb.12:
	v_lshl_add_u64 v[2:3], v[0:1], 1, s[12:13]
	global_load_ushort v2, v[2:3], off
	s_mov_b32 s3, 0x7f800000
	s_waitcnt vmcnt(0)
	v_lshlrev_b32_e32 v2, 16, v2
	v_mul_f32_e32 v2, s11, v2
	v_and_b32_e32 v3, 0x7f800000, v2
	v_cmp_ne_u32_e32 vcc, s3, v3
                                        ; implicit-def: $vgpr3
	s_and_saveexec_b64 s[16:17], vcc
	s_xor_b64 s[16:17], exec, s[16:17]
; %bb.13:
	v_bfe_u32 v3, v2, 16, 1
	s_movk_i32 s3, 0x7fff
	v_add3_u32 v3, v2, v3, s3
                                        ; implicit-def: $vgpr2
; %bb.14:
	s_andn2_saveexec_b64 s[16:17], s[16:17]
; %bb.15:
	v_mov_b32_e32 v3, 0
	v_or_b32_e32 v4, 0x10000, v2
	v_cmp_eq_u32_sdwa vcc, v2, v3 src0_sel:WORD_0 src1_sel:DWORD
	s_nop 1
	v_cndmask_b32_e32 v3, v4, v2, vcc
; %bb.16:
	s_or_b64 exec, exec, s[16:17]
	v_lshrrev_b32_e32 v3, 16, v3
.LBB593_17:
	s_mov_b64 s[16:17], exec
.LBB593_18:
	s_or_b64 exec, exec, s[6:7]
	s_and_b64 s[16:17], s[16:17], exec
	s_or_b64 exec, exec, s[4:5]
	s_and_b64 vcc, exec, s[0:1]
	s_cbranch_vccnz .LBB593_21
	s_branch .LBB593_73
.LBB593_19:
                                        ; implicit-def: $vgpr3
                                        ; implicit-def: $vgpr0_vgpr1
	s_cbranch_execnz .LBB593_21
	s_branch .LBB593_73
.LBB593_20:
	s_or_b64 exec, exec, s[4:5]
	s_and_b64 vcc, exec, s[0:1]
	s_cbranch_vccz .LBB593_73
.LBB593_21:
	s_ashr_i32 s0, s9, 31
	s_lshr_b32 s0, s0, 26
	s_add_i32 s44, s9, s0
	s_lshl_b32 s33, s2, 7
	s_andn2_b32 s44, s44, 63
	v_lshlrev_b32_e32 v39, 2, v34
	v_add_u32_e32 v0, s33, v33
	v_cmp_gt_i32_e32 vcc, s44, v39
	v_mov_b32_e32 v35, 0
	v_mov_b32_e32 v36, 0
	;; [unrolled: 1-line block ×4, first 2 shown]
	s_and_saveexec_b64 s[26:27], vcc
	s_cbranch_execz .LBB593_33
; %bb.22:
	v_add_u32_e32 v2, 32, v0
	v_cmp_gt_i32_e64 s[0:1], s8, v2
	v_add_u32_e32 v2, 64, v0
	v_ashrrev_i32_e32 v1, 31, v0
	v_cmp_gt_i32_e64 s[2:3], s8, v2
	v_add_u32_e32 v2, 0x60, v0
	v_cmp_gt_i32_e64 s[4:5], s8, v2
	v_lshlrev_b64 v[2:3], 1, v[0:1]
	v_lshlrev_b32_e32 v1, 2, v34
	v_or_b32_e32 v15, 3, v1
	v_mad_u64_u32 v[4:5], s[6:7], s18, v15, 0
	v_mov_b32_e32 v6, v5
	v_mad_u64_u32 v[6:7], s[6:7], s19, v15, v[6:7]
	v_mov_b32_e32 v5, v6
	;; [unrolled: 2-line block ×6, first 2 shown]
	v_mov_b64_e32 v[10:11], s[22:23]
	v_mad_u64_u32 v[10:11], s[6:7], s22, v1, v[10:11]
	v_mov_b32_e32 v12, v11
	v_mad_u64_u32 v[12:13], s[6:7], s23, v1, v[12:13]
	v_mov_b32_e32 v11, v12
	;; [unrolled: 2-line block ×3, first 2 shown]
	v_mad_u64_u32 v[14:15], s[6:7], s23, v15, v[14:15]
	v_or_b32_e32 v21, 2, v1
	v_mov_b32_e32 v13, v14
	v_mad_u64_u32 v[14:15], s[6:7], s18, v21, 0
	v_mov_b32_e32 v16, v15
	v_mad_u64_u32 v[16:17], s[6:7], s19, v21, v[16:17]
	v_mov_b32_e32 v15, v16
	v_mov_b64_e32 v[16:17], s[18:19]
	v_mad_u64_u32 v[16:17], s[6:7], s18, v1, v[16:17]
	v_mov_b32_e32 v18, v17
	v_mad_u64_u32 v[18:19], s[6:7], s19, v1, v[18:19]
	v_mov_b32_e32 v17, v18
	v_mad_u64_u32 v[18:19], s[6:7], s22, v21, 0
	v_mov_b32_e32 v20, v19
	v_mad_u64_u32 v[20:21], s[6:7], s23, v21, v[20:21]
	v_mov_b32_e32 v19, v20
	v_cmp_gt_i32_e32 vcc, s8, v0
	v_lshl_add_u64 v[4:5], v[4:5], 1, s[20:21]
	s_lshl_b64 s[28:29], s[18:19], 7
	v_lshlrev_b64 v[6:7], 3, v[6:7]
	s_lshl_b64 s[30:31], s[22:23], 7
	v_lshl_add_u64 v[8:9], v[8:9], 3, s[20:21]
	v_lshlrev_b64 v[10:11], 1, v[10:11]
	v_lshlrev_b64 v[12:13], 1, v[12:13]
	v_lshl_add_u64 v[14:15], v[14:15], 1, s[20:21]
	v_lshl_add_u64 v[16:17], v[16:17], 1, s[20:21]
	v_lshlrev_b64 v[18:19], 1, v[18:19]
	s_mov_b64 s[34:35], 0
	v_mov_b32_e32 v35, 0
	s_mov_b64 s[36:37], s[24:25]
	v_mov_b32_e32 v36, 0
	v_mov_b32_e32 v37, 0
	;; [unrolled: 1-line block ×3, first 2 shown]
	s_branch .LBB593_27
.LBB593_23:                             ;   in Loop: Header=BB593_27 Depth=1
	s_or_b64 exec, exec, s[42:43]
	s_waitcnt vmcnt(0) lgkmcnt(0)
	v_lshlrev_b32_e32 v24, 16, v50
	v_fmac_f32_e32 v37, v22, v24
	v_lshlrev_b32_e32 v24, 16, v49
	v_fmac_f32_e32 v37, v23, v24
	;; [unrolled: 2-line block ×4, first 2 shown]
.LBB593_24:                             ;   in Loop: Header=BB593_27 Depth=1
	s_or_b64 exec, exec, s[40:41]
	s_waitcnt vmcnt(0) lgkmcnt(0)
	v_lshlrev_b32_e32 v24, 16, v46
	v_fmac_f32_e32 v36, v22, v24
	v_lshlrev_b32_e32 v24, 16, v45
	v_fmac_f32_e32 v36, v23, v24
	;; [unrolled: 2-line block ×4, first 2 shown]
.LBB593_25:                             ;   in Loop: Header=BB593_27 Depth=1
	s_or_b64 exec, exec, s[38:39]
	v_lshlrev_b32_e32 v24, 16, v42
	v_fmac_f32_e32 v35, v22, v24
	v_lshlrev_b32_e32 v22, 16, v41
	v_fmac_f32_e32 v35, v23, v22
	;; [unrolled: 2-line block ×4, first 2 shown]
.LBB593_26:                             ;   in Loop: Header=BB593_27 Depth=1
	s_or_b64 exec, exec, s[6:7]
	v_add_u32_e32 v39, 64, v39
	s_add_u32 s36, s36, s30
	s_addc_u32 s37, s37, s31
	v_cmp_le_i32_e64 s[6:7], s44, v39
	v_lshl_add_u64 v[4:5], v[4:5], 0, s[28:29]
	v_lshl_add_u64 v[8:9], v[8:9], 0, s[28:29]
	;; [unrolled: 1-line block ×3, first 2 shown]
	s_or_b64 s[34:35], s[6:7], s[34:35]
	v_lshl_add_u64 v[16:17], v[16:17], 0, s[28:29]
	s_andn2_b64 exec, exec, s[34:35]
	s_cbranch_execz .LBB593_32
.LBB593_27:                             ; =>This Inner Loop Header: Depth=1
	s_and_saveexec_b64 s[6:7], vcc
	s_cbranch_execz .LBB593_26
; %bb.28:                               ;   in Loop: Header=BB593_27 Depth=1
	v_lshl_add_u64 v[20:21], s[36:37], 0, v[6:7]
	v_lshl_add_u64 v[24:25], s[36:37], 0, v[18:19]
	;; [unrolled: 1-line block ×4, first 2 shown]
	flat_load_ushort v43, v[20:21]
	flat_load_ushort v44, v[22:23]
	flat_load_ushort v45, v[24:25]
	flat_load_ushort v46, v[26:27]
	v_lshl_add_u64 v[24:25], v[8:9], 0, v[2:3]
	v_lshl_add_u64 v[26:27], v[16:17], 0, v[2:3]
	;; [unrolled: 1-line block ×4, first 2 shown]
	flat_load_ushort v42, v[24:25]
	flat_load_ushort v41, v[26:27]
	;; [unrolled: 1-line block ×4, first 2 shown]
	s_waitcnt vmcnt(0) lgkmcnt(0)
	v_lshlrev_b32_e32 v22, 16, v43
	v_lshlrev_b32_e32 v23, 16, v44
	;; [unrolled: 1-line block ×4, first 2 shown]
	s_and_saveexec_b64 s[38:39], s[0:1]
	s_cbranch_execz .LBB593_25
; %bb.29:                               ;   in Loop: Header=BB593_27 Depth=1
	flat_load_ushort v46, v[24:25] offset:64
	flat_load_ushort v45, v[26:27] offset:64
	flat_load_ushort v44, v[30:31] offset:64
	flat_load_ushort v43, v[28:29] offset:64
	s_and_saveexec_b64 s[40:41], s[2:3]
	s_cbranch_execz .LBB593_24
; %bb.30:                               ;   in Loop: Header=BB593_27 Depth=1
	flat_load_ushort v50, v[24:25] offset:128
	flat_load_ushort v49, v[26:27] offset:128
	flat_load_ushort v48, v[30:31] offset:128
	flat_load_ushort v47, v[28:29] offset:128
	;; [unrolled: 7-line block ×3, first 2 shown]
	s_waitcnt vmcnt(0) lgkmcnt(0)
	v_lshlrev_b32_e32 v25, 16, v51
	v_lshlrev_b32_e32 v24, 16, v52
	v_pk_mul_f32 v[24:25], v[22:23], v[24:25]
	v_lshlrev_b32_e32 v27, 16, v53
	v_lshlrev_b32_e32 v26, 16, v54
	v_add_f32_e32 v24, v38, v24
	v_add_f32_e32 v28, v24, v25
	v_pk_mul_f32 v[24:25], v[20:21], v[26:27]
	s_nop 0
	v_add_f32_e32 v24, v28, v24
	v_add_f32_e32 v38, v24, v25
	s_branch .LBB593_23
.LBB593_32:
	s_or_b64 exec, exec, s[34:35]
.LBB593_33:
	s_or_b64 exec, exec, s[26:27]
	s_sub_i32 s0, s9, s44
	s_cmp_lt_i32 s0, 1
	s_cbranch_scc1 .LBB593_51
; %bb.34:
	v_cmp_gt_i32_e32 vcc, s9, v39
	v_mov_b32_e32 v10, 0
	v_or_b32_e32 v4, 1, v39
	v_mov_b32_e32 v11, 0
	v_mov_b32_e32 v12, 0
	;; [unrolled: 1-line block ×3, first 2 shown]
	s_and_saveexec_b64 s[2:3], vcc
	s_cbranch_execz .LBB593_42
; %bb.35:
	v_mad_u64_u32 v[2:3], s[0:1], v39, s22, 0
	v_mov_b32_e32 v6, v3
	v_mad_u64_u32 v[6:7], s[0:1], v39, s23, v[6:7]
	v_mov_b32_e32 v3, v6
	v_lshl_add_u64 v[2:3], v[2:3], 1, s[24:25]
	flat_load_ushort v1, v[2:3]
	v_cmp_gt_i32_e64 s[0:1], s9, v4
	v_mov_b32_e32 v12, 0
	v_mov_b32_e32 v11, 0
	;; [unrolled: 1-line block ×3, first 2 shown]
	s_and_saveexec_b64 s[4:5], s[0:1]
	s_cbranch_execz .LBB593_41
; %bb.36:
	v_mad_u64_u32 v[2:3], s[0:1], v4, s22, 0
	v_mov_b32_e32 v6, v3
	v_mad_u64_u32 v[6:7], s[0:1], v4, s23, v[6:7]
	v_mov_b32_e32 v3, v6
	v_lshl_add_u64 v[2:3], v[2:3], 1, s[24:25]
	flat_load_ushort v2, v[2:3]
	v_or_b32_e32 v3, 2, v39
	v_cmp_gt_i32_e64 s[0:1], s9, v3
	v_mov_b32_e32 v11, 0
	v_mov_b32_e32 v10, 0
	s_and_saveexec_b64 s[6:7], s[0:1]
	s_cbranch_execz .LBB593_40
; %bb.37:
	v_mad_u64_u32 v[6:7], s[0:1], v3, s22, 0
	v_mov_b32_e32 v8, v7
	v_mad_u64_u32 v[8:9], s[0:1], v3, s23, v[8:9]
	v_mov_b32_e32 v7, v8
	v_lshl_add_u64 v[6:7], v[6:7], 1, s[24:25]
	flat_load_ushort v3, v[6:7]
	v_or_b32_e32 v5, 3, v39
	v_cmp_gt_i32_e64 s[0:1], s9, v5
	v_mov_b32_e32 v10, 0
	s_and_saveexec_b64 s[26:27], s[0:1]
	s_cbranch_execz .LBB593_39
; %bb.38:
	v_mad_u64_u32 v[6:7], s[0:1], v5, s22, 0
	v_mov_b32_e32 v8, v7
	v_mad_u64_u32 v[8:9], s[0:1], v5, s23, v[8:9]
	v_mov_b32_e32 v7, v8
	v_lshl_add_u64 v[6:7], v[6:7], 1, s[24:25]
	flat_load_ushort v5, v[6:7]
	s_waitcnt vmcnt(0) lgkmcnt(0)
	v_lshlrev_b32_e32 v10, 16, v5
.LBB593_39:
	s_or_b64 exec, exec, s[26:27]
	s_waitcnt vmcnt(0) lgkmcnt(0)
	v_lshlrev_b32_e32 v11, 16, v3
.LBB593_40:
	s_or_b64 exec, exec, s[6:7]
	s_waitcnt vmcnt(0) lgkmcnt(0)
	v_lshlrev_b32_e32 v12, 16, v2
.LBB593_41:
	s_or_b64 exec, exec, s[4:5]
	s_waitcnt vmcnt(0) lgkmcnt(0)
	v_lshlrev_b32_e32 v13, 16, v1
.LBB593_42:
	s_or_b64 exec, exec, s[2:3]
	v_cmp_gt_i32_e64 s[0:1], s8, v0
	s_and_saveexec_b64 s[2:3], s[0:1]
	s_cbranch_execz .LBB593_50
; %bb.43:
	v_mad_u64_u32 v[2:3], s[0:1], v39, s18, 0
	v_mov_b32_e32 v6, v3
	v_mad_u64_u32 v[6:7], s[0:1], v39, s19, v[6:7]
	v_ashrrev_i32_e32 v1, 31, v0
	v_cndmask_b32_e32 v3, 0, v6, vcc
	v_mad_u64_u32 v[6:7], s[0:1], v4, s18, 0
	v_cndmask_b32_e32 v2, 0, v2, vcc
	v_lshlrev_b64 v[8:9], 1, v[0:1]
	v_mov_b32_e32 v14, v7
	v_cmp_gt_i32_e32 vcc, s9, v4
	v_or_b32_e32 v1, 2, v39
	v_mad_u64_u32 v[14:15], s[0:1], v4, s19, v[14:15]
	v_cndmask_b32_e32 v4, 0, v6, vcc
	v_mad_u64_u32 v[6:7], s[0:1], v1, s18, 0
	v_cndmask_b32_e32 v5, 0, v14, vcc
	v_mov_b32_e32 v14, v7
	v_mad_u64_u32 v[14:15], s[0:1], v1, s19, v[14:15]
	v_cmp_gt_i32_e32 vcc, s9, v1
	v_or_b32_e32 v1, 3, v39
	v_lshl_add_u64 v[2:3], v[2:3], 1, s[20:21]
	v_cndmask_b32_e32 v7, 0, v14, vcc
	v_mad_u64_u32 v[14:15], s[0:1], v1, s18, 0
	v_mov_b32_e32 v16, v15
	v_lshl_add_u64 v[2:3], v[2:3], 0, v[8:9]
	v_lshl_add_u64 v[4:5], v[4:5], 1, s[20:21]
	v_cndmask_b32_e32 v6, 0, v6, vcc
	v_mad_u64_u32 v[16:17], s[0:1], v1, s19, v[16:17]
	v_cmp_gt_i32_e32 vcc, s9, v1
	v_lshl_add_u64 v[4:5], v[4:5], 0, v[8:9]
	v_lshl_add_u64 v[6:7], v[6:7], 1, s[20:21]
	v_cndmask_b32_e32 v14, 0, v14, vcc
	v_cndmask_b32_e32 v15, 0, v16, vcc
	flat_load_ushort v1, v[2:3]
	flat_load_ushort v16, v[4:5]
	v_lshl_add_u64 v[6:7], v[6:7], 0, v[8:9]
	v_lshl_add_u64 v[14:15], v[14:15], 1, s[20:21]
	v_lshl_add_u64 v[8:9], v[14:15], 0, v[8:9]
	flat_load_ushort v14, v[6:7]
	flat_load_ushort v15, v[8:9]
	v_add_u32_e32 v17, 32, v0
	v_cmp_gt_i32_e32 vcc, s8, v17
	s_waitcnt vmcnt(0) lgkmcnt(0)
	v_lshlrev_b32_e32 v1, 16, v1
	v_lshlrev_b32_e32 v16, 16, v16
	v_fmac_f32_e32 v35, v13, v1
	v_fmac_f32_e32 v35, v12, v16
	v_lshlrev_b32_e32 v14, 16, v14
	v_lshlrev_b32_e32 v1, 16, v15
	v_fmac_f32_e32 v35, v11, v14
	s_and_saveexec_b64 s[0:1], vcc
	s_cbranch_execz .LBB593_49
; %bb.44:
	flat_load_ushort v14, v[2:3] offset:64
	flat_load_ushort v15, v[4:5] offset:64
	;; [unrolled: 1-line block ×4, first 2 shown]
	v_add_u32_e32 v18, 64, v0
	v_cmp_gt_i32_e32 vcc, s8, v18
	s_waitcnt vmcnt(0) lgkmcnt(0)
	v_lshlrev_b32_e32 v19, 16, v14
	v_lshlrev_b32_e32 v15, 16, v15
	v_fmac_f32_e32 v36, v13, v19
	v_lshlrev_b32_e32 v16, 16, v16
	v_fmac_f32_e32 v36, v12, v15
	;; [unrolled: 2-line block ×3, first 2 shown]
	s_and_saveexec_b64 s[4:5], vcc
	s_cbranch_execz .LBB593_48
; %bb.45:
	flat_load_ushort v15, v[2:3] offset:128
	flat_load_ushort v16, v[4:5] offset:128
	;; [unrolled: 1-line block ×4, first 2 shown]
	v_add_u32_e32 v19, 0x60, v0
	v_cmp_gt_i32_e32 vcc, s8, v19
	s_waitcnt vmcnt(0) lgkmcnt(0)
	v_lshlrev_b32_e32 v15, 16, v15
	v_lshlrev_b32_e32 v16, 16, v16
	v_fmac_f32_e32 v37, v13, v15
	v_lshlrev_b32_e32 v17, 16, v17
	v_fmac_f32_e32 v37, v12, v16
	;; [unrolled: 2-line block ×3, first 2 shown]
	s_and_saveexec_b64 s[6:7], vcc
	s_cbranch_execz .LBB593_47
; %bb.46:
	flat_load_ushort v15, v[2:3] offset:192
	flat_load_ushort v16, v[4:5] offset:192
	;; [unrolled: 1-line block ×4, first 2 shown]
	s_waitcnt vmcnt(0) lgkmcnt(0)
	v_lshlrev_b32_e32 v2, 16, v15
	v_lshlrev_b32_e32 v3, 16, v16
	v_fmac_f32_e32 v38, v13, v2
	v_lshlrev_b32_e32 v4, 16, v17
	v_fmac_f32_e32 v38, v12, v3
	v_fmac_f32_e32 v38, v11, v4
	v_lshlrev_b32_e32 v2, 16, v18
	v_fmac_f32_e32 v38, v10, v2
.LBB593_47:
	s_or_b64 exec, exec, s[6:7]
	v_fmac_f32_e32 v37, v10, v0
.LBB593_48:
	s_or_b64 exec, exec, s[4:5]
	v_fmac_f32_e32 v36, v10, v14
.LBB593_49:
	s_or_b64 exec, exec, s[0:1]
	v_fmac_f32_e32 v35, v10, v1
.LBB593_50:
	s_or_b64 exec, exec, s[2:3]
.LBB593_51:
	v_lshlrev_b32_e32 v0, 7, v34
	s_movk_i32 s0, 0x80
	v_add_lshl_u32 v0, v0, v33, 2
	v_cmp_gt_u32_e32 vcc, s0, v32
	ds_write2_b32 v0, v35, v36 offset1:32
	ds_write2_b32 v0, v37, v38 offset0:64 offset1:96
	s_waitcnt lgkmcnt(0)
	s_barrier
	s_waitcnt lgkmcnt(0)
                                        ; implicit-def: $vgpr3
                                        ; implicit-def: $vgpr0_vgpr1
	s_and_saveexec_b64 s[0:1], vcc
	s_cbranch_execz .LBB593_72
; %bb.52:
	v_lshlrev_b32_e32 v10, 2, v32
	ds_read2st64_b32 v[0:1], v10 offset1:2
	ds_read2st64_b32 v[2:3], v10 offset0:4 offset1:6
	ds_read2st64_b32 v[4:5], v10 offset0:8 offset1:10
	;; [unrolled: 1-line block ×4, first 2 shown]
	s_waitcnt lgkmcnt(4)
	v_add_f32_e32 v0, v0, v1
	s_waitcnt lgkmcnt(3)
	v_add_f32_e32 v0, v2, v0
	v_add_f32_e32 v0, v3, v0
	s_waitcnt lgkmcnt(2)
	v_add_f32_e32 v0, v4, v0
	;; [unrolled: 3-line block ×3, first 2 shown]
	v_add_f32_e32 v2, v7, v0
	ds_read2st64_b32 v[0:1], v10 offset0:20 offset1:22
	s_waitcnt lgkmcnt(1)
	v_add_f32_e32 v4, v8, v2
	ds_read2st64_b32 v[2:3], v10 offset0:24 offset1:26
	v_add_f32_e32 v6, v9, v4
	ds_read2st64_b32 v[4:5], v10 offset0:28 offset1:30
	s_waitcnt lgkmcnt(2)
	v_add_f32_e32 v0, v0, v6
	v_add_f32_e32 v0, v1, v0
	s_waitcnt lgkmcnt(1)
	v_add_f32_e32 v0, v2, v0
	v_add_f32_e32 v0, v3, v0
	s_waitcnt lgkmcnt(0)
	v_add_f32_e32 v0, v4, v0
	v_or_b32_e32 v2, s33, v32
	v_add_f32_e32 v4, v5, v0
	v_cmp_gt_i32_e32 vcc, s8, v2
	s_mov_b64 s[4:5], s[16:17]
	ds_write_b32 v10, v4
                                        ; implicit-def: $vgpr3
                                        ; implicit-def: $vgpr0_vgpr1
	s_and_saveexec_b64 s[2:3], vcc
	s_cbranch_execz .LBB593_71
; %bb.53:
	v_cmp_eq_f32_e64 s[4:5], s11, 0
	v_mul_f32_e32 v0, s10, v4
	s_and_b64 vcc, exec, s[4:5]
	s_cbranch_vccz .LBB593_59
; %bb.54:
	s_mov_b32 s4, 0x7f800000
	v_and_b32_e32 v1, 0x7f800000, v0
	v_cmp_ne_u32_e32 vcc, s4, v1
                                        ; implicit-def: $vgpr1
	s_and_saveexec_b64 s[4:5], vcc
	s_xor_b64 s[4:5], exec, s[4:5]
; %bb.55:
	v_bfe_u32 v1, v0, 16, 1
	s_movk_i32 s6, 0x7fff
	v_add3_u32 v1, v0, v1, s6
; %bb.56:
	s_andn2_saveexec_b64 s[4:5], s[4:5]
; %bb.57:
	v_mov_b32_e32 v1, 0
	v_or_b32_e32 v3, 0x10000, v0
	v_cmp_eq_u32_sdwa vcc, v0, v1 src0_sel:WORD_0 src1_sel:DWORD
	s_nop 1
	v_cndmask_b32_e32 v1, v3, v0, vcc
; %bb.58:
	s_or_b64 exec, exec, s[4:5]
	s_mov_b64 s[4:5], 0
	s_branch .LBB593_60
.LBB593_59:
	s_mov_b64 s[4:5], -1
                                        ; implicit-def: $vgpr1
.LBB593_60:
	v_ashrrev_i32_e32 v3, 31, v2
	s_andn2_b64 vcc, exec, s[4:5]
	v_mul_lo_u32 v4, v2, s15
	v_mul_lo_u32 v5, v3, s14
	s_cbranch_vccnz .LBB593_70
; %bb.61:
	v_mad_u64_u32 v[6:7], s[4:5], v2, s14, 0
	v_add3_u32 v7, v7, v4, v5
	v_lshl_add_u64 v[6:7], v[6:7], 1, s[12:13]
	global_load_ushort v1, v[6:7], off
	s_mov_b32 s4, 0x7f800000
	s_waitcnt vmcnt(0)
	v_lshlrev_b32_e32 v1, 16, v1
	v_mul_f32_e32 v1, s11, v1
	v_and_b32_e32 v3, 0x7f800000, v1
	v_cmp_ne_u32_e32 vcc, s4, v3
                                        ; implicit-def: $vgpr3
	s_and_saveexec_b64 s[4:5], vcc
	s_xor_b64 s[4:5], exec, s[4:5]
; %bb.62:
	v_bfe_u32 v3, v1, 16, 1
	s_movk_i32 s6, 0x7fff
	v_add3_u32 v3, v1, v3, s6
                                        ; implicit-def: $vgpr1
; %bb.63:
	s_andn2_saveexec_b64 s[4:5], s[4:5]
; %bb.64:
	v_mov_b32_e32 v3, 0
	v_or_b32_e32 v6, 0x10000, v1
	v_cmp_eq_u32_sdwa vcc, v1, v3 src0_sel:WORD_0 src1_sel:DWORD
	s_nop 1
	v_cndmask_b32_e32 v3, v6, v1, vcc
; %bb.65:
	s_or_b64 exec, exec, s[4:5]
	v_and_b32_e32 v1, 0xffff0000, v3
	v_add_f32_e32 v0, v0, v1
	s_mov_b32 s4, 0x7f800000
	v_and_b32_e32 v1, 0x7f800000, v0
	v_cmp_ne_u32_e32 vcc, s4, v1
                                        ; implicit-def: $vgpr1
	s_and_saveexec_b64 s[4:5], vcc
	s_xor_b64 s[4:5], exec, s[4:5]
; %bb.66:
	v_bfe_u32 v1, v0, 16, 1
	s_movk_i32 s6, 0x7fff
	v_add3_u32 v1, v0, v1, s6
                                        ; implicit-def: $vgpr0
; %bb.67:
	s_andn2_saveexec_b64 s[4:5], s[4:5]
; %bb.68:
	v_mov_b32_e32 v1, 0
	v_or_b32_e32 v3, 0x10000, v0
	v_cmp_eq_u32_sdwa vcc, v0, v1 src0_sel:WORD_0 src1_sel:DWORD
	s_nop 1
	v_cndmask_b32_e32 v1, v3, v0, vcc
; %bb.69:
	s_or_b64 exec, exec, s[4:5]
.LBB593_70:
	v_lshrrev_b32_e32 v3, 16, v1
	v_mad_u64_u32 v[0:1], s[4:5], v2, s14, 0
	v_add3_u32 v1, v1, v4, v5
	s_or_b64 s[4:5], s[16:17], exec
.LBB593_71:
	s_or_b64 exec, exec, s[2:3]
	s_andn2_b64 s[2:3], s[16:17], exec
	s_and_b64 s[4:5], s[4:5], exec
	s_or_b64 s[16:17], s[2:3], s[4:5]
.LBB593_72:
	s_or_b64 exec, exec, s[0:1]
.LBB593_73:
	s_and_saveexec_b64 s[0:1], s[16:17]
	s_cbranch_execz .LBB593_75
; %bb.74:
	v_lshl_add_u64 v[0:1], v[0:1], 1, s[12:13]
	global_store_short v[0:1], v3, off
.LBB593_75:
	s_endpgm
	.section	.rodata,"a",@progbits
	.p2align	6, 0x0
	.amdhsa_kernel _ZL20rocblas_gemvn_kernelILi32ELi16ElPK16rocblas_bfloat16fKPS0_EviiT3_lPKT2_lT1_lS8_lS9_lS5_lPT4_lS9_li
		.amdhsa_group_segment_fixed_size 8192
		.amdhsa_private_segment_fixed_size 0
		.amdhsa_kernarg_size 400
		.amdhsa_user_sgpr_count 2
		.amdhsa_user_sgpr_dispatch_ptr 0
		.amdhsa_user_sgpr_queue_ptr 0
		.amdhsa_user_sgpr_kernarg_segment_ptr 1
		.amdhsa_user_sgpr_dispatch_id 0
		.amdhsa_user_sgpr_kernarg_preload_length 0
		.amdhsa_user_sgpr_kernarg_preload_offset 0
		.amdhsa_user_sgpr_private_segment_size 0
		.amdhsa_uses_dynamic_stack 0
		.amdhsa_enable_private_segment 0
		.amdhsa_system_sgpr_workgroup_id_x 1
		.amdhsa_system_sgpr_workgroup_id_y 0
		.amdhsa_system_sgpr_workgroup_id_z 1
		.amdhsa_system_sgpr_workgroup_info 0
		.amdhsa_system_vgpr_workitem_id 1
		.amdhsa_next_free_vgpr 55
		.amdhsa_next_free_sgpr 45
		.amdhsa_accum_offset 56
		.amdhsa_reserve_vcc 1
		.amdhsa_float_round_mode_32 0
		.amdhsa_float_round_mode_16_64 0
		.amdhsa_float_denorm_mode_32 3
		.amdhsa_float_denorm_mode_16_64 3
		.amdhsa_dx10_clamp 1
		.amdhsa_ieee_mode 1
		.amdhsa_fp16_overflow 0
		.amdhsa_tg_split 0
		.amdhsa_exception_fp_ieee_invalid_op 0
		.amdhsa_exception_fp_denorm_src 0
		.amdhsa_exception_fp_ieee_div_zero 0
		.amdhsa_exception_fp_ieee_overflow 0
		.amdhsa_exception_fp_ieee_underflow 0
		.amdhsa_exception_fp_ieee_inexact 0
		.amdhsa_exception_int_div_zero 0
	.end_amdhsa_kernel
	.section	.text._ZL20rocblas_gemvn_kernelILi32ELi16ElPK16rocblas_bfloat16fKPS0_EviiT3_lPKT2_lT1_lS8_lS9_lS5_lPT4_lS9_li,"axG",@progbits,_ZL20rocblas_gemvn_kernelILi32ELi16ElPK16rocblas_bfloat16fKPS0_EviiT3_lPKT2_lT1_lS8_lS9_lS5_lPT4_lS9_li,comdat
.Lfunc_end593:
	.size	_ZL20rocblas_gemvn_kernelILi32ELi16ElPK16rocblas_bfloat16fKPS0_EviiT3_lPKT2_lT1_lS8_lS9_lS5_lPT4_lS9_li, .Lfunc_end593-_ZL20rocblas_gemvn_kernelILi32ELi16ElPK16rocblas_bfloat16fKPS0_EviiT3_lPKT2_lT1_lS8_lS9_lS5_lPT4_lS9_li
                                        ; -- End function
	.section	.AMDGPU.csdata,"",@progbits
; Kernel info:
; codeLenInByte = 3148
; NumSgprs: 51
; NumVgprs: 55
; NumAgprs: 0
; TotalNumVgprs: 55
; ScratchSize: 0
; MemoryBound: 0
; FloatMode: 240
; IeeeMode: 1
; LDSByteSize: 8192 bytes/workgroup (compile time only)
; SGPRBlocks: 6
; VGPRBlocks: 6
; NumSGPRsForWavesPerEU: 51
; NumVGPRsForWavesPerEU: 55
; AccumOffset: 56
; Occupancy: 8
; WaveLimiterHint : 1
; COMPUTE_PGM_RSRC2:SCRATCH_EN: 0
; COMPUTE_PGM_RSRC2:USER_SGPR: 2
; COMPUTE_PGM_RSRC2:TRAP_HANDLER: 0
; COMPUTE_PGM_RSRC2:TGID_X_EN: 1
; COMPUTE_PGM_RSRC2:TGID_Y_EN: 0
; COMPUTE_PGM_RSRC2:TGID_Z_EN: 1
; COMPUTE_PGM_RSRC2:TIDIG_COMP_CNT: 1
; COMPUTE_PGM_RSRC3_GFX90A:ACCUM_OFFSET: 13
; COMPUTE_PGM_RSRC3_GFX90A:TG_SPLIT: 0
	.section	.text._ZL20rocblas_gemvn_kernelILi64ELi16EiPK16rocblas_bfloat16PKfKPS0_EviiT3_lPKT2_lT1_lSA_lSB_lS7_lPT4_lSB_li,"axG",@progbits,_ZL20rocblas_gemvn_kernelILi64ELi16EiPK16rocblas_bfloat16PKfKPS0_EviiT3_lPKT2_lT1_lSA_lSB_lS7_lPT4_lSB_li,comdat
	.globl	_ZL20rocblas_gemvn_kernelILi64ELi16EiPK16rocblas_bfloat16PKfKPS0_EviiT3_lPKT2_lT1_lSA_lSB_lS7_lPT4_lSB_li ; -- Begin function _ZL20rocblas_gemvn_kernelILi64ELi16EiPK16rocblas_bfloat16PKfKPS0_EviiT3_lPKT2_lT1_lSA_lSB_lS7_lPT4_lSB_li
	.p2align	8
	.type	_ZL20rocblas_gemvn_kernelILi64ELi16EiPK16rocblas_bfloat16PKfKPS0_EviiT3_lPKT2_lT1_lSA_lSB_lS7_lPT4_lSB_li,@function
_ZL20rocblas_gemvn_kernelILi64ELi16EiPK16rocblas_bfloat16PKfKPS0_EviiT3_lPKT2_lT1_lSA_lSB_lS7_lPT4_lSB_li: ; @_ZL20rocblas_gemvn_kernelILi64ELi16EiPK16rocblas_bfloat16PKfKPS0_EviiT3_lPKT2_lT1_lSA_lSB_lS7_lPT4_lSB_li
; %bb.0:
	s_load_dwordx2 s[4:5], s[0:1], 0x9c
	s_mov_b32 s22, s3
	s_waitcnt lgkmcnt(0)
	s_and_b32 s3, s5, 0xffff
	s_lshr_b32 s5, s4, 16
	s_and_b32 s4, s4, 0xffff
	s_mul_i32 s4, s5, s4
	s_mul_i32 s4, s4, s3
	s_cmpk_lg_i32 s4, 0x400
	s_cbranch_scc1 .LBB594_73
; %bb.1:
	s_load_dwordx8 s[12:19], s[0:1], 0x8
	s_load_dwordx8 s[4:11], s[0:1], 0x58
	s_waitcnt lgkmcnt(0)
	s_mul_i32 s3, s22, s15
	s_mul_hi_u32 s15, s22, s14
	s_mul_i32 s14, s22, s14
	s_add_i32 s15, s15, s3
	s_lshl_b64 s[14:15], s[14:15], 2
	s_mul_i32 s7, s22, s7
	s_add_u32 s12, s12, s14
	s_mul_hi_u32 s3, s22, s6
	s_addc_u32 s13, s13, s15
	s_add_i32 s7, s3, s7
	s_mul_i32 s6, s22, s6
	s_lshl_b64 s[6:7], s[6:7], 2
	s_add_u32 s4, s4, s6
	s_addc_u32 s5, s5, s7
	s_load_dword s29, s[12:13], 0x0
	s_load_dword s28, s[4:5], 0x0
	s_waitcnt lgkmcnt(0)
	v_cmp_eq_f32_e64 s[4:5], s29, 0
	v_cmp_eq_f32_e64 s[6:7], s28, 1.0
	s_and_b64 s[6:7], s[4:5], s[6:7]
	s_and_b64 vcc, exec, s[6:7]
	s_cbranch_vccnz .LBB594_73
; %bb.2:
	s_mov_b32 s23, 0
	v_cmp_neq_f32_e64 s[6:7], s29, 0
	s_mov_b64 s[20:21], 0
	s_and_b64 vcc, exec, s[4:5]
	s_mov_b64 s[14:15], 0
	s_cbranch_vccnz .LBB594_4
; %bb.3:
	s_lshl_b64 s[12:13], s[22:23], 3
	s_add_u32 s12, s16, s12
	s_addc_u32 s13, s17, s13
	s_load_dwordx2 s[12:13], s[12:13], 0x0
	s_lshl_b64 s[14:15], s[18:19], 1
	s_waitcnt lgkmcnt(0)
	s_add_u32 s14, s12, s14
	s_addc_u32 s15, s13, s15
.LBB594_4:
	s_andn2_b64 vcc, exec, s[6:7]
	s_cbranch_vccnz .LBB594_6
; %bb.5:
	s_load_dwordx4 s[16:19], s[0:1], 0x38
	s_lshl_b64 s[6:7], s[22:23], 3
	s_waitcnt lgkmcnt(0)
	s_add_u32 s6, s16, s6
	s_addc_u32 s7, s17, s7
	s_load_dwordx2 s[6:7], s[6:7], 0x0
	s_lshl_b64 s[12:13], s[18:19], 1
	s_waitcnt lgkmcnt(0)
	s_add_u32 s20, s6, s12
	s_addc_u32 s21, s7, s13
.LBB594_6:
	s_lshl_b64 s[6:7], s[22:23], 3
	s_add_u32 s6, s8, s6
	s_addc_u32 s7, s9, s7
	s_load_dwordx2 s[8:9], s[6:7], 0x0
	s_load_dwordx2 s[12:13], s[0:1], 0x0
	s_load_dword s30, s[0:1], 0x78
	s_lshl_b64 s[6:7], s[10:11], 1
	v_and_b32_e32 v2, 0x3ff, v0
	s_waitcnt lgkmcnt(0)
	s_add_u32 s8, s8, s6
	v_bfe_u32 v18, v0, 10, 10
	s_addc_u32 s9, s9, s7
	s_andn2_b64 vcc, exec, s[4:5]
	v_lshl_add_u32 v3, v18, 6, v2
	s_cbranch_vccnz .LBB594_17
; %bb.7:
	s_movk_i32 s3, 0x100
	v_cmp_gt_u32_e32 vcc, s3, v3
	s_mov_b64 s[4:5], 0
	s_mov_b64 s[10:11], 0
                                        ; implicit-def: $vgpr5
                                        ; implicit-def: $vgpr0_vgpr1
	s_and_saveexec_b64 s[6:7], vcc
	s_cbranch_execz .LBB594_18
; %bb.8:
	v_lshl_or_b32 v4, s2, 8, v3
	v_mov_b32_e32 v5, 0
	s_ashr_i32 s11, s12, 31
	s_mov_b32 s10, s12
	v_cmp_gt_i64_e32 vcc, s[10:11], v[4:5]
	s_mov_b64 s[16:17], 0
                                        ; implicit-def: $vgpr0_vgpr1
	s_and_saveexec_b64 s[10:11], vcc
	s_cbranch_execz .LBB594_16
; %bb.9:
	v_mad_u64_u32 v[0:1], s[18:19], s30, v4, 0
	s_ashr_i32 s3, s30, 31
	v_mov_b32_e32 v6, v1
	v_cmp_eq_f32_e64 s[16:17], s28, 0
	v_mad_u64_u32 v[6:7], s[18:19], s3, v4, v[6:7]
	v_mov_b32_e32 v1, v6
	s_and_b64 vcc, exec, s[16:17]
	s_cbranch_vccnz .LBB594_15
; %bb.10:
	v_lshl_add_u64 v[4:5], v[0:1], 1, s[8:9]
	global_load_ushort v4, v[4:5], off
	s_mov_b32 s3, 0x7f800000
	s_waitcnt vmcnt(0)
	v_lshlrev_b32_e32 v4, 16, v4
	v_mul_f32_e32 v4, s28, v4
	v_and_b32_e32 v5, 0x7f800000, v4
	v_cmp_ne_u32_e32 vcc, s3, v5
                                        ; implicit-def: $vgpr5
	s_and_saveexec_b64 s[16:17], vcc
	s_xor_b64 s[16:17], exec, s[16:17]
; %bb.11:
	v_bfe_u32 v5, v4, 16, 1
	s_movk_i32 s3, 0x7fff
	v_add3_u32 v5, v4, v5, s3
                                        ; implicit-def: $vgpr4
; %bb.12:
	s_andn2_saveexec_b64 s[16:17], s[16:17]
; %bb.13:
	v_mov_b32_e32 v5, 0
	v_or_b32_e32 v6, 0x10000, v4
	v_cmp_eq_u32_sdwa vcc, v4, v5 src0_sel:WORD_0 src1_sel:DWORD
	s_nop 1
	v_cndmask_b32_e32 v5, v6, v4, vcc
; %bb.14:
	s_or_b64 exec, exec, s[16:17]
	v_lshrrev_b32_e32 v5, 16, v5
.LBB594_15:
	s_mov_b64 s[16:17], exec
.LBB594_16:
	s_or_b64 exec, exec, s[10:11]
	s_and_b64 s[10:11], s[16:17], exec
	s_or_b64 exec, exec, s[6:7]
	s_and_b64 vcc, exec, s[4:5]
	s_cbranch_vccnz .LBB594_19
	s_branch .LBB594_71
.LBB594_17:
	s_mov_b64 s[10:11], 0
                                        ; implicit-def: $vgpr5
                                        ; implicit-def: $vgpr0_vgpr1
	s_cbranch_execnz .LBB594_19
	s_branch .LBB594_71
.LBB594_18:
	s_or_b64 exec, exec, s[6:7]
	s_and_b64 vcc, exec, s[4:5]
	s_cbranch_vccz .LBB594_71
.LBB594_19:
	s_load_dword s33, s[0:1], 0x28
	s_load_dword s34, s[0:1], 0x48
	s_ashr_i32 s0, s13, 31
	s_lshr_b32 s0, s0, 26
	s_add_i32 s35, s13, s0
	s_lshl_b32 s31, s2, 8
	s_andn2_b32 s35, s35, 63
	v_lshlrev_b32_e32 v24, 2, v18
	v_add_u32_e32 v23, s31, v2
	v_cmp_gt_i32_e32 vcc, s35, v24
	v_mov_b32_e32 v19, 0
	v_mov_b32_e32 v20, 0
	;; [unrolled: 1-line block ×4, first 2 shown]
	s_and_saveexec_b64 s[16:17], vcc
	s_cbranch_execz .LBB594_31
; %bb.20:
	v_add_u32_e32 v0, 64, v23
	v_cmp_gt_i32_e64 s[0:1], s12, v0
	v_add_u32_e32 v0, 0x80, v23
	v_cmp_gt_i32_e64 s[2:3], s12, v0
	;; [unrolled: 2-line block ×3, first 2 shown]
	s_waitcnt lgkmcnt(0)
	v_mul_lo_u32 v0, s33, v24
	v_add_u32_e32 v6, 2, v24
	v_add_u32_e32 v7, 3, v24
	v_add3_u32 v25, v0, s33, v2
	v_mad_u64_u32 v[0:1], s[6:7], s33, v6, v[2:3]
	v_mad_u64_u32 v[4:5], s[6:7], s33, v7, v[2:3]
	v_mul_lo_u32 v1, v18, s33
	v_mul_lo_u32 v5, s34, v24
	;; [unrolled: 1-line block ×4, first 2 shown]
	v_cmp_gt_i32_e32 vcc, s12, v23
	s_lshl_b32 s36, s33, 6
	v_lshl_add_u32 v1, v1, 2, v2
	v_add_u32_e32 v5, s34, v5
	s_lshl_b32 s37, s34, 6
	v_mul_lo_u32 v27, s34, v7
	v_lshlrev_b32_e32 v28, 2, v6
	s_mov_b32 s38, 0
	s_mov_b64 s[18:19], 0
	v_mov_b32_e32 v19, 0
	v_mov_b32_e32 v20, 0
	;; [unrolled: 1-line block ×4, first 2 shown]
	s_branch .LBB594_25
.LBB594_21:                             ;   in Loop: Header=BB594_25 Depth=1
	s_or_b64 exec, exec, s[26:27]
	s_waitcnt vmcnt(0) lgkmcnt(0)
	v_lshlrev_b32_e32 v10, 16, v40
	v_fmac_f32_e32 v21, v8, v10
	v_lshlrev_b32_e32 v10, 16, v39
	v_fmac_f32_e32 v21, v9, v10
	;; [unrolled: 2-line block ×4, first 2 shown]
.LBB594_22:                             ;   in Loop: Header=BB594_25 Depth=1
	s_or_b64 exec, exec, s[24:25]
	s_waitcnt vmcnt(0) lgkmcnt(0)
	v_lshlrev_b32_e32 v10, 16, v36
	v_fmac_f32_e32 v20, v8, v10
	v_lshlrev_b32_e32 v10, 16, v35
	v_fmac_f32_e32 v20, v9, v10
	;; [unrolled: 2-line block ×4, first 2 shown]
.LBB594_23:                             ;   in Loop: Header=BB594_25 Depth=1
	s_or_b64 exec, exec, s[22:23]
	v_lshlrev_b32_e32 v10, 16, v32
	v_fmac_f32_e32 v19, v8, v10
	v_lshlrev_b32_e32 v8, 16, v31
	v_fmac_f32_e32 v19, v9, v8
	;; [unrolled: 2-line block ×4, first 2 shown]
.LBB594_24:                             ;   in Loop: Header=BB594_25 Depth=1
	s_or_b64 exec, exec, s[6:7]
	v_add_u32_e32 v24, 64, v24
	s_add_i32 s38, s38, s37
	v_cmp_le_i32_e64 s[6:7], s35, v24
	v_add_u32_e32 v25, s36, v25
	v_add_u32_e32 v0, s36, v0
	;; [unrolled: 1-line block ×3, first 2 shown]
	s_or_b64 s[18:19], s[6:7], s[18:19]
	v_add_u32_e32 v1, s36, v1
	s_andn2_b64 exec, exec, s[18:19]
	s_cbranch_execz .LBB594_30
.LBB594_25:                             ; =>This Inner Loop Header: Depth=1
	s_and_saveexec_b64 s[6:7], vcc
	s_cbranch_execz .LBB594_24
; %bb.26:                               ;   in Loop: Header=BB594_25 Depth=1
	v_add_u32_e32 v6, s38, v28
	v_ashrrev_i32_e32 v7, 31, v6
	v_add_u32_e32 v8, s38, v5
	v_add_u32_e32 v10, s38, v26
	;; [unrolled: 1-line block ×3, first 2 shown]
	v_lshl_add_u64 v[6:7], v[6:7], 1, s[20:21]
	v_ashrrev_i32_e32 v9, 31, v8
	v_ashrrev_i32_e32 v11, 31, v10
	;; [unrolled: 1-line block ×3, first 2 shown]
	v_lshl_add_u64 v[8:9], v[8:9], 1, s[20:21]
	v_lshl_add_u64 v[10:11], v[10:11], 1, s[20:21]
	;; [unrolled: 1-line block ×3, first 2 shown]
	flat_load_ushort v33, v[6:7]
	flat_load_ushort v34, v[8:9]
	;; [unrolled: 1-line block ×4, first 2 shown]
	v_add_u32_e32 v6, s31, v1
	v_ashrrev_i32_e32 v7, 31, v6
	v_lshl_add_u64 v[10:11], v[6:7], 1, s[14:15]
	v_add_u32_e32 v6, s31, v25
	v_ashrrev_i32_e32 v7, 31, v6
	v_lshl_add_u64 v[12:13], v[6:7], 1, s[14:15]
	v_add_u32_e32 v6, s31, v0
	v_ashrrev_i32_e32 v7, 31, v6
	v_lshl_add_u64 v[14:15], v[6:7], 1, s[14:15]
	v_add_u32_e32 v6, s31, v4
	v_ashrrev_i32_e32 v7, 31, v6
	v_lshl_add_u64 v[16:17], v[6:7], 1, s[14:15]
	flat_load_ushort v32, v[10:11]
	flat_load_ushort v31, v[12:13]
	;; [unrolled: 1-line block ×4, first 2 shown]
	s_waitcnt vmcnt(0) lgkmcnt(0)
	v_lshlrev_b32_e32 v8, 16, v33
	v_lshlrev_b32_e32 v9, 16, v34
	;; [unrolled: 1-line block ×4, first 2 shown]
	s_and_saveexec_b64 s[22:23], s[0:1]
	s_cbranch_execz .LBB594_23
; %bb.27:                               ;   in Loop: Header=BB594_25 Depth=1
	flat_load_ushort v36, v[10:11] offset:128
	flat_load_ushort v35, v[12:13] offset:128
	flat_load_ushort v34, v[14:15] offset:128
	flat_load_ushort v33, v[16:17] offset:128
	s_and_saveexec_b64 s[24:25], s[2:3]
	s_cbranch_execz .LBB594_22
; %bb.28:                               ;   in Loop: Header=BB594_25 Depth=1
	flat_load_ushort v40, v[10:11] offset:256
	flat_load_ushort v39, v[12:13] offset:256
	flat_load_ushort v38, v[14:15] offset:256
	flat_load_ushort v37, v[16:17] offset:256
	;; [unrolled: 7-line block ×3, first 2 shown]
	s_waitcnt vmcnt(0) lgkmcnt(0)
	v_lshlrev_b32_e32 v11, 16, v41
	v_lshlrev_b32_e32 v10, 16, v42
	v_pk_mul_f32 v[10:11], v[8:9], v[10:11]
	v_lshlrev_b32_e32 v13, 16, v43
	v_lshlrev_b32_e32 v12, 16, v44
	v_add_f32_e32 v10, v22, v10
	v_add_f32_e32 v14, v10, v11
	v_pk_mul_f32 v[10:11], v[6:7], v[12:13]
	s_nop 0
	v_add_f32_e32 v10, v14, v10
	v_add_f32_e32 v22, v10, v11
	s_branch .LBB594_21
.LBB594_30:
	s_or_b64 exec, exec, s[18:19]
.LBB594_31:
	s_or_b64 exec, exec, s[16:17]
	s_sub_i32 s0, s13, s35
	s_cmp_lt_i32 s0, 1
	s_cbranch_scc1 .LBB594_49
; %bb.32:
	v_cmp_gt_i32_e32 vcc, s13, v24
	v_mov_b32_e32 v10, 0
	v_or_b32_e32 v4, 1, v24
	v_mov_b32_e32 v11, 0
	v_mov_b32_e32 v12, 0
	;; [unrolled: 1-line block ×3, first 2 shown]
	s_and_saveexec_b64 s[2:3], vcc
	s_cbranch_execz .LBB594_40
; %bb.33:
	s_waitcnt lgkmcnt(0)
	v_mul_lo_u32 v0, v24, s34
	v_ashrrev_i32_e32 v1, 31, v0
	v_lshl_add_u64 v[0:1], v[0:1], 1, s[20:21]
	flat_load_ushort v0, v[0:1]
	v_cmp_gt_i32_e64 s[0:1], s13, v4
	v_mov_b32_e32 v12, 0
	v_mov_b32_e32 v11, 0
	;; [unrolled: 1-line block ×3, first 2 shown]
	s_and_saveexec_b64 s[4:5], s[0:1]
	s_cbranch_execz .LBB594_39
; %bb.34:
	v_mul_lo_u32 v6, v4, s34
	v_ashrrev_i32_e32 v7, 31, v6
	v_lshl_add_u64 v[6:7], v[6:7], 1, s[20:21]
	flat_load_ushort v1, v[6:7]
	v_or_b32_e32 v5, 2, v24
	v_cmp_gt_i32_e64 s[0:1], s13, v5
	v_mov_b32_e32 v11, 0
	v_mov_b32_e32 v10, 0
	s_and_saveexec_b64 s[6:7], s[0:1]
	s_cbranch_execz .LBB594_38
; %bb.35:
	v_mul_lo_u32 v6, v5, s34
	v_ashrrev_i32_e32 v7, 31, v6
	v_lshl_add_u64 v[6:7], v[6:7], 1, s[20:21]
	flat_load_ushort v5, v[6:7]
	v_or_b32_e32 v6, 3, v24
	v_cmp_gt_i32_e64 s[0:1], s13, v6
	v_mov_b32_e32 v10, 0
	s_and_saveexec_b64 s[16:17], s[0:1]
	s_cbranch_execz .LBB594_37
; %bb.36:
	v_mul_lo_u32 v6, v6, s34
	v_ashrrev_i32_e32 v7, 31, v6
	v_lshl_add_u64 v[6:7], v[6:7], 1, s[20:21]
	flat_load_ushort v6, v[6:7]
	s_waitcnt vmcnt(0) lgkmcnt(0)
	v_lshlrev_b32_e32 v10, 16, v6
.LBB594_37:
	s_or_b64 exec, exec, s[16:17]
	s_waitcnt vmcnt(0) lgkmcnt(0)
	v_lshlrev_b32_e32 v11, 16, v5
.LBB594_38:
	s_or_b64 exec, exec, s[6:7]
	s_waitcnt vmcnt(0) lgkmcnt(0)
	v_lshlrev_b32_e32 v12, 16, v1
.LBB594_39:
	s_or_b64 exec, exec, s[4:5]
	s_waitcnt vmcnt(0) lgkmcnt(0)
	v_lshlrev_b32_e32 v13, 16, v0
.LBB594_40:
	s_or_b64 exec, exec, s[2:3]
	v_cmp_gt_i32_e64 s[0:1], s12, v23
	s_and_saveexec_b64 s[2:3], s[0:1]
	s_cbranch_execz .LBB594_48
; %bb.41:
	s_waitcnt lgkmcnt(0)
	v_mul_lo_u32 v0, v24, s33
	v_cndmask_b32_e32 v0, 0, v0, vcc
	v_mul_lo_u32 v5, v4, s33
	v_cmp_gt_i32_e32 vcc, s13, v4
	v_or_b32_e32 v6, 2, v24
	v_add_u32_e32 v0, v0, v23
	v_cndmask_b32_e32 v4, 0, v5, vcc
	v_mul_lo_u32 v7, v6, s33
	v_cmp_gt_i32_e32 vcc, s13, v6
	v_or_b32_e32 v8, 3, v24
	v_ashrrev_i32_e32 v1, 31, v0
	v_add_u32_e32 v4, v4, v23
	v_cndmask_b32_e32 v6, 0, v7, vcc
	v_mul_lo_u32 v9, v8, s33
	v_cmp_gt_i32_e32 vcc, s13, v8
	v_lshl_add_u64 v[0:1], v[0:1], 1, s[14:15]
	v_ashrrev_i32_e32 v5, 31, v4
	v_add_u32_e32 v6, v6, v23
	v_cndmask_b32_e32 v8, 0, v9, vcc
	v_lshl_add_u64 v[4:5], v[4:5], 1, s[14:15]
	v_ashrrev_i32_e32 v7, 31, v6
	v_add_u32_e32 v8, v8, v23
	flat_load_ushort v14, v[0:1]
	flat_load_ushort v15, v[4:5]
	v_lshl_add_u64 v[6:7], v[6:7], 1, s[14:15]
	v_ashrrev_i32_e32 v9, 31, v8
	v_lshl_add_u64 v[8:9], v[8:9], 1, s[14:15]
	flat_load_ushort v16, v[6:7]
	flat_load_ushort v17, v[8:9]
	v_add_u32_e32 v24, 64, v23
	v_cmp_gt_i32_e32 vcc, s12, v24
	s_waitcnt vmcnt(0) lgkmcnt(0)
	v_lshlrev_b32_e32 v14, 16, v14
	v_lshlrev_b32_e32 v15, 16, v15
	v_fmac_f32_e32 v19, v13, v14
	v_fmac_f32_e32 v19, v12, v15
	v_lshlrev_b32_e32 v16, 16, v16
	v_lshlrev_b32_e32 v14, 16, v17
	v_fmac_f32_e32 v19, v11, v16
	s_and_saveexec_b64 s[0:1], vcc
	s_cbranch_execz .LBB594_47
; %bb.42:
	flat_load_ushort v15, v[0:1] offset:128
	flat_load_ushort v16, v[4:5] offset:128
	;; [unrolled: 1-line block ×4, first 2 shown]
	v_add_u32_e32 v25, 0x80, v23
	v_cmp_gt_i32_e32 vcc, s12, v25
	s_waitcnt vmcnt(0) lgkmcnt(0)
	v_lshlrev_b32_e32 v26, 16, v15
	v_lshlrev_b32_e32 v16, 16, v16
	v_fmac_f32_e32 v20, v13, v26
	v_lshlrev_b32_e32 v17, 16, v17
	v_fmac_f32_e32 v20, v12, v16
	v_lshlrev_b32_e32 v15, 16, v24
	v_fmac_f32_e32 v20, v11, v17
	s_and_saveexec_b64 s[4:5], vcc
	s_cbranch_execz .LBB594_46
; %bb.43:
	flat_load_ushort v16, v[0:1] offset:256
	flat_load_ushort v17, v[4:5] offset:256
	;; [unrolled: 1-line block ×4, first 2 shown]
	v_add_u32_e32 v23, 0xc0, v23
	v_cmp_gt_i32_e32 vcc, s12, v23
	s_waitcnt vmcnt(0) lgkmcnt(0)
	v_lshlrev_b32_e32 v26, 16, v16
	v_lshlrev_b32_e32 v17, 16, v17
	v_fmac_f32_e32 v21, v13, v26
	v_lshlrev_b32_e32 v24, 16, v24
	v_fmac_f32_e32 v21, v12, v17
	;; [unrolled: 2-line block ×3, first 2 shown]
	s_and_saveexec_b64 s[6:7], vcc
	s_cbranch_execz .LBB594_45
; %bb.44:
	flat_load_ushort v17, v[0:1] offset:384
	flat_load_ushort v23, v[4:5] offset:384
	;; [unrolled: 1-line block ×4, first 2 shown]
	s_waitcnt vmcnt(0) lgkmcnt(0)
	v_lshlrev_b32_e32 v0, 16, v17
	v_lshlrev_b32_e32 v1, 16, v23
	v_fmac_f32_e32 v22, v13, v0
	v_lshlrev_b32_e32 v4, 16, v24
	v_fmac_f32_e32 v22, v12, v1
	v_fmac_f32_e32 v22, v11, v4
	v_lshlrev_b32_e32 v0, 16, v25
	v_fmac_f32_e32 v22, v10, v0
.LBB594_45:
	s_or_b64 exec, exec, s[6:7]
	v_fmac_f32_e32 v21, v10, v16
.LBB594_46:
	s_or_b64 exec, exec, s[4:5]
	v_fmac_f32_e32 v20, v10, v15
.LBB594_47:
	s_or_b64 exec, exec, s[0:1]
	v_fmac_f32_e32 v19, v10, v14
.LBB594_48:
	s_or_b64 exec, exec, s[2:3]
.LBB594_49:
	v_lshlrev_b32_e32 v0, 8, v18
	s_movk_i32 s0, 0x100
	v_add_lshl_u32 v0, v0, v2, 2
	v_cmp_gt_u32_e32 vcc, s0, v3
	ds_write2st64_b32 v0, v19, v20 offset1:1
	ds_write2st64_b32 v0, v21, v22 offset0:2 offset1:3
	s_waitcnt lgkmcnt(0)
	s_barrier
	s_waitcnt lgkmcnt(0)
                                        ; implicit-def: $vgpr5
                                        ; implicit-def: $vgpr0_vgpr1
	s_and_saveexec_b64 s[0:1], vcc
	s_cbranch_execz .LBB594_70
; %bb.50:
	v_lshlrev_b32_e32 v12, 2, v3
	ds_read2st64_b32 v[0:1], v12 offset1:4
	ds_read2st64_b32 v[4:5], v12 offset0:8 offset1:12
	ds_read2st64_b32 v[6:7], v12 offset0:16 offset1:20
	;; [unrolled: 1-line block ×4, first 2 shown]
	s_waitcnt lgkmcnt(4)
	v_add_f32_e32 v0, v0, v1
	s_waitcnt lgkmcnt(3)
	v_add_f32_e32 v0, v4, v0
	v_add_f32_e32 v0, v5, v0
	s_waitcnt lgkmcnt(2)
	v_add_f32_e32 v0, v6, v0
	;; [unrolled: 3-line block ×3, first 2 shown]
	v_add_f32_e32 v2, v9, v0
	ds_read2st64_b32 v[0:1], v12 offset0:40 offset1:44
	ds_read2st64_b32 v[4:5], v12 offset0:48 offset1:52
	s_waitcnt lgkmcnt(2)
	v_add_f32_e32 v2, v10, v2
	v_add_f32_e32 v2, v11, v2
	ds_read2st64_b32 v[6:7], v12 offset0:56 offset1:60
	s_waitcnt lgkmcnt(2)
	v_add_f32_e32 v0, v0, v2
	v_add_f32_e32 v0, v1, v0
	s_waitcnt lgkmcnt(1)
	v_add_f32_e32 v0, v4, v0
	v_add_f32_e32 v0, v5, v0
	s_waitcnt lgkmcnt(0)
	v_add_f32_e32 v0, v6, v0
	v_or_b32_e32 v4, s31, v3
	v_add_f32_e32 v2, v7, v0
	v_cmp_gt_i32_e32 vcc, s12, v4
	s_mov_b64 s[4:5], s[10:11]
	ds_write_b32 v12, v2
                                        ; implicit-def: $vgpr5
                                        ; implicit-def: $vgpr0_vgpr1
	s_and_saveexec_b64 s[2:3], vcc
	s_cbranch_execz .LBB594_69
; %bb.51:
	v_cmp_eq_f32_e64 s[4:5], s28, 0
	v_mul_f32_e32 v2, s29, v2
	s_and_b64 vcc, exec, s[4:5]
	s_cbranch_vccz .LBB594_57
; %bb.52:
	s_mov_b32 s4, 0x7f800000
	v_and_b32_e32 v0, 0x7f800000, v2
	v_cmp_ne_u32_e32 vcc, s4, v0
                                        ; implicit-def: $vgpr3
	s_and_saveexec_b64 s[4:5], vcc
	s_xor_b64 s[4:5], exec, s[4:5]
; %bb.53:
	v_bfe_u32 v0, v2, 16, 1
	s_movk_i32 s6, 0x7fff
	v_add3_u32 v3, v2, v0, s6
; %bb.54:
	s_andn2_saveexec_b64 s[4:5], s[4:5]
; %bb.55:
	v_mov_b32_e32 v0, 0
	v_or_b32_e32 v1, 0x10000, v2
	v_cmp_eq_u32_sdwa vcc, v2, v0 src0_sel:WORD_0 src1_sel:DWORD
	s_nop 1
	v_cndmask_b32_e32 v3, v1, v2, vcc
; %bb.56:
	s_or_b64 exec, exec, s[4:5]
	s_mov_b64 s[4:5], 0
	s_branch .LBB594_58
.LBB594_57:
	s_mov_b64 s[4:5], -1
                                        ; implicit-def: $vgpr3
.LBB594_58:
	v_mul_lo_u32 v0, v4, s30
	s_andn2_b64 vcc, exec, s[4:5]
	v_ashrrev_i32_e32 v1, 31, v0
	s_cbranch_vccnz .LBB594_68
; %bb.59:
	v_lshl_add_u64 v[4:5], v[0:1], 1, s[8:9]
	global_load_ushort v3, v[4:5], off
	s_mov_b32 s4, 0x7f800000
	s_waitcnt vmcnt(0)
	v_lshlrev_b32_e32 v3, 16, v3
	v_mul_f32_e32 v3, s28, v3
	v_and_b32_e32 v4, 0x7f800000, v3
	v_cmp_ne_u32_e32 vcc, s4, v4
                                        ; implicit-def: $vgpr4
	s_and_saveexec_b64 s[4:5], vcc
	s_xor_b64 s[4:5], exec, s[4:5]
; %bb.60:
	v_bfe_u32 v4, v3, 16, 1
	s_movk_i32 s6, 0x7fff
	v_add3_u32 v4, v3, v4, s6
                                        ; implicit-def: $vgpr3
; %bb.61:
	s_andn2_saveexec_b64 s[4:5], s[4:5]
; %bb.62:
	v_mov_b32_e32 v4, 0
	v_or_b32_e32 v5, 0x10000, v3
	v_cmp_eq_u32_sdwa vcc, v3, v4 src0_sel:WORD_0 src1_sel:DWORD
	s_nop 1
	v_cndmask_b32_e32 v4, v5, v3, vcc
; %bb.63:
	s_or_b64 exec, exec, s[4:5]
	v_and_b32_e32 v3, 0xffff0000, v4
	v_add_f32_e32 v2, v2, v3
	s_mov_b32 s4, 0x7f800000
	v_and_b32_e32 v3, 0x7f800000, v2
	v_cmp_ne_u32_e32 vcc, s4, v3
                                        ; implicit-def: $vgpr3
	s_and_saveexec_b64 s[4:5], vcc
	s_xor_b64 s[4:5], exec, s[4:5]
; %bb.64:
	v_bfe_u32 v3, v2, 16, 1
	s_movk_i32 s6, 0x7fff
	v_add3_u32 v3, v2, v3, s6
                                        ; implicit-def: $vgpr2
; %bb.65:
	s_andn2_saveexec_b64 s[4:5], s[4:5]
; %bb.66:
	v_mov_b32_e32 v3, 0
	v_or_b32_e32 v4, 0x10000, v2
	v_cmp_eq_u32_sdwa vcc, v2, v3 src0_sel:WORD_0 src1_sel:DWORD
	s_nop 1
	v_cndmask_b32_e32 v3, v4, v2, vcc
; %bb.67:
	s_or_b64 exec, exec, s[4:5]
.LBB594_68:
	v_lshrrev_b32_e32 v5, 16, v3
	s_or_b64 s[4:5], s[10:11], exec
.LBB594_69:
	s_or_b64 exec, exec, s[2:3]
	s_andn2_b64 s[2:3], s[10:11], exec
	s_and_b64 s[4:5], s[4:5], exec
	s_or_b64 s[10:11], s[2:3], s[4:5]
.LBB594_70:
	s_or_b64 exec, exec, s[0:1]
.LBB594_71:
	s_and_saveexec_b64 s[0:1], s[10:11]
	s_cbranch_execz .LBB594_73
; %bb.72:
	v_lshl_add_u64 v[0:1], v[0:1], 1, s[8:9]
	global_store_short v[0:1], v5, off
.LBB594_73:
	s_endpgm
	.section	.rodata,"a",@progbits
	.p2align	6, 0x0
	.amdhsa_kernel _ZL20rocblas_gemvn_kernelILi64ELi16EiPK16rocblas_bfloat16PKfKPS0_EviiT3_lPKT2_lT1_lSA_lSB_lS7_lPT4_lSB_li
		.amdhsa_group_segment_fixed_size 16384
		.amdhsa_private_segment_fixed_size 0
		.amdhsa_kernarg_size 400
		.amdhsa_user_sgpr_count 2
		.amdhsa_user_sgpr_dispatch_ptr 0
		.amdhsa_user_sgpr_queue_ptr 0
		.amdhsa_user_sgpr_kernarg_segment_ptr 1
		.amdhsa_user_sgpr_dispatch_id 0
		.amdhsa_user_sgpr_kernarg_preload_length 0
		.amdhsa_user_sgpr_kernarg_preload_offset 0
		.amdhsa_user_sgpr_private_segment_size 0
		.amdhsa_uses_dynamic_stack 0
		.amdhsa_enable_private_segment 0
		.amdhsa_system_sgpr_workgroup_id_x 1
		.amdhsa_system_sgpr_workgroup_id_y 0
		.amdhsa_system_sgpr_workgroup_id_z 1
		.amdhsa_system_sgpr_workgroup_info 0
		.amdhsa_system_vgpr_workitem_id 1
		.amdhsa_next_free_vgpr 45
		.amdhsa_next_free_sgpr 39
		.amdhsa_accum_offset 48
		.amdhsa_reserve_vcc 1
		.amdhsa_float_round_mode_32 0
		.amdhsa_float_round_mode_16_64 0
		.amdhsa_float_denorm_mode_32 3
		.amdhsa_float_denorm_mode_16_64 3
		.amdhsa_dx10_clamp 1
		.amdhsa_ieee_mode 1
		.amdhsa_fp16_overflow 0
		.amdhsa_tg_split 0
		.amdhsa_exception_fp_ieee_invalid_op 0
		.amdhsa_exception_fp_denorm_src 0
		.amdhsa_exception_fp_ieee_div_zero 0
		.amdhsa_exception_fp_ieee_overflow 0
		.amdhsa_exception_fp_ieee_underflow 0
		.amdhsa_exception_fp_ieee_inexact 0
		.amdhsa_exception_int_div_zero 0
	.end_amdhsa_kernel
	.section	.text._ZL20rocblas_gemvn_kernelILi64ELi16EiPK16rocblas_bfloat16PKfKPS0_EviiT3_lPKT2_lT1_lSA_lSB_lS7_lPT4_lSB_li,"axG",@progbits,_ZL20rocblas_gemvn_kernelILi64ELi16EiPK16rocblas_bfloat16PKfKPS0_EviiT3_lPKT2_lT1_lSA_lSB_lS7_lPT4_lSB_li,comdat
.Lfunc_end594:
	.size	_ZL20rocblas_gemvn_kernelILi64ELi16EiPK16rocblas_bfloat16PKfKPS0_EviiT3_lPKT2_lT1_lSA_lSB_lS7_lPT4_lSB_li, .Lfunc_end594-_ZL20rocblas_gemvn_kernelILi64ELi16EiPK16rocblas_bfloat16PKfKPS0_EviiT3_lPKT2_lT1_lSA_lSB_lS7_lPT4_lSB_li
                                        ; -- End function
	.section	.AMDGPU.csdata,"",@progbits
; Kernel info:
; codeLenInByte = 2908
; NumSgprs: 45
; NumVgprs: 45
; NumAgprs: 0
; TotalNumVgprs: 45
; ScratchSize: 0
; MemoryBound: 0
; FloatMode: 240
; IeeeMode: 1
; LDSByteSize: 16384 bytes/workgroup (compile time only)
; SGPRBlocks: 5
; VGPRBlocks: 5
; NumSGPRsForWavesPerEU: 45
; NumVGPRsForWavesPerEU: 45
; AccumOffset: 48
; Occupancy: 8
; WaveLimiterHint : 1
; COMPUTE_PGM_RSRC2:SCRATCH_EN: 0
; COMPUTE_PGM_RSRC2:USER_SGPR: 2
; COMPUTE_PGM_RSRC2:TRAP_HANDLER: 0
; COMPUTE_PGM_RSRC2:TGID_X_EN: 1
; COMPUTE_PGM_RSRC2:TGID_Y_EN: 0
; COMPUTE_PGM_RSRC2:TGID_Z_EN: 1
; COMPUTE_PGM_RSRC2:TIDIG_COMP_CNT: 1
; COMPUTE_PGM_RSRC3_GFX90A:ACCUM_OFFSET: 11
; COMPUTE_PGM_RSRC3_GFX90A:TG_SPLIT: 0
	.section	.text._ZL20rocblas_gemvn_kernelILi64ELi16ElPK16rocblas_bfloat16PKfKPS0_EviiT3_lPKT2_lT1_lSA_lSB_lS7_lPT4_lSB_li,"axG",@progbits,_ZL20rocblas_gemvn_kernelILi64ELi16ElPK16rocblas_bfloat16PKfKPS0_EviiT3_lPKT2_lT1_lSA_lSB_lS7_lPT4_lSB_li,comdat
	.globl	_ZL20rocblas_gemvn_kernelILi64ELi16ElPK16rocblas_bfloat16PKfKPS0_EviiT3_lPKT2_lT1_lSA_lSB_lS7_lPT4_lSB_li ; -- Begin function _ZL20rocblas_gemvn_kernelILi64ELi16ElPK16rocblas_bfloat16PKfKPS0_EviiT3_lPKT2_lT1_lSA_lSB_lS7_lPT4_lSB_li
	.p2align	8
	.type	_ZL20rocblas_gemvn_kernelILi64ELi16ElPK16rocblas_bfloat16PKfKPS0_EviiT3_lPKT2_lT1_lSA_lSB_lS7_lPT4_lSB_li,@function
_ZL20rocblas_gemvn_kernelILi64ELi16ElPK16rocblas_bfloat16PKfKPS0_EviiT3_lPKT2_lT1_lSA_lSB_lS7_lPT4_lSB_li: ; @_ZL20rocblas_gemvn_kernelILi64ELi16ElPK16rocblas_bfloat16PKfKPS0_EviiT3_lPKT2_lT1_lSA_lSB_lS7_lPT4_lSB_li
; %bb.0:
	s_load_dwordx2 s[4:5], s[0:1], 0x9c
	s_mov_b32 s26, s3
	s_waitcnt lgkmcnt(0)
	s_and_b32 s3, s5, 0xffff
	s_lshr_b32 s5, s4, 16
	s_and_b32 s4, s4, 0xffff
	s_mul_i32 s4, s5, s4
	s_mul_i32 s4, s4, s3
	s_cmpk_lg_i32 s4, 0x400
	s_cbranch_scc1 .LBB595_73
; %bb.1:
	s_load_dwordx8 s[12:19], s[0:1], 0x8
	s_load_dwordx8 s[4:11], s[0:1], 0x58
	s_waitcnt lgkmcnt(0)
	s_mul_i32 s3, s26, s15
	s_mul_hi_u32 s15, s26, s14
	s_mul_i32 s14, s26, s14
	s_add_i32 s15, s15, s3
	s_lshl_b64 s[14:15], s[14:15], 2
	s_mul_i32 s7, s26, s7
	s_add_u32 s12, s12, s14
	s_mul_hi_u32 s3, s26, s6
	s_addc_u32 s13, s13, s15
	s_add_i32 s7, s3, s7
	s_mul_i32 s6, s26, s6
	s_lshl_b64 s[6:7], s[6:7], 2
	s_add_u32 s4, s4, s6
	s_addc_u32 s5, s5, s7
	s_load_dword s42, s[12:13], 0x0
	s_load_dword s33, s[4:5], 0x0
	s_waitcnt lgkmcnt(0)
	v_cmp_eq_f32_e64 s[28:29], s42, 0
	v_cmp_eq_f32_e64 s[4:5], s33, 1.0
	s_and_b64 s[4:5], s[28:29], s[4:5]
	s_and_b64 vcc, exec, s[4:5]
	s_cbranch_vccnz .LBB595_73
; %bb.2:
	s_load_dwordx2 s[20:21], s[0:1], 0x28
	s_load_dwordx2 s[12:13], s[0:1], 0x78
	s_mov_b32 s27, 0
	v_cmp_neq_f32_e64 s[14:15], s42, 0
	s_mov_b64 s[24:25], 0
	s_and_b64 vcc, exec, s[28:29]
	s_mov_b64 s[22:23], 0
	s_cbranch_vccnz .LBB595_4
; %bb.3:
	s_lshl_b64 s[4:5], s[26:27], 3
	s_add_u32 s4, s16, s4
	s_addc_u32 s5, s17, s5
	s_load_dwordx2 s[4:5], s[4:5], 0x0
	s_lshl_b64 s[6:7], s[18:19], 1
	s_waitcnt lgkmcnt(0)
	s_add_u32 s22, s4, s6
	s_addc_u32 s23, s5, s7
.LBB595_4:
	s_load_dwordx4 s[4:7], s[0:1], 0x38
	s_load_dwordx2 s[16:17], s[0:1], 0x48
	s_andn2_b64 vcc, exec, s[14:15]
	s_cbranch_vccnz .LBB595_6
; %bb.5:
	s_lshl_b64 s[14:15], s[26:27], 3
	s_waitcnt lgkmcnt(0)
	s_add_u32 s4, s4, s14
	s_addc_u32 s5, s5, s15
	s_load_dwordx2 s[4:5], s[4:5], 0x0
	s_lshl_b64 s[6:7], s[6:7], 1
	s_waitcnt lgkmcnt(0)
	s_add_u32 s24, s4, s6
	s_addc_u32 s25, s5, s7
.LBB595_6:
	s_waitcnt lgkmcnt(0)
	s_lshl_b64 s[4:5], s[26:27], 3
	s_add_u32 s4, s8, s4
	s_addc_u32 s5, s9, s5
	s_load_dwordx2 s[6:7], s[4:5], 0x0
	s_load_dwordx2 s[14:15], s[0:1], 0x0
	s_lshl_b64 s[0:1], s[10:11], 1
	v_and_b32_e32 v33, 0x3ff, v0
	v_bfe_u32 v34, v0, 10, 10
	s_waitcnt lgkmcnt(0)
	s_add_u32 s8, s6, s0
	s_addc_u32 s9, s7, s1
	s_andn2_b64 vcc, exec, s[28:29]
	v_lshl_add_u32 v32, v34, 6, v33
	s_cbranch_vccnz .LBB595_17
; %bb.7:
	s_movk_i32 s0, 0x100
	v_cmp_gt_u32_e32 vcc, s0, v32
	s_mov_b64 s[0:1], 0
	s_mov_b64 s[10:11], 0
                                        ; implicit-def: $vgpr3
                                        ; implicit-def: $vgpr0_vgpr1
	s_and_saveexec_b64 s[4:5], vcc
	s_cbranch_execz .LBB595_18
; %bb.8:
	v_lshl_or_b32 v2, s2, 8, v32
	v_mov_b32_e32 v3, 0
	s_ashr_i32 s7, s14, 31
	s_mov_b32 s6, s14
	v_cmp_gt_i64_e32 vcc, s[6:7], v[2:3]
                                        ; implicit-def: $vgpr0_vgpr1
	s_and_saveexec_b64 s[6:7], vcc
	s_cbranch_execz .LBB595_16
; %bb.9:
	v_mad_u64_u32 v[0:1], s[18:19], v2, s12, 0
	v_mov_b32_e32 v4, v1
	v_cmp_eq_f32_e64 s[10:11], s33, 0
	v_mad_u64_u32 v[4:5], s[18:19], v2, s13, v[4:5]
	v_mov_b32_e32 v1, v4
	s_and_b64 vcc, exec, s[10:11]
	s_cbranch_vccnz .LBB595_15
; %bb.10:
	v_lshl_add_u64 v[2:3], v[0:1], 1, s[8:9]
	global_load_ushort v2, v[2:3], off
	s_mov_b32 s3, 0x7f800000
	s_waitcnt vmcnt(0)
	v_lshlrev_b32_e32 v2, 16, v2
	v_mul_f32_e32 v2, s33, v2
	v_and_b32_e32 v3, 0x7f800000, v2
	v_cmp_ne_u32_e32 vcc, s3, v3
                                        ; implicit-def: $vgpr3
	s_and_saveexec_b64 s[10:11], vcc
	s_xor_b64 s[10:11], exec, s[10:11]
; %bb.11:
	v_bfe_u32 v3, v2, 16, 1
	s_movk_i32 s3, 0x7fff
	v_add3_u32 v3, v2, v3, s3
                                        ; implicit-def: $vgpr2
; %bb.12:
	s_andn2_saveexec_b64 s[10:11], s[10:11]
; %bb.13:
	v_mov_b32_e32 v3, 0
	v_or_b32_e32 v4, 0x10000, v2
	v_cmp_eq_u32_sdwa vcc, v2, v3 src0_sel:WORD_0 src1_sel:DWORD
	s_nop 1
	v_cndmask_b32_e32 v3, v4, v2, vcc
; %bb.14:
	s_or_b64 exec, exec, s[10:11]
	v_lshrrev_b32_e32 v3, 16, v3
.LBB595_15:
	s_mov_b64 s[10:11], exec
.LBB595_16:
	s_or_b64 exec, exec, s[6:7]
	s_and_b64 s[10:11], s[10:11], exec
	s_or_b64 exec, exec, s[4:5]
	s_and_b64 vcc, exec, s[0:1]
	s_cbranch_vccnz .LBB595_19
	s_branch .LBB595_71
.LBB595_17:
	s_mov_b64 s[10:11], 0
                                        ; implicit-def: $vgpr3
                                        ; implicit-def: $vgpr0_vgpr1
	s_cbranch_execnz .LBB595_19
	s_branch .LBB595_71
.LBB595_18:
	s_or_b64 exec, exec, s[4:5]
	s_and_b64 vcc, exec, s[0:1]
	s_cbranch_vccz .LBB595_71
.LBB595_19:
	s_ashr_i32 s0, s15, 31
	s_lshr_b32 s0, s0, 26
	s_add_i32 s44, s15, s0
	s_lshl_b32 s43, s2, 8
	s_andn2_b32 s44, s44, 63
	v_lshlrev_b32_e32 v39, 2, v34
	v_add_u32_e32 v0, s43, v33
	v_cmp_gt_i32_e32 vcc, s44, v39
	v_mov_b32_e32 v35, 0
	v_mov_b32_e32 v36, 0
	;; [unrolled: 1-line block ×4, first 2 shown]
	s_and_saveexec_b64 s[18:19], vcc
	s_cbranch_execz .LBB595_31
; %bb.20:
	v_add_u32_e32 v2, 64, v0
	v_cmp_gt_i32_e64 s[0:1], s14, v2
	v_add_u32_e32 v2, 0x80, v0
	v_ashrrev_i32_e32 v1, 31, v0
	v_cmp_gt_i32_e64 s[2:3], s14, v2
	v_add_u32_e32 v2, 0xc0, v0
	v_cmp_gt_i32_e64 s[4:5], s14, v2
	v_lshlrev_b64 v[2:3], 1, v[0:1]
	v_lshlrev_b32_e32 v1, 2, v34
	v_or_b32_e32 v15, 3, v1
	v_mad_u64_u32 v[4:5], s[6:7], s20, v15, 0
	v_mov_b32_e32 v6, v5
	v_mad_u64_u32 v[6:7], s[6:7], s21, v15, v[6:7]
	v_mov_b32_e32 v5, v6
	v_mad_u64_u32 v[6:7], s[6:7], s16, v34, 0
	v_mov_b32_e32 v8, v7
	v_mad_u64_u32 v[8:9], s[6:7], s17, v34, v[8:9]
	v_mov_b32_e32 v7, v8
	v_mad_u64_u32 v[8:9], s[6:7], s20, v34, 0
	v_mov_b32_e32 v10, v9
	v_mad_u64_u32 v[10:11], s[6:7], s21, v34, v[10:11]
	v_mov_b32_e32 v9, v10
	v_mov_b64_e32 v[10:11], s[16:17]
	v_mad_u64_u32 v[10:11], s[6:7], s16, v1, v[10:11]
	v_mov_b32_e32 v12, v11
	v_mad_u64_u32 v[12:13], s[6:7], s17, v1, v[12:13]
	v_mov_b32_e32 v11, v12
	;; [unrolled: 2-line block ×3, first 2 shown]
	v_mad_u64_u32 v[14:15], s[6:7], s17, v15, v[14:15]
	v_or_b32_e32 v21, 2, v1
	v_mov_b32_e32 v13, v14
	v_mad_u64_u32 v[14:15], s[6:7], s20, v21, 0
	v_mov_b32_e32 v16, v15
	v_mad_u64_u32 v[16:17], s[6:7], s21, v21, v[16:17]
	v_mov_b32_e32 v15, v16
	v_mov_b64_e32 v[16:17], s[20:21]
	v_mad_u64_u32 v[16:17], s[6:7], s20, v1, v[16:17]
	v_mov_b32_e32 v18, v17
	v_mad_u64_u32 v[18:19], s[6:7], s21, v1, v[18:19]
	v_mov_b32_e32 v17, v18
	;; [unrolled: 2-line block ×4, first 2 shown]
	v_cmp_gt_i32_e32 vcc, s14, v0
	v_lshl_add_u64 v[4:5], v[4:5], 1, s[22:23]
	s_lshl_b64 s[26:27], s[20:21], 7
	v_lshlrev_b64 v[6:7], 3, v[6:7]
	s_lshl_b64 s[28:29], s[16:17], 7
	v_lshl_add_u64 v[8:9], v[8:9], 3, s[22:23]
	v_lshlrev_b64 v[10:11], 1, v[10:11]
	v_lshlrev_b64 v[12:13], 1, v[12:13]
	v_lshl_add_u64 v[14:15], v[14:15], 1, s[22:23]
	v_lshl_add_u64 v[16:17], v[16:17], 1, s[22:23]
	v_lshlrev_b64 v[18:19], 1, v[18:19]
	s_mov_b64 s[30:31], 0
	v_mov_b32_e32 v35, 0
	s_mov_b64 s[34:35], s[24:25]
	v_mov_b32_e32 v36, 0
	v_mov_b32_e32 v37, 0
	v_mov_b32_e32 v38, 0
	s_branch .LBB595_25
.LBB595_21:                             ;   in Loop: Header=BB595_25 Depth=1
	s_or_b64 exec, exec, s[40:41]
	s_waitcnt vmcnt(0) lgkmcnt(0)
	v_lshlrev_b32_e32 v24, 16, v50
	v_fmac_f32_e32 v37, v22, v24
	v_lshlrev_b32_e32 v24, 16, v49
	v_fmac_f32_e32 v37, v23, v24
	;; [unrolled: 2-line block ×4, first 2 shown]
.LBB595_22:                             ;   in Loop: Header=BB595_25 Depth=1
	s_or_b64 exec, exec, s[38:39]
	s_waitcnt vmcnt(0) lgkmcnt(0)
	v_lshlrev_b32_e32 v24, 16, v46
	v_fmac_f32_e32 v36, v22, v24
	v_lshlrev_b32_e32 v24, 16, v45
	v_fmac_f32_e32 v36, v23, v24
	;; [unrolled: 2-line block ×4, first 2 shown]
.LBB595_23:                             ;   in Loop: Header=BB595_25 Depth=1
	s_or_b64 exec, exec, s[36:37]
	v_lshlrev_b32_e32 v24, 16, v42
	v_fmac_f32_e32 v35, v22, v24
	v_lshlrev_b32_e32 v22, 16, v41
	v_fmac_f32_e32 v35, v23, v22
	;; [unrolled: 2-line block ×4, first 2 shown]
.LBB595_24:                             ;   in Loop: Header=BB595_25 Depth=1
	s_or_b64 exec, exec, s[6:7]
	v_add_u32_e32 v39, 64, v39
	s_add_u32 s34, s34, s28
	s_addc_u32 s35, s35, s29
	v_cmp_le_i32_e64 s[6:7], s44, v39
	v_lshl_add_u64 v[4:5], v[4:5], 0, s[26:27]
	v_lshl_add_u64 v[8:9], v[8:9], 0, s[26:27]
	;; [unrolled: 1-line block ×3, first 2 shown]
	s_or_b64 s[30:31], s[6:7], s[30:31]
	v_lshl_add_u64 v[16:17], v[16:17], 0, s[26:27]
	s_andn2_b64 exec, exec, s[30:31]
	s_cbranch_execz .LBB595_30
.LBB595_25:                             ; =>This Inner Loop Header: Depth=1
	s_and_saveexec_b64 s[6:7], vcc
	s_cbranch_execz .LBB595_24
; %bb.26:                               ;   in Loop: Header=BB595_25 Depth=1
	v_lshl_add_u64 v[20:21], s[34:35], 0, v[6:7]
	v_lshl_add_u64 v[24:25], s[34:35], 0, v[18:19]
	;; [unrolled: 1-line block ×4, first 2 shown]
	flat_load_ushort v43, v[20:21]
	flat_load_ushort v44, v[22:23]
	;; [unrolled: 1-line block ×4, first 2 shown]
	v_lshl_add_u64 v[24:25], v[8:9], 0, v[2:3]
	v_lshl_add_u64 v[28:29], v[16:17], 0, v[2:3]
	;; [unrolled: 1-line block ×4, first 2 shown]
	flat_load_ushort v42, v[24:25]
	flat_load_ushort v41, v[28:29]
	;; [unrolled: 1-line block ×4, first 2 shown]
	s_waitcnt vmcnt(0) lgkmcnt(0)
	v_lshlrev_b32_e32 v22, 16, v43
	v_lshlrev_b32_e32 v23, 16, v44
	;; [unrolled: 1-line block ×4, first 2 shown]
	s_and_saveexec_b64 s[36:37], s[0:1]
	s_cbranch_execz .LBB595_23
; %bb.27:                               ;   in Loop: Header=BB595_25 Depth=1
	flat_load_ushort v46, v[24:25] offset:128
	flat_load_ushort v45, v[28:29] offset:128
	flat_load_ushort v44, v[26:27] offset:128
	flat_load_ushort v43, v[30:31] offset:128
	s_and_saveexec_b64 s[38:39], s[2:3]
	s_cbranch_execz .LBB595_22
; %bb.28:                               ;   in Loop: Header=BB595_25 Depth=1
	flat_load_ushort v50, v[24:25] offset:256
	flat_load_ushort v49, v[28:29] offset:256
	flat_load_ushort v48, v[26:27] offset:256
	flat_load_ushort v47, v[30:31] offset:256
	;; [unrolled: 7-line block ×3, first 2 shown]
	s_waitcnt vmcnt(0) lgkmcnt(0)
	v_lshlrev_b32_e32 v25, 16, v51
	v_lshlrev_b32_e32 v24, 16, v52
	v_pk_mul_f32 v[24:25], v[22:23], v[24:25]
	v_lshlrev_b32_e32 v27, 16, v53
	v_lshlrev_b32_e32 v26, 16, v54
	v_add_f32_e32 v24, v38, v24
	v_add_f32_e32 v28, v24, v25
	v_pk_mul_f32 v[24:25], v[20:21], v[26:27]
	s_nop 0
	v_add_f32_e32 v24, v28, v24
	v_add_f32_e32 v38, v24, v25
	s_branch .LBB595_21
.LBB595_30:
	s_or_b64 exec, exec, s[30:31]
.LBB595_31:
	s_or_b64 exec, exec, s[18:19]
	s_sub_i32 s0, s15, s44
	s_cmp_lt_i32 s0, 1
	s_cbranch_scc1 .LBB595_49
; %bb.32:
	v_cmp_gt_i32_e32 vcc, s15, v39
	v_mov_b32_e32 v10, 0
	v_or_b32_e32 v4, 1, v39
	v_mov_b32_e32 v11, 0
	v_mov_b32_e32 v12, 0
	;; [unrolled: 1-line block ×3, first 2 shown]
	s_and_saveexec_b64 s[2:3], vcc
	s_cbranch_execz .LBB595_40
; %bb.33:
	v_mad_u64_u32 v[2:3], s[0:1], v39, s16, 0
	v_mov_b32_e32 v6, v3
	v_mad_u64_u32 v[6:7], s[0:1], v39, s17, v[6:7]
	v_mov_b32_e32 v3, v6
	v_lshl_add_u64 v[2:3], v[2:3], 1, s[24:25]
	flat_load_ushort v1, v[2:3]
	v_cmp_gt_i32_e64 s[0:1], s15, v4
	v_mov_b32_e32 v12, 0
	v_mov_b32_e32 v11, 0
	;; [unrolled: 1-line block ×3, first 2 shown]
	s_and_saveexec_b64 s[4:5], s[0:1]
	s_cbranch_execz .LBB595_39
; %bb.34:
	v_mad_u64_u32 v[2:3], s[0:1], v4, s16, 0
	v_mov_b32_e32 v6, v3
	v_mad_u64_u32 v[6:7], s[0:1], v4, s17, v[6:7]
	v_mov_b32_e32 v3, v6
	v_lshl_add_u64 v[2:3], v[2:3], 1, s[24:25]
	flat_load_ushort v2, v[2:3]
	v_or_b32_e32 v3, 2, v39
	v_cmp_gt_i32_e64 s[0:1], s15, v3
	v_mov_b32_e32 v11, 0
	v_mov_b32_e32 v10, 0
	s_and_saveexec_b64 s[6:7], s[0:1]
	s_cbranch_execz .LBB595_38
; %bb.35:
	v_mad_u64_u32 v[6:7], s[0:1], v3, s16, 0
	v_mov_b32_e32 v8, v7
	v_mad_u64_u32 v[8:9], s[0:1], v3, s17, v[8:9]
	v_mov_b32_e32 v7, v8
	v_lshl_add_u64 v[6:7], v[6:7], 1, s[24:25]
	flat_load_ushort v3, v[6:7]
	v_or_b32_e32 v5, 3, v39
	v_cmp_gt_i32_e64 s[0:1], s15, v5
	v_mov_b32_e32 v10, 0
	s_and_saveexec_b64 s[18:19], s[0:1]
	s_cbranch_execz .LBB595_37
; %bb.36:
	v_mad_u64_u32 v[6:7], s[0:1], v5, s16, 0
	v_mov_b32_e32 v8, v7
	v_mad_u64_u32 v[8:9], s[0:1], v5, s17, v[8:9]
	v_mov_b32_e32 v7, v8
	v_lshl_add_u64 v[6:7], v[6:7], 1, s[24:25]
	flat_load_ushort v5, v[6:7]
	s_waitcnt vmcnt(0) lgkmcnt(0)
	v_lshlrev_b32_e32 v10, 16, v5
.LBB595_37:
	s_or_b64 exec, exec, s[18:19]
	s_waitcnt vmcnt(0) lgkmcnt(0)
	v_lshlrev_b32_e32 v11, 16, v3
.LBB595_38:
	s_or_b64 exec, exec, s[6:7]
	s_waitcnt vmcnt(0) lgkmcnt(0)
	v_lshlrev_b32_e32 v12, 16, v2
.LBB595_39:
	s_or_b64 exec, exec, s[4:5]
	s_waitcnt vmcnt(0) lgkmcnt(0)
	v_lshlrev_b32_e32 v13, 16, v1
.LBB595_40:
	s_or_b64 exec, exec, s[2:3]
	v_cmp_gt_i32_e64 s[0:1], s14, v0
	s_and_saveexec_b64 s[2:3], s[0:1]
	s_cbranch_execz .LBB595_48
; %bb.41:
	v_mad_u64_u32 v[2:3], s[0:1], v39, s20, 0
	v_mov_b32_e32 v6, v3
	v_mad_u64_u32 v[6:7], s[0:1], v39, s21, v[6:7]
	v_ashrrev_i32_e32 v1, 31, v0
	v_cndmask_b32_e32 v3, 0, v6, vcc
	v_mad_u64_u32 v[6:7], s[0:1], v4, s20, 0
	v_cndmask_b32_e32 v2, 0, v2, vcc
	v_lshlrev_b64 v[8:9], 1, v[0:1]
	v_mov_b32_e32 v14, v7
	v_cmp_gt_i32_e32 vcc, s15, v4
	v_or_b32_e32 v1, 2, v39
	v_mad_u64_u32 v[14:15], s[0:1], v4, s21, v[14:15]
	v_cndmask_b32_e32 v4, 0, v6, vcc
	v_mad_u64_u32 v[6:7], s[0:1], v1, s20, 0
	v_cndmask_b32_e32 v5, 0, v14, vcc
	v_mov_b32_e32 v14, v7
	v_mad_u64_u32 v[14:15], s[0:1], v1, s21, v[14:15]
	v_cmp_gt_i32_e32 vcc, s15, v1
	v_or_b32_e32 v1, 3, v39
	v_lshl_add_u64 v[2:3], v[2:3], 1, s[22:23]
	v_cndmask_b32_e32 v7, 0, v14, vcc
	v_mad_u64_u32 v[14:15], s[0:1], v1, s20, 0
	v_mov_b32_e32 v16, v15
	v_lshl_add_u64 v[2:3], v[2:3], 0, v[8:9]
	v_lshl_add_u64 v[4:5], v[4:5], 1, s[22:23]
	v_cndmask_b32_e32 v6, 0, v6, vcc
	v_mad_u64_u32 v[16:17], s[0:1], v1, s21, v[16:17]
	v_cmp_gt_i32_e32 vcc, s15, v1
	v_lshl_add_u64 v[4:5], v[4:5], 0, v[8:9]
	v_lshl_add_u64 v[6:7], v[6:7], 1, s[22:23]
	v_cndmask_b32_e32 v14, 0, v14, vcc
	v_cndmask_b32_e32 v15, 0, v16, vcc
	flat_load_ushort v1, v[2:3]
	flat_load_ushort v16, v[4:5]
	v_lshl_add_u64 v[6:7], v[6:7], 0, v[8:9]
	v_lshl_add_u64 v[14:15], v[14:15], 1, s[22:23]
	;; [unrolled: 1-line block ×3, first 2 shown]
	flat_load_ushort v14, v[6:7]
	flat_load_ushort v15, v[8:9]
	v_add_u32_e32 v17, 64, v0
	v_cmp_gt_i32_e32 vcc, s14, v17
	s_waitcnt vmcnt(0) lgkmcnt(0)
	v_lshlrev_b32_e32 v1, 16, v1
	v_lshlrev_b32_e32 v16, 16, v16
	v_fmac_f32_e32 v35, v13, v1
	v_fmac_f32_e32 v35, v12, v16
	v_lshlrev_b32_e32 v14, 16, v14
	v_lshlrev_b32_e32 v1, 16, v15
	v_fmac_f32_e32 v35, v11, v14
	s_and_saveexec_b64 s[0:1], vcc
	s_cbranch_execz .LBB595_47
; %bb.42:
	flat_load_ushort v14, v[2:3] offset:128
	flat_load_ushort v15, v[4:5] offset:128
	;; [unrolled: 1-line block ×4, first 2 shown]
	v_add_u32_e32 v18, 0x80, v0
	v_cmp_gt_i32_e32 vcc, s14, v18
	s_waitcnt vmcnt(0) lgkmcnt(0)
	v_lshlrev_b32_e32 v19, 16, v14
	v_lshlrev_b32_e32 v15, 16, v15
	v_fmac_f32_e32 v36, v13, v19
	v_lshlrev_b32_e32 v16, 16, v16
	v_fmac_f32_e32 v36, v12, v15
	;; [unrolled: 2-line block ×3, first 2 shown]
	s_and_saveexec_b64 s[4:5], vcc
	s_cbranch_execz .LBB595_46
; %bb.43:
	flat_load_ushort v15, v[2:3] offset:256
	flat_load_ushort v16, v[4:5] offset:256
	;; [unrolled: 1-line block ×4, first 2 shown]
	v_add_u32_e32 v19, 0xc0, v0
	v_cmp_gt_i32_e32 vcc, s14, v19
	s_waitcnt vmcnt(0) lgkmcnt(0)
	v_lshlrev_b32_e32 v15, 16, v15
	v_lshlrev_b32_e32 v16, 16, v16
	v_fmac_f32_e32 v37, v13, v15
	v_lshlrev_b32_e32 v17, 16, v17
	v_fmac_f32_e32 v37, v12, v16
	;; [unrolled: 2-line block ×3, first 2 shown]
	s_and_saveexec_b64 s[6:7], vcc
	s_cbranch_execz .LBB595_45
; %bb.44:
	flat_load_ushort v15, v[2:3] offset:384
	flat_load_ushort v16, v[4:5] offset:384
	flat_load_ushort v17, v[6:7] offset:384
	flat_load_ushort v18, v[8:9] offset:384
	s_waitcnt vmcnt(0) lgkmcnt(0)
	v_lshlrev_b32_e32 v2, 16, v15
	v_lshlrev_b32_e32 v3, 16, v16
	v_fmac_f32_e32 v38, v13, v2
	v_lshlrev_b32_e32 v4, 16, v17
	v_fmac_f32_e32 v38, v12, v3
	v_fmac_f32_e32 v38, v11, v4
	v_lshlrev_b32_e32 v2, 16, v18
	v_fmac_f32_e32 v38, v10, v2
.LBB595_45:
	s_or_b64 exec, exec, s[6:7]
	v_fmac_f32_e32 v37, v10, v0
.LBB595_46:
	s_or_b64 exec, exec, s[4:5]
	v_fmac_f32_e32 v36, v10, v14
.LBB595_47:
	s_or_b64 exec, exec, s[0:1]
	v_fmac_f32_e32 v35, v10, v1
.LBB595_48:
	s_or_b64 exec, exec, s[2:3]
.LBB595_49:
	v_lshlrev_b32_e32 v0, 8, v34
	s_movk_i32 s0, 0x100
	v_add_lshl_u32 v0, v0, v33, 2
	v_cmp_gt_u32_e32 vcc, s0, v32
	ds_write2st64_b32 v0, v35, v36 offset1:1
	ds_write2st64_b32 v0, v37, v38 offset0:2 offset1:3
	s_waitcnt lgkmcnt(0)
	s_barrier
	s_waitcnt lgkmcnt(0)
                                        ; implicit-def: $vgpr3
                                        ; implicit-def: $vgpr0_vgpr1
	s_and_saveexec_b64 s[0:1], vcc
	s_cbranch_execz .LBB595_70
; %bb.50:
	v_lshlrev_b32_e32 v10, 2, v32
	ds_read2st64_b32 v[0:1], v10 offset1:4
	ds_read2st64_b32 v[2:3], v10 offset0:8 offset1:12
	ds_read2st64_b32 v[4:5], v10 offset0:16 offset1:20
	;; [unrolled: 1-line block ×4, first 2 shown]
	s_waitcnt lgkmcnt(4)
	v_add_f32_e32 v0, v0, v1
	s_waitcnt lgkmcnt(3)
	v_add_f32_e32 v0, v2, v0
	v_add_f32_e32 v0, v3, v0
	s_waitcnt lgkmcnt(2)
	v_add_f32_e32 v0, v4, v0
	;; [unrolled: 3-line block ×3, first 2 shown]
	v_add_f32_e32 v2, v7, v0
	ds_read2st64_b32 v[0:1], v10 offset0:40 offset1:44
	s_waitcnt lgkmcnt(1)
	v_add_f32_e32 v4, v8, v2
	ds_read2st64_b32 v[2:3], v10 offset0:48 offset1:52
	v_add_f32_e32 v6, v9, v4
	ds_read2st64_b32 v[4:5], v10 offset0:56 offset1:60
	s_waitcnt lgkmcnt(2)
	v_add_f32_e32 v0, v0, v6
	v_add_f32_e32 v0, v1, v0
	s_waitcnt lgkmcnt(1)
	v_add_f32_e32 v0, v2, v0
	v_add_f32_e32 v0, v3, v0
	s_waitcnt lgkmcnt(0)
	v_add_f32_e32 v0, v4, v0
	v_or_b32_e32 v2, s43, v32
	v_add_f32_e32 v4, v5, v0
	v_cmp_gt_i32_e32 vcc, s14, v2
	s_mov_b64 s[4:5], s[10:11]
	ds_write_b32 v10, v4
                                        ; implicit-def: $vgpr3
                                        ; implicit-def: $vgpr0_vgpr1
	s_and_saveexec_b64 s[2:3], vcc
	s_cbranch_execz .LBB595_69
; %bb.51:
	v_cmp_eq_f32_e64 s[4:5], s33, 0
	v_mul_f32_e32 v0, s42, v4
	s_and_b64 vcc, exec, s[4:5]
	s_cbranch_vccz .LBB595_57
; %bb.52:
	s_mov_b32 s4, 0x7f800000
	v_and_b32_e32 v1, 0x7f800000, v0
	v_cmp_ne_u32_e32 vcc, s4, v1
                                        ; implicit-def: $vgpr1
	s_and_saveexec_b64 s[4:5], vcc
	s_xor_b64 s[4:5], exec, s[4:5]
; %bb.53:
	v_bfe_u32 v1, v0, 16, 1
	s_movk_i32 s6, 0x7fff
	v_add3_u32 v1, v0, v1, s6
; %bb.54:
	s_andn2_saveexec_b64 s[4:5], s[4:5]
; %bb.55:
	v_mov_b32_e32 v1, 0
	v_or_b32_e32 v3, 0x10000, v0
	v_cmp_eq_u32_sdwa vcc, v0, v1 src0_sel:WORD_0 src1_sel:DWORD
	s_nop 1
	v_cndmask_b32_e32 v1, v3, v0, vcc
; %bb.56:
	s_or_b64 exec, exec, s[4:5]
	s_mov_b64 s[4:5], 0
	s_branch .LBB595_58
.LBB595_57:
	s_mov_b64 s[4:5], -1
                                        ; implicit-def: $vgpr1
.LBB595_58:
	v_ashrrev_i32_e32 v3, 31, v2
	s_andn2_b64 vcc, exec, s[4:5]
	v_mul_lo_u32 v4, v2, s13
	v_mul_lo_u32 v5, v3, s12
	s_cbranch_vccnz .LBB595_68
; %bb.59:
	v_mad_u64_u32 v[6:7], s[4:5], v2, s12, 0
	v_add3_u32 v7, v7, v4, v5
	v_lshl_add_u64 v[6:7], v[6:7], 1, s[8:9]
	global_load_ushort v1, v[6:7], off
	s_mov_b32 s4, 0x7f800000
	s_waitcnt vmcnt(0)
	v_lshlrev_b32_e32 v1, 16, v1
	v_mul_f32_e32 v1, s33, v1
	v_and_b32_e32 v3, 0x7f800000, v1
	v_cmp_ne_u32_e32 vcc, s4, v3
                                        ; implicit-def: $vgpr3
	s_and_saveexec_b64 s[4:5], vcc
	s_xor_b64 s[4:5], exec, s[4:5]
; %bb.60:
	v_bfe_u32 v3, v1, 16, 1
	s_movk_i32 s6, 0x7fff
	v_add3_u32 v3, v1, v3, s6
                                        ; implicit-def: $vgpr1
; %bb.61:
	s_andn2_saveexec_b64 s[4:5], s[4:5]
; %bb.62:
	v_mov_b32_e32 v3, 0
	v_or_b32_e32 v6, 0x10000, v1
	v_cmp_eq_u32_sdwa vcc, v1, v3 src0_sel:WORD_0 src1_sel:DWORD
	s_nop 1
	v_cndmask_b32_e32 v3, v6, v1, vcc
; %bb.63:
	s_or_b64 exec, exec, s[4:5]
	v_and_b32_e32 v1, 0xffff0000, v3
	v_add_f32_e32 v0, v0, v1
	s_mov_b32 s4, 0x7f800000
	v_and_b32_e32 v1, 0x7f800000, v0
	v_cmp_ne_u32_e32 vcc, s4, v1
                                        ; implicit-def: $vgpr1
	s_and_saveexec_b64 s[4:5], vcc
	s_xor_b64 s[4:5], exec, s[4:5]
; %bb.64:
	v_bfe_u32 v1, v0, 16, 1
	s_movk_i32 s6, 0x7fff
	v_add3_u32 v1, v0, v1, s6
                                        ; implicit-def: $vgpr0
; %bb.65:
	s_andn2_saveexec_b64 s[4:5], s[4:5]
; %bb.66:
	v_mov_b32_e32 v1, 0
	v_or_b32_e32 v3, 0x10000, v0
	v_cmp_eq_u32_sdwa vcc, v0, v1 src0_sel:WORD_0 src1_sel:DWORD
	s_nop 1
	v_cndmask_b32_e32 v1, v3, v0, vcc
; %bb.67:
	s_or_b64 exec, exec, s[4:5]
.LBB595_68:
	v_lshrrev_b32_e32 v3, 16, v1
	v_mad_u64_u32 v[0:1], s[4:5], v2, s12, 0
	v_add3_u32 v1, v1, v4, v5
	s_or_b64 s[4:5], s[10:11], exec
.LBB595_69:
	s_or_b64 exec, exec, s[2:3]
	s_andn2_b64 s[2:3], s[10:11], exec
	s_and_b64 s[4:5], s[4:5], exec
	s_or_b64 s[10:11], s[2:3], s[4:5]
.LBB595_70:
	s_or_b64 exec, exec, s[0:1]
.LBB595_71:
	s_and_saveexec_b64 s[0:1], s[10:11]
	s_cbranch_execz .LBB595_73
; %bb.72:
	v_lshl_add_u64 v[0:1], v[0:1], 1, s[8:9]
	global_store_short v[0:1], v3, off
.LBB595_73:
	s_endpgm
	.section	.rodata,"a",@progbits
	.p2align	6, 0x0
	.amdhsa_kernel _ZL20rocblas_gemvn_kernelILi64ELi16ElPK16rocblas_bfloat16PKfKPS0_EviiT3_lPKT2_lT1_lSA_lSB_lS7_lPT4_lSB_li
		.amdhsa_group_segment_fixed_size 16384
		.amdhsa_private_segment_fixed_size 0
		.amdhsa_kernarg_size 400
		.amdhsa_user_sgpr_count 2
		.amdhsa_user_sgpr_dispatch_ptr 0
		.amdhsa_user_sgpr_queue_ptr 0
		.amdhsa_user_sgpr_kernarg_segment_ptr 1
		.amdhsa_user_sgpr_dispatch_id 0
		.amdhsa_user_sgpr_kernarg_preload_length 0
		.amdhsa_user_sgpr_kernarg_preload_offset 0
		.amdhsa_user_sgpr_private_segment_size 0
		.amdhsa_uses_dynamic_stack 0
		.amdhsa_enable_private_segment 0
		.amdhsa_system_sgpr_workgroup_id_x 1
		.amdhsa_system_sgpr_workgroup_id_y 0
		.amdhsa_system_sgpr_workgroup_id_z 1
		.amdhsa_system_sgpr_workgroup_info 0
		.amdhsa_system_vgpr_workitem_id 1
		.amdhsa_next_free_vgpr 55
		.amdhsa_next_free_sgpr 45
		.amdhsa_accum_offset 56
		.amdhsa_reserve_vcc 1
		.amdhsa_float_round_mode_32 0
		.amdhsa_float_round_mode_16_64 0
		.amdhsa_float_denorm_mode_32 3
		.amdhsa_float_denorm_mode_16_64 3
		.amdhsa_dx10_clamp 1
		.amdhsa_ieee_mode 1
		.amdhsa_fp16_overflow 0
		.amdhsa_tg_split 0
		.amdhsa_exception_fp_ieee_invalid_op 0
		.amdhsa_exception_fp_denorm_src 0
		.amdhsa_exception_fp_ieee_div_zero 0
		.amdhsa_exception_fp_ieee_overflow 0
		.amdhsa_exception_fp_ieee_underflow 0
		.amdhsa_exception_fp_ieee_inexact 0
		.amdhsa_exception_int_div_zero 0
	.end_amdhsa_kernel
	.section	.text._ZL20rocblas_gemvn_kernelILi64ELi16ElPK16rocblas_bfloat16PKfKPS0_EviiT3_lPKT2_lT1_lSA_lSB_lS7_lPT4_lSB_li,"axG",@progbits,_ZL20rocblas_gemvn_kernelILi64ELi16ElPK16rocblas_bfloat16PKfKPS0_EviiT3_lPKT2_lT1_lSA_lSB_lS7_lPT4_lSB_li,comdat
.Lfunc_end595:
	.size	_ZL20rocblas_gemvn_kernelILi64ELi16ElPK16rocblas_bfloat16PKfKPS0_EviiT3_lPKT2_lT1_lSA_lSB_lS7_lPT4_lSB_li, .Lfunc_end595-_ZL20rocblas_gemvn_kernelILi64ELi16ElPK16rocblas_bfloat16PKfKPS0_EviiT3_lPKT2_lT1_lSA_lSB_lS7_lPT4_lSB_li
                                        ; -- End function
	.section	.AMDGPU.csdata,"",@progbits
; Kernel info:
; codeLenInByte = 3204
; NumSgprs: 51
; NumVgprs: 55
; NumAgprs: 0
; TotalNumVgprs: 55
; ScratchSize: 0
; MemoryBound: 0
; FloatMode: 240
; IeeeMode: 1
; LDSByteSize: 16384 bytes/workgroup (compile time only)
; SGPRBlocks: 6
; VGPRBlocks: 6
; NumSGPRsForWavesPerEU: 51
; NumVGPRsForWavesPerEU: 55
; AccumOffset: 56
; Occupancy: 8
; WaveLimiterHint : 1
; COMPUTE_PGM_RSRC2:SCRATCH_EN: 0
; COMPUTE_PGM_RSRC2:USER_SGPR: 2
; COMPUTE_PGM_RSRC2:TRAP_HANDLER: 0
; COMPUTE_PGM_RSRC2:TGID_X_EN: 1
; COMPUTE_PGM_RSRC2:TGID_Y_EN: 0
; COMPUTE_PGM_RSRC2:TGID_Z_EN: 1
; COMPUTE_PGM_RSRC2:TIDIG_COMP_CNT: 1
; COMPUTE_PGM_RSRC3_GFX90A:ACCUM_OFFSET: 13
; COMPUTE_PGM_RSRC3_GFX90A:TG_SPLIT: 0
	.section	.text._ZL20rocblas_gemvn_kernelILi64ELi16EiPK16rocblas_bfloat16fKPS0_EviiT3_lPKT2_lT1_lS8_lS9_lS5_lPT4_lS9_li,"axG",@progbits,_ZL20rocblas_gemvn_kernelILi64ELi16EiPK16rocblas_bfloat16fKPS0_EviiT3_lPKT2_lT1_lS8_lS9_lS5_lPT4_lS9_li,comdat
	.globl	_ZL20rocblas_gemvn_kernelILi64ELi16EiPK16rocblas_bfloat16fKPS0_EviiT3_lPKT2_lT1_lS8_lS9_lS5_lPT4_lS9_li ; -- Begin function _ZL20rocblas_gemvn_kernelILi64ELi16EiPK16rocblas_bfloat16fKPS0_EviiT3_lPKT2_lT1_lS8_lS9_lS5_lPT4_lS9_li
	.p2align	8
	.type	_ZL20rocblas_gemvn_kernelILi64ELi16EiPK16rocblas_bfloat16fKPS0_EviiT3_lPKT2_lT1_lS8_lS9_lS5_lPT4_lS9_li,@function
_ZL20rocblas_gemvn_kernelILi64ELi16EiPK16rocblas_bfloat16fKPS0_EviiT3_lPKT2_lT1_lS8_lS9_lS5_lPT4_lS9_li: ; @_ZL20rocblas_gemvn_kernelILi64ELi16EiPK16rocblas_bfloat16fKPS0_EviiT3_lPKT2_lT1_lS8_lS9_lS5_lPT4_lS9_li
; %bb.0:
	s_load_dwordx2 s[4:5], s[0:1], 0x9c
	s_mov_b32 s6, s3
	s_waitcnt lgkmcnt(0)
	s_and_b32 s3, s5, 0xffff
	s_lshr_b32 s5, s4, 16
	s_and_b32 s4, s4, 0xffff
	s_mul_i32 s4, s5, s4
	s_mul_i32 s4, s4, s3
	s_cmpk_lg_i32 s4, 0x400
	s_cbranch_scc1 .LBB596_75
; %bb.1:
	s_load_dwordx4 s[8:11], s[0:1], 0x0
	s_waitcnt lgkmcnt(0)
	s_load_dword s11, s[0:1], 0x58
	v_cmp_eq_f32_e64 s[4:5], s10, 0
	s_waitcnt lgkmcnt(0)
	v_cmp_eq_f32_e64 s[12:13], s11, 1.0
	s_and_b64 s[12:13], s[4:5], s[12:13]
	s_and_b64 vcc, exec, s[12:13]
	s_cbranch_vccnz .LBB596_75
; %bb.2:
	v_cmp_neq_f32_e64 s[12:13], s10, 0
	s_mov_b32 s7, 0
	s_and_b64 vcc, exec, s[12:13]
	s_cbranch_vccnz .LBB596_4
; %bb.3:
	s_mov_b64 s[16:17], 0
	s_cbranch_execz .LBB596_5
	s_branch .LBB596_6
.LBB596_4:
                                        ; implicit-def: $sgpr16_sgpr17
.LBB596_5:
	s_load_dwordx4 s[16:19], s[0:1], 0x18
	s_lshl_b64 s[14:15], s[6:7], 3
	s_waitcnt lgkmcnt(0)
	s_add_u32 s14, s16, s14
	s_addc_u32 s15, s17, s15
	s_load_dwordx2 s[14:15], s[14:15], 0x0
	s_lshl_b64 s[16:17], s[18:19], 1
	s_waitcnt lgkmcnt(0)
	s_add_u32 s16, s14, s16
	s_addc_u32 s17, s15, s17
.LBB596_6:
	s_mov_b64 s[14:15], 0
	s_andn2_b64 vcc, exec, s[12:13]
	s_mov_b64 s[18:19], 0
	s_cbranch_vccnz .LBB596_8
; %bb.7:
	s_load_dwordx4 s[20:23], s[0:1], 0x38
	s_lshl_b64 s[12:13], s[6:7], 3
	s_waitcnt lgkmcnt(0)
	s_add_u32 s12, s20, s12
	s_addc_u32 s13, s21, s13
	s_load_dwordx2 s[12:13], s[12:13], 0x0
	s_lshl_b64 s[18:19], s[22:23], 1
	s_waitcnt lgkmcnt(0)
	s_add_u32 s18, s12, s18
	s_addc_u32 s19, s13, s19
.LBB596_8:
	s_load_dwordx4 s[20:23], s[0:1], 0x68
	s_load_dword s30, s[0:1], 0x78
	s_lshl_b64 s[6:7], s[6:7], 3
	v_and_b32_e32 v2, 0x3ff, v0
	v_bfe_u32 v18, v0, 10, 10
	s_waitcnt lgkmcnt(0)
	s_add_u32 s6, s20, s6
	s_addc_u32 s7, s21, s7
	s_load_dwordx2 s[6:7], s[6:7], 0x0
	s_lshl_b64 s[12:13], s[22:23], 1
	v_lshl_add_u32 v3, v18, 6, v2
	s_waitcnt lgkmcnt(0)
	s_add_u32 s12, s6, s12
	s_addc_u32 s13, s7, s13
	s_andn2_b64 vcc, exec, s[4:5]
	s_cbranch_vccnz .LBB596_19
; %bb.9:
	s_movk_i32 s3, 0x100
	v_cmp_gt_u32_e32 vcc, s3, v3
	s_mov_b64 s[4:5], 0
                                        ; implicit-def: $vgpr5
                                        ; implicit-def: $vgpr0_vgpr1
	s_and_saveexec_b64 s[6:7], vcc
	s_cbranch_execz .LBB596_20
; %bb.10:
	v_lshl_or_b32 v4, s2, 8, v3
	v_mov_b32_e32 v5, 0
	s_ashr_i32 s15, s8, 31
	s_mov_b32 s14, s8
	v_cmp_gt_i64_e32 vcc, s[14:15], v[4:5]
	s_mov_b64 s[20:21], 0
                                        ; implicit-def: $vgpr0_vgpr1
	s_and_saveexec_b64 s[14:15], vcc
	s_cbranch_execz .LBB596_18
; %bb.11:
	v_mad_u64_u32 v[0:1], s[22:23], s30, v4, 0
	s_ashr_i32 s3, s30, 31
	v_mov_b32_e32 v6, v1
	v_cmp_eq_f32_e64 s[20:21], s11, 0
	v_mad_u64_u32 v[6:7], s[22:23], s3, v4, v[6:7]
	v_mov_b32_e32 v1, v6
	s_and_b64 vcc, exec, s[20:21]
	s_cbranch_vccnz .LBB596_17
; %bb.12:
	v_lshl_add_u64 v[4:5], v[0:1], 1, s[12:13]
	global_load_ushort v4, v[4:5], off
	s_mov_b32 s3, 0x7f800000
	s_waitcnt vmcnt(0)
	v_lshlrev_b32_e32 v4, 16, v4
	v_mul_f32_e32 v4, s11, v4
	v_and_b32_e32 v5, 0x7f800000, v4
	v_cmp_ne_u32_e32 vcc, s3, v5
                                        ; implicit-def: $vgpr5
	s_and_saveexec_b64 s[20:21], vcc
	s_xor_b64 s[20:21], exec, s[20:21]
; %bb.13:
	v_bfe_u32 v5, v4, 16, 1
	s_movk_i32 s3, 0x7fff
	v_add3_u32 v5, v4, v5, s3
                                        ; implicit-def: $vgpr4
; %bb.14:
	s_andn2_saveexec_b64 s[20:21], s[20:21]
; %bb.15:
	v_mov_b32_e32 v5, 0
	v_or_b32_e32 v6, 0x10000, v4
	v_cmp_eq_u32_sdwa vcc, v4, v5 src0_sel:WORD_0 src1_sel:DWORD
	s_nop 1
	v_cndmask_b32_e32 v5, v6, v4, vcc
; %bb.16:
	s_or_b64 exec, exec, s[20:21]
	v_lshrrev_b32_e32 v5, 16, v5
.LBB596_17:
	s_mov_b64 s[20:21], exec
.LBB596_18:
	s_or_b64 exec, exec, s[14:15]
	s_and_b64 s[14:15], s[20:21], exec
	s_or_b64 exec, exec, s[6:7]
	s_and_b64 vcc, exec, s[4:5]
	s_cbranch_vccnz .LBB596_21
	s_branch .LBB596_73
.LBB596_19:
                                        ; implicit-def: $vgpr5
                                        ; implicit-def: $vgpr0_vgpr1
	s_cbranch_execnz .LBB596_21
	s_branch .LBB596_73
.LBB596_20:
	s_or_b64 exec, exec, s[6:7]
	s_and_b64 vcc, exec, s[4:5]
	s_cbranch_vccz .LBB596_73
.LBB596_21:
	s_load_dword s33, s[0:1], 0x28
	s_load_dword s34, s[0:1], 0x48
	s_ashr_i32 s0, s9, 31
	s_lshr_b32 s0, s0, 26
	s_add_i32 s35, s9, s0
	s_lshl_b32 s31, s2, 8
	s_andn2_b32 s35, s35, 63
	v_lshlrev_b32_e32 v24, 2, v18
	v_add_u32_e32 v23, s31, v2
	v_cmp_gt_i32_e32 vcc, s35, v24
	v_mov_b32_e32 v19, 0
	v_mov_b32_e32 v20, 0
	;; [unrolled: 1-line block ×4, first 2 shown]
	s_and_saveexec_b64 s[20:21], vcc
	s_cbranch_execz .LBB596_33
; %bb.22:
	v_add_u32_e32 v0, 64, v23
	v_cmp_gt_i32_e64 s[0:1], s8, v0
	v_add_u32_e32 v0, 0x80, v23
	v_cmp_gt_i32_e64 s[2:3], s8, v0
	;; [unrolled: 2-line block ×3, first 2 shown]
	s_waitcnt lgkmcnt(0)
	v_mul_lo_u32 v0, s33, v24
	v_add_u32_e32 v6, 2, v24
	v_add_u32_e32 v7, 3, v24
	v_add3_u32 v25, v0, s33, v2
	v_mad_u64_u32 v[0:1], s[6:7], s33, v6, v[2:3]
	v_mad_u64_u32 v[4:5], s[6:7], s33, v7, v[2:3]
	v_mul_lo_u32 v1, v18, s33
	v_mul_lo_u32 v5, s34, v24
	;; [unrolled: 1-line block ×4, first 2 shown]
	v_cmp_gt_i32_e32 vcc, s8, v23
	s_lshl_b32 s36, s33, 6
	v_lshl_add_u32 v1, v1, 2, v2
	v_add_u32_e32 v5, s34, v5
	s_lshl_b32 s37, s34, 6
	v_mul_lo_u32 v27, s34, v7
	v_lshlrev_b32_e32 v28, 2, v6
	s_mov_b32 s38, 0
	s_mov_b64 s[22:23], 0
	v_mov_b32_e32 v19, 0
	v_mov_b32_e32 v20, 0
	;; [unrolled: 1-line block ×4, first 2 shown]
	s_branch .LBB596_27
.LBB596_23:                             ;   in Loop: Header=BB596_27 Depth=1
	s_or_b64 exec, exec, s[28:29]
	s_waitcnt vmcnt(0) lgkmcnt(0)
	v_lshlrev_b32_e32 v10, 16, v40
	v_fmac_f32_e32 v21, v8, v10
	v_lshlrev_b32_e32 v10, 16, v39
	v_fmac_f32_e32 v21, v9, v10
	;; [unrolled: 2-line block ×4, first 2 shown]
.LBB596_24:                             ;   in Loop: Header=BB596_27 Depth=1
	s_or_b64 exec, exec, s[26:27]
	s_waitcnt vmcnt(0) lgkmcnt(0)
	v_lshlrev_b32_e32 v10, 16, v36
	v_fmac_f32_e32 v20, v8, v10
	v_lshlrev_b32_e32 v10, 16, v35
	v_fmac_f32_e32 v20, v9, v10
	;; [unrolled: 2-line block ×4, first 2 shown]
.LBB596_25:                             ;   in Loop: Header=BB596_27 Depth=1
	s_or_b64 exec, exec, s[24:25]
	v_lshlrev_b32_e32 v10, 16, v32
	v_fmac_f32_e32 v19, v8, v10
	v_lshlrev_b32_e32 v8, 16, v31
	v_fmac_f32_e32 v19, v9, v8
	;; [unrolled: 2-line block ×4, first 2 shown]
.LBB596_26:                             ;   in Loop: Header=BB596_27 Depth=1
	s_or_b64 exec, exec, s[6:7]
	v_add_u32_e32 v24, 64, v24
	s_add_i32 s38, s38, s37
	v_cmp_le_i32_e64 s[6:7], s35, v24
	v_add_u32_e32 v25, s36, v25
	v_add_u32_e32 v0, s36, v0
	;; [unrolled: 1-line block ×3, first 2 shown]
	s_or_b64 s[22:23], s[6:7], s[22:23]
	v_add_u32_e32 v1, s36, v1
	s_andn2_b64 exec, exec, s[22:23]
	s_cbranch_execz .LBB596_32
.LBB596_27:                             ; =>This Inner Loop Header: Depth=1
	s_and_saveexec_b64 s[6:7], vcc
	s_cbranch_execz .LBB596_26
; %bb.28:                               ;   in Loop: Header=BB596_27 Depth=1
	v_add_u32_e32 v6, s38, v28
	v_ashrrev_i32_e32 v7, 31, v6
	v_add_u32_e32 v8, s38, v5
	v_add_u32_e32 v10, s38, v26
	;; [unrolled: 1-line block ×3, first 2 shown]
	v_lshl_add_u64 v[6:7], v[6:7], 1, s[18:19]
	v_ashrrev_i32_e32 v9, 31, v8
	v_ashrrev_i32_e32 v11, 31, v10
	;; [unrolled: 1-line block ×3, first 2 shown]
	v_lshl_add_u64 v[8:9], v[8:9], 1, s[18:19]
	v_lshl_add_u64 v[10:11], v[10:11], 1, s[18:19]
	v_lshl_add_u64 v[12:13], v[12:13], 1, s[18:19]
	flat_load_ushort v33, v[6:7]
	flat_load_ushort v34, v[8:9]
	;; [unrolled: 1-line block ×4, first 2 shown]
	v_add_u32_e32 v6, s31, v1
	v_ashrrev_i32_e32 v7, 31, v6
	v_lshl_add_u64 v[10:11], v[6:7], 1, s[16:17]
	v_add_u32_e32 v6, s31, v25
	v_ashrrev_i32_e32 v7, 31, v6
	v_lshl_add_u64 v[12:13], v[6:7], 1, s[16:17]
	;; [unrolled: 3-line block ×4, first 2 shown]
	flat_load_ushort v32, v[10:11]
	flat_load_ushort v31, v[12:13]
	;; [unrolled: 1-line block ×4, first 2 shown]
	s_waitcnt vmcnt(0) lgkmcnt(0)
	v_lshlrev_b32_e32 v8, 16, v33
	v_lshlrev_b32_e32 v9, 16, v34
	;; [unrolled: 1-line block ×4, first 2 shown]
	s_and_saveexec_b64 s[24:25], s[0:1]
	s_cbranch_execz .LBB596_25
; %bb.29:                               ;   in Loop: Header=BB596_27 Depth=1
	flat_load_ushort v36, v[10:11] offset:128
	flat_load_ushort v35, v[12:13] offset:128
	flat_load_ushort v34, v[14:15] offset:128
	flat_load_ushort v33, v[16:17] offset:128
	s_and_saveexec_b64 s[26:27], s[2:3]
	s_cbranch_execz .LBB596_24
; %bb.30:                               ;   in Loop: Header=BB596_27 Depth=1
	flat_load_ushort v40, v[10:11] offset:256
	flat_load_ushort v39, v[12:13] offset:256
	flat_load_ushort v38, v[14:15] offset:256
	flat_load_ushort v37, v[16:17] offset:256
	;; [unrolled: 7-line block ×3, first 2 shown]
	s_waitcnt vmcnt(0) lgkmcnt(0)
	v_lshlrev_b32_e32 v11, 16, v41
	v_lshlrev_b32_e32 v10, 16, v42
	v_pk_mul_f32 v[10:11], v[8:9], v[10:11]
	v_lshlrev_b32_e32 v13, 16, v43
	v_lshlrev_b32_e32 v12, 16, v44
	v_add_f32_e32 v10, v22, v10
	v_add_f32_e32 v14, v10, v11
	v_pk_mul_f32 v[10:11], v[6:7], v[12:13]
	s_nop 0
	v_add_f32_e32 v10, v14, v10
	v_add_f32_e32 v22, v10, v11
	s_branch .LBB596_23
.LBB596_32:
	s_or_b64 exec, exec, s[22:23]
.LBB596_33:
	s_or_b64 exec, exec, s[20:21]
	s_sub_i32 s0, s9, s35
	s_cmp_lt_i32 s0, 1
	s_cbranch_scc1 .LBB596_51
; %bb.34:
	v_cmp_gt_i32_e32 vcc, s9, v24
	v_mov_b32_e32 v10, 0
	v_or_b32_e32 v4, 1, v24
	v_mov_b32_e32 v11, 0
	v_mov_b32_e32 v12, 0
	;; [unrolled: 1-line block ×3, first 2 shown]
	s_and_saveexec_b64 s[2:3], vcc
	s_cbranch_execz .LBB596_42
; %bb.35:
	s_waitcnt lgkmcnt(0)
	v_mul_lo_u32 v0, v24, s34
	v_ashrrev_i32_e32 v1, 31, v0
	v_lshl_add_u64 v[0:1], v[0:1], 1, s[18:19]
	flat_load_ushort v0, v[0:1]
	v_cmp_gt_i32_e64 s[0:1], s9, v4
	v_mov_b32_e32 v12, 0
	v_mov_b32_e32 v11, 0
	;; [unrolled: 1-line block ×3, first 2 shown]
	s_and_saveexec_b64 s[4:5], s[0:1]
	s_cbranch_execz .LBB596_41
; %bb.36:
	v_mul_lo_u32 v6, v4, s34
	v_ashrrev_i32_e32 v7, 31, v6
	v_lshl_add_u64 v[6:7], v[6:7], 1, s[18:19]
	flat_load_ushort v1, v[6:7]
	v_or_b32_e32 v5, 2, v24
	v_cmp_gt_i32_e64 s[0:1], s9, v5
	v_mov_b32_e32 v11, 0
	v_mov_b32_e32 v10, 0
	s_and_saveexec_b64 s[6:7], s[0:1]
	s_cbranch_execz .LBB596_40
; %bb.37:
	v_mul_lo_u32 v6, v5, s34
	v_ashrrev_i32_e32 v7, 31, v6
	v_lshl_add_u64 v[6:7], v[6:7], 1, s[18:19]
	flat_load_ushort v5, v[6:7]
	v_or_b32_e32 v6, 3, v24
	v_cmp_gt_i32_e64 s[0:1], s9, v6
	v_mov_b32_e32 v10, 0
	s_and_saveexec_b64 s[20:21], s[0:1]
	s_cbranch_execz .LBB596_39
; %bb.38:
	v_mul_lo_u32 v6, v6, s34
	v_ashrrev_i32_e32 v7, 31, v6
	v_lshl_add_u64 v[6:7], v[6:7], 1, s[18:19]
	flat_load_ushort v6, v[6:7]
	s_waitcnt vmcnt(0) lgkmcnt(0)
	v_lshlrev_b32_e32 v10, 16, v6
.LBB596_39:
	s_or_b64 exec, exec, s[20:21]
	s_waitcnt vmcnt(0) lgkmcnt(0)
	v_lshlrev_b32_e32 v11, 16, v5
.LBB596_40:
	s_or_b64 exec, exec, s[6:7]
	s_waitcnt vmcnt(0) lgkmcnt(0)
	v_lshlrev_b32_e32 v12, 16, v1
.LBB596_41:
	s_or_b64 exec, exec, s[4:5]
	s_waitcnt vmcnt(0) lgkmcnt(0)
	v_lshlrev_b32_e32 v13, 16, v0
.LBB596_42:
	s_or_b64 exec, exec, s[2:3]
	v_cmp_gt_i32_e64 s[0:1], s8, v23
	s_and_saveexec_b64 s[2:3], s[0:1]
	s_cbranch_execz .LBB596_50
; %bb.43:
	s_waitcnt lgkmcnt(0)
	v_mul_lo_u32 v0, v24, s33
	v_cndmask_b32_e32 v0, 0, v0, vcc
	v_mul_lo_u32 v5, v4, s33
	v_cmp_gt_i32_e32 vcc, s9, v4
	v_or_b32_e32 v6, 2, v24
	v_add_u32_e32 v0, v0, v23
	v_cndmask_b32_e32 v4, 0, v5, vcc
	v_mul_lo_u32 v7, v6, s33
	v_cmp_gt_i32_e32 vcc, s9, v6
	v_or_b32_e32 v8, 3, v24
	v_ashrrev_i32_e32 v1, 31, v0
	v_add_u32_e32 v4, v4, v23
	v_cndmask_b32_e32 v6, 0, v7, vcc
	v_mul_lo_u32 v9, v8, s33
	v_cmp_gt_i32_e32 vcc, s9, v8
	v_lshl_add_u64 v[0:1], v[0:1], 1, s[16:17]
	v_ashrrev_i32_e32 v5, 31, v4
	v_add_u32_e32 v6, v6, v23
	v_cndmask_b32_e32 v8, 0, v9, vcc
	v_lshl_add_u64 v[4:5], v[4:5], 1, s[16:17]
	v_ashrrev_i32_e32 v7, 31, v6
	v_add_u32_e32 v8, v8, v23
	flat_load_ushort v14, v[0:1]
	flat_load_ushort v15, v[4:5]
	v_lshl_add_u64 v[6:7], v[6:7], 1, s[16:17]
	v_ashrrev_i32_e32 v9, 31, v8
	v_lshl_add_u64 v[8:9], v[8:9], 1, s[16:17]
	flat_load_ushort v16, v[6:7]
	flat_load_ushort v17, v[8:9]
	v_add_u32_e32 v24, 64, v23
	v_cmp_gt_i32_e32 vcc, s8, v24
	s_waitcnt vmcnt(0) lgkmcnt(0)
	v_lshlrev_b32_e32 v14, 16, v14
	v_lshlrev_b32_e32 v15, 16, v15
	v_fmac_f32_e32 v19, v13, v14
	v_fmac_f32_e32 v19, v12, v15
	v_lshlrev_b32_e32 v16, 16, v16
	v_lshlrev_b32_e32 v14, 16, v17
	v_fmac_f32_e32 v19, v11, v16
	s_and_saveexec_b64 s[0:1], vcc
	s_cbranch_execz .LBB596_49
; %bb.44:
	flat_load_ushort v15, v[0:1] offset:128
	flat_load_ushort v16, v[4:5] offset:128
	;; [unrolled: 1-line block ×4, first 2 shown]
	v_add_u32_e32 v25, 0x80, v23
	v_cmp_gt_i32_e32 vcc, s8, v25
	s_waitcnt vmcnt(0) lgkmcnt(0)
	v_lshlrev_b32_e32 v26, 16, v15
	v_lshlrev_b32_e32 v16, 16, v16
	v_fmac_f32_e32 v20, v13, v26
	v_lshlrev_b32_e32 v17, 16, v17
	v_fmac_f32_e32 v20, v12, v16
	;; [unrolled: 2-line block ×3, first 2 shown]
	s_and_saveexec_b64 s[4:5], vcc
	s_cbranch_execz .LBB596_48
; %bb.45:
	flat_load_ushort v16, v[0:1] offset:256
	flat_load_ushort v17, v[4:5] offset:256
	;; [unrolled: 1-line block ×4, first 2 shown]
	v_add_u32_e32 v23, 0xc0, v23
	v_cmp_gt_i32_e32 vcc, s8, v23
	s_waitcnt vmcnt(0) lgkmcnt(0)
	v_lshlrev_b32_e32 v26, 16, v16
	v_lshlrev_b32_e32 v17, 16, v17
	v_fmac_f32_e32 v21, v13, v26
	v_lshlrev_b32_e32 v24, 16, v24
	v_fmac_f32_e32 v21, v12, v17
	;; [unrolled: 2-line block ×3, first 2 shown]
	s_and_saveexec_b64 s[6:7], vcc
	s_cbranch_execz .LBB596_47
; %bb.46:
	flat_load_ushort v17, v[0:1] offset:384
	flat_load_ushort v23, v[4:5] offset:384
	;; [unrolled: 1-line block ×4, first 2 shown]
	s_waitcnt vmcnt(0) lgkmcnt(0)
	v_lshlrev_b32_e32 v0, 16, v17
	v_lshlrev_b32_e32 v1, 16, v23
	v_fmac_f32_e32 v22, v13, v0
	v_lshlrev_b32_e32 v4, 16, v24
	v_fmac_f32_e32 v22, v12, v1
	v_fmac_f32_e32 v22, v11, v4
	v_lshlrev_b32_e32 v0, 16, v25
	v_fmac_f32_e32 v22, v10, v0
.LBB596_47:
	s_or_b64 exec, exec, s[6:7]
	v_fmac_f32_e32 v21, v10, v16
.LBB596_48:
	s_or_b64 exec, exec, s[4:5]
	v_fmac_f32_e32 v20, v10, v15
.LBB596_49:
	s_or_b64 exec, exec, s[0:1]
	v_fmac_f32_e32 v19, v10, v14
.LBB596_50:
	s_or_b64 exec, exec, s[2:3]
.LBB596_51:
	v_lshlrev_b32_e32 v0, 8, v18
	s_movk_i32 s0, 0x100
	v_add_lshl_u32 v0, v0, v2, 2
	v_cmp_gt_u32_e32 vcc, s0, v3
	ds_write2st64_b32 v0, v19, v20 offset1:1
	ds_write2st64_b32 v0, v21, v22 offset0:2 offset1:3
	s_waitcnt lgkmcnt(0)
	s_barrier
	s_waitcnt lgkmcnt(0)
                                        ; implicit-def: $vgpr5
                                        ; implicit-def: $vgpr0_vgpr1
	s_and_saveexec_b64 s[0:1], vcc
	s_cbranch_execz .LBB596_72
; %bb.52:
	v_lshlrev_b32_e32 v12, 2, v3
	ds_read2st64_b32 v[0:1], v12 offset1:4
	ds_read2st64_b32 v[4:5], v12 offset0:8 offset1:12
	ds_read2st64_b32 v[6:7], v12 offset0:16 offset1:20
	;; [unrolled: 1-line block ×4, first 2 shown]
	s_waitcnt lgkmcnt(4)
	v_add_f32_e32 v0, v0, v1
	s_waitcnt lgkmcnt(3)
	v_add_f32_e32 v0, v4, v0
	v_add_f32_e32 v0, v5, v0
	s_waitcnt lgkmcnt(2)
	v_add_f32_e32 v0, v6, v0
	;; [unrolled: 3-line block ×3, first 2 shown]
	v_add_f32_e32 v2, v9, v0
	ds_read2st64_b32 v[0:1], v12 offset0:40 offset1:44
	ds_read2st64_b32 v[4:5], v12 offset0:48 offset1:52
	s_waitcnt lgkmcnt(2)
	v_add_f32_e32 v2, v10, v2
	v_add_f32_e32 v2, v11, v2
	ds_read2st64_b32 v[6:7], v12 offset0:56 offset1:60
	s_waitcnt lgkmcnt(2)
	v_add_f32_e32 v0, v0, v2
	v_add_f32_e32 v0, v1, v0
	s_waitcnt lgkmcnt(1)
	v_add_f32_e32 v0, v4, v0
	v_add_f32_e32 v0, v5, v0
	s_waitcnt lgkmcnt(0)
	v_add_f32_e32 v0, v6, v0
	v_or_b32_e32 v4, s31, v3
	v_add_f32_e32 v2, v7, v0
	v_cmp_gt_i32_e32 vcc, s8, v4
	s_mov_b64 s[4:5], s[14:15]
	ds_write_b32 v12, v2
                                        ; implicit-def: $vgpr5
                                        ; implicit-def: $vgpr0_vgpr1
	s_and_saveexec_b64 s[2:3], vcc
	s_cbranch_execz .LBB596_71
; %bb.53:
	v_cmp_eq_f32_e64 s[4:5], s11, 0
	v_mul_f32_e32 v2, s10, v2
	s_and_b64 vcc, exec, s[4:5]
	s_cbranch_vccz .LBB596_59
; %bb.54:
	s_mov_b32 s4, 0x7f800000
	v_and_b32_e32 v0, 0x7f800000, v2
	v_cmp_ne_u32_e32 vcc, s4, v0
                                        ; implicit-def: $vgpr3
	s_and_saveexec_b64 s[4:5], vcc
	s_xor_b64 s[4:5], exec, s[4:5]
; %bb.55:
	v_bfe_u32 v0, v2, 16, 1
	s_movk_i32 s6, 0x7fff
	v_add3_u32 v3, v2, v0, s6
; %bb.56:
	s_andn2_saveexec_b64 s[4:5], s[4:5]
; %bb.57:
	v_mov_b32_e32 v0, 0
	v_or_b32_e32 v1, 0x10000, v2
	v_cmp_eq_u32_sdwa vcc, v2, v0 src0_sel:WORD_0 src1_sel:DWORD
	s_nop 1
	v_cndmask_b32_e32 v3, v1, v2, vcc
; %bb.58:
	s_or_b64 exec, exec, s[4:5]
	s_mov_b64 s[4:5], 0
	s_branch .LBB596_60
.LBB596_59:
	s_mov_b64 s[4:5], -1
                                        ; implicit-def: $vgpr3
.LBB596_60:
	v_mul_lo_u32 v0, v4, s30
	s_andn2_b64 vcc, exec, s[4:5]
	v_ashrrev_i32_e32 v1, 31, v0
	s_cbranch_vccnz .LBB596_70
; %bb.61:
	v_lshl_add_u64 v[4:5], v[0:1], 1, s[12:13]
	global_load_ushort v3, v[4:5], off
	s_mov_b32 s4, 0x7f800000
	s_waitcnt vmcnt(0)
	v_lshlrev_b32_e32 v3, 16, v3
	v_mul_f32_e32 v3, s11, v3
	v_and_b32_e32 v4, 0x7f800000, v3
	v_cmp_ne_u32_e32 vcc, s4, v4
                                        ; implicit-def: $vgpr4
	s_and_saveexec_b64 s[4:5], vcc
	s_xor_b64 s[4:5], exec, s[4:5]
; %bb.62:
	v_bfe_u32 v4, v3, 16, 1
	s_movk_i32 s6, 0x7fff
	v_add3_u32 v4, v3, v4, s6
                                        ; implicit-def: $vgpr3
; %bb.63:
	s_andn2_saveexec_b64 s[4:5], s[4:5]
; %bb.64:
	v_mov_b32_e32 v4, 0
	v_or_b32_e32 v5, 0x10000, v3
	v_cmp_eq_u32_sdwa vcc, v3, v4 src0_sel:WORD_0 src1_sel:DWORD
	s_nop 1
	v_cndmask_b32_e32 v4, v5, v3, vcc
; %bb.65:
	s_or_b64 exec, exec, s[4:5]
	v_and_b32_e32 v3, 0xffff0000, v4
	v_add_f32_e32 v2, v2, v3
	s_mov_b32 s4, 0x7f800000
	v_and_b32_e32 v3, 0x7f800000, v2
	v_cmp_ne_u32_e32 vcc, s4, v3
                                        ; implicit-def: $vgpr3
	s_and_saveexec_b64 s[4:5], vcc
	s_xor_b64 s[4:5], exec, s[4:5]
; %bb.66:
	v_bfe_u32 v3, v2, 16, 1
	s_movk_i32 s6, 0x7fff
	v_add3_u32 v3, v2, v3, s6
                                        ; implicit-def: $vgpr2
; %bb.67:
	s_andn2_saveexec_b64 s[4:5], s[4:5]
; %bb.68:
	v_mov_b32_e32 v3, 0
	v_or_b32_e32 v4, 0x10000, v2
	v_cmp_eq_u32_sdwa vcc, v2, v3 src0_sel:WORD_0 src1_sel:DWORD
	s_nop 1
	v_cndmask_b32_e32 v3, v4, v2, vcc
; %bb.69:
	s_or_b64 exec, exec, s[4:5]
.LBB596_70:
	v_lshrrev_b32_e32 v5, 16, v3
	s_or_b64 s[4:5], s[14:15], exec
.LBB596_71:
	s_or_b64 exec, exec, s[2:3]
	s_andn2_b64 s[2:3], s[14:15], exec
	s_and_b64 s[4:5], s[4:5], exec
	s_or_b64 s[14:15], s[2:3], s[4:5]
.LBB596_72:
	s_or_b64 exec, exec, s[0:1]
.LBB596_73:
	s_and_saveexec_b64 s[0:1], s[14:15]
	s_cbranch_execz .LBB596_75
; %bb.74:
	v_lshl_add_u64 v[0:1], v[0:1], 1, s[12:13]
	global_store_short v[0:1], v5, off
.LBB596_75:
	s_endpgm
	.section	.rodata,"a",@progbits
	.p2align	6, 0x0
	.amdhsa_kernel _ZL20rocblas_gemvn_kernelILi64ELi16EiPK16rocblas_bfloat16fKPS0_EviiT3_lPKT2_lT1_lS8_lS9_lS5_lPT4_lS9_li
		.amdhsa_group_segment_fixed_size 16384
		.amdhsa_private_segment_fixed_size 0
		.amdhsa_kernarg_size 400
		.amdhsa_user_sgpr_count 2
		.amdhsa_user_sgpr_dispatch_ptr 0
		.amdhsa_user_sgpr_queue_ptr 0
		.amdhsa_user_sgpr_kernarg_segment_ptr 1
		.amdhsa_user_sgpr_dispatch_id 0
		.amdhsa_user_sgpr_kernarg_preload_length 0
		.amdhsa_user_sgpr_kernarg_preload_offset 0
		.amdhsa_user_sgpr_private_segment_size 0
		.amdhsa_uses_dynamic_stack 0
		.amdhsa_enable_private_segment 0
		.amdhsa_system_sgpr_workgroup_id_x 1
		.amdhsa_system_sgpr_workgroup_id_y 0
		.amdhsa_system_sgpr_workgroup_id_z 1
		.amdhsa_system_sgpr_workgroup_info 0
		.amdhsa_system_vgpr_workitem_id 1
		.amdhsa_next_free_vgpr 45
		.amdhsa_next_free_sgpr 39
		.amdhsa_accum_offset 48
		.amdhsa_reserve_vcc 1
		.amdhsa_float_round_mode_32 0
		.amdhsa_float_round_mode_16_64 0
		.amdhsa_float_denorm_mode_32 3
		.amdhsa_float_denorm_mode_16_64 3
		.amdhsa_dx10_clamp 1
		.amdhsa_ieee_mode 1
		.amdhsa_fp16_overflow 0
		.amdhsa_tg_split 0
		.amdhsa_exception_fp_ieee_invalid_op 0
		.amdhsa_exception_fp_denorm_src 0
		.amdhsa_exception_fp_ieee_div_zero 0
		.amdhsa_exception_fp_ieee_overflow 0
		.amdhsa_exception_fp_ieee_underflow 0
		.amdhsa_exception_fp_ieee_inexact 0
		.amdhsa_exception_int_div_zero 0
	.end_amdhsa_kernel
	.section	.text._ZL20rocblas_gemvn_kernelILi64ELi16EiPK16rocblas_bfloat16fKPS0_EviiT3_lPKT2_lT1_lS8_lS9_lS5_lPT4_lS9_li,"axG",@progbits,_ZL20rocblas_gemvn_kernelILi64ELi16EiPK16rocblas_bfloat16fKPS0_EviiT3_lPKT2_lT1_lS8_lS9_lS5_lPT4_lS9_li,comdat
.Lfunc_end596:
	.size	_ZL20rocblas_gemvn_kernelILi64ELi16EiPK16rocblas_bfloat16fKPS0_EviiT3_lPKT2_lT1_lS8_lS9_lS5_lPT4_lS9_li, .Lfunc_end596-_ZL20rocblas_gemvn_kernelILi64ELi16EiPK16rocblas_bfloat16fKPS0_EviiT3_lPKT2_lT1_lS8_lS9_lS5_lPT4_lS9_li
                                        ; -- End function
	.section	.AMDGPU.csdata,"",@progbits
; Kernel info:
; codeLenInByte = 2856
; NumSgprs: 45
; NumVgprs: 45
; NumAgprs: 0
; TotalNumVgprs: 45
; ScratchSize: 0
; MemoryBound: 0
; FloatMode: 240
; IeeeMode: 1
; LDSByteSize: 16384 bytes/workgroup (compile time only)
; SGPRBlocks: 5
; VGPRBlocks: 5
; NumSGPRsForWavesPerEU: 45
; NumVGPRsForWavesPerEU: 45
; AccumOffset: 48
; Occupancy: 8
; WaveLimiterHint : 1
; COMPUTE_PGM_RSRC2:SCRATCH_EN: 0
; COMPUTE_PGM_RSRC2:USER_SGPR: 2
; COMPUTE_PGM_RSRC2:TRAP_HANDLER: 0
; COMPUTE_PGM_RSRC2:TGID_X_EN: 1
; COMPUTE_PGM_RSRC2:TGID_Y_EN: 0
; COMPUTE_PGM_RSRC2:TGID_Z_EN: 1
; COMPUTE_PGM_RSRC2:TIDIG_COMP_CNT: 1
; COMPUTE_PGM_RSRC3_GFX90A:ACCUM_OFFSET: 11
; COMPUTE_PGM_RSRC3_GFX90A:TG_SPLIT: 0
	.section	.text._ZL20rocblas_gemvn_kernelILi64ELi16ElPK16rocblas_bfloat16fKPS0_EviiT3_lPKT2_lT1_lS8_lS9_lS5_lPT4_lS9_li,"axG",@progbits,_ZL20rocblas_gemvn_kernelILi64ELi16ElPK16rocblas_bfloat16fKPS0_EviiT3_lPKT2_lT1_lS8_lS9_lS5_lPT4_lS9_li,comdat
	.globl	_ZL20rocblas_gemvn_kernelILi64ELi16ElPK16rocblas_bfloat16fKPS0_EviiT3_lPKT2_lT1_lS8_lS9_lS5_lPT4_lS9_li ; -- Begin function _ZL20rocblas_gemvn_kernelILi64ELi16ElPK16rocblas_bfloat16fKPS0_EviiT3_lPKT2_lT1_lS8_lS9_lS5_lPT4_lS9_li
	.p2align	8
	.type	_ZL20rocblas_gemvn_kernelILi64ELi16ElPK16rocblas_bfloat16fKPS0_EviiT3_lPKT2_lT1_lS8_lS9_lS5_lPT4_lS9_li,@function
_ZL20rocblas_gemvn_kernelILi64ELi16ElPK16rocblas_bfloat16fKPS0_EviiT3_lPKT2_lT1_lS8_lS9_lS5_lPT4_lS9_li: ; @_ZL20rocblas_gemvn_kernelILi64ELi16ElPK16rocblas_bfloat16fKPS0_EviiT3_lPKT2_lT1_lS8_lS9_lS5_lPT4_lS9_li
; %bb.0:
	s_load_dwordx2 s[4:5], s[0:1], 0x9c
	s_mov_b32 s12, s3
	s_waitcnt lgkmcnt(0)
	s_and_b32 s3, s5, 0xffff
	s_lshr_b32 s5, s4, 16
	s_and_b32 s4, s4, 0xffff
	s_mul_i32 s4, s5, s4
	s_mul_i32 s4, s4, s3
	s_cmpk_lg_i32 s4, 0x400
	s_cbranch_scc1 .LBB597_75
; %bb.1:
	s_load_dwordx4 s[8:11], s[0:1], 0x0
	s_waitcnt lgkmcnt(0)
	s_load_dword s11, s[0:1], 0x58
	v_cmp_eq_f32_e64 s[26:27], s10, 0
	s_waitcnt lgkmcnt(0)
	v_cmp_eq_f32_e64 s[4:5], s11, 1.0
	s_and_b64 s[4:5], s[26:27], s[4:5]
	s_and_b64 vcc, exec, s[4:5]
	s_cbranch_vccnz .LBB597_75
; %bb.2:
	s_load_dwordx4 s[4:7], s[0:1], 0x18
	s_load_dwordx2 s[18:19], s[0:1], 0x28
	v_cmp_neq_f32_e64 s[14:15], s10, 0
	s_mov_b32 s13, 0
	s_and_b64 vcc, exec, s[14:15]
	s_cbranch_vccnz .LBB597_4
; %bb.3:
	s_mov_b64 s[20:21], 0
	s_cbranch_execz .LBB597_5
	s_branch .LBB597_6
.LBB597_4:
                                        ; implicit-def: $sgpr20_sgpr21
.LBB597_5:
	s_lshl_b64 s[16:17], s[12:13], 3
	s_waitcnt lgkmcnt(0)
	s_add_u32 s4, s4, s16
	s_addc_u32 s5, s5, s17
	s_load_dwordx2 s[4:5], s[4:5], 0x0
	s_lshl_b64 s[6:7], s[6:7], 1
	s_waitcnt lgkmcnt(0)
	s_add_u32 s20, s4, s6
	s_addc_u32 s21, s5, s7
.LBB597_6:
	s_waitcnt lgkmcnt(0)
	s_load_dwordx4 s[4:7], s[0:1], 0x38
	s_load_dwordx2 s[22:23], s[0:1], 0x48
	s_mov_b64 s[16:17], 0
	s_andn2_b64 vcc, exec, s[14:15]
	s_mov_b64 s[24:25], 0
	s_cbranch_vccnz .LBB597_8
; %bb.7:
	s_lshl_b64 s[14:15], s[12:13], 3
	s_waitcnt lgkmcnt(0)
	s_add_u32 s4, s4, s14
	s_addc_u32 s5, s5, s15
	s_load_dwordx2 s[4:5], s[4:5], 0x0
	s_lshl_b64 s[6:7], s[6:7], 1
	s_waitcnt lgkmcnt(0)
	s_add_u32 s24, s4, s6
	s_addc_u32 s25, s5, s7
.LBB597_8:
	s_waitcnt lgkmcnt(0)
	s_load_dwordx4 s[4:7], s[0:1], 0x68
	s_load_dwordx2 s[14:15], s[0:1], 0x78
	s_lshl_b64 s[0:1], s[12:13], 3
	v_and_b32_e32 v33, 0x3ff, v0
	v_bfe_u32 v34, v0, 10, 10
	s_waitcnt lgkmcnt(0)
	s_add_u32 s0, s4, s0
	s_addc_u32 s1, s5, s1
	s_load_dwordx2 s[0:1], s[0:1], 0x0
	s_lshl_b64 s[4:5], s[6:7], 1
	v_lshl_add_u32 v32, v34, 6, v33
	s_waitcnt lgkmcnt(0)
	s_add_u32 s12, s0, s4
	s_addc_u32 s13, s1, s5
	s_andn2_b64 vcc, exec, s[26:27]
	s_cbranch_vccnz .LBB597_19
; %bb.9:
	s_movk_i32 s0, 0x100
	v_cmp_gt_u32_e32 vcc, s0, v32
	s_mov_b64 s[0:1], 0
                                        ; implicit-def: $vgpr3
                                        ; implicit-def: $vgpr0_vgpr1
	s_and_saveexec_b64 s[4:5], vcc
	s_cbranch_execz .LBB597_20
; %bb.10:
	v_lshl_or_b32 v2, s2, 8, v32
	v_mov_b32_e32 v3, 0
	s_ashr_i32 s7, s8, 31
	s_mov_b32 s6, s8
	v_cmp_gt_i64_e32 vcc, s[6:7], v[2:3]
                                        ; implicit-def: $vgpr0_vgpr1
	s_and_saveexec_b64 s[6:7], vcc
	s_cbranch_execz .LBB597_18
; %bb.11:
	v_mad_u64_u32 v[0:1], s[26:27], v2, s14, 0
	v_mov_b32_e32 v4, v1
	v_cmp_eq_f32_e64 s[16:17], s11, 0
	v_mad_u64_u32 v[4:5], s[26:27], v2, s15, v[4:5]
	v_mov_b32_e32 v1, v4
	s_and_b64 vcc, exec, s[16:17]
	s_cbranch_vccnz .LBB597_17
; %bb.12:
	v_lshl_add_u64 v[2:3], v[0:1], 1, s[12:13]
	global_load_ushort v2, v[2:3], off
	s_mov_b32 s3, 0x7f800000
	s_waitcnt vmcnt(0)
	v_lshlrev_b32_e32 v2, 16, v2
	v_mul_f32_e32 v2, s11, v2
	v_and_b32_e32 v3, 0x7f800000, v2
	v_cmp_ne_u32_e32 vcc, s3, v3
                                        ; implicit-def: $vgpr3
	s_and_saveexec_b64 s[16:17], vcc
	s_xor_b64 s[16:17], exec, s[16:17]
; %bb.13:
	v_bfe_u32 v3, v2, 16, 1
	s_movk_i32 s3, 0x7fff
	v_add3_u32 v3, v2, v3, s3
                                        ; implicit-def: $vgpr2
; %bb.14:
	s_andn2_saveexec_b64 s[16:17], s[16:17]
; %bb.15:
	v_mov_b32_e32 v3, 0
	v_or_b32_e32 v4, 0x10000, v2
	v_cmp_eq_u32_sdwa vcc, v2, v3 src0_sel:WORD_0 src1_sel:DWORD
	s_nop 1
	v_cndmask_b32_e32 v3, v4, v2, vcc
; %bb.16:
	s_or_b64 exec, exec, s[16:17]
	v_lshrrev_b32_e32 v3, 16, v3
.LBB597_17:
	s_mov_b64 s[16:17], exec
.LBB597_18:
	s_or_b64 exec, exec, s[6:7]
	s_and_b64 s[16:17], s[16:17], exec
	s_or_b64 exec, exec, s[4:5]
	s_and_b64 vcc, exec, s[0:1]
	s_cbranch_vccnz .LBB597_21
	s_branch .LBB597_73
.LBB597_19:
                                        ; implicit-def: $vgpr3
                                        ; implicit-def: $vgpr0_vgpr1
	s_cbranch_execnz .LBB597_21
	s_branch .LBB597_73
.LBB597_20:
	s_or_b64 exec, exec, s[4:5]
	s_and_b64 vcc, exec, s[0:1]
	s_cbranch_vccz .LBB597_73
.LBB597_21:
	s_ashr_i32 s0, s9, 31
	s_lshr_b32 s0, s0, 26
	s_add_i32 s44, s9, s0
	s_lshl_b32 s33, s2, 8
	s_andn2_b32 s44, s44, 63
	v_lshlrev_b32_e32 v39, 2, v34
	v_add_u32_e32 v0, s33, v33
	v_cmp_gt_i32_e32 vcc, s44, v39
	v_mov_b32_e32 v35, 0
	v_mov_b32_e32 v36, 0
	;; [unrolled: 1-line block ×4, first 2 shown]
	s_and_saveexec_b64 s[26:27], vcc
	s_cbranch_execz .LBB597_33
; %bb.22:
	v_add_u32_e32 v2, 64, v0
	v_cmp_gt_i32_e64 s[0:1], s8, v2
	v_add_u32_e32 v2, 0x80, v0
	v_ashrrev_i32_e32 v1, 31, v0
	v_cmp_gt_i32_e64 s[2:3], s8, v2
	v_add_u32_e32 v2, 0xc0, v0
	v_cmp_gt_i32_e64 s[4:5], s8, v2
	v_lshlrev_b64 v[2:3], 1, v[0:1]
	v_lshlrev_b32_e32 v1, 2, v34
	v_or_b32_e32 v15, 3, v1
	v_mad_u64_u32 v[4:5], s[6:7], s18, v15, 0
	v_mov_b32_e32 v6, v5
	v_mad_u64_u32 v[6:7], s[6:7], s19, v15, v[6:7]
	v_mov_b32_e32 v5, v6
	;; [unrolled: 2-line block ×6, first 2 shown]
	v_mov_b64_e32 v[10:11], s[22:23]
	v_mad_u64_u32 v[10:11], s[6:7], s22, v1, v[10:11]
	v_mov_b32_e32 v12, v11
	v_mad_u64_u32 v[12:13], s[6:7], s23, v1, v[12:13]
	v_mov_b32_e32 v11, v12
	;; [unrolled: 2-line block ×3, first 2 shown]
	v_mad_u64_u32 v[14:15], s[6:7], s23, v15, v[14:15]
	v_or_b32_e32 v21, 2, v1
	v_mov_b32_e32 v13, v14
	v_mad_u64_u32 v[14:15], s[6:7], s18, v21, 0
	v_mov_b32_e32 v16, v15
	v_mad_u64_u32 v[16:17], s[6:7], s19, v21, v[16:17]
	v_mov_b32_e32 v15, v16
	v_mov_b64_e32 v[16:17], s[18:19]
	v_mad_u64_u32 v[16:17], s[6:7], s18, v1, v[16:17]
	v_mov_b32_e32 v18, v17
	v_mad_u64_u32 v[18:19], s[6:7], s19, v1, v[18:19]
	v_mov_b32_e32 v17, v18
	;; [unrolled: 2-line block ×4, first 2 shown]
	v_cmp_gt_i32_e32 vcc, s8, v0
	v_lshl_add_u64 v[4:5], v[4:5], 1, s[20:21]
	s_lshl_b64 s[28:29], s[18:19], 7
	v_lshlrev_b64 v[6:7], 3, v[6:7]
	s_lshl_b64 s[30:31], s[22:23], 7
	v_lshl_add_u64 v[8:9], v[8:9], 3, s[20:21]
	v_lshlrev_b64 v[10:11], 1, v[10:11]
	v_lshlrev_b64 v[12:13], 1, v[12:13]
	v_lshl_add_u64 v[14:15], v[14:15], 1, s[20:21]
	v_lshl_add_u64 v[16:17], v[16:17], 1, s[20:21]
	v_lshlrev_b64 v[18:19], 1, v[18:19]
	s_mov_b64 s[34:35], 0
	v_mov_b32_e32 v35, 0
	s_mov_b64 s[36:37], s[24:25]
	v_mov_b32_e32 v36, 0
	v_mov_b32_e32 v37, 0
	;; [unrolled: 1-line block ×3, first 2 shown]
	s_branch .LBB597_27
.LBB597_23:                             ;   in Loop: Header=BB597_27 Depth=1
	s_or_b64 exec, exec, s[42:43]
	s_waitcnt vmcnt(0) lgkmcnt(0)
	v_lshlrev_b32_e32 v24, 16, v50
	v_fmac_f32_e32 v37, v22, v24
	v_lshlrev_b32_e32 v24, 16, v49
	v_fmac_f32_e32 v37, v23, v24
	;; [unrolled: 2-line block ×4, first 2 shown]
.LBB597_24:                             ;   in Loop: Header=BB597_27 Depth=1
	s_or_b64 exec, exec, s[40:41]
	s_waitcnt vmcnt(0) lgkmcnt(0)
	v_lshlrev_b32_e32 v24, 16, v46
	v_fmac_f32_e32 v36, v22, v24
	v_lshlrev_b32_e32 v24, 16, v45
	v_fmac_f32_e32 v36, v23, v24
	;; [unrolled: 2-line block ×4, first 2 shown]
.LBB597_25:                             ;   in Loop: Header=BB597_27 Depth=1
	s_or_b64 exec, exec, s[38:39]
	v_lshlrev_b32_e32 v24, 16, v42
	v_fmac_f32_e32 v35, v22, v24
	v_lshlrev_b32_e32 v22, 16, v41
	v_fmac_f32_e32 v35, v23, v22
	;; [unrolled: 2-line block ×4, first 2 shown]
.LBB597_26:                             ;   in Loop: Header=BB597_27 Depth=1
	s_or_b64 exec, exec, s[6:7]
	v_add_u32_e32 v39, 64, v39
	s_add_u32 s36, s36, s30
	s_addc_u32 s37, s37, s31
	v_cmp_le_i32_e64 s[6:7], s44, v39
	v_lshl_add_u64 v[4:5], v[4:5], 0, s[28:29]
	v_lshl_add_u64 v[8:9], v[8:9], 0, s[28:29]
	;; [unrolled: 1-line block ×3, first 2 shown]
	s_or_b64 s[34:35], s[6:7], s[34:35]
	v_lshl_add_u64 v[16:17], v[16:17], 0, s[28:29]
	s_andn2_b64 exec, exec, s[34:35]
	s_cbranch_execz .LBB597_32
.LBB597_27:                             ; =>This Inner Loop Header: Depth=1
	s_and_saveexec_b64 s[6:7], vcc
	s_cbranch_execz .LBB597_26
; %bb.28:                               ;   in Loop: Header=BB597_27 Depth=1
	v_lshl_add_u64 v[20:21], s[36:37], 0, v[6:7]
	v_lshl_add_u64 v[24:25], s[36:37], 0, v[18:19]
	;; [unrolled: 1-line block ×4, first 2 shown]
	flat_load_ushort v43, v[20:21]
	flat_load_ushort v44, v[22:23]
	;; [unrolled: 1-line block ×4, first 2 shown]
	v_lshl_add_u64 v[24:25], v[8:9], 0, v[2:3]
	v_lshl_add_u64 v[26:27], v[16:17], 0, v[2:3]
	;; [unrolled: 1-line block ×4, first 2 shown]
	flat_load_ushort v42, v[24:25]
	flat_load_ushort v41, v[26:27]
	;; [unrolled: 1-line block ×4, first 2 shown]
	s_waitcnt vmcnt(0) lgkmcnt(0)
	v_lshlrev_b32_e32 v22, 16, v43
	v_lshlrev_b32_e32 v23, 16, v44
	;; [unrolled: 1-line block ×4, first 2 shown]
	s_and_saveexec_b64 s[38:39], s[0:1]
	s_cbranch_execz .LBB597_25
; %bb.29:                               ;   in Loop: Header=BB597_27 Depth=1
	flat_load_ushort v46, v[24:25] offset:128
	flat_load_ushort v45, v[26:27] offset:128
	flat_load_ushort v44, v[30:31] offset:128
	flat_load_ushort v43, v[28:29] offset:128
	s_and_saveexec_b64 s[40:41], s[2:3]
	s_cbranch_execz .LBB597_24
; %bb.30:                               ;   in Loop: Header=BB597_27 Depth=1
	flat_load_ushort v50, v[24:25] offset:256
	flat_load_ushort v49, v[26:27] offset:256
	flat_load_ushort v48, v[30:31] offset:256
	flat_load_ushort v47, v[28:29] offset:256
	;; [unrolled: 7-line block ×3, first 2 shown]
	s_waitcnt vmcnt(0) lgkmcnt(0)
	v_lshlrev_b32_e32 v25, 16, v51
	v_lshlrev_b32_e32 v24, 16, v52
	v_pk_mul_f32 v[24:25], v[22:23], v[24:25]
	v_lshlrev_b32_e32 v27, 16, v53
	v_lshlrev_b32_e32 v26, 16, v54
	v_add_f32_e32 v24, v38, v24
	v_add_f32_e32 v28, v24, v25
	v_pk_mul_f32 v[24:25], v[20:21], v[26:27]
	s_nop 0
	v_add_f32_e32 v24, v28, v24
	v_add_f32_e32 v38, v24, v25
	s_branch .LBB597_23
.LBB597_32:
	s_or_b64 exec, exec, s[34:35]
.LBB597_33:
	s_or_b64 exec, exec, s[26:27]
	s_sub_i32 s0, s9, s44
	s_cmp_lt_i32 s0, 1
	s_cbranch_scc1 .LBB597_51
; %bb.34:
	v_cmp_gt_i32_e32 vcc, s9, v39
	v_mov_b32_e32 v10, 0
	v_or_b32_e32 v4, 1, v39
	v_mov_b32_e32 v11, 0
	v_mov_b32_e32 v12, 0
	;; [unrolled: 1-line block ×3, first 2 shown]
	s_and_saveexec_b64 s[2:3], vcc
	s_cbranch_execz .LBB597_42
; %bb.35:
	v_mad_u64_u32 v[2:3], s[0:1], v39, s22, 0
	v_mov_b32_e32 v6, v3
	v_mad_u64_u32 v[6:7], s[0:1], v39, s23, v[6:7]
	v_mov_b32_e32 v3, v6
	v_lshl_add_u64 v[2:3], v[2:3], 1, s[24:25]
	flat_load_ushort v1, v[2:3]
	v_cmp_gt_i32_e64 s[0:1], s9, v4
	v_mov_b32_e32 v12, 0
	v_mov_b32_e32 v11, 0
	;; [unrolled: 1-line block ×3, first 2 shown]
	s_and_saveexec_b64 s[4:5], s[0:1]
	s_cbranch_execz .LBB597_41
; %bb.36:
	v_mad_u64_u32 v[2:3], s[0:1], v4, s22, 0
	v_mov_b32_e32 v6, v3
	v_mad_u64_u32 v[6:7], s[0:1], v4, s23, v[6:7]
	v_mov_b32_e32 v3, v6
	v_lshl_add_u64 v[2:3], v[2:3], 1, s[24:25]
	flat_load_ushort v2, v[2:3]
	v_or_b32_e32 v3, 2, v39
	v_cmp_gt_i32_e64 s[0:1], s9, v3
	v_mov_b32_e32 v11, 0
	v_mov_b32_e32 v10, 0
	s_and_saveexec_b64 s[6:7], s[0:1]
	s_cbranch_execz .LBB597_40
; %bb.37:
	v_mad_u64_u32 v[6:7], s[0:1], v3, s22, 0
	v_mov_b32_e32 v8, v7
	v_mad_u64_u32 v[8:9], s[0:1], v3, s23, v[8:9]
	v_mov_b32_e32 v7, v8
	v_lshl_add_u64 v[6:7], v[6:7], 1, s[24:25]
	flat_load_ushort v3, v[6:7]
	v_or_b32_e32 v5, 3, v39
	v_cmp_gt_i32_e64 s[0:1], s9, v5
	v_mov_b32_e32 v10, 0
	s_and_saveexec_b64 s[26:27], s[0:1]
	s_cbranch_execz .LBB597_39
; %bb.38:
	v_mad_u64_u32 v[6:7], s[0:1], v5, s22, 0
	v_mov_b32_e32 v8, v7
	v_mad_u64_u32 v[8:9], s[0:1], v5, s23, v[8:9]
	v_mov_b32_e32 v7, v8
	v_lshl_add_u64 v[6:7], v[6:7], 1, s[24:25]
	flat_load_ushort v5, v[6:7]
	s_waitcnt vmcnt(0) lgkmcnt(0)
	v_lshlrev_b32_e32 v10, 16, v5
.LBB597_39:
	s_or_b64 exec, exec, s[26:27]
	s_waitcnt vmcnt(0) lgkmcnt(0)
	v_lshlrev_b32_e32 v11, 16, v3
.LBB597_40:
	s_or_b64 exec, exec, s[6:7]
	s_waitcnt vmcnt(0) lgkmcnt(0)
	v_lshlrev_b32_e32 v12, 16, v2
.LBB597_41:
	s_or_b64 exec, exec, s[4:5]
	s_waitcnt vmcnt(0) lgkmcnt(0)
	v_lshlrev_b32_e32 v13, 16, v1
.LBB597_42:
	s_or_b64 exec, exec, s[2:3]
	v_cmp_gt_i32_e64 s[0:1], s8, v0
	s_and_saveexec_b64 s[2:3], s[0:1]
	s_cbranch_execz .LBB597_50
; %bb.43:
	v_mad_u64_u32 v[2:3], s[0:1], v39, s18, 0
	v_mov_b32_e32 v6, v3
	v_mad_u64_u32 v[6:7], s[0:1], v39, s19, v[6:7]
	v_ashrrev_i32_e32 v1, 31, v0
	v_cndmask_b32_e32 v3, 0, v6, vcc
	v_mad_u64_u32 v[6:7], s[0:1], v4, s18, 0
	v_cndmask_b32_e32 v2, 0, v2, vcc
	v_lshlrev_b64 v[8:9], 1, v[0:1]
	v_mov_b32_e32 v14, v7
	v_cmp_gt_i32_e32 vcc, s9, v4
	v_or_b32_e32 v1, 2, v39
	v_mad_u64_u32 v[14:15], s[0:1], v4, s19, v[14:15]
	v_cndmask_b32_e32 v4, 0, v6, vcc
	v_mad_u64_u32 v[6:7], s[0:1], v1, s18, 0
	v_cndmask_b32_e32 v5, 0, v14, vcc
	v_mov_b32_e32 v14, v7
	v_mad_u64_u32 v[14:15], s[0:1], v1, s19, v[14:15]
	v_cmp_gt_i32_e32 vcc, s9, v1
	v_or_b32_e32 v1, 3, v39
	v_lshl_add_u64 v[2:3], v[2:3], 1, s[20:21]
	v_cndmask_b32_e32 v7, 0, v14, vcc
	v_mad_u64_u32 v[14:15], s[0:1], v1, s18, 0
	v_mov_b32_e32 v16, v15
	v_lshl_add_u64 v[2:3], v[2:3], 0, v[8:9]
	v_lshl_add_u64 v[4:5], v[4:5], 1, s[20:21]
	v_cndmask_b32_e32 v6, 0, v6, vcc
	v_mad_u64_u32 v[16:17], s[0:1], v1, s19, v[16:17]
	v_cmp_gt_i32_e32 vcc, s9, v1
	v_lshl_add_u64 v[4:5], v[4:5], 0, v[8:9]
	v_lshl_add_u64 v[6:7], v[6:7], 1, s[20:21]
	v_cndmask_b32_e32 v14, 0, v14, vcc
	v_cndmask_b32_e32 v15, 0, v16, vcc
	flat_load_ushort v1, v[2:3]
	flat_load_ushort v16, v[4:5]
	v_lshl_add_u64 v[6:7], v[6:7], 0, v[8:9]
	v_lshl_add_u64 v[14:15], v[14:15], 1, s[20:21]
	;; [unrolled: 1-line block ×3, first 2 shown]
	flat_load_ushort v14, v[6:7]
	flat_load_ushort v15, v[8:9]
	v_add_u32_e32 v17, 64, v0
	v_cmp_gt_i32_e32 vcc, s8, v17
	s_waitcnt vmcnt(0) lgkmcnt(0)
	v_lshlrev_b32_e32 v1, 16, v1
	v_lshlrev_b32_e32 v16, 16, v16
	v_fmac_f32_e32 v35, v13, v1
	v_fmac_f32_e32 v35, v12, v16
	v_lshlrev_b32_e32 v14, 16, v14
	v_lshlrev_b32_e32 v1, 16, v15
	v_fmac_f32_e32 v35, v11, v14
	s_and_saveexec_b64 s[0:1], vcc
	s_cbranch_execz .LBB597_49
; %bb.44:
	flat_load_ushort v14, v[2:3] offset:128
	flat_load_ushort v15, v[4:5] offset:128
	;; [unrolled: 1-line block ×4, first 2 shown]
	v_add_u32_e32 v18, 0x80, v0
	v_cmp_gt_i32_e32 vcc, s8, v18
	s_waitcnt vmcnt(0) lgkmcnt(0)
	v_lshlrev_b32_e32 v19, 16, v14
	v_lshlrev_b32_e32 v15, 16, v15
	v_fmac_f32_e32 v36, v13, v19
	v_lshlrev_b32_e32 v16, 16, v16
	v_fmac_f32_e32 v36, v12, v15
	;; [unrolled: 2-line block ×3, first 2 shown]
	s_and_saveexec_b64 s[4:5], vcc
	s_cbranch_execz .LBB597_48
; %bb.45:
	flat_load_ushort v15, v[2:3] offset:256
	flat_load_ushort v16, v[4:5] offset:256
	flat_load_ushort v17, v[6:7] offset:256
	flat_load_ushort v18, v[8:9] offset:256
	v_add_u32_e32 v19, 0xc0, v0
	v_cmp_gt_i32_e32 vcc, s8, v19
	s_waitcnt vmcnt(0) lgkmcnt(0)
	v_lshlrev_b32_e32 v15, 16, v15
	v_lshlrev_b32_e32 v16, 16, v16
	v_fmac_f32_e32 v37, v13, v15
	v_lshlrev_b32_e32 v17, 16, v17
	v_fmac_f32_e32 v37, v12, v16
	;; [unrolled: 2-line block ×3, first 2 shown]
	s_and_saveexec_b64 s[6:7], vcc
	s_cbranch_execz .LBB597_47
; %bb.46:
	flat_load_ushort v15, v[2:3] offset:384
	flat_load_ushort v16, v[4:5] offset:384
	;; [unrolled: 1-line block ×4, first 2 shown]
	s_waitcnt vmcnt(0) lgkmcnt(0)
	v_lshlrev_b32_e32 v2, 16, v15
	v_lshlrev_b32_e32 v3, 16, v16
	v_fmac_f32_e32 v38, v13, v2
	v_lshlrev_b32_e32 v4, 16, v17
	v_fmac_f32_e32 v38, v12, v3
	v_fmac_f32_e32 v38, v11, v4
	v_lshlrev_b32_e32 v2, 16, v18
	v_fmac_f32_e32 v38, v10, v2
.LBB597_47:
	s_or_b64 exec, exec, s[6:7]
	v_fmac_f32_e32 v37, v10, v0
.LBB597_48:
	s_or_b64 exec, exec, s[4:5]
	v_fmac_f32_e32 v36, v10, v14
.LBB597_49:
	s_or_b64 exec, exec, s[0:1]
	v_fmac_f32_e32 v35, v10, v1
.LBB597_50:
	s_or_b64 exec, exec, s[2:3]
.LBB597_51:
	v_lshlrev_b32_e32 v0, 8, v34
	s_movk_i32 s0, 0x100
	v_add_lshl_u32 v0, v0, v33, 2
	v_cmp_gt_u32_e32 vcc, s0, v32
	ds_write2st64_b32 v0, v35, v36 offset1:1
	ds_write2st64_b32 v0, v37, v38 offset0:2 offset1:3
	s_waitcnt lgkmcnt(0)
	s_barrier
	s_waitcnt lgkmcnt(0)
                                        ; implicit-def: $vgpr3
                                        ; implicit-def: $vgpr0_vgpr1
	s_and_saveexec_b64 s[0:1], vcc
	s_cbranch_execz .LBB597_72
; %bb.52:
	v_lshlrev_b32_e32 v10, 2, v32
	ds_read2st64_b32 v[0:1], v10 offset1:4
	ds_read2st64_b32 v[2:3], v10 offset0:8 offset1:12
	ds_read2st64_b32 v[4:5], v10 offset0:16 offset1:20
	;; [unrolled: 1-line block ×4, first 2 shown]
	s_waitcnt lgkmcnt(4)
	v_add_f32_e32 v0, v0, v1
	s_waitcnt lgkmcnt(3)
	v_add_f32_e32 v0, v2, v0
	v_add_f32_e32 v0, v3, v0
	s_waitcnt lgkmcnt(2)
	v_add_f32_e32 v0, v4, v0
	;; [unrolled: 3-line block ×3, first 2 shown]
	v_add_f32_e32 v2, v7, v0
	ds_read2st64_b32 v[0:1], v10 offset0:40 offset1:44
	s_waitcnt lgkmcnt(1)
	v_add_f32_e32 v4, v8, v2
	ds_read2st64_b32 v[2:3], v10 offset0:48 offset1:52
	v_add_f32_e32 v6, v9, v4
	ds_read2st64_b32 v[4:5], v10 offset0:56 offset1:60
	s_waitcnt lgkmcnt(2)
	v_add_f32_e32 v0, v0, v6
	v_add_f32_e32 v0, v1, v0
	s_waitcnt lgkmcnt(1)
	v_add_f32_e32 v0, v2, v0
	v_add_f32_e32 v0, v3, v0
	s_waitcnt lgkmcnt(0)
	v_add_f32_e32 v0, v4, v0
	v_or_b32_e32 v2, s33, v32
	v_add_f32_e32 v4, v5, v0
	v_cmp_gt_i32_e32 vcc, s8, v2
	s_mov_b64 s[4:5], s[16:17]
	ds_write_b32 v10, v4
                                        ; implicit-def: $vgpr3
                                        ; implicit-def: $vgpr0_vgpr1
	s_and_saveexec_b64 s[2:3], vcc
	s_cbranch_execz .LBB597_71
; %bb.53:
	v_cmp_eq_f32_e64 s[4:5], s11, 0
	v_mul_f32_e32 v0, s10, v4
	s_and_b64 vcc, exec, s[4:5]
	s_cbranch_vccz .LBB597_59
; %bb.54:
	s_mov_b32 s4, 0x7f800000
	v_and_b32_e32 v1, 0x7f800000, v0
	v_cmp_ne_u32_e32 vcc, s4, v1
                                        ; implicit-def: $vgpr1
	s_and_saveexec_b64 s[4:5], vcc
	s_xor_b64 s[4:5], exec, s[4:5]
; %bb.55:
	v_bfe_u32 v1, v0, 16, 1
	s_movk_i32 s6, 0x7fff
	v_add3_u32 v1, v0, v1, s6
; %bb.56:
	s_andn2_saveexec_b64 s[4:5], s[4:5]
; %bb.57:
	v_mov_b32_e32 v1, 0
	v_or_b32_e32 v3, 0x10000, v0
	v_cmp_eq_u32_sdwa vcc, v0, v1 src0_sel:WORD_0 src1_sel:DWORD
	s_nop 1
	v_cndmask_b32_e32 v1, v3, v0, vcc
; %bb.58:
	s_or_b64 exec, exec, s[4:5]
	s_mov_b64 s[4:5], 0
	s_branch .LBB597_60
.LBB597_59:
	s_mov_b64 s[4:5], -1
                                        ; implicit-def: $vgpr1
.LBB597_60:
	v_ashrrev_i32_e32 v3, 31, v2
	s_andn2_b64 vcc, exec, s[4:5]
	v_mul_lo_u32 v4, v2, s15
	v_mul_lo_u32 v5, v3, s14
	s_cbranch_vccnz .LBB597_70
; %bb.61:
	v_mad_u64_u32 v[6:7], s[4:5], v2, s14, 0
	v_add3_u32 v7, v7, v4, v5
	v_lshl_add_u64 v[6:7], v[6:7], 1, s[12:13]
	global_load_ushort v1, v[6:7], off
	s_mov_b32 s4, 0x7f800000
	s_waitcnt vmcnt(0)
	v_lshlrev_b32_e32 v1, 16, v1
	v_mul_f32_e32 v1, s11, v1
	v_and_b32_e32 v3, 0x7f800000, v1
	v_cmp_ne_u32_e32 vcc, s4, v3
                                        ; implicit-def: $vgpr3
	s_and_saveexec_b64 s[4:5], vcc
	s_xor_b64 s[4:5], exec, s[4:5]
; %bb.62:
	v_bfe_u32 v3, v1, 16, 1
	s_movk_i32 s6, 0x7fff
	v_add3_u32 v3, v1, v3, s6
                                        ; implicit-def: $vgpr1
; %bb.63:
	s_andn2_saveexec_b64 s[4:5], s[4:5]
; %bb.64:
	v_mov_b32_e32 v3, 0
	v_or_b32_e32 v6, 0x10000, v1
	v_cmp_eq_u32_sdwa vcc, v1, v3 src0_sel:WORD_0 src1_sel:DWORD
	s_nop 1
	v_cndmask_b32_e32 v3, v6, v1, vcc
; %bb.65:
	s_or_b64 exec, exec, s[4:5]
	v_and_b32_e32 v1, 0xffff0000, v3
	v_add_f32_e32 v0, v0, v1
	s_mov_b32 s4, 0x7f800000
	v_and_b32_e32 v1, 0x7f800000, v0
	v_cmp_ne_u32_e32 vcc, s4, v1
                                        ; implicit-def: $vgpr1
	s_and_saveexec_b64 s[4:5], vcc
	s_xor_b64 s[4:5], exec, s[4:5]
; %bb.66:
	v_bfe_u32 v1, v0, 16, 1
	s_movk_i32 s6, 0x7fff
	v_add3_u32 v1, v0, v1, s6
                                        ; implicit-def: $vgpr0
; %bb.67:
	s_andn2_saveexec_b64 s[4:5], s[4:5]
; %bb.68:
	v_mov_b32_e32 v1, 0
	v_or_b32_e32 v3, 0x10000, v0
	v_cmp_eq_u32_sdwa vcc, v0, v1 src0_sel:WORD_0 src1_sel:DWORD
	s_nop 1
	v_cndmask_b32_e32 v1, v3, v0, vcc
; %bb.69:
	s_or_b64 exec, exec, s[4:5]
.LBB597_70:
	v_lshrrev_b32_e32 v3, 16, v1
	v_mad_u64_u32 v[0:1], s[4:5], v2, s14, 0
	v_add3_u32 v1, v1, v4, v5
	s_or_b64 s[4:5], s[16:17], exec
.LBB597_71:
	s_or_b64 exec, exec, s[2:3]
	s_andn2_b64 s[2:3], s[16:17], exec
	s_and_b64 s[4:5], s[4:5], exec
	s_or_b64 s[16:17], s[2:3], s[4:5]
.LBB597_72:
	s_or_b64 exec, exec, s[0:1]
.LBB597_73:
	s_and_saveexec_b64 s[0:1], s[16:17]
	s_cbranch_execz .LBB597_75
; %bb.74:
	v_lshl_add_u64 v[0:1], v[0:1], 1, s[12:13]
	global_store_short v[0:1], v3, off
.LBB597_75:
	s_endpgm
	.section	.rodata,"a",@progbits
	.p2align	6, 0x0
	.amdhsa_kernel _ZL20rocblas_gemvn_kernelILi64ELi16ElPK16rocblas_bfloat16fKPS0_EviiT3_lPKT2_lT1_lS8_lS9_lS5_lPT4_lS9_li
		.amdhsa_group_segment_fixed_size 16384
		.amdhsa_private_segment_fixed_size 0
		.amdhsa_kernarg_size 400
		.amdhsa_user_sgpr_count 2
		.amdhsa_user_sgpr_dispatch_ptr 0
		.amdhsa_user_sgpr_queue_ptr 0
		.amdhsa_user_sgpr_kernarg_segment_ptr 1
		.amdhsa_user_sgpr_dispatch_id 0
		.amdhsa_user_sgpr_kernarg_preload_length 0
		.amdhsa_user_sgpr_kernarg_preload_offset 0
		.amdhsa_user_sgpr_private_segment_size 0
		.amdhsa_uses_dynamic_stack 0
		.amdhsa_enable_private_segment 0
		.amdhsa_system_sgpr_workgroup_id_x 1
		.amdhsa_system_sgpr_workgroup_id_y 0
		.amdhsa_system_sgpr_workgroup_id_z 1
		.amdhsa_system_sgpr_workgroup_info 0
		.amdhsa_system_vgpr_workitem_id 1
		.amdhsa_next_free_vgpr 55
		.amdhsa_next_free_sgpr 45
		.amdhsa_accum_offset 56
		.amdhsa_reserve_vcc 1
		.amdhsa_float_round_mode_32 0
		.amdhsa_float_round_mode_16_64 0
		.amdhsa_float_denorm_mode_32 3
		.amdhsa_float_denorm_mode_16_64 3
		.amdhsa_dx10_clamp 1
		.amdhsa_ieee_mode 1
		.amdhsa_fp16_overflow 0
		.amdhsa_tg_split 0
		.amdhsa_exception_fp_ieee_invalid_op 0
		.amdhsa_exception_fp_denorm_src 0
		.amdhsa_exception_fp_ieee_div_zero 0
		.amdhsa_exception_fp_ieee_overflow 0
		.amdhsa_exception_fp_ieee_underflow 0
		.amdhsa_exception_fp_ieee_inexact 0
		.amdhsa_exception_int_div_zero 0
	.end_amdhsa_kernel
	.section	.text._ZL20rocblas_gemvn_kernelILi64ELi16ElPK16rocblas_bfloat16fKPS0_EviiT3_lPKT2_lT1_lS8_lS9_lS5_lPT4_lS9_li,"axG",@progbits,_ZL20rocblas_gemvn_kernelILi64ELi16ElPK16rocblas_bfloat16fKPS0_EviiT3_lPKT2_lT1_lS8_lS9_lS5_lPT4_lS9_li,comdat
.Lfunc_end597:
	.size	_ZL20rocblas_gemvn_kernelILi64ELi16ElPK16rocblas_bfloat16fKPS0_EviiT3_lPKT2_lT1_lS8_lS9_lS5_lPT4_lS9_li, .Lfunc_end597-_ZL20rocblas_gemvn_kernelILi64ELi16ElPK16rocblas_bfloat16fKPS0_EviiT3_lPKT2_lT1_lS8_lS9_lS5_lPT4_lS9_li
                                        ; -- End function
	.section	.AMDGPU.csdata,"",@progbits
; Kernel info:
; codeLenInByte = 3156
; NumSgprs: 51
; NumVgprs: 55
; NumAgprs: 0
; TotalNumVgprs: 55
; ScratchSize: 0
; MemoryBound: 0
; FloatMode: 240
; IeeeMode: 1
; LDSByteSize: 16384 bytes/workgroup (compile time only)
; SGPRBlocks: 6
; VGPRBlocks: 6
; NumSGPRsForWavesPerEU: 51
; NumVGPRsForWavesPerEU: 55
; AccumOffset: 56
; Occupancy: 8
; WaveLimiterHint : 1
; COMPUTE_PGM_RSRC2:SCRATCH_EN: 0
; COMPUTE_PGM_RSRC2:USER_SGPR: 2
; COMPUTE_PGM_RSRC2:TRAP_HANDLER: 0
; COMPUTE_PGM_RSRC2:TGID_X_EN: 1
; COMPUTE_PGM_RSRC2:TGID_Y_EN: 0
; COMPUTE_PGM_RSRC2:TGID_Z_EN: 1
; COMPUTE_PGM_RSRC2:TIDIG_COMP_CNT: 1
; COMPUTE_PGM_RSRC3_GFX90A:ACCUM_OFFSET: 13
; COMPUTE_PGM_RSRC3_GFX90A:TG_SPLIT: 0
	.section	.text._ZL22rocblas_gemvtsm_kernelILb0ELi256EPK16rocblas_bfloat16PKfKPS0_EviiT2_lPKT1_lilSA_lilS7_lPT3_lil,"axG",@progbits,_ZL22rocblas_gemvtsm_kernelILb0ELi256EPK16rocblas_bfloat16PKfKPS0_EviiT2_lPKT1_lilSA_lilS7_lPT3_lil,comdat
	.globl	_ZL22rocblas_gemvtsm_kernelILb0ELi256EPK16rocblas_bfloat16PKfKPS0_EviiT2_lPKT1_lilSA_lilS7_lPT3_lil ; -- Begin function _ZL22rocblas_gemvtsm_kernelILb0ELi256EPK16rocblas_bfloat16PKfKPS0_EviiT2_lPKT1_lilSA_lilS7_lPT3_lil
	.p2align	8
	.type	_ZL22rocblas_gemvtsm_kernelILb0ELi256EPK16rocblas_bfloat16PKfKPS0_EviiT2_lPKT1_lilSA_lilS7_lPT3_lil,@function
_ZL22rocblas_gemvtsm_kernelILb0ELi256EPK16rocblas_bfloat16PKfKPS0_EviiT2_lPKT1_lilSA_lilS7_lPT3_lil: ; @_ZL22rocblas_gemvtsm_kernelILb0ELi256EPK16rocblas_bfloat16PKfKPS0_EviiT2_lPKT1_lilSA_lilS7_lPT3_lil
; %bb.0:
	s_load_dwordx8 s[12:19], s[0:1], 0x8
	s_load_dwordx8 s[4:11], s[0:1], 0x58
	s_waitcnt lgkmcnt(0)
	s_mul_i32 s3, s2, s15
	s_mul_hi_u32 s15, s2, s14
	s_add_i32 s15, s15, s3
	s_mul_i32 s14, s2, s14
	s_lshl_b64 s[14:15], s[14:15], 2
	s_add_u32 s12, s12, s14
	s_mul_i32 s3, s2, s7
	s_mul_hi_u32 s7, s2, s6
	s_addc_u32 s13, s13, s15
	s_add_i32 s7, s7, s3
	s_mul_i32 s6, s2, s6
	s_lshl_b64 s[6:7], s[6:7], 2
	s_add_u32 s4, s4, s6
	s_addc_u32 s5, s5, s7
	s_load_dword s25, s[12:13], 0x0
	s_load_dword s24, s[4:5], 0x0
	s_waitcnt lgkmcnt(0)
	v_cmp_eq_f32_e64 s[22:23], s25, 0
	v_cmp_eq_f32_e64 s[4:5], s24, 1.0
	s_and_b64 s[4:5], s[22:23], s[4:5]
	s_and_b64 vcc, exec, s[4:5]
	s_cbranch_vccnz .LBB598_74
; %bb.1:
	s_mov_b32 s3, 0
	v_cmp_neq_f32_e64 s[6:7], s25, 0
	s_mov_b64 s[20:21], 0
	s_and_b64 vcc, exec, s[22:23]
	s_mov_b64 s[4:5], 0
	s_cbranch_vccnz .LBB598_3
; %bb.2:
	s_lshl_b64 s[4:5], s[2:3], 3
	s_add_u32 s4, s16, s4
	s_addc_u32 s5, s17, s5
	s_load_dwordx2 s[4:5], s[4:5], 0x0
	s_lshl_b64 s[12:13], s[18:19], 1
	s_waitcnt lgkmcnt(0)
	s_add_u32 s4, s4, s12
	s_addc_u32 s5, s5, s13
.LBB598_3:
	s_andn2_b64 vcc, exec, s[6:7]
	s_cbranch_vccnz .LBB598_5
; %bb.4:
	s_load_dwordx4 s[12:15], s[0:1], 0x38
	s_lshl_b64 s[6:7], s[2:3], 3
	s_waitcnt lgkmcnt(0)
	s_add_u32 s6, s12, s6
	s_addc_u32 s7, s13, s7
	s_load_dwordx2 s[6:7], s[6:7], 0x0
	s_lshl_b64 s[12:13], s[14:15], 1
	s_waitcnt lgkmcnt(0)
	s_add_u32 s20, s6, s12
	s_addc_u32 s21, s7, s13
.LBB598_5:
	s_lshl_b64 s[2:3], s[2:3], 3
	s_add_u32 s2, s8, s2
	s_addc_u32 s3, s9, s3
	s_load_dwordx2 s[12:13], s[0:1], 0x0
	s_load_dword s14, s[0:1], 0x78
	s_load_dwordx2 s[6:7], s[2:3], 0x0
	s_andn2_b64 vcc, exec, s[22:23]
	s_mov_b64 s[2:3], -1
	s_cbranch_vccnz .LBB598_24
; %bb.6:
	s_waitcnt lgkmcnt(0)
	s_cmp_gt_i32 s13, 0
	s_cselect_b64 s[8:9], -1, 0
	v_cmp_neq_f32_e64 s[2:3], s24, 0
	v_cndmask_b32_e64 v1, 0, 1, s[8:9]
	s_and_b64 vcc, exec, s[2:3]
	v_cmp_ne_u32_e64 s[2:3], 1, v1
	s_cbranch_vccnz .LBB598_13
; %bb.7:
	s_and_b64 vcc, exec, s[2:3]
	s_cbranch_vccnz .LBB598_12
; %bb.8:
	v_mad_i64_i32 v[2:3], s[8:9], s14, v0, 0
	s_ashr_i32 s15, s14, 31
	s_lshl_b64 s[8:9], s[10:11], 1
	s_add_u32 s8, s6, s8
	s_addc_u32 s9, s7, s9
	v_lshl_add_u64 v[2:3], v[2:3], 1, s[8:9]
	s_lshl_b64 s[8:9], s[14:15], 9
	s_mov_b32 s15, 0
	v_mov_b32_e32 v1, 0
	s_branch .LBB598_10
.LBB598_9:                              ;   in Loop: Header=BB598_10 Depth=1
	s_or_b64 exec, exec, s[16:17]
	s_addk_i32 s15, 0x100
	s_cmp_ge_i32 s15, s13
	v_lshl_add_u64 v[2:3], v[2:3], 0, s[8:9]
	s_cbranch_scc1 .LBB598_12
.LBB598_10:                             ; =>This Inner Loop Header: Depth=1
	v_add_u32_e32 v4, s15, v0
	v_cmp_gt_i32_e32 vcc, s13, v4
	s_and_saveexec_b64 s[16:17], vcc
	s_cbranch_execz .LBB598_9
; %bb.11:                               ;   in Loop: Header=BB598_10 Depth=1
	global_store_short v[2:3], v1, off
	s_branch .LBB598_9
.LBB598_12:
	s_cbranch_execz .LBB598_14
	s_branch .LBB598_23
.LBB598_13:
.LBB598_14:
	s_and_b64 vcc, exec, s[2:3]
	s_cbranch_vccnz .LBB598_23
; %bb.15:
	v_mad_i64_i32 v[2:3], s[2:3], s14, v0, 0
	s_ashr_i32 s15, s14, 31
	s_lshl_b64 s[2:3], s[10:11], 1
	s_add_u32 s2, s6, s2
	s_addc_u32 s3, s7, s3
	v_lshl_add_u64 v[2:3], v[2:3], 1, s[2:3]
	s_lshl_b64 s[2:3], s[14:15], 9
	s_mov_b32 s15, 0
	s_mov_b32 s18, 0x7f800000
	s_movk_i32 s19, 0x7fff
	v_mov_b32_e32 v1, 0
	s_branch .LBB598_18
.LBB598_16:                             ;   in Loop: Header=BB598_18 Depth=1
	s_or_b64 exec, exec, s[16:17]
	global_store_short_d16_hi v[2:3], v5, off
.LBB598_17:                             ;   in Loop: Header=BB598_18 Depth=1
	s_or_b64 exec, exec, s[8:9]
	s_addk_i32 s15, 0x100
	s_cmp_ge_i32 s15, s13
	v_lshl_add_u64 v[2:3], v[2:3], 0, s[2:3]
	s_cbranch_scc1 .LBB598_23
.LBB598_18:                             ; =>This Inner Loop Header: Depth=1
	v_add_u32_e32 v4, s15, v0
	v_cmp_gt_i32_e32 vcc, s13, v4
	s_and_saveexec_b64 s[8:9], vcc
	s_cbranch_execz .LBB598_17
; %bb.19:                               ;   in Loop: Header=BB598_18 Depth=1
	global_load_ushort v4, v[2:3], off
	s_waitcnt vmcnt(0)
	v_lshlrev_b32_e32 v4, 16, v4
	v_mul_f32_e32 v4, s24, v4
	v_and_b32_e32 v5, 0x7f800000, v4
	v_cmp_ne_u32_e32 vcc, s18, v5
                                        ; implicit-def: $vgpr5
	s_and_saveexec_b64 s[16:17], vcc
	s_xor_b64 s[16:17], exec, s[16:17]
; %bb.20:                               ;   in Loop: Header=BB598_18 Depth=1
	v_bfe_u32 v5, v4, 16, 1
	v_add3_u32 v5, v4, v5, s19
                                        ; implicit-def: $vgpr4
; %bb.21:                               ;   in Loop: Header=BB598_18 Depth=1
	s_andn2_saveexec_b64 s[16:17], s[16:17]
	s_cbranch_execz .LBB598_16
; %bb.22:                               ;   in Loop: Header=BB598_18 Depth=1
	v_or_b32_e32 v5, 0x10000, v4
	v_cmp_eq_u32_sdwa vcc, v4, v1 src0_sel:WORD_0 src1_sel:DWORD
	s_nop 1
	v_cndmask_b32_e32 v5, v5, v4, vcc
	s_branch .LBB598_16
.LBB598_23:
	s_mov_b64 s[2:3], 0
.LBB598_24:
	s_andn2_b64 vcc, exec, s[2:3]
	s_cbranch_vccnz .LBB598_74
; %bb.25:
	s_waitcnt lgkmcnt(0)
	v_cmp_gt_i32_e32 vcc, s12, v0
	s_and_saveexec_b64 s[2:3], vcc
	s_cbranch_execz .LBB598_31
; %bb.26:
	s_load_dword s8, s[0:1], 0x48
	s_waitcnt lgkmcnt(0)
	v_mad_i64_i32 v[2:3], s[8:9], s8, v0, 0
	v_lshl_add_u64 v[2:3], v[2:3], 1, s[20:21]
	flat_load_ushort v1, v[2:3]
	s_mov_b32 s8, 0x7f800000
	s_waitcnt vmcnt(0) lgkmcnt(0)
	v_lshlrev_b32_e32 v1, 16, v1
	v_mul_f32_e32 v1, s25, v1
	v_and_b32_e32 v2, 0x7f800000, v1
	v_cmp_ne_u32_e32 vcc, s8, v2
                                        ; implicit-def: $vgpr2
	s_and_saveexec_b64 s[8:9], vcc
	s_xor_b64 s[8:9], exec, s[8:9]
; %bb.27:
	v_bfe_u32 v2, v1, 16, 1
	s_movk_i32 s15, 0x7fff
	v_add3_u32 v2, v1, v2, s15
                                        ; implicit-def: $vgpr1
; %bb.28:
	s_andn2_saveexec_b64 s[8:9], s[8:9]
; %bb.29:
	v_mov_b32_e32 v2, 0
	v_or_b32_e32 v3, 0x10000, v1
	v_cmp_eq_u32_sdwa vcc, v1, v2 src0_sel:WORD_0 src1_sel:DWORD
	s_nop 1
	v_cndmask_b32_e32 v2, v3, v1, vcc
; %bb.30:
	s_or_b64 exec, exec, s[8:9]
	v_and_b32_e32 v1, 0xffff0000, v2
	v_lshlrev_b32_e32 v2, 2, v0
	ds_write_b32 v2, v1
.LBB598_31:
	s_or_b64 exec, exec, s[2:3]
	s_cmp_lt_i32 s13, 1
	s_waitcnt lgkmcnt(0)
	s_barrier
	s_cbranch_scc1 .LBB598_74
; %bb.32:
	s_load_dword s0, s[0:1], 0x28
	s_lshl_b64 s[2:3], s[10:11], 1
	s_add_u32 s8, s6, s2
	s_addc_u32 s9, s7, s3
	s_ashr_i32 s15, s14, 31
	s_waitcnt lgkmcnt(0)
	s_ashr_i32 s1, s0, 31
	s_cmp_gt_i32 s12, 0
	s_cselect_b64 s[2:3], -1, 0
	s_and_b32 s22, s12, 3
	s_cmp_gt_u32 s12, 3
	s_cselect_b64 s[6:7], -1, 0
	s_and_b32 s12, s12, 0x7ffffffc
	s_cmp_lg_u32 s22, 0
	v_mad_i64_i32 v[2:3], s[16:17], s0, v0, 0
	s_cselect_b64 s[18:19], -1, 0
	s_lshl_b64 s[16:17], s[0:1], 9
	v_cmp_neq_f32_e64 s[0:1], s24, 0
	v_lshl_add_u64 v[2:3], v[2:3], 1, s[4:5]
	s_mov_b32 s11, 0
	v_cndmask_b32_e64 v1, 0, 1, s[0:1]
	v_cmp_ne_u32_e64 s[0:1], 1, v1
	v_cndmask_b32_e64 v1, 0, 1, s[2:3]
	v_cmp_ne_u32_e64 s[2:3], 1, v1
	;; [unrolled: 2-line block ×3, first 2 shown]
	v_cndmask_b32_e64 v1, 0, 1, s[18:19]
	s_mov_b32 s23, 0x7f800000
	s_movk_i32 s25, 0x7fff
	v_cmp_ne_u32_e64 s[6:7], 1, v1
	v_mov_b32_e32 v1, 0
	s_mov_b32 s26, 0
	s_branch .LBB598_35
.LBB598_33:                             ;   in Loop: Header=BB598_35 Depth=1
	s_or_b64 exec, exec, s[20:21]
	global_store_short_d16_hi v[4:5], v6, off
.LBB598_34:                             ;   in Loop: Header=BB598_35 Depth=1
	s_or_b64 exec, exec, s[18:19]
	s_addk_i32 s26, 0x100
	s_cmp_ge_i32 s26, s13
	v_lshl_add_u64 v[2:3], v[2:3], 0, s[16:17]
	s_cbranch_scc1 .LBB598_74
.LBB598_35:                             ; =>This Loop Header: Depth=1
                                        ;     Child Loop BB598_46 Depth 2
                                        ;     Child Loop BB598_66 Depth 2
	v_add_u32_e32 v4, s26, v0
	v_cmp_gt_i32_e32 vcc, s13, v4
	s_and_saveexec_b64 s[18:19], vcc
	s_cbranch_execz .LBB598_34
; %bb.36:                               ;   in Loop: Header=BB598_35 Depth=1
	v_mad_u64_u32 v[6:7], s[20:21], v4, s14, 0
	v_mov_b32_e32 v8, v7
	v_mad_u64_u32 v[4:5], s[20:21], v4, s15, v[8:9]
	v_mov_b32_e32 v7, v4
	s_and_b64 vcc, exec, s[0:1]
	v_lshl_add_u64 v[4:5], v[6:7], 1, s[8:9]
	s_cbranch_vccnz .LBB598_42
; %bb.37:                               ;   in Loop: Header=BB598_35 Depth=1
	global_load_ushort v6, v[4:5], off
	s_waitcnt vmcnt(0)
	v_lshlrev_b32_e32 v6, 16, v6
	v_mul_f32_e32 v6, s24, v6
	v_and_b32_e32 v7, 0x7f800000, v6
	v_cmp_ne_u32_e32 vcc, s23, v7
                                        ; implicit-def: $vgpr7
	s_and_saveexec_b64 s[20:21], vcc
	s_xor_b64 s[20:21], exec, s[20:21]
; %bb.38:                               ;   in Loop: Header=BB598_35 Depth=1
	v_bfe_u32 v7, v6, 16, 1
	v_add3_u32 v7, v6, v7, s25
                                        ; implicit-def: $vgpr6
; %bb.39:                               ;   in Loop: Header=BB598_35 Depth=1
	s_andn2_saveexec_b64 s[20:21], s[20:21]
; %bb.40:                               ;   in Loop: Header=BB598_35 Depth=1
	v_or_b32_e32 v7, 0x10000, v6
	v_cmp_eq_u32_sdwa vcc, v6, v1 src0_sel:WORD_0 src1_sel:DWORD
	s_nop 1
	v_cndmask_b32_e32 v7, v7, v6, vcc
; %bb.41:                               ;   in Loop: Header=BB598_35 Depth=1
	s_or_b64 exec, exec, s[20:21]
	v_and_b32_e32 v6, 0xffff0000, v7
	v_cvt_i32_f32_e32 v6, v6
	v_cvt_f32_i32_e32 v8, v6
	s_and_b64 vcc, exec, s[2:3]
	s_cbranch_vccz .LBB598_43
	s_branch .LBB598_70
.LBB598_42:                             ;   in Loop: Header=BB598_35 Depth=1
	v_mov_b32_e32 v6, 0
	v_cvt_f32_i32_e32 v8, v6
	s_and_b64 vcc, exec, s[2:3]
	s_cbranch_vccnz .LBB598_70
.LBB598_43:                             ;   in Loop: Header=BB598_35 Depth=1
	s_mov_b32 s10, 0
	s_and_b64 vcc, exec, s[4:5]
	s_cbranch_vccnz .LBB598_63
; %bb.44:                               ;   in Loop: Header=BB598_35 Depth=1
	s_mov_b32 s27, 0
	v_mov_b64_e32 v[6:7], v[2:3]
	s_branch .LBB598_46
.LBB598_45:                             ;   in Loop: Header=BB598_46 Depth=2
	s_or_b64 exec, exec, s[20:21]
	v_and_b32_e32 v9, 0xffff0000, v9
	v_add_f32_e32 v8, v8, v9
	v_and_b32_e32 v9, 0xffff0000, v10
	v_add_f32_e32 v8, v8, v9
	;; [unrolled: 2-line block ×3, first 2 shown]
	v_and_b32_e32 v9, 0xffff0000, v12
	s_add_i32 s27, s27, 4
	s_add_i32 s10, s10, 16
	v_add_f32_e32 v8, v8, v9
	s_cmp_eq_u32 s12, s27
	v_lshl_add_u64 v[6:7], v[6:7], 0, 8
	s_cbranch_scc1 .LBB598_62
.LBB598_46:                             ;   Parent Loop BB598_35 Depth=1
                                        ; =>  This Inner Loop Header: Depth=2
	flat_load_ushort v9, v[6:7]
	v_mov_b32_e32 v10, s10
	ds_read_b32 v10, v10
	s_waitcnt vmcnt(0) lgkmcnt(0)
	v_lshlrev_b32_e32 v9, 16, v9
	v_mul_f32_e32 v10, v10, v9
	v_and_b32_e32 v9, 0x7f800000, v10
	v_cmp_ne_u32_e32 vcc, s23, v9
                                        ; implicit-def: $vgpr9
	s_and_saveexec_b64 s[20:21], vcc
	s_xor_b64 s[20:21], exec, s[20:21]
; %bb.47:                               ;   in Loop: Header=BB598_46 Depth=2
	v_bfe_u32 v9, v10, 16, 1
	v_add3_u32 v9, v10, v9, s25
                                        ; implicit-def: $vgpr10
; %bb.48:                               ;   in Loop: Header=BB598_46 Depth=2
	s_andn2_saveexec_b64 s[20:21], s[20:21]
; %bb.49:                               ;   in Loop: Header=BB598_46 Depth=2
	v_or_b32_e32 v9, 0x10000, v10
	v_cmp_eq_u32_sdwa vcc, v10, v1 src0_sel:WORD_0 src1_sel:DWORD
	s_nop 1
	v_cndmask_b32_e32 v9, v9, v10, vcc
; %bb.50:                               ;   in Loop: Header=BB598_46 Depth=2
	s_or_b64 exec, exec, s[20:21]
	flat_load_ushort v10, v[6:7] offset:2
	v_mov_b32_e32 v11, s10
	ds_read_b32 v11, v11 offset:4
	s_waitcnt vmcnt(0) lgkmcnt(0)
	v_lshlrev_b32_e32 v10, 16, v10
	v_mul_f32_e32 v11, v11, v10
	v_and_b32_e32 v10, 0x7f800000, v11
	v_cmp_ne_u32_e32 vcc, s23, v10
                                        ; implicit-def: $vgpr10
	s_and_saveexec_b64 s[20:21], vcc
	s_xor_b64 s[20:21], exec, s[20:21]
; %bb.51:                               ;   in Loop: Header=BB598_46 Depth=2
	v_bfe_u32 v10, v11, 16, 1
	v_add3_u32 v10, v11, v10, s25
                                        ; implicit-def: $vgpr11
; %bb.52:                               ;   in Loop: Header=BB598_46 Depth=2
	s_andn2_saveexec_b64 s[20:21], s[20:21]
; %bb.53:                               ;   in Loop: Header=BB598_46 Depth=2
	v_or_b32_e32 v10, 0x10000, v11
	v_cmp_eq_u32_sdwa vcc, v11, v1 src0_sel:WORD_0 src1_sel:DWORD
	s_nop 1
	v_cndmask_b32_e32 v10, v10, v11, vcc
; %bb.54:                               ;   in Loop: Header=BB598_46 Depth=2
	s_or_b64 exec, exec, s[20:21]
	flat_load_ushort v11, v[6:7] offset:4
	v_mov_b32_e32 v12, s10
	ds_read_b32 v12, v12 offset:8
	s_waitcnt vmcnt(0) lgkmcnt(0)
	v_lshlrev_b32_e32 v11, 16, v11
	v_mul_f32_e32 v12, v12, v11
	v_and_b32_e32 v11, 0x7f800000, v12
	v_cmp_ne_u32_e32 vcc, s23, v11
                                        ; implicit-def: $vgpr11
	s_and_saveexec_b64 s[20:21], vcc
	s_xor_b64 s[20:21], exec, s[20:21]
; %bb.55:                               ;   in Loop: Header=BB598_46 Depth=2
	v_bfe_u32 v11, v12, 16, 1
	v_add3_u32 v11, v12, v11, s25
                                        ; implicit-def: $vgpr12
; %bb.56:                               ;   in Loop: Header=BB598_46 Depth=2
	s_andn2_saveexec_b64 s[20:21], s[20:21]
; %bb.57:                               ;   in Loop: Header=BB598_46 Depth=2
	v_or_b32_e32 v11, 0x10000, v12
	v_cmp_eq_u32_sdwa vcc, v12, v1 src0_sel:WORD_0 src1_sel:DWORD
	s_nop 1
	v_cndmask_b32_e32 v11, v11, v12, vcc
; %bb.58:                               ;   in Loop: Header=BB598_46 Depth=2
	s_or_b64 exec, exec, s[20:21]
	flat_load_ushort v12, v[6:7] offset:6
	v_mov_b32_e32 v13, s10
	ds_read_b32 v13, v13 offset:12
	s_waitcnt vmcnt(0) lgkmcnt(0)
	v_lshlrev_b32_e32 v12, 16, v12
	v_mul_f32_e32 v13, v13, v12
	v_and_b32_e32 v12, 0x7f800000, v13
	v_cmp_ne_u32_e32 vcc, s23, v12
                                        ; implicit-def: $vgpr12
	s_and_saveexec_b64 s[20:21], vcc
	s_xor_b64 s[20:21], exec, s[20:21]
; %bb.59:                               ;   in Loop: Header=BB598_46 Depth=2
	v_bfe_u32 v12, v13, 16, 1
	v_add3_u32 v12, v13, v12, s25
                                        ; implicit-def: $vgpr13
; %bb.60:                               ;   in Loop: Header=BB598_46 Depth=2
	s_andn2_saveexec_b64 s[20:21], s[20:21]
	s_cbranch_execz .LBB598_45
; %bb.61:                               ;   in Loop: Header=BB598_46 Depth=2
	v_or_b32_e32 v12, 0x10000, v13
	v_cmp_eq_u32_sdwa vcc, v13, v1 src0_sel:WORD_0 src1_sel:DWORD
	s_nop 1
	v_cndmask_b32_e32 v12, v12, v13, vcc
	s_branch .LBB598_45
.LBB598_62:                             ;   in Loop: Header=BB598_35 Depth=1
	s_mov_b32 s10, s12
.LBB598_63:                             ;   in Loop: Header=BB598_35 Depth=1
	s_and_b64 vcc, exec, s[6:7]
	s_cbranch_vccnz .LBB598_70
; %bb.64:                               ;   in Loop: Header=BB598_35 Depth=1
	s_lshl_b32 s27, s10, 2
	s_lshl_b32 s10, s10, 1
	v_lshl_add_u64 v[6:7], v[2:3], 0, s[10:11]
	s_mov_b32 s10, s22
	s_branch .LBB598_66
.LBB598_65:                             ;   in Loop: Header=BB598_66 Depth=2
	s_or_b64 exec, exec, s[20:21]
	v_and_b32_e32 v9, 0xffff0000, v10
	s_add_i32 s27, s27, 4
	s_add_i32 s10, s10, -1
	v_add_f32_e32 v8, v8, v9
	s_cmp_lg_u32 s10, 0
	v_lshl_add_u64 v[6:7], v[6:7], 0, 2
	s_cbranch_scc0 .LBB598_70
.LBB598_66:                             ;   Parent Loop BB598_35 Depth=1
                                        ; =>  This Inner Loop Header: Depth=2
	flat_load_ushort v9, v[6:7]
	v_mov_b32_e32 v10, s27
	ds_read_b32 v10, v10
	s_waitcnt vmcnt(0) lgkmcnt(0)
	v_lshlrev_b32_e32 v9, 16, v9
	v_mul_f32_e32 v9, v10, v9
	v_and_b32_e32 v10, 0x7f800000, v9
	v_cmp_ne_u32_e32 vcc, s23, v10
                                        ; implicit-def: $vgpr10
	s_and_saveexec_b64 s[20:21], vcc
	s_xor_b64 s[20:21], exec, s[20:21]
; %bb.67:                               ;   in Loop: Header=BB598_66 Depth=2
	v_bfe_u32 v10, v9, 16, 1
	v_add3_u32 v10, v9, v10, s25
                                        ; implicit-def: $vgpr9
; %bb.68:                               ;   in Loop: Header=BB598_66 Depth=2
	s_andn2_saveexec_b64 s[20:21], s[20:21]
	s_cbranch_execz .LBB598_65
; %bb.69:                               ;   in Loop: Header=BB598_66 Depth=2
	v_or_b32_e32 v10, 0x10000, v9
	v_cmp_eq_u32_sdwa vcc, v9, v1 src0_sel:WORD_0 src1_sel:DWORD
	s_nop 1
	v_cndmask_b32_e32 v10, v10, v9, vcc
	s_branch .LBB598_65
.LBB598_70:                             ;   in Loop: Header=BB598_35 Depth=1
	v_and_b32_e32 v6, 0x7f800000, v8
	v_cmp_ne_u32_e32 vcc, s23, v6
                                        ; implicit-def: $vgpr6
	s_and_saveexec_b64 s[20:21], vcc
	s_xor_b64 s[20:21], exec, s[20:21]
; %bb.71:                               ;   in Loop: Header=BB598_35 Depth=1
	v_bfe_u32 v6, v8, 16, 1
	v_add3_u32 v6, v8, v6, s25
                                        ; implicit-def: $vgpr8
; %bb.72:                               ;   in Loop: Header=BB598_35 Depth=1
	s_andn2_saveexec_b64 s[20:21], s[20:21]
	s_cbranch_execz .LBB598_33
; %bb.73:                               ;   in Loop: Header=BB598_35 Depth=1
	v_or_b32_e32 v6, 0x10000, v8
	v_cmp_eq_u32_sdwa vcc, v8, v1 src0_sel:WORD_0 src1_sel:DWORD
	s_nop 1
	v_cndmask_b32_e32 v6, v6, v8, vcc
	s_branch .LBB598_33
.LBB598_74:
	s_endpgm
	.section	.rodata,"a",@progbits
	.p2align	6, 0x0
	.amdhsa_kernel _ZL22rocblas_gemvtsm_kernelILb0ELi256EPK16rocblas_bfloat16PKfKPS0_EviiT2_lPKT1_lilSA_lilS7_lPT3_lil
		.amdhsa_group_segment_fixed_size 256
		.amdhsa_private_segment_fixed_size 0
		.amdhsa_kernarg_size 136
		.amdhsa_user_sgpr_count 2
		.amdhsa_user_sgpr_dispatch_ptr 0
		.amdhsa_user_sgpr_queue_ptr 0
		.amdhsa_user_sgpr_kernarg_segment_ptr 1
		.amdhsa_user_sgpr_dispatch_id 0
		.amdhsa_user_sgpr_kernarg_preload_length 0
		.amdhsa_user_sgpr_kernarg_preload_offset 0
		.amdhsa_user_sgpr_private_segment_size 0
		.amdhsa_uses_dynamic_stack 0
		.amdhsa_enable_private_segment 0
		.amdhsa_system_sgpr_workgroup_id_x 1
		.amdhsa_system_sgpr_workgroup_id_y 0
		.amdhsa_system_sgpr_workgroup_id_z 0
		.amdhsa_system_sgpr_workgroup_info 0
		.amdhsa_system_vgpr_workitem_id 0
		.amdhsa_next_free_vgpr 14
		.amdhsa_next_free_sgpr 28
		.amdhsa_accum_offset 16
		.amdhsa_reserve_vcc 1
		.amdhsa_float_round_mode_32 0
		.amdhsa_float_round_mode_16_64 0
		.amdhsa_float_denorm_mode_32 3
		.amdhsa_float_denorm_mode_16_64 3
		.amdhsa_dx10_clamp 1
		.amdhsa_ieee_mode 1
		.amdhsa_fp16_overflow 0
		.amdhsa_tg_split 0
		.amdhsa_exception_fp_ieee_invalid_op 0
		.amdhsa_exception_fp_denorm_src 0
		.amdhsa_exception_fp_ieee_div_zero 0
		.amdhsa_exception_fp_ieee_overflow 0
		.amdhsa_exception_fp_ieee_underflow 0
		.amdhsa_exception_fp_ieee_inexact 0
		.amdhsa_exception_int_div_zero 0
	.end_amdhsa_kernel
	.section	.text._ZL22rocblas_gemvtsm_kernelILb0ELi256EPK16rocblas_bfloat16PKfKPS0_EviiT2_lPKT1_lilSA_lilS7_lPT3_lil,"axG",@progbits,_ZL22rocblas_gemvtsm_kernelILb0ELi256EPK16rocblas_bfloat16PKfKPS0_EviiT2_lPKT1_lilSA_lilS7_lPT3_lil,comdat
.Lfunc_end598:
	.size	_ZL22rocblas_gemvtsm_kernelILb0ELi256EPK16rocblas_bfloat16PKfKPS0_EviiT2_lPKT1_lilSA_lilS7_lPT3_lil, .Lfunc_end598-_ZL22rocblas_gemvtsm_kernelILb0ELi256EPK16rocblas_bfloat16PKfKPS0_EviiT2_lPKT1_lilSA_lilS7_lPT3_lil
                                        ; -- End function
	.section	.AMDGPU.csdata,"",@progbits
; Kernel info:
; codeLenInByte = 2036
; NumSgprs: 34
; NumVgprs: 14
; NumAgprs: 0
; TotalNumVgprs: 14
; ScratchSize: 0
; MemoryBound: 0
; FloatMode: 240
; IeeeMode: 1
; LDSByteSize: 256 bytes/workgroup (compile time only)
; SGPRBlocks: 4
; VGPRBlocks: 1
; NumSGPRsForWavesPerEU: 34
; NumVGPRsForWavesPerEU: 14
; AccumOffset: 16
; Occupancy: 8
; WaveLimiterHint : 1
; COMPUTE_PGM_RSRC2:SCRATCH_EN: 0
; COMPUTE_PGM_RSRC2:USER_SGPR: 2
; COMPUTE_PGM_RSRC2:TRAP_HANDLER: 0
; COMPUTE_PGM_RSRC2:TGID_X_EN: 1
; COMPUTE_PGM_RSRC2:TGID_Y_EN: 0
; COMPUTE_PGM_RSRC2:TGID_Z_EN: 0
; COMPUTE_PGM_RSRC2:TIDIG_COMP_CNT: 0
; COMPUTE_PGM_RSRC3_GFX90A:ACCUM_OFFSET: 3
; COMPUTE_PGM_RSRC3_GFX90A:TG_SPLIT: 0
	.section	.text._ZL22rocblas_gemvtsm_kernelILb0ELi256EPK16rocblas_bfloat16fKPS0_EviiT2_lPKT1_lilS8_lilS5_lPT3_lil,"axG",@progbits,_ZL22rocblas_gemvtsm_kernelILb0ELi256EPK16rocblas_bfloat16fKPS0_EviiT2_lPKT1_lilS8_lilS5_lPT3_lil,comdat
	.globl	_ZL22rocblas_gemvtsm_kernelILb0ELi256EPK16rocblas_bfloat16fKPS0_EviiT2_lPKT1_lilS8_lilS5_lPT3_lil ; -- Begin function _ZL22rocblas_gemvtsm_kernelILb0ELi256EPK16rocblas_bfloat16fKPS0_EviiT2_lPKT1_lilS8_lilS5_lPT3_lil
	.p2align	8
	.type	_ZL22rocblas_gemvtsm_kernelILb0ELi256EPK16rocblas_bfloat16fKPS0_EviiT2_lPKT1_lilS8_lilS5_lPT3_lil,@function
_ZL22rocblas_gemvtsm_kernelILb0ELi256EPK16rocblas_bfloat16fKPS0_EviiT2_lPKT1_lilS8_lilS5_lPT3_lil: ; @_ZL22rocblas_gemvtsm_kernelILb0ELi256EPK16rocblas_bfloat16fKPS0_EviiT2_lPKT1_lilS8_lilS5_lPT3_lil
; %bb.0:
	s_load_dwordx4 s[8:11], s[0:1], 0x0
	s_load_dword s22, s[0:1], 0x58
	s_waitcnt lgkmcnt(0)
	v_cmp_eq_f32_e64 s[18:19], s10, 0
	v_cmp_eq_f32_e64 s[4:5], s22, 1.0
	s_and_b64 s[4:5], s[18:19], s[4:5]
	s_and_b64 vcc, exec, s[4:5]
	s_cbranch_vccnz .LBB599_77
; %bb.1:
	v_cmp_neq_f32_e64 s[4:5], s10, 0
	s_mov_b32 s3, 0
	s_and_b64 vcc, exec, s[4:5]
	s_cbranch_vccnz .LBB599_3
; %bb.2:
	s_mov_b64 s[16:17], 0
	s_cbranch_execz .LBB599_4
	s_branch .LBB599_5
.LBB599_3:
                                        ; implicit-def: $sgpr16_sgpr17
.LBB599_4:
	s_load_dwordx4 s[12:15], s[0:1], 0x18
	s_lshl_b64 s[6:7], s[2:3], 3
	s_waitcnt lgkmcnt(0)
	s_add_u32 s6, s12, s6
	s_addc_u32 s7, s13, s7
	s_load_dwordx2 s[6:7], s[6:7], 0x0
	s_lshl_b64 s[12:13], s[14:15], 1
	s_waitcnt lgkmcnt(0)
	s_add_u32 s16, s6, s12
	s_addc_u32 s17, s7, s13
.LBB599_5:
	s_andn2_b64 vcc, exec, s[4:5]
	s_cbranch_vccnz .LBB599_7
; %bb.6:
	s_load_dwordx4 s[4:7], s[0:1], 0x38
	s_lshl_b64 s[12:13], s[2:3], 3
	s_waitcnt lgkmcnt(0)
	s_add_u32 s4, s4, s12
	s_addc_u32 s5, s5, s13
	s_load_dwordx2 s[4:5], s[4:5], 0x0
	s_lshl_b64 s[6:7], s[6:7], 1
	s_waitcnt lgkmcnt(0)
	s_add_u32 s14, s4, s6
	s_addc_u32 s15, s5, s7
	s_branch .LBB599_8
.LBB599_7:
	s_mov_b64 s[14:15], 0
.LBB599_8:
	s_load_dwordx4 s[4:7], s[0:1], 0x68
	s_load_dword s12, s[0:1], 0x78
	s_lshl_b64 s[2:3], s[2:3], 3
	s_waitcnt lgkmcnt(0)
	s_add_u32 s2, s4, s2
	s_addc_u32 s3, s5, s3
	s_load_dwordx2 s[4:5], s[2:3], 0x0
	s_andn2_b64 vcc, exec, s[18:19]
	s_mov_b64 s[2:3], -1
	s_cbranch_vccnz .LBB599_27
; %bb.9:
	s_cmp_gt_i32 s9, 0
	s_cselect_b64 s[18:19], -1, 0
	v_cmp_neq_f32_e64 s[2:3], s22, 0
	v_cndmask_b32_e64 v1, 0, 1, s[18:19]
	s_and_b64 vcc, exec, s[2:3]
	v_cmp_ne_u32_e64 s[2:3], 1, v1
	s_cbranch_vccnz .LBB599_16
; %bb.10:
	s_and_b64 vcc, exec, s[2:3]
	s_cbranch_vccnz .LBB599_15
; %bb.11:
	v_mad_i64_i32 v[2:3], s[18:19], s12, v0, 0
	s_ashr_i32 s13, s12, 31
	s_lshl_b64 s[18:19], s[6:7], 1
	s_waitcnt lgkmcnt(0)
	s_add_u32 s18, s4, s18
	s_addc_u32 s19, s5, s19
	v_lshl_add_u64 v[2:3], v[2:3], 1, s[18:19]
	s_lshl_b64 s[18:19], s[12:13], 9
	s_mov_b32 s11, 0
	v_mov_b32_e32 v1, 0
	s_branch .LBB599_13
.LBB599_12:                             ;   in Loop: Header=BB599_13 Depth=1
	s_or_b64 exec, exec, s[20:21]
	s_addk_i32 s11, 0x100
	s_cmp_ge_i32 s11, s9
	v_lshl_add_u64 v[2:3], v[2:3], 0, s[18:19]
	s_cbranch_scc1 .LBB599_15
.LBB599_13:                             ; =>This Inner Loop Header: Depth=1
	v_add_u32_e32 v4, s11, v0
	v_cmp_gt_i32_e32 vcc, s9, v4
	s_and_saveexec_b64 s[20:21], vcc
	s_cbranch_execz .LBB599_12
; %bb.14:                               ;   in Loop: Header=BB599_13 Depth=1
	global_store_short v[2:3], v1, off
	s_branch .LBB599_12
.LBB599_15:
	s_cbranch_execz .LBB599_17
	s_branch .LBB599_26
.LBB599_16:
.LBB599_17:
	s_and_b64 vcc, exec, s[2:3]
	s_cbranch_vccnz .LBB599_26
; %bb.18:
	v_mad_i64_i32 v[2:3], s[2:3], s12, v0, 0
	s_ashr_i32 s13, s12, 31
	s_lshl_b64 s[2:3], s[6:7], 1
	s_waitcnt lgkmcnt(0)
	s_add_u32 s2, s4, s2
	s_addc_u32 s3, s5, s3
	v_lshl_add_u64 v[2:3], v[2:3], 1, s[2:3]
	s_lshl_b64 s[2:3], s[12:13], 9
	s_mov_b32 s11, 0
	s_mov_b32 s13, 0x7f800000
	s_movk_i32 s23, 0x7fff
	v_mov_b32_e32 v1, 0
	s_branch .LBB599_21
.LBB599_19:                             ;   in Loop: Header=BB599_21 Depth=1
	s_or_b64 exec, exec, s[20:21]
	global_store_short_d16_hi v[2:3], v5, off
.LBB599_20:                             ;   in Loop: Header=BB599_21 Depth=1
	s_or_b64 exec, exec, s[18:19]
	s_addk_i32 s11, 0x100
	s_cmp_ge_i32 s11, s9
	v_lshl_add_u64 v[2:3], v[2:3], 0, s[2:3]
	s_cbranch_scc1 .LBB599_26
.LBB599_21:                             ; =>This Inner Loop Header: Depth=1
	v_add_u32_e32 v4, s11, v0
	v_cmp_gt_i32_e32 vcc, s9, v4
	s_and_saveexec_b64 s[18:19], vcc
	s_cbranch_execz .LBB599_20
; %bb.22:                               ;   in Loop: Header=BB599_21 Depth=1
	global_load_ushort v4, v[2:3], off
	s_waitcnt vmcnt(0)
	v_lshlrev_b32_e32 v4, 16, v4
	v_mul_f32_e32 v4, s22, v4
	v_and_b32_e32 v5, 0x7f800000, v4
	v_cmp_ne_u32_e32 vcc, s13, v5
                                        ; implicit-def: $vgpr5
	s_and_saveexec_b64 s[20:21], vcc
	s_xor_b64 s[20:21], exec, s[20:21]
; %bb.23:                               ;   in Loop: Header=BB599_21 Depth=1
	v_bfe_u32 v5, v4, 16, 1
	v_add3_u32 v5, v4, v5, s23
                                        ; implicit-def: $vgpr4
; %bb.24:                               ;   in Loop: Header=BB599_21 Depth=1
	s_andn2_saveexec_b64 s[20:21], s[20:21]
	s_cbranch_execz .LBB599_19
; %bb.25:                               ;   in Loop: Header=BB599_21 Depth=1
	v_or_b32_e32 v5, 0x10000, v4
	v_cmp_eq_u32_sdwa vcc, v4, v1 src0_sel:WORD_0 src1_sel:DWORD
	s_nop 1
	v_cndmask_b32_e32 v5, v5, v4, vcc
	s_branch .LBB599_19
.LBB599_26:
	s_mov_b64 s[2:3], 0
.LBB599_27:
	s_andn2_b64 vcc, exec, s[2:3]
	s_cbranch_vccnz .LBB599_77
; %bb.28:
	v_cmp_gt_i32_e32 vcc, s8, v0
	s_and_saveexec_b64 s[2:3], vcc
	s_cbranch_execz .LBB599_34
; %bb.29:
	s_load_dword s11, s[0:1], 0x48
	s_waitcnt lgkmcnt(0)
	v_mad_i64_i32 v[2:3], s[18:19], s11, v0, 0
	v_lshl_add_u64 v[2:3], v[2:3], 1, s[14:15]
	flat_load_ushort v1, v[2:3]
	s_waitcnt vmcnt(0) lgkmcnt(0)
	v_lshlrev_b32_e32 v1, 16, v1
	v_mul_f32_e32 v1, s10, v1
	s_mov_b32 s10, 0x7f800000
	v_and_b32_e32 v2, 0x7f800000, v1
	v_cmp_ne_u32_e32 vcc, s10, v2
                                        ; implicit-def: $vgpr2
	s_and_saveexec_b64 s[10:11], vcc
	s_xor_b64 s[10:11], exec, s[10:11]
; %bb.30:
	v_bfe_u32 v2, v1, 16, 1
	s_movk_i32 s13, 0x7fff
	v_add3_u32 v2, v1, v2, s13
                                        ; implicit-def: $vgpr1
; %bb.31:
	s_andn2_saveexec_b64 s[10:11], s[10:11]
; %bb.32:
	v_mov_b32_e32 v2, 0
	v_or_b32_e32 v3, 0x10000, v1
	v_cmp_eq_u32_sdwa vcc, v1, v2 src0_sel:WORD_0 src1_sel:DWORD
	s_nop 1
	v_cndmask_b32_e32 v2, v3, v1, vcc
; %bb.33:
	s_or_b64 exec, exec, s[10:11]
	v_and_b32_e32 v1, 0xffff0000, v2
	v_lshlrev_b32_e32 v2, 2, v0
	ds_write_b32 v2, v1
.LBB599_34:
	s_or_b64 exec, exec, s[2:3]
	s_cmp_lt_i32 s9, 1
	s_waitcnt lgkmcnt(0)
	s_barrier
	s_cbranch_scc1 .LBB599_77
; %bb.35:
	s_load_dword s0, s[0:1], 0x28
	s_lshl_b64 s[2:3], s[6:7], 1
	s_add_u32 s10, s4, s2
	s_addc_u32 s11, s5, s3
	s_ashr_i32 s13, s12, 31
	s_waitcnt lgkmcnt(0)
	s_ashr_i32 s1, s0, 31
	s_cmp_gt_i32 s8, 0
	s_cselect_b64 s[2:3], -1, 0
	s_and_b32 s23, s8, 3
	s_cmp_gt_u32 s8, 3
	s_cselect_b64 s[4:5], -1, 0
	s_and_b32 s8, s8, 0x7ffffffc
	s_cmp_lg_u32 s23, 0
	v_mad_i64_i32 v[2:3], s[18:19], s0, v0, 0
	s_cselect_b64 s[6:7], -1, 0
	v_lshl_add_u64 v[2:3], v[2:3], 1, s[16:17]
	s_lshl_b64 s[16:17], s[0:1], 9
	v_cmp_neq_f32_e64 s[0:1], s22, 0
	s_mov_b32 s15, 0
	s_mov_b32 s24, 0x7f800000
	v_cndmask_b32_e64 v1, 0, 1, s[0:1]
	v_cmp_ne_u32_e64 s[0:1], 1, v1
	v_cndmask_b32_e64 v1, 0, 1, s[2:3]
	v_cmp_ne_u32_e64 s[2:3], 1, v1
	v_cndmask_b32_e64 v1, 0, 1, s[4:5]
	v_cmp_ne_u32_e64 s[4:5], 1, v1
	v_cndmask_b32_e64 v1, 0, 1, s[6:7]
	s_movk_i32 s25, 0x7fff
	v_cmp_ne_u32_e64 s[6:7], 1, v1
	v_mov_b32_e32 v1, 0
	s_mov_b32 s26, 0
	s_branch .LBB599_38
.LBB599_36:                             ;   in Loop: Header=BB599_38 Depth=1
	s_or_b64 exec, exec, s[20:21]
	global_store_short_d16_hi v[4:5], v6, off
.LBB599_37:                             ;   in Loop: Header=BB599_38 Depth=1
	s_or_b64 exec, exec, s[18:19]
	s_addk_i32 s26, 0x100
	s_cmp_ge_i32 s26, s9
	v_lshl_add_u64 v[2:3], v[2:3], 0, s[16:17]
	s_cbranch_scc1 .LBB599_77
.LBB599_38:                             ; =>This Loop Header: Depth=1
                                        ;     Child Loop BB599_49 Depth 2
                                        ;     Child Loop BB599_69 Depth 2
	v_add_u32_e32 v4, s26, v0
	v_cmp_gt_i32_e32 vcc, s9, v4
	s_and_saveexec_b64 s[18:19], vcc
	s_cbranch_execz .LBB599_37
; %bb.39:                               ;   in Loop: Header=BB599_38 Depth=1
	v_mad_u64_u32 v[6:7], s[20:21], v4, s12, 0
	v_mov_b32_e32 v8, v7
	v_mad_u64_u32 v[4:5], s[20:21], v4, s13, v[8:9]
	v_mov_b32_e32 v7, v4
	s_and_b64 vcc, exec, s[0:1]
	v_lshl_add_u64 v[4:5], v[6:7], 1, s[10:11]
	s_cbranch_vccnz .LBB599_45
; %bb.40:                               ;   in Loop: Header=BB599_38 Depth=1
	global_load_ushort v6, v[4:5], off
	s_waitcnt vmcnt(0)
	v_lshlrev_b32_e32 v6, 16, v6
	v_mul_f32_e32 v6, s22, v6
	v_and_b32_e32 v7, 0x7f800000, v6
	v_cmp_ne_u32_e32 vcc, s24, v7
                                        ; implicit-def: $vgpr7
	s_and_saveexec_b64 s[20:21], vcc
	s_xor_b64 s[20:21], exec, s[20:21]
; %bb.41:                               ;   in Loop: Header=BB599_38 Depth=1
	v_bfe_u32 v7, v6, 16, 1
	v_add3_u32 v7, v6, v7, s25
                                        ; implicit-def: $vgpr6
; %bb.42:                               ;   in Loop: Header=BB599_38 Depth=1
	s_andn2_saveexec_b64 s[20:21], s[20:21]
; %bb.43:                               ;   in Loop: Header=BB599_38 Depth=1
	v_or_b32_e32 v7, 0x10000, v6
	v_cmp_eq_u32_sdwa vcc, v6, v1 src0_sel:WORD_0 src1_sel:DWORD
	s_nop 1
	v_cndmask_b32_e32 v7, v7, v6, vcc
; %bb.44:                               ;   in Loop: Header=BB599_38 Depth=1
	s_or_b64 exec, exec, s[20:21]
	v_and_b32_e32 v6, 0xffff0000, v7
	v_cvt_i32_f32_e32 v6, v6
	v_cvt_f32_i32_e32 v8, v6
	s_and_b64 vcc, exec, s[2:3]
	s_cbranch_vccz .LBB599_46
	s_branch .LBB599_73
.LBB599_45:                             ;   in Loop: Header=BB599_38 Depth=1
	v_mov_b32_e32 v6, 0
	v_cvt_f32_i32_e32 v8, v6
	s_and_b64 vcc, exec, s[2:3]
	s_cbranch_vccnz .LBB599_73
.LBB599_46:                             ;   in Loop: Header=BB599_38 Depth=1
	s_mov_b32 s14, 0
	s_and_b64 vcc, exec, s[4:5]
	s_cbranch_vccnz .LBB599_66
; %bb.47:                               ;   in Loop: Header=BB599_38 Depth=1
	s_mov_b32 s27, 0
	v_mov_b64_e32 v[6:7], v[2:3]
	s_branch .LBB599_49
.LBB599_48:                             ;   in Loop: Header=BB599_49 Depth=2
	s_or_b64 exec, exec, s[20:21]
	v_and_b32_e32 v9, 0xffff0000, v9
	v_add_f32_e32 v8, v8, v9
	v_and_b32_e32 v9, 0xffff0000, v10
	v_add_f32_e32 v8, v8, v9
	;; [unrolled: 2-line block ×3, first 2 shown]
	v_and_b32_e32 v9, 0xffff0000, v12
	s_add_i32 s27, s27, 4
	s_add_i32 s14, s14, 16
	v_add_f32_e32 v8, v8, v9
	s_cmp_eq_u32 s8, s27
	v_lshl_add_u64 v[6:7], v[6:7], 0, 8
	s_cbranch_scc1 .LBB599_65
.LBB599_49:                             ;   Parent Loop BB599_38 Depth=1
                                        ; =>  This Inner Loop Header: Depth=2
	flat_load_ushort v9, v[6:7]
	v_mov_b32_e32 v10, s14
	ds_read_b32 v10, v10
	s_waitcnt vmcnt(0) lgkmcnt(0)
	v_lshlrev_b32_e32 v9, 16, v9
	v_mul_f32_e32 v10, v10, v9
	v_and_b32_e32 v9, 0x7f800000, v10
	v_cmp_ne_u32_e32 vcc, s24, v9
                                        ; implicit-def: $vgpr9
	s_and_saveexec_b64 s[20:21], vcc
	s_xor_b64 s[20:21], exec, s[20:21]
; %bb.50:                               ;   in Loop: Header=BB599_49 Depth=2
	v_bfe_u32 v9, v10, 16, 1
	v_add3_u32 v9, v10, v9, s25
                                        ; implicit-def: $vgpr10
; %bb.51:                               ;   in Loop: Header=BB599_49 Depth=2
	s_andn2_saveexec_b64 s[20:21], s[20:21]
; %bb.52:                               ;   in Loop: Header=BB599_49 Depth=2
	v_or_b32_e32 v9, 0x10000, v10
	v_cmp_eq_u32_sdwa vcc, v10, v1 src0_sel:WORD_0 src1_sel:DWORD
	s_nop 1
	v_cndmask_b32_e32 v9, v9, v10, vcc
; %bb.53:                               ;   in Loop: Header=BB599_49 Depth=2
	s_or_b64 exec, exec, s[20:21]
	flat_load_ushort v10, v[6:7] offset:2
	v_mov_b32_e32 v11, s14
	ds_read_b32 v11, v11 offset:4
	s_waitcnt vmcnt(0) lgkmcnt(0)
	v_lshlrev_b32_e32 v10, 16, v10
	v_mul_f32_e32 v11, v11, v10
	v_and_b32_e32 v10, 0x7f800000, v11
	v_cmp_ne_u32_e32 vcc, s24, v10
                                        ; implicit-def: $vgpr10
	s_and_saveexec_b64 s[20:21], vcc
	s_xor_b64 s[20:21], exec, s[20:21]
; %bb.54:                               ;   in Loop: Header=BB599_49 Depth=2
	v_bfe_u32 v10, v11, 16, 1
	v_add3_u32 v10, v11, v10, s25
                                        ; implicit-def: $vgpr11
; %bb.55:                               ;   in Loop: Header=BB599_49 Depth=2
	s_andn2_saveexec_b64 s[20:21], s[20:21]
; %bb.56:                               ;   in Loop: Header=BB599_49 Depth=2
	v_or_b32_e32 v10, 0x10000, v11
	v_cmp_eq_u32_sdwa vcc, v11, v1 src0_sel:WORD_0 src1_sel:DWORD
	s_nop 1
	v_cndmask_b32_e32 v10, v10, v11, vcc
; %bb.57:                               ;   in Loop: Header=BB599_49 Depth=2
	s_or_b64 exec, exec, s[20:21]
	flat_load_ushort v11, v[6:7] offset:4
	v_mov_b32_e32 v12, s14
	ds_read_b32 v12, v12 offset:8
	s_waitcnt vmcnt(0) lgkmcnt(0)
	v_lshlrev_b32_e32 v11, 16, v11
	v_mul_f32_e32 v12, v12, v11
	v_and_b32_e32 v11, 0x7f800000, v12
	v_cmp_ne_u32_e32 vcc, s24, v11
                                        ; implicit-def: $vgpr11
	s_and_saveexec_b64 s[20:21], vcc
	s_xor_b64 s[20:21], exec, s[20:21]
; %bb.58:                               ;   in Loop: Header=BB599_49 Depth=2
	v_bfe_u32 v11, v12, 16, 1
	v_add3_u32 v11, v12, v11, s25
                                        ; implicit-def: $vgpr12
; %bb.59:                               ;   in Loop: Header=BB599_49 Depth=2
	s_andn2_saveexec_b64 s[20:21], s[20:21]
; %bb.60:                               ;   in Loop: Header=BB599_49 Depth=2
	v_or_b32_e32 v11, 0x10000, v12
	v_cmp_eq_u32_sdwa vcc, v12, v1 src0_sel:WORD_0 src1_sel:DWORD
	s_nop 1
	v_cndmask_b32_e32 v11, v11, v12, vcc
; %bb.61:                               ;   in Loop: Header=BB599_49 Depth=2
	s_or_b64 exec, exec, s[20:21]
	flat_load_ushort v12, v[6:7] offset:6
	v_mov_b32_e32 v13, s14
	ds_read_b32 v13, v13 offset:12
	s_waitcnt vmcnt(0) lgkmcnt(0)
	v_lshlrev_b32_e32 v12, 16, v12
	v_mul_f32_e32 v13, v13, v12
	v_and_b32_e32 v12, 0x7f800000, v13
	v_cmp_ne_u32_e32 vcc, s24, v12
                                        ; implicit-def: $vgpr12
	s_and_saveexec_b64 s[20:21], vcc
	s_xor_b64 s[20:21], exec, s[20:21]
; %bb.62:                               ;   in Loop: Header=BB599_49 Depth=2
	v_bfe_u32 v12, v13, 16, 1
	v_add3_u32 v12, v13, v12, s25
                                        ; implicit-def: $vgpr13
; %bb.63:                               ;   in Loop: Header=BB599_49 Depth=2
	s_andn2_saveexec_b64 s[20:21], s[20:21]
	s_cbranch_execz .LBB599_48
; %bb.64:                               ;   in Loop: Header=BB599_49 Depth=2
	v_or_b32_e32 v12, 0x10000, v13
	v_cmp_eq_u32_sdwa vcc, v13, v1 src0_sel:WORD_0 src1_sel:DWORD
	s_nop 1
	v_cndmask_b32_e32 v12, v12, v13, vcc
	s_branch .LBB599_48
.LBB599_65:                             ;   in Loop: Header=BB599_38 Depth=1
	s_mov_b32 s14, s8
.LBB599_66:                             ;   in Loop: Header=BB599_38 Depth=1
	s_and_b64 vcc, exec, s[6:7]
	s_cbranch_vccnz .LBB599_73
; %bb.67:                               ;   in Loop: Header=BB599_38 Depth=1
	s_lshl_b32 s27, s14, 2
	s_lshl_b32 s14, s14, 1
	v_lshl_add_u64 v[6:7], v[2:3], 0, s[14:15]
	s_mov_b32 s14, s23
	s_branch .LBB599_69
.LBB599_68:                             ;   in Loop: Header=BB599_69 Depth=2
	s_or_b64 exec, exec, s[20:21]
	v_and_b32_e32 v9, 0xffff0000, v10
	s_add_i32 s27, s27, 4
	s_add_i32 s14, s14, -1
	v_add_f32_e32 v8, v8, v9
	s_cmp_lg_u32 s14, 0
	v_lshl_add_u64 v[6:7], v[6:7], 0, 2
	s_cbranch_scc0 .LBB599_73
.LBB599_69:                             ;   Parent Loop BB599_38 Depth=1
                                        ; =>  This Inner Loop Header: Depth=2
	flat_load_ushort v9, v[6:7]
	v_mov_b32_e32 v10, s27
	ds_read_b32 v10, v10
	s_waitcnt vmcnt(0) lgkmcnt(0)
	v_lshlrev_b32_e32 v9, 16, v9
	v_mul_f32_e32 v9, v10, v9
	v_and_b32_e32 v10, 0x7f800000, v9
	v_cmp_ne_u32_e32 vcc, s24, v10
                                        ; implicit-def: $vgpr10
	s_and_saveexec_b64 s[20:21], vcc
	s_xor_b64 s[20:21], exec, s[20:21]
; %bb.70:                               ;   in Loop: Header=BB599_69 Depth=2
	v_bfe_u32 v10, v9, 16, 1
	v_add3_u32 v10, v9, v10, s25
                                        ; implicit-def: $vgpr9
; %bb.71:                               ;   in Loop: Header=BB599_69 Depth=2
	s_andn2_saveexec_b64 s[20:21], s[20:21]
	s_cbranch_execz .LBB599_68
; %bb.72:                               ;   in Loop: Header=BB599_69 Depth=2
	v_or_b32_e32 v10, 0x10000, v9
	v_cmp_eq_u32_sdwa vcc, v9, v1 src0_sel:WORD_0 src1_sel:DWORD
	s_nop 1
	v_cndmask_b32_e32 v10, v10, v9, vcc
	s_branch .LBB599_68
.LBB599_73:                             ;   in Loop: Header=BB599_38 Depth=1
	v_and_b32_e32 v6, 0x7f800000, v8
	v_cmp_ne_u32_e32 vcc, s24, v6
                                        ; implicit-def: $vgpr6
	s_and_saveexec_b64 s[20:21], vcc
	s_xor_b64 s[20:21], exec, s[20:21]
; %bb.74:                               ;   in Loop: Header=BB599_38 Depth=1
	v_bfe_u32 v6, v8, 16, 1
	v_add3_u32 v6, v8, v6, s25
                                        ; implicit-def: $vgpr8
; %bb.75:                               ;   in Loop: Header=BB599_38 Depth=1
	s_andn2_saveexec_b64 s[20:21], s[20:21]
	s_cbranch_execz .LBB599_36
; %bb.76:                               ;   in Loop: Header=BB599_38 Depth=1
	v_or_b32_e32 v6, 0x10000, v8
	v_cmp_eq_u32_sdwa vcc, v8, v1 src0_sel:WORD_0 src1_sel:DWORD
	s_nop 1
	v_cndmask_b32_e32 v6, v6, v8, vcc
	s_branch .LBB599_36
.LBB599_77:
	s_endpgm
	.section	.rodata,"a",@progbits
	.p2align	6, 0x0
	.amdhsa_kernel _ZL22rocblas_gemvtsm_kernelILb0ELi256EPK16rocblas_bfloat16fKPS0_EviiT2_lPKT1_lilS8_lilS5_lPT3_lil
		.amdhsa_group_segment_fixed_size 256
		.amdhsa_private_segment_fixed_size 0
		.amdhsa_kernarg_size 136
		.amdhsa_user_sgpr_count 2
		.amdhsa_user_sgpr_dispatch_ptr 0
		.amdhsa_user_sgpr_queue_ptr 0
		.amdhsa_user_sgpr_kernarg_segment_ptr 1
		.amdhsa_user_sgpr_dispatch_id 0
		.amdhsa_user_sgpr_kernarg_preload_length 0
		.amdhsa_user_sgpr_kernarg_preload_offset 0
		.amdhsa_user_sgpr_private_segment_size 0
		.amdhsa_uses_dynamic_stack 0
		.amdhsa_enable_private_segment 0
		.amdhsa_system_sgpr_workgroup_id_x 1
		.amdhsa_system_sgpr_workgroup_id_y 0
		.amdhsa_system_sgpr_workgroup_id_z 0
		.amdhsa_system_sgpr_workgroup_info 0
		.amdhsa_system_vgpr_workitem_id 0
		.amdhsa_next_free_vgpr 14
		.amdhsa_next_free_sgpr 28
		.amdhsa_accum_offset 16
		.amdhsa_reserve_vcc 1
		.amdhsa_float_round_mode_32 0
		.amdhsa_float_round_mode_16_64 0
		.amdhsa_float_denorm_mode_32 3
		.amdhsa_float_denorm_mode_16_64 3
		.amdhsa_dx10_clamp 1
		.amdhsa_ieee_mode 1
		.amdhsa_fp16_overflow 0
		.amdhsa_tg_split 0
		.amdhsa_exception_fp_ieee_invalid_op 0
		.amdhsa_exception_fp_denorm_src 0
		.amdhsa_exception_fp_ieee_div_zero 0
		.amdhsa_exception_fp_ieee_overflow 0
		.amdhsa_exception_fp_ieee_underflow 0
		.amdhsa_exception_fp_ieee_inexact 0
		.amdhsa_exception_int_div_zero 0
	.end_amdhsa_kernel
	.section	.text._ZL22rocblas_gemvtsm_kernelILb0ELi256EPK16rocblas_bfloat16fKPS0_EviiT2_lPKT1_lilS8_lilS5_lPT3_lil,"axG",@progbits,_ZL22rocblas_gemvtsm_kernelILb0ELi256EPK16rocblas_bfloat16fKPS0_EviiT2_lPKT1_lilS8_lilS5_lPT3_lil,comdat
.Lfunc_end599:
	.size	_ZL22rocblas_gemvtsm_kernelILb0ELi256EPK16rocblas_bfloat16fKPS0_EviiT2_lPKT1_lilS8_lilS5_lPT3_lil, .Lfunc_end599-_ZL22rocblas_gemvtsm_kernelILb0ELi256EPK16rocblas_bfloat16fKPS0_EviiT2_lPKT1_lilS8_lilS5_lPT3_lil
                                        ; -- End function
	.section	.AMDGPU.csdata,"",@progbits
; Kernel info:
; codeLenInByte = 1988
; NumSgprs: 34
; NumVgprs: 14
; NumAgprs: 0
; TotalNumVgprs: 14
; ScratchSize: 0
; MemoryBound: 0
; FloatMode: 240
; IeeeMode: 1
; LDSByteSize: 256 bytes/workgroup (compile time only)
; SGPRBlocks: 4
; VGPRBlocks: 1
; NumSGPRsForWavesPerEU: 34
; NumVGPRsForWavesPerEU: 14
; AccumOffset: 16
; Occupancy: 8
; WaveLimiterHint : 1
; COMPUTE_PGM_RSRC2:SCRATCH_EN: 0
; COMPUTE_PGM_RSRC2:USER_SGPR: 2
; COMPUTE_PGM_RSRC2:TRAP_HANDLER: 0
; COMPUTE_PGM_RSRC2:TGID_X_EN: 1
; COMPUTE_PGM_RSRC2:TGID_Y_EN: 0
; COMPUTE_PGM_RSRC2:TGID_Z_EN: 0
; COMPUTE_PGM_RSRC2:TIDIG_COMP_CNT: 0
; COMPUTE_PGM_RSRC3_GFX90A:ACCUM_OFFSET: 3
; COMPUTE_PGM_RSRC3_GFX90A:TG_SPLIT: 0
	.section	.text._ZL23rocblas_gemvt_sn_kernelILb0ELi256ELi4EiPK16rocblas_bfloat16PKffEviiT4_lPKT3_lilS8_lilPT5_i,"axG",@progbits,_ZL23rocblas_gemvt_sn_kernelILb0ELi256ELi4EiPK16rocblas_bfloat16PKffEviiT4_lPKT3_lilS8_lilPT5_i,comdat
	.globl	_ZL23rocblas_gemvt_sn_kernelILb0ELi256ELi4EiPK16rocblas_bfloat16PKffEviiT4_lPKT3_lilS8_lilPT5_i ; -- Begin function _ZL23rocblas_gemvt_sn_kernelILb0ELi256ELi4EiPK16rocblas_bfloat16PKffEviiT4_lPKT3_lilS8_lilPT5_i
	.p2align	8
	.type	_ZL23rocblas_gemvt_sn_kernelILb0ELi256ELi4EiPK16rocblas_bfloat16PKffEviiT4_lPKT3_lilS8_lilPT5_i,@function
_ZL23rocblas_gemvt_sn_kernelILb0ELi256ELi4EiPK16rocblas_bfloat16PKffEviiT4_lPKT3_lilS8_lilPT5_i: ; @_ZL23rocblas_gemvt_sn_kernelILb0ELi256ELi4EiPK16rocblas_bfloat16PKffEviiT4_lPKT3_lilS8_lilPT5_i
; %bb.0:
	s_load_dwordx8 s[4:11], s[0:1], 0x8
	s_mov_b32 s12, s3
	s_mov_b32 s13, 0
	s_mov_b64 s[16:17], 0
	s_waitcnt lgkmcnt(0)
	s_mul_i32 s3, s3, s7
	s_mul_hi_u32 s7, s12, s6
	s_add_i32 s7, s7, s3
	s_mul_i32 s6, s12, s6
	s_lshl_b64 s[6:7], s[6:7], 2
	s_add_u32 s4, s4, s6
	s_addc_u32 s5, s5, s7
	s_load_dword s33, s[4:5], 0x0
	s_mov_b64 s[4:5], 0
	s_waitcnt lgkmcnt(0)
	v_cmp_eq_f32_e64 s[14:15], s33, 0
	v_cmp_neq_f32_e64 s[6:7], s33, 0
	s_and_b64 vcc, exec, s[14:15]
	s_cbranch_vccnz .LBB600_2
; %bb.1:
	s_lshl_b64 s[4:5], s[12:13], 3
	s_add_u32 s4, s8, s4
	s_addc_u32 s5, s9, s5
	s_load_dwordx2 s[4:5], s[4:5], 0x0
	s_lshl_b64 s[8:9], s[10:11], 1
	s_waitcnt lgkmcnt(0)
	s_add_u32 s4, s4, s8
	s_addc_u32 s5, s5, s9
.LBB600_2:
	s_andn2_b64 vcc, exec, s[6:7]
	s_cbranch_vccnz .LBB600_4
; %bb.3:
	s_load_dwordx4 s[8:11], s[0:1], 0x38
	s_lshl_b64 s[6:7], s[12:13], 3
	s_waitcnt lgkmcnt(0)
	s_add_u32 s6, s8, s6
	s_addc_u32 s7, s9, s7
	s_load_dwordx2 s[6:7], s[6:7], 0x0
	s_lshl_b64 s[8:9], s[10:11], 1
	s_waitcnt lgkmcnt(0)
	s_add_u32 s16, s6, s8
	s_addc_u32 s17, s7, s9
.LBB600_4:
	s_load_dwordx2 s[18:19], s[0:1], 0x0
	s_load_dwordx2 s[6:7], s[0:1], 0x58
	s_load_dword s20, s[0:1], 0x68
	s_mov_b32 s21, 0
	s_waitcnt lgkmcnt(0)
	s_ashr_i32 s23, s19, 31
	s_mul_hi_u32 s3, s19, s12
	s_mul_i32 s8, s23, s12
	s_add_i32 s11, s3, s8
	s_mul_i32 s10, s19, s12
	s_mul_i32 s3, s11, s20
	s_mul_hi_u32 s8, s10, s20
	s_add_i32 s9, s8, s3
	s_mul_i32 s8, s10, s20
	s_lshl_b64 s[8:9], s[8:9], 2
	s_add_u32 s43, s6, s8
	s_addc_u32 s44, s7, s9
	s_andn2_b64 vcc, exec, s[14:15]
	s_mov_b64 s[8:9], -1
	s_cbranch_vccnz .LBB600_14
; %bb.5:
	s_cmp_gt_i32 s19, 0
	v_cmp_eq_u32_e32 vcc, 0, v0
	s_cselect_b64 s[8:9], -1, 0
	s_and_b64 s[12:13], vcc, s[8:9]
	s_and_saveexec_b64 s[8:9], s[12:13]
	s_cbranch_execz .LBB600_13
; %bb.6:
	s_cmp_gt_u32 s19, 1
	s_cselect_b64 s[12:13], -1, 0
	s_cmp_eq_u32 s20, 1
	s_cselect_b64 s[24:25], -1, 0
	s_mov_b32 s3, 0
	s_and_b64 s[12:13], s[12:13], s[24:25]
	s_mov_b64 s[14:15], -1
	s_andn2_b64 vcc, exec, s[12:13]
	s_mov_b32 s12, s3
	s_cbranch_vccnz .LBB600_10
; %bb.7:
	s_lshl_b64 s[12:13], s[2:3], 2
	s_add_u32 s14, s43, s12
	s_addc_u32 s15, s44, s13
	s_and_b32 s12, s19, 0x7ffffffe
	v_mov_b32_e32 v2, 0
	v_mov_b32_e32 v3, v2
	s_mov_b32 s13, s12
.LBB600_8:                              ; =>This Inner Loop Header: Depth=1
	global_store_dwordx2 v2, v[2:3], s[14:15]
	s_add_u32 s14, s14, 8
	s_addc_u32 s15, s15, 0
	s_add_i32 s13, s13, -2
	s_cmp_lg_u32 s13, 0
	s_cbranch_scc1 .LBB600_8
; %bb.9:
	s_cmp_lg_u32 s12, s19
	s_cselect_b64 s[14:15], -1, 0
.LBB600_10:
	s_and_b64 vcc, exec, s[14:15]
	s_cbranch_vccz .LBB600_13
; %bb.11:
	s_mov_b32 s13, 0
	s_sub_i32 s14, s19, s12
	s_lshl_b64 s[10:11], s[10:11], 2
	s_lshl_b64 s[12:13], s[12:13], 2
	s_add_u32 s10, s10, s12
	s_addc_u32 s11, s11, s13
	s_mul_i32 s11, s11, s20
	s_mul_hi_u32 s12, s10, s20
	s_add_i32 s12, s12, s11
	s_mul_i32 s13, s10, s20
	s_lshl_b64 s[10:11], s[2:3], 2
	s_add_u32 s3, s13, s10
	s_addc_u32 s10, s12, s11
	s_add_u32 s6, s6, s3
	s_addc_u32 s7, s7, s10
	s_lshl_b64 s[10:11], s[20:21], 2
	v_mov_b32_e32 v1, 0
.LBB600_12:                             ; =>This Inner Loop Header: Depth=1
	s_add_i32 s14, s14, -1
	global_store_dword v1, v1, s[6:7]
	s_add_u32 s6, s6, s10
	s_addc_u32 s7, s7, s11
	s_cmp_eq_u32 s14, 0
	s_cbranch_scc0 .LBB600_12
.LBB600_13:
	s_or_b64 exec, exec, s[8:9]
	s_mov_b64 s[8:9], 0
.LBB600_14:
	s_andn2_b64 vcc, exec, s[8:9]
	s_cbranch_vccnz .LBB600_88
; %bb.15:
	s_load_dword s22, s[0:1], 0x28
	s_load_dword s21, s[0:1], 0x48
	s_lshl_b32 s0, s2, 10
	v_lshl_or_b32 v2, v0, 2, s0
	s_lshr_b32 s0, s23, 30
	s_add_i32 s0, s19, s0
	s_and_b32 s3, s0, -4
	s_ashr_i32 s0, s18, 31
	s_lshr_b32 s0, s0, 30
	s_add_i32 s0, s18, s0
	s_and_b32 s0, s0, -4
	v_ashrrev_i32_e32 v3, 31, v2
	s_sub_i32 s42, s18, s0
	v_lshl_add_u64 v[6:7], v[2:3], 1, s[4:5]
	s_cmp_lt_i32 s3, 1
	v_add_u32_e32 v27, 4, v2
	v_add_u32_e32 v28, s42, v2
	v_and_b32_e32 v1, 63, v0
	v_cmp_gt_u32_e64 s[0:1], 64, v0
	v_mbcnt_lo_u32_b32 v26, -1, 0
	v_cmp_gt_u32_e64 s[4:5], 4, v0
	v_lshrrev_b32_e32 v9, 4, v0
	v_cmp_eq_u32_e64 s[6:7], 0, v0
	s_waitcnt lgkmcnt(0)
	v_mul_lo_u32 v8, v2, s21
	s_cbranch_scc1 .LBB600_63
; %bb.16:
	v_mbcnt_hi_u32_b32 v3, -1, v26
	v_and_b32_e32 v4, 63, v3
	v_cmp_gt_u32_e32 vcc, 32, v4
	v_mul_lo_u32 v10, v2, s21
	v_add_u32_e32 v2, s21, v10
	v_cndmask_b32_e64 v5, 0, 1, vcc
	v_lshlrev_b32_e32 v5, 5, v5
	v_cmp_gt_u32_e32 vcc, 48, v4
	v_add_lshl_u32 v29, v5, v3, 2
	s_mov_b32 s25, 0
	v_cndmask_b32_e64 v5, 0, 1, vcc
	v_lshlrev_b32_e32 v5, 4, v5
	v_cmp_gt_u32_e32 vcc, 56, v4
	v_add_lshl_u32 v30, v5, v3, 2
	s_cmp_gt_i32 s42, 0
	v_cndmask_b32_e64 v5, 0, 1, vcc
	v_lshlrev_b32_e32 v5, 3, v5
	v_cmp_gt_u32_e32 vcc, 60, v4
	v_add_lshl_u32 v31, v5, v3, 2
	s_cselect_b64 s[26:27], -1, 0
	v_cndmask_b32_e64 v5, 0, 1, vcc
	v_lshlrev_b32_e32 v5, 2, v5
	v_cmp_gt_u32_e32 vcc, 62, v4
	v_add_lshl_u32 v32, v5, v3, 2
	v_ashrrev_i32_e32 v11, 31, v10
	v_cndmask_b32_e64 v5, 0, 1, vcc
	v_lshlrev_b32_e32 v5, 1, v5
	v_cmp_ne_u32_e32 vcc, 63, v4
	v_add_lshl_u32 v33, v5, v3, 2
	s_mov_b32 s23, s25
	v_addc_co_u32_e32 v3, vcc, 0, v3, vcc
	v_lshlrev_b32_e32 v34, 2, v3
	v_ashrrev_i32_e32 v3, 31, v2
	v_lshl_add_u64 v[14:15], v[2:3], 1, s[16:17]
	v_add_u32_e32 v2, s21, v2
	v_ashrrev_i32_e32 v3, 31, v2
	v_lshl_add_u64 v[16:17], v[2:3], 1, s[16:17]
	v_add_u32_e32 v2, s21, v2
	v_ashrrev_i32_e32 v3, 31, v2
	s_lshl_b32 s24, s22, 1
	v_cmp_ge_i32_e64 s[8:9], s18, v27
	v_cmp_ge_i32_e64 s[10:11], s18, v28
	v_cmp_eq_u32_e64 s[12:13], 0, v1
	v_lshlrev_b32_e32 v35, 2, v1
	v_and_b32_e32 v36, 12, v9
	v_lshl_add_u64 v[12:13], v[10:11], 1, s[16:17]
	v_lshl_add_u64 v[18:19], v[2:3], 1, s[16:17]
	s_lshl_b32 s45, s22, 2
	s_mul_i32 s46, s22, 3
	s_mov_b32 s47, s25
	v_mov_b32_e32 v11, 0
	s_mov_b32 s28, s25
	s_mov_b64 s[30:31], s[24:25]
	s_mov_b64 s[34:35], s[22:23]
	s_mov_b32 s23, 0
                                        ; implicit-def: $vgpr2_vgpr3_vgpr4_vgpr5
	s_branch .LBB600_18
.LBB600_17:                             ;   in Loop: Header=BB600_18 Depth=1
	s_or_b64 exec, exec, s[14:15]
	s_add_i32 s23, s23, 4
	s_add_u32 s34, s34, s45
	s_addc_u32 s35, s35, 0
	s_add_u32 s30, s30, s45
	s_addc_u32 s31, s31, 0
	;; [unrolled: 2-line block ×3, first 2 shown]
	s_add_i32 s28, s28, s45
	s_cmp_ge_i32 s23, s3
	s_cbranch_scc1 .LBB600_64
.LBB600_18:                             ; =>This Loop Header: Depth=1
                                        ;     Child Loop BB600_49 Depth 2
                                        ;     Child Loop BB600_52 Depth 2
                                        ; implicit-def: $vgpr21
                                        ; implicit-def: $vgpr23
	s_and_saveexec_b64 s[14:15], s[8:9]
	s_xor_b64 s[14:15], exec, s[14:15]
	s_cbranch_execnz .LBB600_45
; %bb.19:                               ;   in Loop: Header=BB600_18 Depth=1
	s_andn2_saveexec_b64 s[36:37], s[14:15]
	s_cbranch_execnz .LBB600_46
.LBB600_20:                             ;   in Loop: Header=BB600_18 Depth=1
	s_or_b64 exec, exec, s[36:37]
	s_and_saveexec_b64 s[14:15], s[0:1]
	s_cbranch_execz .LBB600_22
.LBB600_21:                             ;   in Loop: Header=BB600_18 Depth=1
	ds_write_b32 v35, v11
.LBB600_22:                             ;   in Loop: Header=BB600_18 Depth=1
	s_or_b64 exec, exec, s[14:15]
	ds_bpermute_b32 v24, v29, v22
	s_waitcnt lgkmcnt(0)
	s_barrier
	v_add_f32_e32 v22, v22, v24
	ds_bpermute_b32 v24, v30, v22
	s_waitcnt lgkmcnt(0)
	v_add_f32_e32 v22, v22, v24
	ds_bpermute_b32 v24, v31, v22
	s_waitcnt lgkmcnt(0)
	;; [unrolled: 3-line block ×4, first 2 shown]
	v_add_f32_e32 v22, v22, v24
	ds_bpermute_b32 v24, v34, v22
	s_and_saveexec_b64 s[14:15], s[12:13]
	s_cbranch_execz .LBB600_24
; %bb.23:                               ;   in Loop: Header=BB600_18 Depth=1
	s_waitcnt lgkmcnt(0)
	v_add_f32_e32 v22, v22, v24
	ds_write_b32 v36, v22
.LBB600_24:                             ;   in Loop: Header=BB600_18 Depth=1
	s_or_b64 exec, exec, s[14:15]
	v_mov_b32_e32 v22, 0
	s_waitcnt lgkmcnt(0)
	s_barrier
	s_and_saveexec_b64 s[14:15], s[4:5]
	s_cbranch_execnz .LBB600_54
; %bb.25:                               ;   in Loop: Header=BB600_18 Depth=1
	s_or_b64 exec, exec, s[14:15]
	s_and_saveexec_b64 s[14:15], s[0:1]
	s_cbranch_execnz .LBB600_55
.LBB600_26:                             ;   in Loop: Header=BB600_18 Depth=1
	s_or_b64 exec, exec, s[14:15]
	s_and_saveexec_b64 s[14:15], s[0:1]
	s_cbranch_execz .LBB600_28
.LBB600_27:                             ;   in Loop: Header=BB600_18 Depth=1
	ds_write_b32 v35, v11
.LBB600_28:                             ;   in Loop: Header=BB600_18 Depth=1
	s_or_b64 exec, exec, s[14:15]
	ds_bpermute_b32 v24, v29, v23
	s_waitcnt lgkmcnt(0)
	s_barrier
	v_add_f32_e32 v23, v23, v24
	ds_bpermute_b32 v24, v30, v23
	s_waitcnt lgkmcnt(0)
	v_add_f32_e32 v23, v23, v24
	ds_bpermute_b32 v24, v31, v23
	s_waitcnt lgkmcnt(0)
	;; [unrolled: 3-line block ×4, first 2 shown]
	v_add_f32_e32 v23, v23, v24
	ds_bpermute_b32 v24, v34, v23
	s_and_saveexec_b64 s[14:15], s[12:13]
	s_cbranch_execz .LBB600_30
; %bb.29:                               ;   in Loop: Header=BB600_18 Depth=1
	s_waitcnt lgkmcnt(0)
	v_add_f32_e32 v23, v23, v24
	ds_write_b32 v36, v23
.LBB600_30:                             ;   in Loop: Header=BB600_18 Depth=1
	s_or_b64 exec, exec, s[14:15]
	v_mov_b32_e32 v23, 0
	s_waitcnt lgkmcnt(0)
	s_barrier
	s_and_saveexec_b64 s[14:15], s[4:5]
	s_cbranch_execnz .LBB600_56
; %bb.31:                               ;   in Loop: Header=BB600_18 Depth=1
	s_or_b64 exec, exec, s[14:15]
	s_and_saveexec_b64 s[14:15], s[0:1]
	s_cbranch_execnz .LBB600_57
.LBB600_32:                             ;   in Loop: Header=BB600_18 Depth=1
	s_or_b64 exec, exec, s[14:15]
	s_and_saveexec_b64 s[14:15], s[0:1]
	s_cbranch_execz .LBB600_34
.LBB600_33:                             ;   in Loop: Header=BB600_18 Depth=1
	ds_write_b32 v35, v11
.LBB600_34:                             ;   in Loop: Header=BB600_18 Depth=1
	s_or_b64 exec, exec, s[14:15]
	ds_bpermute_b32 v24, v29, v20
	s_waitcnt lgkmcnt(0)
	s_barrier
	v_add_f32_e32 v20, v20, v24
	ds_bpermute_b32 v24, v30, v20
	s_waitcnt lgkmcnt(0)
	v_add_f32_e32 v20, v20, v24
	ds_bpermute_b32 v24, v31, v20
	s_waitcnt lgkmcnt(0)
	;; [unrolled: 3-line block ×4, first 2 shown]
	v_add_f32_e32 v20, v20, v24
	ds_bpermute_b32 v24, v34, v20
	s_and_saveexec_b64 s[14:15], s[12:13]
	s_cbranch_execz .LBB600_36
; %bb.35:                               ;   in Loop: Header=BB600_18 Depth=1
	s_waitcnt lgkmcnt(0)
	v_add_f32_e32 v20, v20, v24
	ds_write_b32 v36, v20
.LBB600_36:                             ;   in Loop: Header=BB600_18 Depth=1
	s_or_b64 exec, exec, s[14:15]
	v_mov_b32_e32 v20, 0
	s_waitcnt lgkmcnt(0)
	s_barrier
	s_and_saveexec_b64 s[14:15], s[4:5]
	s_cbranch_execnz .LBB600_58
; %bb.37:                               ;   in Loop: Header=BB600_18 Depth=1
	s_or_b64 exec, exec, s[14:15]
	s_and_saveexec_b64 s[14:15], s[0:1]
	s_cbranch_execnz .LBB600_59
.LBB600_38:                             ;   in Loop: Header=BB600_18 Depth=1
	s_or_b64 exec, exec, s[14:15]
	s_and_saveexec_b64 s[14:15], s[0:1]
	s_cbranch_execz .LBB600_40
.LBB600_39:                             ;   in Loop: Header=BB600_18 Depth=1
	ds_write_b32 v35, v11
.LBB600_40:                             ;   in Loop: Header=BB600_18 Depth=1
	s_or_b64 exec, exec, s[14:15]
	ds_bpermute_b32 v24, v29, v21
	s_waitcnt lgkmcnt(0)
	s_barrier
	v_add_f32_e32 v21, v21, v24
	ds_bpermute_b32 v24, v30, v21
	s_waitcnt lgkmcnt(0)
	v_add_f32_e32 v21, v21, v24
	ds_bpermute_b32 v24, v31, v21
	s_waitcnt lgkmcnt(0)
	;; [unrolled: 3-line block ×4, first 2 shown]
	v_add_f32_e32 v21, v21, v24
	ds_bpermute_b32 v24, v34, v21
	s_and_saveexec_b64 s[14:15], s[12:13]
	s_cbranch_execz .LBB600_42
; %bb.41:                               ;   in Loop: Header=BB600_18 Depth=1
	s_waitcnt lgkmcnt(0)
	v_add_f32_e32 v21, v21, v24
	ds_write_b32 v36, v21
.LBB600_42:                             ;   in Loop: Header=BB600_18 Depth=1
	s_or_b64 exec, exec, s[14:15]
	v_mov_b32_e32 v21, 0
	s_waitcnt lgkmcnt(0)
	s_barrier
	s_and_saveexec_b64 s[14:15], s[4:5]
	s_cbranch_execnz .LBB600_60
; %bb.43:                               ;   in Loop: Header=BB600_18 Depth=1
	s_or_b64 exec, exec, s[14:15]
	s_and_saveexec_b64 s[14:15], s[0:1]
	s_cbranch_execnz .LBB600_61
.LBB600_44:                             ;   in Loop: Header=BB600_18 Depth=1
	s_or_b64 exec, exec, s[14:15]
	s_and_saveexec_b64 s[14:15], s[6:7]
	s_cbranch_execz .LBB600_17
	s_branch .LBB600_62
.LBB600_45:                             ;   in Loop: Header=BB600_18 Depth=1
	s_mul_i32 s36, s23, s22
	s_ashr_i32 s37, s36, 31
	v_lshl_add_u64 v[2:3], s[36:37], 1, v[6:7]
	s_add_i32 s36, s36, s22
	s_ashr_i32 s37, s36, 31
	flat_load_ushort v4, v[12:13]
	flat_load_ushort v5, v[14:15]
	;; [unrolled: 1-line block ×4, first 2 shown]
	s_waitcnt lgkmcnt(0)
	flat_load_dwordx2 v[20:21], v[2:3]
	v_lshl_add_u64 v[2:3], s[36:37], 1, v[6:7]
	s_add_i32 s36, s36, s22
	s_ashr_i32 s37, s36, 31
	flat_load_dwordx2 v[22:23], v[2:3]
	v_lshl_add_u64 v[2:3], s[36:37], 1, v[6:7]
	s_add_i32 s36, s36, s22
	s_ashr_i32 s37, s36, 31
	flat_load_dwordx2 v[24:25], v[2:3]
	v_lshl_add_u64 v[2:3], s[36:37], 1, v[6:7]
	flat_load_dwordx2 v[38:39], v[2:3]
	s_waitcnt vmcnt(0) lgkmcnt(0)
	v_lshlrev_b32_e32 v2, 16, v4
	v_lshlrev_b32_e32 v41, 16, v5
	;; [unrolled: 1-line block ×5, first 2 shown]
	v_and_b32_e32 v54, 0xffff0000, v21
	v_mov_b32_e32 v46, v41
	v_lshlrev_b32_e32 v50, 16, v20
	v_lshlrev_b32_e32 v51, 16, v22
	v_and_b32_e32 v21, 0xffff0000, v22
	v_lshlrev_b32_e32 v53, 16, v23
	v_and_b32_e32 v55, 0xffff0000, v23
	;; [unrolled: 2-line block ×3, first 2 shown]
	v_and_b32_e32 v3, 0xffff0000, v38
	v_lshlrev_b32_e32 v40, 16, v38
	v_and_b32_e32 v43, 0xffff0000, v39
	v_lshlrev_b32_e32 v44, 16, v39
	v_pk_mul_f32 v[58:59], v[40:41], v[2:3]
	v_lshlrev_b32_e32 v37, 16, v25
	v_and_b32_e32 v25, 0xffff0000, v25
	v_mul_f32_e32 v22, v2, v22
	v_mul_f32_e32 v24, v41, v23
	v_mov_b32_e32 v3, v41
	v_pk_mul_f32 v[40:41], v[44:45], v[42:43]
	v_mov_b32_e32 v23, v58
	v_and_b32_e32 v20, 0xffff0000, v20
	v_mul_f32_e32 v56, v45, v25
	v_mov_b32_e32 v25, v59
	v_mov_b32_e32 v39, v40
	;; [unrolled: 1-line block ×3, first 2 shown]
	v_pk_fma_f32 v[40:41], v[2:3], v[50:51], 0 op_sel_hi:[0,1,0]
	v_pk_add_f32 v[22:23], v[22:23], 0 op_sel_hi:[1,0]
	v_mul_f32_e32 v38, v42, v37
	v_pk_fma_f32 v[20:21], v[46:47], v[20:21], v[40:41] op_sel_hi:[0,1,1]
	v_pk_add_f32 v[22:23], v[22:23], v[24:25]
	v_mov_b32_e32 v48, v45
	v_pk_fma_f32 v[24:25], v[42:43], v[52:53], v[20:21] op_sel_hi:[0,1,1]
	v_pk_add_f32 v[20:21], v[22:23], v[38:39]
	v_mov_b32_e32 v4, v42
	v_mov_b32_e32 v5, v45
	v_pk_add_f32 v[20:21], v[20:21], v[56:57]
	v_pk_fma_f32 v[22:23], v[48:49], v[54:55], v[24:25] op_sel_hi:[0,1,1]
	s_andn2_saveexec_b64 s[36:37], s[14:15]
	s_cbranch_execz .LBB600_20
.LBB600_46:                             ;   in Loop: Header=BB600_18 Depth=1
	s_waitcnt lgkmcnt(0)
	v_mov_b32_e32 v21, 0
	v_mov_b32_e32 v20, 0
	;; [unrolled: 1-line block ×4, first 2 shown]
	s_and_saveexec_b64 s[38:39], s[10:11]
	s_cbranch_execz .LBB600_53
; %bb.47:                               ;   in Loop: Header=BB600_18 Depth=1
	v_cndmask_b32_e64 v20, 0, 1, s[26:27]
	v_cmp_ne_u32_e64 s[14:15], 1, v20
	s_andn2_b64 vcc, exec, s[26:27]
	s_cbranch_vccnz .LBB600_50
; %bb.48:                               ;   in Loop: Header=BB600_18 Depth=1
	s_mov_b64 s[40:41], 0
	v_mov_b32_e32 v20, v10
.LBB600_49:                             ;   Parent Loop BB600_18 Depth=1
                                        ; =>  This Inner Loop Header: Depth=2
	v_ashrrev_i32_e32 v21, 31, v20
	v_lshl_add_u64 v[22:23], v[20:21], 1, s[16:17]
	flat_load_ushort v21, v[22:23]
	s_cmp_eq_u32 s40, 3
	s_cselect_b64 vcc, -1, 0
	s_cmp_eq_u32 s40, 2
	v_add_u32_e32 v20, s21, v20
	s_waitcnt vmcnt(0) lgkmcnt(0)
	v_lshlrev_b32_e32 v21, 16, v21
	v_cndmask_b32_e32 v5, v5, v21, vcc
	s_cselect_b64 vcc, -1, 0
	s_cmp_eq_u32 s40, 1
	v_cndmask_b32_e32 v4, v4, v21, vcc
	s_cselect_b64 vcc, -1, 0
	s_cmp_eq_u32 s40, 0
	v_cndmask_b32_e32 v3, v3, v21, vcc
	s_cselect_b64 vcc, -1, 0
	s_add_u32 s40, s40, 1
	s_addc_u32 s41, s41, 0
	s_cmp_eq_u32 s42, s40
	v_cndmask_b32_e32 v2, v2, v21, vcc
	s_cbranch_scc0 .LBB600_49
.LBB600_50:                             ;   in Loop: Header=BB600_18 Depth=1
	v_mov_b32_e32 v21, 0
	s_and_b64 vcc, exec, s[14:15]
	v_mov_b32_e32 v20, v21
	v_mov_b32_e32 v23, v21
	v_mov_b32_e32 v22, v21
	s_cbranch_vccnz .LBB600_53
; %bb.51:                               ;   in Loop: Header=BB600_18 Depth=1
	s_ashr_i32 s29, s28, 31
	v_mov_b32_e32 v22, 0
	v_lshl_add_u64 v[24:25], s[28:29], 1, v[6:7]
	s_mov_b64 s[14:15], 0
	v_mov_b32_e32 v23, v22
	v_mov_b32_e32 v20, v22
	;; [unrolled: 1-line block ×3, first 2 shown]
.LBB600_52:                             ;   Parent Loop BB600_18 Depth=1
                                        ; =>  This Inner Loop Header: Depth=2
	s_cmp_eq_u32 s14, 1
	s_cselect_b64 vcc, -1, 0
	s_cmp_eq_u32 s14, 2
	v_cndmask_b32_e32 v38, v2, v3, vcc
	s_cselect_b64 vcc, -1, 0
	s_cmp_eq_u32 s14, 3
	v_cndmask_b32_e32 v44, v38, v4, vcc
	s_cselect_b64 vcc, -1, 0
	s_add_i32 s40, s34, s14
	s_add_i32 s48, s30, s14
	;; [unrolled: 1-line block ×3, first 2 shown]
	s_ashr_i32 s41, s40, 31
	s_ashr_i32 s49, s48, 31
	;; [unrolled: 1-line block ×3, first 2 shown]
	v_lshl_add_u64 v[38:39], s[40:41], 1, v[6:7]
	flat_load_ushort v37, v[24:25]
	v_lshl_add_u64 v[40:41], s[48:49], 1, v[6:7]
	v_lshl_add_u64 v[42:43], s[50:51], 1, v[6:7]
	flat_load_ushort v39, v[38:39]
	s_nop 0
	flat_load_ushort v45, v[42:43]
	flat_load_ushort v46, v[40:41]
	s_add_u32 s14, s14, 1
	v_cndmask_b32_e32 v38, v44, v5, vcc
	s_addc_u32 s15, s15, 0
	v_lshl_add_u64 v[24:25], v[24:25], 0, 2
	s_cmp_lg_u32 s42, s14
	s_waitcnt vmcnt(0) lgkmcnt(0)
	v_lshlrev_b32_e32 v40, 16, v37
	v_lshlrev_b32_e32 v41, 16, v39
	;; [unrolled: 1-line block ×4, first 2 shown]
	v_pk_fma_f32 v[22:23], v[38:39], v[40:41], v[22:23] op_sel_hi:[0,1,1]
	v_pk_fma_f32 v[20:21], v[38:39], v[42:43], v[20:21] op_sel_hi:[0,1,1]
	s_cbranch_scc1 .LBB600_52
.LBB600_53:                             ;   in Loop: Header=BB600_18 Depth=1
	s_or_b64 exec, exec, s[38:39]
	s_or_b64 exec, exec, s[36:37]
	s_and_saveexec_b64 s[14:15], s[0:1]
	s_cbranch_execnz .LBB600_21
	s_branch .LBB600_22
.LBB600_54:                             ;   in Loop: Header=BB600_18 Depth=1
	ds_read_b32 v22, v35
	s_or_b64 exec, exec, s[14:15]
	s_and_saveexec_b64 s[14:15], s[0:1]
	s_cbranch_execz .LBB600_26
.LBB600_55:                             ;   in Loop: Header=BB600_18 Depth=1
	s_waitcnt lgkmcnt(0)
	ds_bpermute_b32 v24, v33, v22
	s_waitcnt lgkmcnt(0)
	v_add_f32_e32 v22, v22, v24
	ds_bpermute_b32 v24, v34, v22
	s_waitcnt lgkmcnt(0)
	v_add_f32_e32 v22, v22, v24
	s_or_b64 exec, exec, s[14:15]
	s_and_saveexec_b64 s[14:15], s[0:1]
	s_cbranch_execnz .LBB600_27
	s_branch .LBB600_28
.LBB600_56:                             ;   in Loop: Header=BB600_18 Depth=1
	ds_read_b32 v23, v35
	s_or_b64 exec, exec, s[14:15]
	s_and_saveexec_b64 s[14:15], s[0:1]
	s_cbranch_execz .LBB600_32
.LBB600_57:                             ;   in Loop: Header=BB600_18 Depth=1
	s_waitcnt lgkmcnt(0)
	ds_bpermute_b32 v24, v33, v23
	s_waitcnt lgkmcnt(0)
	v_add_f32_e32 v23, v23, v24
	ds_bpermute_b32 v24, v34, v23
	s_waitcnt lgkmcnt(0)
	v_add_f32_e32 v23, v23, v24
	s_or_b64 exec, exec, s[14:15]
	s_and_saveexec_b64 s[14:15], s[0:1]
	s_cbranch_execnz .LBB600_33
	s_branch .LBB600_34
.LBB600_58:                             ;   in Loop: Header=BB600_18 Depth=1
	ds_read_b32 v20, v35
	s_or_b64 exec, exec, s[14:15]
	s_and_saveexec_b64 s[14:15], s[0:1]
	s_cbranch_execz .LBB600_38
.LBB600_59:                             ;   in Loop: Header=BB600_18 Depth=1
	s_waitcnt lgkmcnt(0)
	ds_bpermute_b32 v24, v33, v20
	s_waitcnt lgkmcnt(0)
	v_add_f32_e32 v20, v20, v24
	ds_bpermute_b32 v24, v34, v20
	s_waitcnt lgkmcnt(0)
	v_add_f32_e32 v20, v20, v24
	s_or_b64 exec, exec, s[14:15]
	s_and_saveexec_b64 s[14:15], s[0:1]
	s_cbranch_execnz .LBB600_39
	s_branch .LBB600_40
.LBB600_60:                             ;   in Loop: Header=BB600_18 Depth=1
	ds_read_b32 v21, v35
	s_or_b64 exec, exec, s[14:15]
	s_and_saveexec_b64 s[14:15], s[0:1]
	s_cbranch_execz .LBB600_44
.LBB600_61:                             ;   in Loop: Header=BB600_18 Depth=1
	s_waitcnt lgkmcnt(0)
	ds_bpermute_b32 v24, v33, v21
	s_waitcnt lgkmcnt(0)
	v_add_f32_e32 v21, v21, v24
	ds_bpermute_b32 v24, v34, v21
	s_waitcnt lgkmcnt(0)
	v_add_f32_e32 v21, v21, v24
	s_or_b64 exec, exec, s[14:15]
	s_and_saveexec_b64 s[14:15], s[6:7]
	s_cbranch_execz .LBB600_17
.LBB600_62:                             ;   in Loop: Header=BB600_18 Depth=1
	s_mul_i32 s24, s23, s20
	s_add_i32 s24, s24, s2
	s_lshl_b64 s[36:37], s[24:25], 2
	s_add_u32 s36, s43, s36
	v_mul_f32_e32 v22, s33, v22
	s_addc_u32 s37, s44, s37
	s_add_i32 s24, s24, s20
	global_store_dword v11, v22, s[36:37]
	s_lshl_b64 s[36:37], s[24:25], 2
	s_add_u32 s36, s43, s36
	v_mul_f32_e32 v22, s33, v23
	s_addc_u32 s37, s44, s37
	s_add_i32 s24, s24, s20
	global_store_dword v11, v22, s[36:37]
	;; [unrolled: 6-line block ×3, first 2 shown]
	s_lshl_b64 s[36:37], s[24:25], 2
	s_add_u32 s36, s43, s36
	s_waitcnt lgkmcnt(0)
	v_mul_f32_e32 v20, s33, v21
	s_addc_u32 s37, s44, s37
	global_store_dword v11, v20, s[36:37]
	s_branch .LBB600_17
.LBB600_63:
	s_mov_b32 s23, 0
                                        ; implicit-def: $vgpr2_vgpr3_vgpr4_vgpr5
.LBB600_64:
	s_cmp_ge_i32 s23, s19
	s_cbranch_scc1 .LBB600_88
; %bb.65:
	v_mbcnt_hi_u32_b32 v10, -1, v26
	v_and_b32_e32 v11, 63, v10
	v_cmp_gt_u32_e32 vcc, 32, v11
	v_add_u32_e32 v14, s21, v8
	v_add_u32_e32 v16, s21, v14
	v_cndmask_b32_e64 v12, 0, 1, vcc
	v_lshlrev_b32_e32 v12, 5, v12
	v_cmp_gt_u32_e32 vcc, 48, v11
	s_waitcnt lgkmcnt(0)
	v_add_lshl_u32 v21, v12, v10, 2
	s_mov_b32 s3, 0
	v_cndmask_b32_e64 v12, 0, 1, vcc
	v_lshlrev_b32_e32 v12, 4, v12
	v_cmp_gt_u32_e32 vcc, 56, v11
	v_add_lshl_u32 v22, v12, v10, 2
	s_cmp_gt_i32 s42, 0
	v_cndmask_b32_e64 v12, 0, 1, vcc
	v_lshlrev_b32_e32 v12, 3, v12
	v_cmp_gt_u32_e32 vcc, 60, v11
	v_add_lshl_u32 v23, v12, v10, 2
	v_ashrrev_i32_e32 v15, 31, v14
	v_cndmask_b32_e64 v12, 0, 1, vcc
	v_lshlrev_b32_e32 v12, 2, v12
	v_cmp_gt_u32_e32 vcc, 62, v11
	v_add_lshl_u32 v24, v12, v10, 2
	v_ashrrev_i32_e32 v17, 31, v16
	v_cndmask_b32_e64 v12, 0, 1, vcc
	v_lshlrev_b32_e32 v12, 1, v12
	s_cselect_b64 s[24:25], -1, 0
	v_add_lshl_u32 v25, v12, v10, 2
	v_cmp_ne_u32_e32 vcc, 63, v11
	s_lshl_b64 s[14:15], s[2:3], 2
	v_lshl_add_u64 v[12:13], v[14:15], 1, s[16:17]
	v_lshl_add_u64 v[14:15], v[16:17], 1, s[16:17]
	v_add_u32_e32 v16, s21, v16
	v_lshlrev_b32_e32 v20, 2, v1
	v_addc_co_u32_e32 v10, vcc, 0, v10, vcc
	v_cmp_eq_u32_e64 s[8:9], 0, v1
	v_and_b32_e32 v1, 12, v9
	s_add_u32 s2, s43, s14
	v_ashrrev_i32_e32 v9, 31, v8
	v_ashrrev_i32_e32 v17, 31, v16
	v_cmp_ge_i32_e64 s[0:1], s18, v27
	v_cmp_ge_i32_e64 s[4:5], s18, v28
	v_cmp_gt_u32_e64 s[6:7], 64, v0
	v_lshlrev_b32_e32 v26, 2, v10
	v_cmp_gt_u32_e64 s[10:11], 4, v0
	v_cmp_eq_u32_e64 s[12:13], 0, v0
	s_addc_u32 s18, s44, s15
	v_lshl_add_u64 v[10:11], v[8:9], 1, s[16:17]
	v_lshl_add_u64 v[16:17], v[16:17], 1, s[16:17]
	s_mul_i32 s26, s23, s22
	v_mov_b32_e32 v9, 0
	s_branch .LBB600_67
.LBB600_66:                             ;   in Loop: Header=BB600_67 Depth=1
	s_or_b64 exec, exec, s[14:15]
	s_add_i32 s23, s23, 1
	s_add_i32 s26, s26, s22
	s_cmp_ge_i32 s23, s19
	s_cbranch_scc1 .LBB600_88
.LBB600_67:                             ; =>This Loop Header: Depth=1
                                        ;     Child Loop BB600_80 Depth 2
                                        ;     Child Loop BB600_83 Depth 2
	s_waitcnt lgkmcnt(0)
	v_mov_b32_e32 v0, s3
	s_and_saveexec_b64 s[14:15], s[0:1]
	s_xor_b64 s[14:15], exec, s[14:15]
	s_cbranch_execnz .LBB600_76
; %bb.68:                               ;   in Loop: Header=BB600_67 Depth=1
	s_andn2_saveexec_b64 s[28:29], s[14:15]
	s_cbranch_execnz .LBB600_77
.LBB600_69:                             ;   in Loop: Header=BB600_67 Depth=1
	s_or_b64 exec, exec, s[28:29]
	s_and_saveexec_b64 s[14:15], s[6:7]
	s_cbranch_execz .LBB600_71
.LBB600_70:                             ;   in Loop: Header=BB600_67 Depth=1
	ds_write_b32 v20, v9
.LBB600_71:                             ;   in Loop: Header=BB600_67 Depth=1
	s_or_b64 exec, exec, s[14:15]
	ds_bpermute_b32 v18, v21, v0
	s_waitcnt lgkmcnt(0)
	s_barrier
	v_add_f32_e32 v0, v0, v18
	ds_bpermute_b32 v18, v22, v0
	s_waitcnt lgkmcnt(0)
	v_add_f32_e32 v0, v0, v18
	ds_bpermute_b32 v18, v23, v0
	s_waitcnt lgkmcnt(0)
	;; [unrolled: 3-line block ×4, first 2 shown]
	v_add_f32_e32 v0, v0, v18
	ds_bpermute_b32 v18, v26, v0
	s_and_saveexec_b64 s[14:15], s[8:9]
	s_cbranch_execz .LBB600_73
; %bb.72:                               ;   in Loop: Header=BB600_67 Depth=1
	s_waitcnt lgkmcnt(0)
	v_add_f32_e32 v0, v0, v18
	ds_write_b32 v1, v0
.LBB600_73:                             ;   in Loop: Header=BB600_67 Depth=1
	s_or_b64 exec, exec, s[14:15]
	v_mov_b32_e32 v0, 0
	s_waitcnt lgkmcnt(0)
	s_barrier
	s_and_saveexec_b64 s[14:15], s[10:11]
	s_cbranch_execnz .LBB600_85
; %bb.74:                               ;   in Loop: Header=BB600_67 Depth=1
	s_or_b64 exec, exec, s[14:15]
	s_and_saveexec_b64 s[14:15], s[6:7]
	s_cbranch_execnz .LBB600_86
.LBB600_75:                             ;   in Loop: Header=BB600_67 Depth=1
	s_or_b64 exec, exec, s[14:15]
	s_and_saveexec_b64 s[14:15], s[12:13]
	s_cbranch_execz .LBB600_66
	s_branch .LBB600_87
.LBB600_76:                             ;   in Loop: Header=BB600_67 Depth=1
	s_mul_i32 s28, s23, s22
	s_ashr_i32 s29, s28, 31
	v_lshl_add_u64 v[2:3], s[28:29], 1, v[6:7]
	flat_load_ushort v0, v[10:11]
	flat_load_ushort v4, v[12:13]
	;; [unrolled: 1-line block ×4, first 2 shown]
	flat_load_dwordx2 v[18:19], v[2:3]
	s_waitcnt vmcnt(0) lgkmcnt(0)
	v_lshlrev_b32_e32 v2, 16, v0
	v_lshlrev_b32_e32 v3, 16, v4
	;; [unrolled: 1-line block ×4, first 2 shown]
	v_and_b32_e32 v29, 0xffff0000, v18
	v_lshlrev_b32_e32 v28, 16, v18
	v_and_b32_e32 v31, 0xffff0000, v19
	v_lshlrev_b32_e32 v30, 16, v19
	v_pk_mul_f32 v[18:19], v[2:3], v[28:29]
	s_nop 0
	v_add_f32_e32 v0, 0, v18
	v_add_f32_e32 v0, v0, v19
	v_pk_mul_f32 v[18:19], v[4:5], v[30:31]
	s_nop 0
	v_add_f32_e32 v0, v0, v18
	v_add_f32_e32 v0, v0, v19
	s_andn2_saveexec_b64 s[28:29], s[14:15]
	s_cbranch_execz .LBB600_69
.LBB600_77:                             ;   in Loop: Header=BB600_67 Depth=1
	s_and_saveexec_b64 s[30:31], s[4:5]
	s_cbranch_execz .LBB600_84
; %bb.78:                               ;   in Loop: Header=BB600_67 Depth=1
	v_cndmask_b32_e64 v18, 0, 1, s[24:25]
	v_cmp_ne_u32_e64 s[14:15], 1, v18
	s_andn2_b64 vcc, exec, s[24:25]
	s_cbranch_vccnz .LBB600_81
; %bb.79:                               ;   in Loop: Header=BB600_67 Depth=1
	s_mov_b64 s[34:35], 0
	v_mov_b32_e32 v18, v8
.LBB600_80:                             ;   Parent Loop BB600_67 Depth=1
                                        ; =>  This Inner Loop Header: Depth=2
	v_ashrrev_i32_e32 v19, 31, v18
	v_lshl_add_u64 v[28:29], v[18:19], 1, s[16:17]
	flat_load_ushort v19, v[28:29]
	s_cmp_eq_u32 s34, 3
	s_cselect_b64 vcc, -1, 0
	s_cmp_eq_u32 s34, 2
	v_add_u32_e32 v18, s21, v18
	s_waitcnt vmcnt(0) lgkmcnt(0)
	v_lshlrev_b32_e32 v19, 16, v19
	v_cndmask_b32_e32 v5, v5, v19, vcc
	s_cselect_b64 vcc, -1, 0
	s_cmp_eq_u32 s34, 1
	v_cndmask_b32_e32 v4, v4, v19, vcc
	s_cselect_b64 vcc, -1, 0
	s_cmp_eq_u32 s34, 0
	v_cndmask_b32_e32 v3, v3, v19, vcc
	s_cselect_b64 vcc, -1, 0
	s_add_u32 s34, s34, 1
	s_addc_u32 s35, s35, 0
	s_cmp_eq_u32 s42, s34
	v_cndmask_b32_e32 v2, v2, v19, vcc
	s_cbranch_scc0 .LBB600_80
.LBB600_81:                             ;   in Loop: Header=BB600_67 Depth=1
	s_and_b64 vcc, exec, s[14:15]
	s_cbranch_vccnz .LBB600_84
; %bb.82:                               ;   in Loop: Header=BB600_67 Depth=1
	s_ashr_i32 s27, s26, 31
	v_lshl_add_u64 v[18:19], s[26:27], 1, v[6:7]
	s_mov_b64 s[14:15], 0
.LBB600_83:                             ;   Parent Loop BB600_67 Depth=1
                                        ; =>  This Inner Loop Header: Depth=2
	flat_load_ushort v27, v[18:19]
	s_cmp_eq_u32 s14, 1
	s_cselect_b64 vcc, -1, 0
	s_cmp_eq_u32 s14, 2
	v_cndmask_b32_e32 v28, v2, v3, vcc
	s_cselect_b64 vcc, -1, 0
	s_cmp_eq_u32 s14, 3
	v_cndmask_b32_e32 v28, v28, v4, vcc
	s_cselect_b64 vcc, -1, 0
	s_add_u32 s14, s14, 1
	v_cndmask_b32_e32 v28, v28, v5, vcc
	s_addc_u32 s15, s15, 0
	v_lshl_add_u64 v[18:19], v[18:19], 0, 2
	s_cmp_lg_u32 s42, s14
	s_waitcnt vmcnt(0) lgkmcnt(0)
	v_lshlrev_b32_e32 v27, 16, v27
	v_fmac_f32_e32 v0, v28, v27
	s_cbranch_scc1 .LBB600_83
.LBB600_84:                             ;   in Loop: Header=BB600_67 Depth=1
	s_or_b64 exec, exec, s[30:31]
	s_or_b64 exec, exec, s[28:29]
	s_and_saveexec_b64 s[14:15], s[6:7]
	s_cbranch_execnz .LBB600_70
	s_branch .LBB600_71
.LBB600_85:                             ;   in Loop: Header=BB600_67 Depth=1
	ds_read_b32 v0, v20
	s_or_b64 exec, exec, s[14:15]
	s_and_saveexec_b64 s[14:15], s[6:7]
	s_cbranch_execz .LBB600_75
.LBB600_86:                             ;   in Loop: Header=BB600_67 Depth=1
	s_waitcnt lgkmcnt(0)
	ds_bpermute_b32 v18, v25, v0
	s_waitcnt lgkmcnt(0)
	v_add_f32_e32 v0, v0, v18
	ds_bpermute_b32 v18, v26, v0
	s_waitcnt lgkmcnt(0)
	v_add_f32_e32 v0, v0, v18
	s_or_b64 exec, exec, s[14:15]
	s_and_saveexec_b64 s[14:15], s[12:13]
	s_cbranch_execz .LBB600_66
.LBB600_87:                             ;   in Loop: Header=BB600_67 Depth=1
	s_mul_hi_u32 s29, s23, s20
	s_mul_i32 s28, s23, s20
	s_lshl_b64 s[28:29], s[28:29], 2
	s_add_u32 s28, s2, s28
	s_waitcnt lgkmcnt(0)
	v_mul_f32_e32 v0, s33, v0
	s_addc_u32 s29, s18, s29
	global_store_dword v9, v0, s[28:29]
	s_branch .LBB600_66
.LBB600_88:
	s_endpgm
	.section	.rodata,"a",@progbits
	.p2align	6, 0x0
	.amdhsa_kernel _ZL23rocblas_gemvt_sn_kernelILb0ELi256ELi4EiPK16rocblas_bfloat16PKffEviiT4_lPKT3_lilS8_lilPT5_i
		.amdhsa_group_segment_fixed_size 256
		.amdhsa_private_segment_fixed_size 0
		.amdhsa_kernarg_size 360
		.amdhsa_user_sgpr_count 2
		.amdhsa_user_sgpr_dispatch_ptr 0
		.amdhsa_user_sgpr_queue_ptr 0
		.amdhsa_user_sgpr_kernarg_segment_ptr 1
		.amdhsa_user_sgpr_dispatch_id 0
		.amdhsa_user_sgpr_kernarg_preload_length 0
		.amdhsa_user_sgpr_kernarg_preload_offset 0
		.amdhsa_user_sgpr_private_segment_size 0
		.amdhsa_uses_dynamic_stack 0
		.amdhsa_enable_private_segment 0
		.amdhsa_system_sgpr_workgroup_id_x 1
		.amdhsa_system_sgpr_workgroup_id_y 0
		.amdhsa_system_sgpr_workgroup_id_z 1
		.amdhsa_system_sgpr_workgroup_info 0
		.amdhsa_system_vgpr_workitem_id 0
		.amdhsa_next_free_vgpr 60
		.amdhsa_next_free_sgpr 52
		.amdhsa_accum_offset 60
		.amdhsa_reserve_vcc 1
		.amdhsa_float_round_mode_32 0
		.amdhsa_float_round_mode_16_64 0
		.amdhsa_float_denorm_mode_32 3
		.amdhsa_float_denorm_mode_16_64 3
		.amdhsa_dx10_clamp 1
		.amdhsa_ieee_mode 1
		.amdhsa_fp16_overflow 0
		.amdhsa_tg_split 0
		.amdhsa_exception_fp_ieee_invalid_op 0
		.amdhsa_exception_fp_denorm_src 0
		.amdhsa_exception_fp_ieee_div_zero 0
		.amdhsa_exception_fp_ieee_overflow 0
		.amdhsa_exception_fp_ieee_underflow 0
		.amdhsa_exception_fp_ieee_inexact 0
		.amdhsa_exception_int_div_zero 0
	.end_amdhsa_kernel
	.section	.text._ZL23rocblas_gemvt_sn_kernelILb0ELi256ELi4EiPK16rocblas_bfloat16PKffEviiT4_lPKT3_lilS8_lilPT5_i,"axG",@progbits,_ZL23rocblas_gemvt_sn_kernelILb0ELi256ELi4EiPK16rocblas_bfloat16PKffEviiT4_lPKT3_lilS8_lilPT5_i,comdat
.Lfunc_end600:
	.size	_ZL23rocblas_gemvt_sn_kernelILb0ELi256ELi4EiPK16rocblas_bfloat16PKffEviiT4_lPKT3_lilS8_lilPT5_i, .Lfunc_end600-_ZL23rocblas_gemvt_sn_kernelILb0ELi256ELi4EiPK16rocblas_bfloat16PKffEviiT4_lPKT3_lilS8_lilPT5_i
                                        ; -- End function
	.section	.AMDGPU.csdata,"",@progbits
; Kernel info:
; codeLenInByte = 4032
; NumSgprs: 58
; NumVgprs: 60
; NumAgprs: 0
; TotalNumVgprs: 60
; ScratchSize: 0
; MemoryBound: 0
; FloatMode: 240
; IeeeMode: 1
; LDSByteSize: 256 bytes/workgroup (compile time only)
; SGPRBlocks: 7
; VGPRBlocks: 7
; NumSGPRsForWavesPerEU: 58
; NumVGPRsForWavesPerEU: 60
; AccumOffset: 60
; Occupancy: 8
; WaveLimiterHint : 0
; COMPUTE_PGM_RSRC2:SCRATCH_EN: 0
; COMPUTE_PGM_RSRC2:USER_SGPR: 2
; COMPUTE_PGM_RSRC2:TRAP_HANDLER: 0
; COMPUTE_PGM_RSRC2:TGID_X_EN: 1
; COMPUTE_PGM_RSRC2:TGID_Y_EN: 0
; COMPUTE_PGM_RSRC2:TGID_Z_EN: 1
; COMPUTE_PGM_RSRC2:TIDIG_COMP_CNT: 0
; COMPUTE_PGM_RSRC3_GFX90A:ACCUM_OFFSET: 14
; COMPUTE_PGM_RSRC3_GFX90A:TG_SPLIT: 0
	.section	.text._ZL23rocblas_gemvt_sn_kernelILb0ELi256ELi4ElPK16rocblas_bfloat16PKffEviiT4_lPKT3_lilS8_lilPT5_i,"axG",@progbits,_ZL23rocblas_gemvt_sn_kernelILb0ELi256ELi4ElPK16rocblas_bfloat16PKffEviiT4_lPKT3_lilS8_lilPT5_i,comdat
	.globl	_ZL23rocblas_gemvt_sn_kernelILb0ELi256ELi4ElPK16rocblas_bfloat16PKffEviiT4_lPKT3_lilS8_lilPT5_i ; -- Begin function _ZL23rocblas_gemvt_sn_kernelILb0ELi256ELi4ElPK16rocblas_bfloat16PKffEviiT4_lPKT3_lilS8_lilPT5_i
	.p2align	8
	.type	_ZL23rocblas_gemvt_sn_kernelILb0ELi256ELi4ElPK16rocblas_bfloat16PKffEviiT4_lPKT3_lilS8_lilPT5_i,@function
_ZL23rocblas_gemvt_sn_kernelILb0ELi256ELi4ElPK16rocblas_bfloat16PKffEviiT4_lPKT3_lilS8_lilPT5_i: ; @_ZL23rocblas_gemvt_sn_kernelILb0ELi256ELi4ElPK16rocblas_bfloat16PKffEviiT4_lPKT3_lilS8_lilPT5_i
; %bb.0:
	s_load_dwordx8 s[4:11], s[0:1], 0x8
	s_mov_b32 s12, s3
	s_mov_b32 s13, 0
	s_mov_b64 s[24:25], 0
	s_mov_b64 s[22:23], 0
	s_waitcnt lgkmcnt(0)
	s_mul_i32 s3, s3, s7
	s_mul_hi_u32 s7, s12, s6
	s_add_i32 s7, s7, s3
	s_mul_i32 s6, s12, s6
	s_lshl_b64 s[6:7], s[6:7], 2
	s_add_u32 s4, s4, s6
	s_addc_u32 s5, s5, s7
	s_load_dword s33, s[4:5], 0x0
	s_waitcnt lgkmcnt(0)
	v_cmp_eq_f32_e64 s[6:7], s33, 0
	v_cmp_neq_f32_e64 s[4:5], s33, 0
	s_and_b64 vcc, exec, s[6:7]
	s_cbranch_vccnz .LBB601_2
; %bb.1:
	s_lshl_b64 s[14:15], s[12:13], 3
	s_add_u32 s8, s8, s14
	s_addc_u32 s9, s9, s15
	s_load_dwordx2 s[8:9], s[8:9], 0x0
	s_lshl_b64 s[10:11], s[10:11], 1
	s_waitcnt lgkmcnt(0)
	s_add_u32 s22, s8, s10
	s_addc_u32 s23, s9, s11
.LBB601_2:
	s_andn2_b64 vcc, exec, s[4:5]
	s_cbranch_vccnz .LBB601_4
; %bb.3:
	s_load_dwordx4 s[8:11], s[0:1], 0x38
	s_lshl_b64 s[4:5], s[12:13], 3
	s_waitcnt lgkmcnt(0)
	s_add_u32 s4, s8, s4
	s_addc_u32 s5, s9, s5
	s_load_dwordx2 s[4:5], s[4:5], 0x0
	s_lshl_b64 s[8:9], s[10:11], 1
	s_waitcnt lgkmcnt(0)
	s_add_u32 s24, s4, s8
	s_addc_u32 s25, s5, s9
.LBB601_4:
	s_load_dwordx2 s[16:17], s[0:1], 0x0
	s_load_dwordx2 s[4:5], s[0:1], 0x58
	s_load_dword s18, s[0:1], 0x68
	s_mov_b32 s19, 0
	s_waitcnt lgkmcnt(0)
	s_ashr_i32 s14, s17, 31
	s_mul_hi_u32 s3, s17, s12
	s_mul_i32 s8, s14, s12
	s_add_i32 s9, s3, s8
	s_mul_i32 s8, s17, s12
	s_mul_i32 s3, s9, s18
	s_mul_hi_u32 s10, s8, s18
	s_add_i32 s11, s10, s3
	s_mul_i32 s10, s8, s18
	s_lshl_b64 s[10:11], s[10:11], 2
	s_add_u32 s48, s4, s10
	s_addc_u32 s49, s5, s11
	s_andn2_b64 vcc, exec, s[6:7]
	s_mov_b64 s[6:7], -1
	s_cbranch_vccnz .LBB601_14
; %bb.5:
	s_cmp_gt_i32 s17, 0
	v_cmp_eq_u32_e32 vcc, 0, v0
	s_cselect_b64 s[6:7], -1, 0
	s_and_b64 s[10:11], vcc, s[6:7]
	s_and_saveexec_b64 s[6:7], s[10:11]
	s_cbranch_execz .LBB601_13
; %bb.6:
	s_cmp_gt_u32 s17, 1
	s_cselect_b64 s[10:11], -1, 0
	s_cmp_eq_u32 s18, 1
	s_cselect_b64 s[20:21], -1, 0
	s_mov_b32 s3, 0
	s_and_b64 s[10:11], s[10:11], s[20:21]
	s_mov_b64 s[12:13], -1
	s_andn2_b64 vcc, exec, s[10:11]
	s_mov_b32 s10, s3
	s_cbranch_vccnz .LBB601_10
; %bb.7:
	s_lshl_b64 s[10:11], s[2:3], 2
	s_add_u32 s12, s48, s10
	s_addc_u32 s13, s49, s11
	s_and_b32 s10, s17, 0x7ffffffe
	v_mov_b32_e32 v2, 0
	v_mov_b32_e32 v3, v2
	s_mov_b32 s11, s10
.LBB601_8:                              ; =>This Inner Loop Header: Depth=1
	global_store_dwordx2 v2, v[2:3], s[12:13]
	s_add_u32 s12, s12, 8
	s_addc_u32 s13, s13, 0
	s_add_i32 s11, s11, -2
	s_cmp_lg_u32 s11, 0
	s_cbranch_scc1 .LBB601_8
; %bb.9:
	s_cmp_lg_u32 s10, s17
	s_cselect_b64 s[12:13], -1, 0
.LBB601_10:
	s_and_b64 vcc, exec, s[12:13]
	s_cbranch_vccz .LBB601_13
; %bb.11:
	s_mov_b32 s11, 0
	s_sub_i32 s12, s17, s10
	s_lshl_b64 s[8:9], s[8:9], 2
	s_lshl_b64 s[10:11], s[10:11], 2
	s_add_u32 s8, s8, s10
	s_addc_u32 s9, s9, s11
	s_mul_i32 s9, s9, s18
	s_mul_hi_u32 s10, s8, s18
	s_add_i32 s10, s10, s9
	s_mul_i32 s11, s8, s18
	s_lshl_b64 s[8:9], s[2:3], 2
	s_add_u32 s3, s11, s8
	s_addc_u32 s8, s10, s9
	s_add_u32 s4, s4, s3
	s_addc_u32 s5, s5, s8
	s_lshl_b64 s[8:9], s[18:19], 2
	v_mov_b32_e32 v1, 0
.LBB601_12:                             ; =>This Inner Loop Header: Depth=1
	s_add_i32 s12, s12, -1
	global_store_dword v1, v1, s[4:5]
	s_add_u32 s4, s4, s8
	s_addc_u32 s5, s5, s9
	s_cmp_eq_u32 s12, 0
	s_cbranch_scc0 .LBB601_12
.LBB601_13:
	s_or_b64 exec, exec, s[6:7]
	s_mov_b64 s[6:7], 0
.LBB601_14:
	s_andn2_b64 vcc, exec, s[6:7]
	s_cbranch_vccnz .LBB601_88
; %bb.15:
	s_load_dword s20, s[0:1], 0x28
	s_load_dword s26, s[0:1], 0x48
	s_lshl_b32 s0, s2, 10
	v_lshl_or_b32 v8, v0, 2, s0
	s_lshr_b32 s0, s14, 30
	s_add_i32 s0, s17, s0
	s_and_b32 s50, s0, -4
	s_ashr_i32 s0, s16, 31
	s_lshr_b32 s0, s0, 30
	s_add_i32 s0, s16, s0
	s_and_b32 s0, s0, -4
	s_waitcnt lgkmcnt(0)
	s_ashr_i32 s21, s20, 31
	s_ashr_i32 s27, s26, 31
	v_ashrrev_i32_e32 v9, 31, v8
	s_sub_i32 s19, s16, s0
	v_lshl_add_u64 v[6:7], v[8:9], 1, s[22:23]
	s_cmp_lt_i32 s50, 1
	v_add_u32_e32 v31, 4, v8
	v_add_u32_e32 v32, s19, v8
	v_and_b32_e32 v28, 63, v0
	v_cmp_gt_u32_e64 s[0:1], 64, v0
	v_mbcnt_lo_u32_b32 v30, -1, 0
	v_cmp_gt_u32_e64 s[4:5], 4, v0
	v_lshrrev_b32_e32 v29, 4, v0
	v_cmp_eq_u32_e64 s[6:7], 0, v0
	v_or_b32_e32 v27, 1, v8
	v_or_b32_e32 v26, 2, v8
	;; [unrolled: 1-line block ×3, first 2 shown]
	s_cbranch_scc1 .LBB601_63
; %bb.16:
	v_mbcnt_hi_u32_b32 v2, -1, v30
	v_and_b32_e32 v3, 63, v2
	v_cmp_gt_u32_e32 vcc, 32, v3
	s_mov_b32 s3, 0
	s_cmp_gt_i32 s19, 0
	v_cndmask_b32_e64 v4, 0, 1, vcc
	v_lshlrev_b32_e32 v4, 5, v4
	v_cmp_gt_u32_e32 vcc, 48, v3
	v_add_lshl_u32 v33, v4, v2, 2
	s_cselect_b64 s[28:29], -1, 0
	v_cndmask_b32_e64 v4, 0, 1, vcc
	v_lshlrev_b32_e32 v4, 4, v4
	v_cmp_gt_u32_e32 vcc, 56, v3
	v_add_lshl_u32 v34, v4, v2, 2
	s_lshl_b64 s[14:15], s[2:3], 2
	v_cndmask_b32_e64 v4, 0, 1, vcc
	v_lshlrev_b32_e32 v4, 3, v4
	v_cmp_gt_u32_e32 vcc, 60, v3
	v_add_lshl_u32 v35, v4, v2, 2
	s_add_u32 s51, s48, s14
	v_cndmask_b32_e64 v4, 0, 1, vcc
	v_lshlrev_b32_e32 v4, 2, v4
	v_cmp_gt_u32_e32 vcc, 62, v3
	v_add_lshl_u32 v36, v4, v2, 2
	s_addc_u32 s52, s49, s15
	v_cndmask_b32_e64 v4, 0, 1, vcc
	v_lshlrev_b32_e32 v4, 1, v4
	v_cmp_ne_u32_e32 vcc, 63, v3
	v_add_lshl_u32 v37, v4, v2, 2
	v_cmp_ge_i32_e64 s[8:9], s16, v31
	v_addc_co_u32_e32 v2, vcc, 0, v2, vcc
	v_lshlrev_b32_e32 v38, 2, v2
	v_mad_i64_i32 v[2:3], s[14:15], s26, v8, 0
	v_lshl_add_u64 v[10:11], v[2:3], 1, s[24:25]
	v_mad_i64_i32 v[2:3], s[14:15], s26, v27, 0
	v_lshl_add_u64 v[12:13], v[2:3], 1, s[24:25]
	;; [unrolled: 2-line block ×3, first 2 shown]
	v_mad_i64_i32 v[2:3], s[14:15], s26, v1, 0
	v_cmp_ge_i32_e64 s[10:11], s16, v32
	v_cmp_eq_u32_e64 s[12:13], 0, v28
	v_lshlrev_b32_e32 v39, 2, v28
	v_and_b32_e32 v40, 12, v29
	v_lshl_add_u64 v[16:17], v[2:3], 1, s[24:25]
	s_lshl_b64 s[30:31], s[26:27], 1
	s_mul_hi_i32 s35, s20, 6
	s_mul_i32 s34, s20, 6
	s_lshl_b64 s[36:37], s[20:21], 3
	s_lshl_b64 s[38:39], s[20:21], 2
	;; [unrolled: 1-line block ×3, first 2 shown]
	v_mov_b32_e32 v41, 0
	v_mov_b64_e32 v[18:19], v[6:7]
                                        ; implicit-def: $vgpr2_vgpr3_vgpr4_vgpr5
	s_branch .LBB601_18
.LBB601_17:                             ;   in Loop: Header=BB601_18 Depth=1
	s_or_b64 exec, exec, s[14:15]
	s_add_i32 s3, s3, 4
	s_cmp_ge_i32 s3, s50
	v_lshl_add_u64 v[18:19], v[18:19], 0, s[36:37]
	s_cbranch_scc1 .LBB601_64
.LBB601_18:                             ; =>This Loop Header: Depth=1
                                        ;     Child Loop BB601_49 Depth 2
                                        ;     Child Loop BB601_52 Depth 2
                                        ; implicit-def: $vgpr21
                                        ; implicit-def: $vgpr23
	s_and_saveexec_b64 s[14:15], s[8:9]
	s_xor_b64 s[14:15], exec, s[14:15]
	s_cbranch_execnz .LBB601_45
; %bb.19:                               ;   in Loop: Header=BB601_18 Depth=1
	s_andn2_saveexec_b64 s[42:43], s[14:15]
	s_cbranch_execnz .LBB601_46
.LBB601_20:                             ;   in Loop: Header=BB601_18 Depth=1
	s_or_b64 exec, exec, s[42:43]
	s_and_saveexec_b64 s[14:15], s[0:1]
	s_cbranch_execz .LBB601_22
.LBB601_21:                             ;   in Loop: Header=BB601_18 Depth=1
	ds_write_b32 v39, v41
.LBB601_22:                             ;   in Loop: Header=BB601_18 Depth=1
	s_or_b64 exec, exec, s[14:15]
	ds_bpermute_b32 v24, v33, v22
	s_waitcnt lgkmcnt(0)
	s_barrier
	v_add_f32_e32 v22, v22, v24
	ds_bpermute_b32 v24, v34, v22
	s_waitcnt lgkmcnt(0)
	v_add_f32_e32 v22, v22, v24
	ds_bpermute_b32 v24, v35, v22
	s_waitcnt lgkmcnt(0)
	;; [unrolled: 3-line block ×4, first 2 shown]
	v_add_f32_e32 v22, v22, v24
	ds_bpermute_b32 v24, v38, v22
	s_and_saveexec_b64 s[14:15], s[12:13]
	s_cbranch_execz .LBB601_24
; %bb.23:                               ;   in Loop: Header=BB601_18 Depth=1
	s_waitcnt lgkmcnt(0)
	v_add_f32_e32 v22, v22, v24
	ds_write_b32 v40, v22
.LBB601_24:                             ;   in Loop: Header=BB601_18 Depth=1
	s_or_b64 exec, exec, s[14:15]
	v_mov_b32_e32 v22, 0
	s_waitcnt lgkmcnt(0)
	s_barrier
	s_and_saveexec_b64 s[14:15], s[4:5]
	s_cbranch_execnz .LBB601_54
; %bb.25:                               ;   in Loop: Header=BB601_18 Depth=1
	s_or_b64 exec, exec, s[14:15]
	s_and_saveexec_b64 s[14:15], s[0:1]
	s_cbranch_execnz .LBB601_55
.LBB601_26:                             ;   in Loop: Header=BB601_18 Depth=1
	s_or_b64 exec, exec, s[14:15]
	s_and_saveexec_b64 s[14:15], s[0:1]
	s_cbranch_execz .LBB601_28
.LBB601_27:                             ;   in Loop: Header=BB601_18 Depth=1
	ds_write_b32 v39, v41
.LBB601_28:                             ;   in Loop: Header=BB601_18 Depth=1
	s_or_b64 exec, exec, s[14:15]
	ds_bpermute_b32 v24, v33, v23
	s_waitcnt lgkmcnt(0)
	s_barrier
	v_add_f32_e32 v23, v23, v24
	ds_bpermute_b32 v24, v34, v23
	s_waitcnt lgkmcnt(0)
	v_add_f32_e32 v23, v23, v24
	ds_bpermute_b32 v24, v35, v23
	s_waitcnt lgkmcnt(0)
	;; [unrolled: 3-line block ×4, first 2 shown]
	v_add_f32_e32 v23, v23, v24
	ds_bpermute_b32 v24, v38, v23
	s_and_saveexec_b64 s[14:15], s[12:13]
	s_cbranch_execz .LBB601_30
; %bb.29:                               ;   in Loop: Header=BB601_18 Depth=1
	s_waitcnt lgkmcnt(0)
	v_add_f32_e32 v23, v23, v24
	ds_write_b32 v40, v23
.LBB601_30:                             ;   in Loop: Header=BB601_18 Depth=1
	s_or_b64 exec, exec, s[14:15]
	v_mov_b32_e32 v23, 0
	s_waitcnt lgkmcnt(0)
	s_barrier
	s_and_saveexec_b64 s[14:15], s[4:5]
	s_cbranch_execnz .LBB601_56
; %bb.31:                               ;   in Loop: Header=BB601_18 Depth=1
	s_or_b64 exec, exec, s[14:15]
	s_and_saveexec_b64 s[14:15], s[0:1]
	s_cbranch_execnz .LBB601_57
.LBB601_32:                             ;   in Loop: Header=BB601_18 Depth=1
	s_or_b64 exec, exec, s[14:15]
	s_and_saveexec_b64 s[14:15], s[0:1]
	s_cbranch_execz .LBB601_34
.LBB601_33:                             ;   in Loop: Header=BB601_18 Depth=1
	ds_write_b32 v39, v41
.LBB601_34:                             ;   in Loop: Header=BB601_18 Depth=1
	s_or_b64 exec, exec, s[14:15]
	ds_bpermute_b32 v24, v33, v20
	s_waitcnt lgkmcnt(0)
	s_barrier
	v_add_f32_e32 v20, v20, v24
	ds_bpermute_b32 v24, v34, v20
	s_waitcnt lgkmcnt(0)
	v_add_f32_e32 v20, v20, v24
	ds_bpermute_b32 v24, v35, v20
	s_waitcnt lgkmcnt(0)
	;; [unrolled: 3-line block ×4, first 2 shown]
	v_add_f32_e32 v20, v20, v24
	ds_bpermute_b32 v24, v38, v20
	s_and_saveexec_b64 s[14:15], s[12:13]
	s_cbranch_execz .LBB601_36
; %bb.35:                               ;   in Loop: Header=BB601_18 Depth=1
	s_waitcnt lgkmcnt(0)
	v_add_f32_e32 v20, v20, v24
	ds_write_b32 v40, v20
.LBB601_36:                             ;   in Loop: Header=BB601_18 Depth=1
	s_or_b64 exec, exec, s[14:15]
	v_mov_b32_e32 v20, 0
	s_waitcnt lgkmcnt(0)
	s_barrier
	s_and_saveexec_b64 s[14:15], s[4:5]
	s_cbranch_execnz .LBB601_58
; %bb.37:                               ;   in Loop: Header=BB601_18 Depth=1
	s_or_b64 exec, exec, s[14:15]
	s_and_saveexec_b64 s[14:15], s[0:1]
	s_cbranch_execnz .LBB601_59
.LBB601_38:                             ;   in Loop: Header=BB601_18 Depth=1
	s_or_b64 exec, exec, s[14:15]
	s_and_saveexec_b64 s[14:15], s[0:1]
	s_cbranch_execz .LBB601_40
.LBB601_39:                             ;   in Loop: Header=BB601_18 Depth=1
	ds_write_b32 v39, v41
.LBB601_40:                             ;   in Loop: Header=BB601_18 Depth=1
	s_or_b64 exec, exec, s[14:15]
	ds_bpermute_b32 v24, v33, v21
	s_waitcnt lgkmcnt(0)
	s_barrier
	v_add_f32_e32 v21, v21, v24
	ds_bpermute_b32 v24, v34, v21
	s_waitcnt lgkmcnt(0)
	v_add_f32_e32 v21, v21, v24
	ds_bpermute_b32 v24, v35, v21
	s_waitcnt lgkmcnt(0)
	;; [unrolled: 3-line block ×4, first 2 shown]
	v_add_f32_e32 v21, v21, v24
	ds_bpermute_b32 v24, v38, v21
	s_and_saveexec_b64 s[14:15], s[12:13]
	s_cbranch_execz .LBB601_42
; %bb.41:                               ;   in Loop: Header=BB601_18 Depth=1
	s_waitcnt lgkmcnt(0)
	v_add_f32_e32 v21, v21, v24
	ds_write_b32 v40, v21
.LBB601_42:                             ;   in Loop: Header=BB601_18 Depth=1
	s_or_b64 exec, exec, s[14:15]
	v_mov_b32_e32 v21, 0
	s_waitcnt lgkmcnt(0)
	s_barrier
	s_and_saveexec_b64 s[14:15], s[4:5]
	s_cbranch_execnz .LBB601_60
; %bb.43:                               ;   in Loop: Header=BB601_18 Depth=1
	s_or_b64 exec, exec, s[14:15]
	s_and_saveexec_b64 s[14:15], s[0:1]
	s_cbranch_execnz .LBB601_61
.LBB601_44:                             ;   in Loop: Header=BB601_18 Depth=1
	s_or_b64 exec, exec, s[14:15]
	s_and_saveexec_b64 s[14:15], s[6:7]
	s_cbranch_execz .LBB601_17
	s_branch .LBB601_62
.LBB601_45:                             ;   in Loop: Header=BB601_18 Depth=1
	s_mul_i32 s42, s3, s21
	s_mul_hi_u32 s43, s3, s20
	s_add_i32 s43, s43, s42
	s_mul_i32 s42, s3, s20
	v_lshl_add_u64 v[2:3], s[42:43], 1, v[6:7]
	s_or_b32 s42, s3, 2
	s_mul_i32 s43, s42, s21
	s_mul_hi_u32 s45, s42, s20
	s_add_i32 s43, s45, s43
	s_mul_i32 s42, s42, s20
	s_waitcnt lgkmcnt(0)
	flat_load_dwordx2 v[20:21], v[2:3]
	v_lshl_add_u64 v[2:3], s[42:43], 1, v[6:7]
	s_or_b32 s42, s3, 3
	s_mul_i32 s43, s42, s21
	s_mul_hi_u32 s45, s42, s20
	s_or_b32 s44, s3, 1
	s_add_i32 s43, s45, s43
	s_mul_i32 s42, s42, s20
	flat_load_ushort v4, v[10:11]
	flat_load_ushort v5, v[12:13]
	;; [unrolled: 1-line block ×4, first 2 shown]
	flat_load_dwordx2 v[22:23], v[2:3]
	v_lshl_add_u64 v[2:3], s[42:43], 1, v[6:7]
	s_mul_i32 s42, s44, s21
	s_mul_hi_u32 s43, s44, s20
	flat_load_dwordx2 v[24:25], v[2:3]
	s_add_i32 s43, s43, s42
	s_mul_i32 s42, s44, s20
	v_lshl_add_u64 v[2:3], s[42:43], 1, v[6:7]
	flat_load_dwordx2 v[42:43], v[2:3]
	s_waitcnt vmcnt(0) lgkmcnt(0)
	v_lshlrev_b32_e32 v54, 16, v20
	v_and_b32_e32 v20, 0xffff0000, v20
	v_lshlrev_b32_e32 v56, 16, v21
	v_and_b32_e32 v58, 0xffff0000, v21
	v_lshlrev_b32_e32 v2, 16, v4
	v_lshlrev_b32_e32 v45, 16, v5
	;; [unrolled: 1-line block ×6, first 2 shown]
	v_and_b32_e32 v23, 0xffff0000, v23
	v_and_b32_e32 v53, 0xffff0000, v22
	;; [unrolled: 1-line block ×3, first 2 shown]
	v_lshlrev_b32_e32 v44, 16, v24
	v_and_b32_e32 v47, 0xffff0000, v25
	v_lshlrev_b32_e32 v48, 16, v25
	v_pk_mul_f32 v[24:25], v[44:45], v[2:3]
	v_lshlrev_b32_e32 v55, 16, v42
	v_mul_f32_e32 v22, v2, v51
	v_mov_b32_e32 v3, v45
	v_mul_f32_e32 v44, v46, v60
	v_pk_mul_f32 v[60:61], v[48:49], v[46:47]
	v_mul_f32_e32 v48, v49, v23
	v_mov_b32_e32 v23, v24
	v_mov_b32_e32 v50, v45
	v_and_b32_e32 v21, 0xffff0000, v42
	v_lshlrev_b32_e32 v57, 16, v43
	v_and_b32_e32 v59, 0xffff0000, v43
	v_mul_f32_e32 v42, v45, v53
	v_mov_b32_e32 v43, v25
	v_pk_fma_f32 v[24:25], v[2:3], v[54:55], 0 op_sel_hi:[0,1,0]
	v_pk_add_f32 v[22:23], v[22:23], 0 op_sel_hi:[1,0]
	v_mov_b32_e32 v45, v60
	v_pk_fma_f32 v[20:21], v[50:51], v[20:21], v[24:25] op_sel_hi:[0,1,1]
	v_pk_add_f32 v[22:23], v[22:23], v[42:43]
	v_mov_b32_e32 v5, v49
	v_mov_b32_e32 v52, v49
	;; [unrolled: 1-line block ×3, first 2 shown]
	v_pk_fma_f32 v[24:25], v[46:47], v[56:57], v[20:21] op_sel_hi:[0,1,1]
	v_pk_add_f32 v[20:21], v[22:23], v[44:45]
	v_mov_b32_e32 v4, v46
	v_pk_add_f32 v[20:21], v[20:21], v[48:49]
	v_pk_fma_f32 v[22:23], v[52:53], v[58:59], v[24:25] op_sel_hi:[0,1,1]
	s_andn2_saveexec_b64 s[42:43], s[14:15]
	s_cbranch_execz .LBB601_20
.LBB601_46:                             ;   in Loop: Header=BB601_18 Depth=1
	s_waitcnt lgkmcnt(0)
	v_mov_b32_e32 v21, 0
	v_mov_b32_e32 v20, 0
	;; [unrolled: 1-line block ×4, first 2 shown]
	s_and_saveexec_b64 s[44:45], s[10:11]
	s_cbranch_execz .LBB601_53
; %bb.47:                               ;   in Loop: Header=BB601_18 Depth=1
	v_cndmask_b32_e64 v20, 0, 1, s[28:29]
	v_cmp_ne_u32_e64 s[14:15], 1, v20
	s_andn2_b64 vcc, exec, s[28:29]
	s_cbranch_vccnz .LBB601_50
; %bb.48:                               ;   in Loop: Header=BB601_18 Depth=1
	s_mov_b64 s[46:47], 0
	v_mov_b64_e32 v[20:21], v[10:11]
.LBB601_49:                             ;   Parent Loop BB601_18 Depth=1
                                        ; =>  This Inner Loop Header: Depth=2
	flat_load_ushort v22, v[20:21]
	s_cmp_eq_u32 s46, 3
	s_cselect_b64 vcc, -1, 0
	s_cmp_eq_u32 s46, 2
	v_lshl_add_u64 v[20:21], v[20:21], 0, s[30:31]
	s_waitcnt vmcnt(0) lgkmcnt(0)
	v_lshlrev_b32_e32 v22, 16, v22
	v_cndmask_b32_e32 v5, v5, v22, vcc
	s_cselect_b64 vcc, -1, 0
	s_cmp_eq_u32 s46, 1
	v_cndmask_b32_e32 v4, v4, v22, vcc
	s_cselect_b64 vcc, -1, 0
	s_cmp_eq_u32 s46, 0
	v_cndmask_b32_e32 v3, v3, v22, vcc
	s_cselect_b64 vcc, -1, 0
	s_add_u32 s46, s46, 1
	s_addc_u32 s47, s47, 0
	s_cmp_eq_u32 s19, s46
	v_cndmask_b32_e32 v2, v2, v22, vcc
	s_cbranch_scc0 .LBB601_49
.LBB601_50:                             ;   in Loop: Header=BB601_18 Depth=1
	v_mov_b32_e32 v21, 0
	s_and_b64 vcc, exec, s[14:15]
	v_mov_b32_e32 v20, v21
	v_mov_b32_e32 v23, v21
	;; [unrolled: 1-line block ×3, first 2 shown]
	s_cbranch_vccnz .LBB601_53
; %bb.51:                               ;   in Loop: Header=BB601_18 Depth=1
	v_mov_b32_e32 v22, 0
	s_mov_b64 s[14:15], 0
	v_mov_b64_e32 v[24:25], v[18:19]
	v_mov_b32_e32 v23, v22
	v_mov_b32_e32 v20, v22
	;; [unrolled: 1-line block ×3, first 2 shown]
.LBB601_52:                             ;   Parent Loop BB601_18 Depth=1
                                        ; =>  This Inner Loop Header: Depth=2
	v_lshl_add_u64 v[42:43], v[24:25], 0, s[40:41]
	v_lshl_add_u64 v[46:47], v[24:25], 0, s[34:35]
	;; [unrolled: 1-line block ×3, first 2 shown]
	flat_load_ushort v48, v[24:25]
	s_nop 0
	flat_load_ushort v43, v[42:43]
	s_nop 0
	;; [unrolled: 2-line block ×3, first 2 shown]
	flat_load_ushort v49, v[44:45]
	s_cmp_eq_u32 s14, 1
	s_cselect_b64 vcc, -1, 0
	s_cmp_eq_u32 s14, 2
	v_cndmask_b32_e32 v42, v2, v3, vcc
	s_cselect_b64 vcc, -1, 0
	s_cmp_eq_u32 s14, 3
	v_cndmask_b32_e32 v42, v42, v4, vcc
	s_cselect_b64 vcc, -1, 0
	s_add_u32 s14, s14, 1
	v_cndmask_b32_e32 v42, v42, v5, vcc
	s_addc_u32 s15, s15, 0
	v_lshl_add_u64 v[24:25], v[24:25], 0, 2
	s_cmp_lg_u32 s19, s14
	s_waitcnt vmcnt(0) lgkmcnt(0)
	v_lshlrev_b32_e32 v44, 16, v48
	v_lshlrev_b32_e32 v45, 16, v43
	;; [unrolled: 1-line block ×4, first 2 shown]
	v_pk_fma_f32 v[22:23], v[42:43], v[44:45], v[22:23] op_sel_hi:[0,1,1]
	v_pk_fma_f32 v[20:21], v[42:43], v[46:47], v[20:21] op_sel_hi:[0,1,1]
	s_cbranch_scc1 .LBB601_52
.LBB601_53:                             ;   in Loop: Header=BB601_18 Depth=1
	s_or_b64 exec, exec, s[44:45]
	s_or_b64 exec, exec, s[42:43]
	s_and_saveexec_b64 s[14:15], s[0:1]
	s_cbranch_execnz .LBB601_21
	s_branch .LBB601_22
.LBB601_54:                             ;   in Loop: Header=BB601_18 Depth=1
	ds_read_b32 v22, v39
	s_or_b64 exec, exec, s[14:15]
	s_and_saveexec_b64 s[14:15], s[0:1]
	s_cbranch_execz .LBB601_26
.LBB601_55:                             ;   in Loop: Header=BB601_18 Depth=1
	s_waitcnt lgkmcnt(0)
	ds_bpermute_b32 v24, v37, v22
	s_waitcnt lgkmcnt(0)
	v_add_f32_e32 v22, v22, v24
	ds_bpermute_b32 v24, v38, v22
	s_waitcnt lgkmcnt(0)
	v_add_f32_e32 v22, v22, v24
	s_or_b64 exec, exec, s[14:15]
	s_and_saveexec_b64 s[14:15], s[0:1]
	s_cbranch_execnz .LBB601_27
	s_branch .LBB601_28
.LBB601_56:                             ;   in Loop: Header=BB601_18 Depth=1
	ds_read_b32 v23, v39
	s_or_b64 exec, exec, s[14:15]
	s_and_saveexec_b64 s[14:15], s[0:1]
	s_cbranch_execz .LBB601_32
.LBB601_57:                             ;   in Loop: Header=BB601_18 Depth=1
	s_waitcnt lgkmcnt(0)
	ds_bpermute_b32 v24, v37, v23
	s_waitcnt lgkmcnt(0)
	v_add_f32_e32 v23, v23, v24
	ds_bpermute_b32 v24, v38, v23
	s_waitcnt lgkmcnt(0)
	v_add_f32_e32 v23, v23, v24
	s_or_b64 exec, exec, s[14:15]
	s_and_saveexec_b64 s[14:15], s[0:1]
	s_cbranch_execnz .LBB601_33
	s_branch .LBB601_34
.LBB601_58:                             ;   in Loop: Header=BB601_18 Depth=1
	ds_read_b32 v20, v39
	s_or_b64 exec, exec, s[14:15]
	s_and_saveexec_b64 s[14:15], s[0:1]
	s_cbranch_execz .LBB601_38
.LBB601_59:                             ;   in Loop: Header=BB601_18 Depth=1
	s_waitcnt lgkmcnt(0)
	ds_bpermute_b32 v24, v37, v20
	s_waitcnt lgkmcnt(0)
	v_add_f32_e32 v20, v20, v24
	ds_bpermute_b32 v24, v38, v20
	s_waitcnt lgkmcnt(0)
	v_add_f32_e32 v20, v20, v24
	s_or_b64 exec, exec, s[14:15]
	s_and_saveexec_b64 s[14:15], s[0:1]
	s_cbranch_execnz .LBB601_39
	s_branch .LBB601_40
.LBB601_60:                             ;   in Loop: Header=BB601_18 Depth=1
	ds_read_b32 v21, v39
	s_or_b64 exec, exec, s[14:15]
	s_and_saveexec_b64 s[14:15], s[0:1]
	s_cbranch_execz .LBB601_44
.LBB601_61:                             ;   in Loop: Header=BB601_18 Depth=1
	s_waitcnt lgkmcnt(0)
	ds_bpermute_b32 v24, v37, v21
	s_waitcnt lgkmcnt(0)
	v_add_f32_e32 v21, v21, v24
	ds_bpermute_b32 v24, v38, v21
	s_waitcnt lgkmcnt(0)
	v_add_f32_e32 v21, v21, v24
	s_or_b64 exec, exec, s[14:15]
	s_and_saveexec_b64 s[14:15], s[6:7]
	s_cbranch_execz .LBB601_17
.LBB601_62:                             ;   in Loop: Header=BB601_18 Depth=1
	s_mul_hi_u32 s43, s3, s18
	s_mul_i32 s42, s3, s18
	s_lshl_b64 s[42:43], s[42:43], 2
	s_add_u32 s42, s51, s42
	v_mul_f32_e32 v22, s33, v22
	s_addc_u32 s43, s52, s43
	global_store_dword v41, v22, s[42:43]
	s_or_b32 s42, s3, 1
	s_mul_hi_u32 s43, s42, s18
	s_mul_i32 s42, s42, s18
	s_lshl_b64 s[42:43], s[42:43], 2
	s_add_u32 s42, s51, s42
	v_mul_f32_e32 v22, s33, v23
	s_addc_u32 s43, s52, s43
	global_store_dword v41, v22, s[42:43]
	s_or_b32 s42, s3, 2
	;; [unrolled: 8-line block ×3, first 2 shown]
	s_mul_hi_u32 s43, s42, s18
	s_mul_i32 s42, s42, s18
	s_lshl_b64 s[42:43], s[42:43], 2
	s_add_u32 s42, s51, s42
	s_waitcnt lgkmcnt(0)
	v_mul_f32_e32 v20, s33, v21
	s_addc_u32 s43, s52, s43
	global_store_dword v41, v20, s[42:43]
	s_branch .LBB601_17
.LBB601_63:
	s_mov_b32 s3, 0
                                        ; implicit-def: $vgpr2_vgpr3_vgpr4_vgpr5
.LBB601_64:
	s_cmp_ge_i32 s3, s17
	s_cbranch_scc1 .LBB601_88
; %bb.65:
	v_mbcnt_hi_u32_b32 v10, -1, v30
	v_and_b32_e32 v11, 63, v10
	v_cmp_gt_u32_e32 vcc, 32, v11
	s_mov_b32 s29, 0
	s_cmp_gt_i32 s19, 0
	v_cndmask_b32_e64 v12, 0, 1, vcc
	v_lshlrev_b32_e32 v12, 5, v12
	v_cmp_gt_u32_e32 vcc, 48, v11
	s_waitcnt lgkmcnt(0)
	v_add_lshl_u32 v21, v12, v10, 2
	s_mov_b32 s28, s2
	v_cndmask_b32_e64 v12, 0, 1, vcc
	v_lshlrev_b32_e32 v12, 4, v12
	v_cmp_gt_u32_e32 vcc, 56, v11
	v_add_lshl_u32 v22, v12, v10, 2
	s_cselect_b64 s[30:31], -1, 0
	v_cndmask_b32_e64 v12, 0, 1, vcc
	v_lshlrev_b32_e32 v12, 3, v12
	v_cmp_gt_u32_e32 vcc, 60, v11
	v_add_lshl_u32 v23, v12, v10, 2
	s_lshl_b64 s[14:15], s[28:29], 2
	v_cndmask_b32_e64 v12, 0, 1, vcc
	v_lshlrev_b32_e32 v12, 2, v12
	v_cmp_gt_u32_e32 vcc, 62, v11
	v_add_lshl_u32 v24, v12, v10, 2
	s_add_u32 s2, s48, s14
	v_cndmask_b32_e64 v12, 0, 1, vcc
	v_lshlrev_b32_e32 v12, 1, v12
	v_cmp_ne_u32_e32 vcc, 63, v11
	v_add_lshl_u32 v25, v12, v10, 2
	v_cmp_ge_i32_e64 s[0:1], s16, v31
	v_addc_co_u32_e32 v10, vcc, 0, v10, vcc
	v_cmp_ge_i32_e64 s[4:5], s16, v32
	v_cmp_gt_u32_e64 s[6:7], 64, v0
	v_lshlrev_b32_e32 v30, 2, v10
	v_cmp_gt_u32_e64 s[10:11], 4, v0
	v_cmp_eq_u32_e64 s[12:13], 0, v0
	s_addc_u32 s16, s49, s15
	v_mad_i64_i32 v[10:11], s[14:15], s26, v8, 0
	v_mad_i64_i32 v[12:13], s[14:15], s26, v27, 0
	;; [unrolled: 1-line block ×4, first 2 shown]
	s_mul_i32 s14, s21, s3
	s_mul_hi_u32 s15, s20, s3
	s_add_i32 s15, s15, s14
	s_mul_i32 s14, s20, s3
	v_lshl_add_u64 v[10:11], v[10:11], 1, s[24:25]
	v_lshl_add_u64 v[12:13], v[12:13], 1, s[24:25]
	;; [unrolled: 1-line block ×4, first 2 shown]
	s_lshl_b64 s[24:25], s[26:27], 1
	s_lshl_b64 s[14:15], s[14:15], 1
	s_add_u32 s14, s22, s14
	s_addc_u32 s15, s23, s15
	v_lshlrev_b32_e32 v20, 2, v28
	v_cmp_eq_u32_e64 s[8:9], 0, v28
	v_and_b32_e32 v28, 12, v29
	v_lshl_add_u64 v[8:9], v[8:9], 1, s[14:15]
	s_lshl_b64 s[22:23], s[20:21], 1
	v_mov_b32_e32 v1, 0
	s_branch .LBB601_67
.LBB601_66:                             ;   in Loop: Header=BB601_67 Depth=1
	s_or_b64 exec, exec, s[14:15]
	s_add_i32 s3, s3, 1
	s_cmp_ge_i32 s3, s17
	v_lshl_add_u64 v[8:9], v[8:9], 0, s[22:23]
	s_cbranch_scc1 .LBB601_88
.LBB601_67:                             ; =>This Loop Header: Depth=1
                                        ;     Child Loop BB601_80 Depth 2
                                        ;     Child Loop BB601_83 Depth 2
	s_waitcnt lgkmcnt(0)
	v_mov_b32_e32 v0, s29
	s_and_saveexec_b64 s[14:15], s[0:1]
	s_xor_b64 s[14:15], exec, s[14:15]
	s_cbranch_execnz .LBB601_76
; %bb.68:                               ;   in Loop: Header=BB601_67 Depth=1
	s_andn2_saveexec_b64 s[26:27], s[14:15]
	s_cbranch_execnz .LBB601_77
.LBB601_69:                             ;   in Loop: Header=BB601_67 Depth=1
	s_or_b64 exec, exec, s[26:27]
	s_and_saveexec_b64 s[14:15], s[6:7]
	s_cbranch_execz .LBB601_71
.LBB601_70:                             ;   in Loop: Header=BB601_67 Depth=1
	ds_write_b32 v20, v1
.LBB601_71:                             ;   in Loop: Header=BB601_67 Depth=1
	s_or_b64 exec, exec, s[14:15]
	ds_bpermute_b32 v18, v21, v0
	s_waitcnt lgkmcnt(0)
	s_barrier
	v_add_f32_e32 v0, v0, v18
	ds_bpermute_b32 v18, v22, v0
	s_waitcnt lgkmcnt(0)
	v_add_f32_e32 v0, v0, v18
	ds_bpermute_b32 v18, v23, v0
	s_waitcnt lgkmcnt(0)
	;; [unrolled: 3-line block ×4, first 2 shown]
	v_add_f32_e32 v0, v0, v18
	ds_bpermute_b32 v18, v30, v0
	s_and_saveexec_b64 s[14:15], s[8:9]
	s_cbranch_execz .LBB601_73
; %bb.72:                               ;   in Loop: Header=BB601_67 Depth=1
	s_waitcnt lgkmcnt(0)
	v_add_f32_e32 v0, v0, v18
	ds_write_b32 v28, v0
.LBB601_73:                             ;   in Loop: Header=BB601_67 Depth=1
	s_or_b64 exec, exec, s[14:15]
	v_mov_b32_e32 v0, 0
	s_waitcnt lgkmcnt(0)
	s_barrier
	s_and_saveexec_b64 s[14:15], s[10:11]
	s_cbranch_execnz .LBB601_85
; %bb.74:                               ;   in Loop: Header=BB601_67 Depth=1
	s_or_b64 exec, exec, s[14:15]
	s_and_saveexec_b64 s[14:15], s[6:7]
	s_cbranch_execnz .LBB601_86
.LBB601_75:                             ;   in Loop: Header=BB601_67 Depth=1
	s_or_b64 exec, exec, s[14:15]
	s_and_saveexec_b64 s[14:15], s[12:13]
	s_cbranch_execz .LBB601_66
	s_branch .LBB601_87
.LBB601_76:                             ;   in Loop: Header=BB601_67 Depth=1
	s_mul_i32 s26, s3, s21
	s_mul_hi_u32 s27, s3, s20
	s_add_i32 s27, s27, s26
	s_mul_i32 s26, s3, s20
	v_lshl_add_u64 v[2:3], s[26:27], 1, v[6:7]
	flat_load_ushort v0, v[12:13]
	flat_load_ushort v4, v[14:15]
	;; [unrolled: 1-line block ×4, first 2 shown]
	flat_load_dwordx2 v[18:19], v[2:3]
	s_waitcnt vmcnt(0) lgkmcnt(0)
	v_lshlrev_b32_e32 v3, 16, v0
	v_lshlrev_b32_e32 v4, 16, v4
	;; [unrolled: 1-line block ×4, first 2 shown]
	v_and_b32_e32 v27, 0xffff0000, v18
	v_lshlrev_b32_e32 v26, 16, v18
	v_and_b32_e32 v33, 0xffff0000, v19
	v_lshlrev_b32_e32 v32, 16, v19
	v_pk_mul_f32 v[18:19], v[2:3], v[26:27]
	s_nop 0
	v_add_f32_e32 v0, 0, v18
	v_add_f32_e32 v0, v0, v19
	v_pk_mul_f32 v[18:19], v[4:5], v[32:33]
	s_nop 0
	v_add_f32_e32 v0, v0, v18
	v_add_f32_e32 v0, v0, v19
	s_andn2_saveexec_b64 s[26:27], s[14:15]
	s_cbranch_execz .LBB601_69
.LBB601_77:                             ;   in Loop: Header=BB601_67 Depth=1
	s_and_saveexec_b64 s[34:35], s[4:5]
	s_cbranch_execz .LBB601_84
; %bb.78:                               ;   in Loop: Header=BB601_67 Depth=1
	v_cndmask_b32_e64 v18, 0, 1, s[30:31]
	v_cmp_ne_u32_e64 s[14:15], 1, v18
	s_andn2_b64 vcc, exec, s[30:31]
	s_cbranch_vccnz .LBB601_81
; %bb.79:                               ;   in Loop: Header=BB601_67 Depth=1
	s_mov_b64 s[36:37], 0
	v_mov_b64_e32 v[18:19], v[10:11]
.LBB601_80:                             ;   Parent Loop BB601_67 Depth=1
                                        ; =>  This Inner Loop Header: Depth=2
	flat_load_ushort v26, v[18:19]
	s_cmp_eq_u32 s36, 3
	s_cselect_b64 vcc, -1, 0
	s_cmp_eq_u32 s36, 2
	v_lshl_add_u64 v[18:19], v[18:19], 0, s[24:25]
	s_waitcnt vmcnt(0) lgkmcnt(0)
	v_lshlrev_b32_e32 v26, 16, v26
	v_cndmask_b32_e32 v5, v5, v26, vcc
	s_cselect_b64 vcc, -1, 0
	s_cmp_eq_u32 s36, 1
	v_cndmask_b32_e32 v4, v4, v26, vcc
	s_cselect_b64 vcc, -1, 0
	s_cmp_eq_u32 s36, 0
	v_cndmask_b32_e32 v3, v3, v26, vcc
	s_cselect_b64 vcc, -1, 0
	s_add_u32 s36, s36, 1
	s_addc_u32 s37, s37, 0
	s_cmp_eq_u32 s19, s36
	v_cndmask_b32_e32 v2, v2, v26, vcc
	s_cbranch_scc0 .LBB601_80
.LBB601_81:                             ;   in Loop: Header=BB601_67 Depth=1
	s_and_b64 vcc, exec, s[14:15]
	s_cbranch_vccnz .LBB601_84
; %bb.82:                               ;   in Loop: Header=BB601_67 Depth=1
	s_mov_b64 s[14:15], 0
	v_mov_b64_e32 v[18:19], v[8:9]
.LBB601_83:                             ;   Parent Loop BB601_67 Depth=1
                                        ; =>  This Inner Loop Header: Depth=2
	flat_load_ushort v26, v[18:19]
	s_cmp_eq_u32 s14, 1
	s_cselect_b64 vcc, -1, 0
	s_cmp_eq_u32 s14, 2
	v_cndmask_b32_e32 v27, v2, v3, vcc
	s_cselect_b64 vcc, -1, 0
	s_cmp_eq_u32 s14, 3
	v_cndmask_b32_e32 v27, v27, v4, vcc
	s_cselect_b64 vcc, -1, 0
	s_add_u32 s14, s14, 1
	v_cndmask_b32_e32 v27, v27, v5, vcc
	s_addc_u32 s15, s15, 0
	v_lshl_add_u64 v[18:19], v[18:19], 0, 2
	s_cmp_lg_u32 s19, s14
	s_waitcnt vmcnt(0) lgkmcnt(0)
	v_lshlrev_b32_e32 v26, 16, v26
	v_fmac_f32_e32 v0, v27, v26
	s_cbranch_scc1 .LBB601_83
.LBB601_84:                             ;   in Loop: Header=BB601_67 Depth=1
	s_or_b64 exec, exec, s[34:35]
	s_or_b64 exec, exec, s[26:27]
	s_and_saveexec_b64 s[14:15], s[6:7]
	s_cbranch_execnz .LBB601_70
	s_branch .LBB601_71
.LBB601_85:                             ;   in Loop: Header=BB601_67 Depth=1
	ds_read_b32 v0, v20
	s_or_b64 exec, exec, s[14:15]
	s_and_saveexec_b64 s[14:15], s[6:7]
	s_cbranch_execz .LBB601_75
.LBB601_86:                             ;   in Loop: Header=BB601_67 Depth=1
	s_waitcnt lgkmcnt(0)
	ds_bpermute_b32 v18, v25, v0
	s_waitcnt lgkmcnt(0)
	v_add_f32_e32 v0, v0, v18
	ds_bpermute_b32 v18, v30, v0
	s_waitcnt lgkmcnt(0)
	v_add_f32_e32 v0, v0, v18
	s_or_b64 exec, exec, s[14:15]
	s_and_saveexec_b64 s[14:15], s[12:13]
	s_cbranch_execz .LBB601_66
.LBB601_87:                             ;   in Loop: Header=BB601_67 Depth=1
	s_mul_hi_u32 s27, s3, s18
	s_mul_i32 s26, s3, s18
	s_lshl_b64 s[26:27], s[26:27], 2
	s_add_u32 s26, s2, s26
	s_waitcnt lgkmcnt(0)
	v_mul_f32_e32 v0, s33, v0
	s_addc_u32 s27, s16, s27
	global_store_dword v1, v0, s[26:27]
	s_branch .LBB601_66
.LBB601_88:
	s_endpgm
	.section	.rodata,"a",@progbits
	.p2align	6, 0x0
	.amdhsa_kernel _ZL23rocblas_gemvt_sn_kernelILb0ELi256ELi4ElPK16rocblas_bfloat16PKffEviiT4_lPKT3_lilS8_lilPT5_i
		.amdhsa_group_segment_fixed_size 256
		.amdhsa_private_segment_fixed_size 0
		.amdhsa_kernarg_size 360
		.amdhsa_user_sgpr_count 2
		.amdhsa_user_sgpr_dispatch_ptr 0
		.amdhsa_user_sgpr_queue_ptr 0
		.amdhsa_user_sgpr_kernarg_segment_ptr 1
		.amdhsa_user_sgpr_dispatch_id 0
		.amdhsa_user_sgpr_kernarg_preload_length 0
		.amdhsa_user_sgpr_kernarg_preload_offset 0
		.amdhsa_user_sgpr_private_segment_size 0
		.amdhsa_uses_dynamic_stack 0
		.amdhsa_enable_private_segment 0
		.amdhsa_system_sgpr_workgroup_id_x 1
		.amdhsa_system_sgpr_workgroup_id_y 0
		.amdhsa_system_sgpr_workgroup_id_z 1
		.amdhsa_system_sgpr_workgroup_info 0
		.amdhsa_system_vgpr_workitem_id 0
		.amdhsa_next_free_vgpr 62
		.amdhsa_next_free_sgpr 53
		.amdhsa_accum_offset 64
		.amdhsa_reserve_vcc 1
		.amdhsa_float_round_mode_32 0
		.amdhsa_float_round_mode_16_64 0
		.amdhsa_float_denorm_mode_32 3
		.amdhsa_float_denorm_mode_16_64 3
		.amdhsa_dx10_clamp 1
		.amdhsa_ieee_mode 1
		.amdhsa_fp16_overflow 0
		.amdhsa_tg_split 0
		.amdhsa_exception_fp_ieee_invalid_op 0
		.amdhsa_exception_fp_denorm_src 0
		.amdhsa_exception_fp_ieee_div_zero 0
		.amdhsa_exception_fp_ieee_overflow 0
		.amdhsa_exception_fp_ieee_underflow 0
		.amdhsa_exception_fp_ieee_inexact 0
		.amdhsa_exception_int_div_zero 0
	.end_amdhsa_kernel
	.section	.text._ZL23rocblas_gemvt_sn_kernelILb0ELi256ELi4ElPK16rocblas_bfloat16PKffEviiT4_lPKT3_lilS8_lilPT5_i,"axG",@progbits,_ZL23rocblas_gemvt_sn_kernelILb0ELi256ELi4ElPK16rocblas_bfloat16PKffEviiT4_lPKT3_lilS8_lilPT5_i,comdat
.Lfunc_end601:
	.size	_ZL23rocblas_gemvt_sn_kernelILb0ELi256ELi4ElPK16rocblas_bfloat16PKffEviiT4_lPKT3_lilS8_lilPT5_i, .Lfunc_end601-_ZL23rocblas_gemvt_sn_kernelILb0ELi256ELi4ElPK16rocblas_bfloat16PKffEviiT4_lPKT3_lilS8_lilPT5_i
                                        ; -- End function
	.section	.AMDGPU.csdata,"",@progbits
; Kernel info:
; codeLenInByte = 4104
; NumSgprs: 59
; NumVgprs: 62
; NumAgprs: 0
; TotalNumVgprs: 62
; ScratchSize: 0
; MemoryBound: 0
; FloatMode: 240
; IeeeMode: 1
; LDSByteSize: 256 bytes/workgroup (compile time only)
; SGPRBlocks: 7
; VGPRBlocks: 7
; NumSGPRsForWavesPerEU: 59
; NumVGPRsForWavesPerEU: 62
; AccumOffset: 64
; Occupancy: 8
; WaveLimiterHint : 0
; COMPUTE_PGM_RSRC2:SCRATCH_EN: 0
; COMPUTE_PGM_RSRC2:USER_SGPR: 2
; COMPUTE_PGM_RSRC2:TRAP_HANDLER: 0
; COMPUTE_PGM_RSRC2:TGID_X_EN: 1
; COMPUTE_PGM_RSRC2:TGID_Y_EN: 0
; COMPUTE_PGM_RSRC2:TGID_Z_EN: 1
; COMPUTE_PGM_RSRC2:TIDIG_COMP_CNT: 0
; COMPUTE_PGM_RSRC3_GFX90A:ACCUM_OFFSET: 15
; COMPUTE_PGM_RSRC3_GFX90A:TG_SPLIT: 0
	.section	.text._ZL23rocblas_gemvt_sn_reduceILi256ELi8EfPKfKP16rocblas_bfloat16EviT2_lPT3_lilPT1_i,"axG",@progbits,_ZL23rocblas_gemvt_sn_reduceILi256ELi8EfPKfKP16rocblas_bfloat16EviT2_lPT3_lilPT1_i,comdat
	.globl	_ZL23rocblas_gemvt_sn_reduceILi256ELi8EfPKfKP16rocblas_bfloat16EviT2_lPT3_lilPT1_i ; -- Begin function _ZL23rocblas_gemvt_sn_reduceILi256ELi8EfPKfKP16rocblas_bfloat16EviT2_lPT3_lilPT1_i
	.p2align	8
	.type	_ZL23rocblas_gemvt_sn_reduceILi256ELi8EfPKfKP16rocblas_bfloat16EviT2_lPT3_lilPT1_i,@function
_ZL23rocblas_gemvt_sn_reduceILi256ELi8EfPKfKP16rocblas_bfloat16EviT2_lPT3_lilPT1_i: ; @_ZL23rocblas_gemvt_sn_reduceILi256ELi8EfPKfKP16rocblas_bfloat16EviT2_lPT3_lilPT1_i
; %bb.0:
	s_load_dword s18, s[0:1], 0x0
	s_load_dwordx8 s[8:15], s[0:1], 0x8
	s_mov_b32 s5, 0
	s_lshl_b64 s[6:7], s[4:5], 3
	v_lshlrev_b32_e32 v1, 3, v0
	s_waitcnt lgkmcnt(0)
	s_ashr_i32 s19, s18, 31
	s_add_u32 s6, s12, s6
	s_mul_i32 s2, s4, s11
	s_mul_hi_u32 s11, s4, s10
	s_addc_u32 s7, s13, s7
	s_add_i32 s11, s11, s2
	s_mul_i32 s10, s4, s10
	s_lshl_b64 s[12:13], s[10:11], 2
	s_load_dwordx2 s[6:7], s[6:7], 0x0
	s_add_u32 s8, s8, s12
	s_load_dwordx2 s[10:11], s[0:1], 0x38
	s_load_dword s12, s[0:1], 0x4c
	s_addc_u32 s9, s9, s13
	s_add_u32 s16, s0, 0x48
	s_addc_u32 s17, s1, 0
	s_load_dword s2, s[8:9], 0x0
	s_waitcnt lgkmcnt(0)
	s_mul_i32 s4, s12, s4
	s_add_i32 s4, s4, s3
	s_mul_i32 s8, s4, s19
	s_mul_hi_u32 s9, s4, s18
	s_add_i32 s9, s9, s8
	s_mul_i32 s8, s4, s18
	s_lshr_b32 s4, s19, 29
	s_add_i32 s4, s18, s4
	s_and_b32 s19, s4, -8
	v_cmp_gt_i32_e32 vcc, s19, v1
	v_mov_b32_e32 v3, 0
	s_and_saveexec_b64 s[12:13], vcc
	s_cbranch_execz .LBB602_4
; %bb.1:
	s_load_dword s4, s[16:17], 0xc
	s_lshl_b64 s[16:17], s[8:9], 2
	v_lshlrev_b32_e32 v2, 5, v0
	v_mov_b32_e32 v3, 0
	s_waitcnt lgkmcnt(0)
	s_and_b32 s4, s4, 0xffff
	s_lshl_b32 s20, s4, 3
	s_add_u32 s16, s10, s16
	s_addc_u32 s17, s11, s17
	v_lshl_add_u64 v[4:5], s[16:17], 0, v[2:3]
	s_lshl_b32 s4, s4, 5
	v_lshl_add_u64 v[4:5], v[4:5], 0, 28
	s_mov_b64 s[16:17], 0
.LBB602_2:                              ; =>This Inner Loop Header: Depth=1
	global_load_dwordx4 v[6:9], v[4:5], off offset:-28
	global_load_dwordx4 v[10:13], v[4:5], off offset:-12
	v_add_u32_e32 v1, s20, v1
	v_cmp_le_i32_e32 vcc, s19, v1
	v_lshl_add_u64 v[4:5], v[4:5], 0, s[4:5]
	s_or_b64 s[16:17], vcc, s[16:17]
	s_waitcnt vmcnt(1)
	v_add_f32_e32 v2, v3, v6
	v_add_f32_e32 v2, v2, v7
	;; [unrolled: 1-line block ×4, first 2 shown]
	s_waitcnt vmcnt(0)
	v_add_f32_e32 v2, v2, v10
	v_add_f32_e32 v2, v2, v11
	;; [unrolled: 1-line block ×4, first 2 shown]
	s_andn2_b64 exec, exec, s[16:17]
	s_cbranch_execnz .LBB602_2
; %bb.3:
	s_or_b64 exec, exec, s[16:17]
.LBB602_4:
	s_or_b64 exec, exec, s[12:13]
	s_sub_i32 s4, s18, s19
	v_cmp_gt_u32_e32 vcc, s4, v0
	s_and_saveexec_b64 s[4:5], vcc
	s_cbranch_execz .LBB602_6
; %bb.5:
	s_lshl_b64 s[8:9], s[8:9], 2
	s_add_u32 s8, s10, s8
	s_addc_u32 s9, s11, s9
	v_xad_u32 v4, v0, -1, s18
	v_mov_b32_e32 v5, 0
	v_lshl_add_u64 v[4:5], v[4:5], 2, s[8:9]
	global_load_dword v1, v[4:5], off
	s_waitcnt vmcnt(0)
	v_add_f32_e32 v3, v3, v1
.LBB602_6:
	s_or_b64 exec, exec, s[4:5]
	v_and_b32_e32 v1, 63, v0
	v_cmp_gt_u32_e32 vcc, 64, v0
	v_lshlrev_b32_e32 v2, 2, v1
	s_and_saveexec_b64 s[4:5], vcc
	s_cbranch_execz .LBB602_8
; %bb.7:
	v_mov_b32_e32 v4, 0
	ds_write_b32 v2, v4
.LBB602_8:
	s_or_b64 exec, exec, s[4:5]
	v_mbcnt_lo_u32_b32 v4, -1, 0
	v_mbcnt_hi_u32_b32 v4, -1, v4
	v_and_b32_e32 v5, 63, v4
	v_cmp_gt_u32_e64 s[4:5], 32, v5
	s_waitcnt lgkmcnt(0)
	s_barrier
	v_cndmask_b32_e64 v6, 0, 1, s[4:5]
	v_lshlrev_b32_e32 v6, 5, v6
	v_add_lshl_u32 v6, v6, v4, 2
	ds_bpermute_b32 v6, v6, v3
	v_cmp_gt_u32_e64 s[4:5], 48, v5
	s_waitcnt lgkmcnt(0)
	v_add_f32_e32 v3, v3, v6
	v_cndmask_b32_e64 v7, 0, 1, s[4:5]
	v_lshlrev_b32_e32 v7, 4, v7
	v_add_lshl_u32 v6, v7, v4, 2
	ds_bpermute_b32 v6, v6, v3
	v_cmp_gt_u32_e64 s[4:5], 56, v5
	s_waitcnt lgkmcnt(0)
	v_add_f32_e32 v3, v3, v6
	;; [unrolled: 7-line block ×4, first 2 shown]
	v_cndmask_b32_e64 v7, 0, 1, s[4:5]
	v_lshlrev_b32_e32 v7, 1, v7
	v_add_lshl_u32 v3, v7, v4, 2
	ds_bpermute_b32 v7, v3, v6
	v_cmp_ne_u32_e64 s[4:5], 63, v5
	s_waitcnt lgkmcnt(0)
	v_add_f32_e32 v5, v6, v7
	v_addc_co_u32_e64 v4, s[4:5], 0, v4, s[4:5]
	v_lshlrev_b32_e32 v4, 2, v4
	ds_bpermute_b32 v6, v4, v5
	v_cmp_eq_u32_e64 s[4:5], 0, v1
	s_and_saveexec_b64 s[8:9], s[4:5]
	s_cbranch_execz .LBB602_10
; %bb.9:
	v_lshrrev_b32_e32 v1, 4, v0
	v_and_b32_e32 v1, 12, v1
	s_waitcnt lgkmcnt(0)
	v_add_f32_e32 v5, v5, v6
	ds_write_b32 v1, v5
.LBB602_10:
	s_or_b64 exec, exec, s[8:9]
	v_cmp_gt_u32_e64 s[4:5], 4, v0
	v_mov_b32_e32 v1, 0
	s_waitcnt lgkmcnt(0)
	s_barrier
	s_and_saveexec_b64 s[8:9], s[4:5]
	s_cbranch_execnz .LBB602_14
; %bb.11:
	s_or_b64 exec, exec, s[8:9]
	s_and_saveexec_b64 s[4:5], vcc
	s_cbranch_execnz .LBB602_15
.LBB602_12:
	s_or_b64 exec, exec, s[4:5]
	v_cmp_eq_u32_e32 vcc, 0, v0
	s_and_saveexec_b64 s[4:5], vcc
	s_cbranch_execnz .LBB602_16
.LBB602_13:
	s_endpgm
.LBB602_14:
	ds_read_b32 v1, v2
	s_or_b64 exec, exec, s[8:9]
	s_and_saveexec_b64 s[4:5], vcc
	s_cbranch_execz .LBB602_12
.LBB602_15:
	s_waitcnt lgkmcnt(0)
	ds_bpermute_b32 v2, v3, v1
	s_waitcnt lgkmcnt(0)
	v_add_f32_e32 v1, v1, v2
	ds_bpermute_b32 v2, v4, v1
	s_waitcnt lgkmcnt(0)
	v_add_f32_e32 v1, v1, v2
	s_or_b64 exec, exec, s[4:5]
	v_cmp_eq_u32_e32 vcc, 0, v0
	s_and_saveexec_b64 s[4:5], vcc
	s_cbranch_execz .LBB602_13
.LBB602_16:
	s_load_dword s8, s[0:1], 0x28
	s_lshl_b64 s[0:1], s[14:15], 1
	s_add_u32 s6, s6, s0
	s_addc_u32 s7, s7, s1
	v_cmp_eq_f32_e64 s[0:1], s2, 0
	s_and_b64 vcc, exec, s[0:1]
	s_cbranch_vccz .LBB602_22
; %bb.17:
	s_mov_b32 s0, 0x7f800000
	s_waitcnt lgkmcnt(0)
	v_and_b32_e32 v0, 0x7f800000, v1
	v_cmp_ne_u32_e32 vcc, s0, v0
                                        ; implicit-def: $vgpr0
	s_and_saveexec_b64 s[0:1], vcc
	s_xor_b64 s[0:1], exec, s[0:1]
; %bb.18:
	v_bfe_u32 v0, v1, 16, 1
	s_movk_i32 s4, 0x7fff
	v_add3_u32 v0, v1, v0, s4
; %bb.19:
	s_andn2_saveexec_b64 s[0:1], s[0:1]
; %bb.20:
	v_mov_b32_e32 v0, 0
	v_or_b32_e32 v2, 0x10000, v1
	v_cmp_eq_u32_sdwa vcc, v1, v0 src0_sel:WORD_0 src1_sel:DWORD
	s_nop 1
	v_cndmask_b32_e32 v0, v2, v1, vcc
; %bb.21:
	s_or_b64 exec, exec, s[0:1]
	s_mul_hi_u32 s9, s8, s3
	s_mul_i32 s0, s8, s3
	s_cbranch_execz .LBB602_23
	s_branch .LBB602_28
.LBB602_22:
                                        ; implicit-def: $vgpr0
	s_waitcnt lgkmcnt(0)
	s_mul_hi_u32 s9, s8, s3
	s_mul_i32 s0, s8, s3
.LBB602_23:
	s_ashr_i32 s1, s8, 31
	s_mul_i32 s1, s1, s3
	s_add_i32 s1, s9, s1
	s_lshl_b64 s[4:5], s[0:1], 1
	s_add_u32 s4, s6, s4
	s_addc_u32 s5, s7, s5
	v_mov_b32_e32 v0, 0
	global_load_ushort v0, v0, s[4:5]
	s_mov_b32 s1, 0x7f800000
	s_waitcnt vmcnt(0)
	v_lshlrev_b32_e32 v0, 16, v0
	v_fmac_f32_e32 v1, s2, v0
	v_and_b32_e32 v0, 0x7f800000, v1
	v_cmp_ne_u32_e32 vcc, s1, v0
                                        ; implicit-def: $vgpr0
	s_and_saveexec_b64 s[4:5], vcc
	s_xor_b64 s[4:5], exec, s[4:5]
; %bb.24:
	v_bfe_u32 v0, v1, 16, 1
	s_movk_i32 s1, 0x7fff
	v_add3_u32 v0, v1, v0, s1
                                        ; implicit-def: $vgpr1
; %bb.25:
	s_andn2_saveexec_b64 s[4:5], s[4:5]
; %bb.26:
	v_mov_b32_e32 v0, 0
	v_or_b32_e32 v2, 0x10000, v1
	v_cmp_eq_u32_sdwa vcc, v1, v0 src0_sel:WORD_0 src1_sel:DWORD
	s_nop 1
	v_cndmask_b32_e32 v0, v2, v1, vcc
; %bb.27:
	s_or_b64 exec, exec, s[4:5]
.LBB602_28:
	s_ashr_i32 s1, s8, 31
	s_mul_i32 s1, s1, s3
	s_add_i32 s1, s9, s1
	s_lshl_b64 s[0:1], s[0:1], 1
	s_add_u32 s0, s6, s0
	s_addc_u32 s1, s7, s1
	v_mov_b32_e32 v1, 0
	global_store_short_d16_hi v1, v0, s[0:1]
	s_endpgm
	.section	.rodata,"a",@progbits
	.p2align	6, 0x0
	.amdhsa_kernel _ZL23rocblas_gemvt_sn_reduceILi256ELi8EfPKfKP16rocblas_bfloat16EviT2_lPT3_lilPT1_i
		.amdhsa_group_segment_fixed_size 256
		.amdhsa_private_segment_fixed_size 0
		.amdhsa_kernarg_size 328
		.amdhsa_user_sgpr_count 2
		.amdhsa_user_sgpr_dispatch_ptr 0
		.amdhsa_user_sgpr_queue_ptr 0
		.amdhsa_user_sgpr_kernarg_segment_ptr 1
		.amdhsa_user_sgpr_dispatch_id 0
		.amdhsa_user_sgpr_kernarg_preload_length 0
		.amdhsa_user_sgpr_kernarg_preload_offset 0
		.amdhsa_user_sgpr_private_segment_size 0
		.amdhsa_uses_dynamic_stack 0
		.amdhsa_enable_private_segment 0
		.amdhsa_system_sgpr_workgroup_id_x 1
		.amdhsa_system_sgpr_workgroup_id_y 1
		.amdhsa_system_sgpr_workgroup_id_z 1
		.amdhsa_system_sgpr_workgroup_info 0
		.amdhsa_system_vgpr_workitem_id 0
		.amdhsa_next_free_vgpr 14
		.amdhsa_next_free_sgpr 21
		.amdhsa_accum_offset 16
		.amdhsa_reserve_vcc 1
		.amdhsa_float_round_mode_32 0
		.amdhsa_float_round_mode_16_64 0
		.amdhsa_float_denorm_mode_32 3
		.amdhsa_float_denorm_mode_16_64 3
		.amdhsa_dx10_clamp 1
		.amdhsa_ieee_mode 1
		.amdhsa_fp16_overflow 0
		.amdhsa_tg_split 0
		.amdhsa_exception_fp_ieee_invalid_op 0
		.amdhsa_exception_fp_denorm_src 0
		.amdhsa_exception_fp_ieee_div_zero 0
		.amdhsa_exception_fp_ieee_overflow 0
		.amdhsa_exception_fp_ieee_underflow 0
		.amdhsa_exception_fp_ieee_inexact 0
		.amdhsa_exception_int_div_zero 0
	.end_amdhsa_kernel
	.section	.text._ZL23rocblas_gemvt_sn_reduceILi256ELi8EfPKfKP16rocblas_bfloat16EviT2_lPT3_lilPT1_i,"axG",@progbits,_ZL23rocblas_gemvt_sn_reduceILi256ELi8EfPKfKP16rocblas_bfloat16EviT2_lPT3_lilPT1_i,comdat
.Lfunc_end602:
	.size	_ZL23rocblas_gemvt_sn_reduceILi256ELi8EfPKfKP16rocblas_bfloat16EviT2_lPT3_lilPT1_i, .Lfunc_end602-_ZL23rocblas_gemvt_sn_reduceILi256ELi8EfPKfKP16rocblas_bfloat16EviT2_lPT3_lilPT1_i
                                        ; -- End function
	.section	.AMDGPU.csdata,"",@progbits
; Kernel info:
; codeLenInByte = 1212
; NumSgprs: 27
; NumVgprs: 14
; NumAgprs: 0
; TotalNumVgprs: 14
; ScratchSize: 0
; MemoryBound: 0
; FloatMode: 240
; IeeeMode: 1
; LDSByteSize: 256 bytes/workgroup (compile time only)
; SGPRBlocks: 3
; VGPRBlocks: 1
; NumSGPRsForWavesPerEU: 27
; NumVGPRsForWavesPerEU: 14
; AccumOffset: 16
; Occupancy: 8
; WaveLimiterHint : 1
; COMPUTE_PGM_RSRC2:SCRATCH_EN: 0
; COMPUTE_PGM_RSRC2:USER_SGPR: 2
; COMPUTE_PGM_RSRC2:TRAP_HANDLER: 0
; COMPUTE_PGM_RSRC2:TGID_X_EN: 1
; COMPUTE_PGM_RSRC2:TGID_Y_EN: 1
; COMPUTE_PGM_RSRC2:TGID_Z_EN: 1
; COMPUTE_PGM_RSRC2:TIDIG_COMP_CNT: 0
; COMPUTE_PGM_RSRC3_GFX90A:ACCUM_OFFSET: 3
; COMPUTE_PGM_RSRC3_GFX90A:TG_SPLIT: 0
	.section	.text._ZL23rocblas_gemvt_sn_kernelILb0ELi256ELi4EiPK16rocblas_bfloat16ffEviiT4_lPKT3_lilS6_lilPT5_i,"axG",@progbits,_ZL23rocblas_gemvt_sn_kernelILb0ELi256ELi4EiPK16rocblas_bfloat16ffEviiT4_lPKT3_lilS6_lilPT5_i,comdat
	.globl	_ZL23rocblas_gemvt_sn_kernelILb0ELi256ELi4EiPK16rocblas_bfloat16ffEviiT4_lPKT3_lilS6_lilPT5_i ; -- Begin function _ZL23rocblas_gemvt_sn_kernelILb0ELi256ELi4EiPK16rocblas_bfloat16ffEviiT4_lPKT3_lilS6_lilPT5_i
	.p2align	8
	.type	_ZL23rocblas_gemvt_sn_kernelILb0ELi256ELi4EiPK16rocblas_bfloat16ffEviiT4_lPKT3_lilS6_lilPT5_i,@function
_ZL23rocblas_gemvt_sn_kernelILb0ELi256ELi4EiPK16rocblas_bfloat16ffEviiT4_lPKT3_lilS6_lilPT5_i: ; @_ZL23rocblas_gemvt_sn_kernelILb0ELi256ELi4EiPK16rocblas_bfloat16ffEviiT4_lPKT3_lilS6_lilPT5_i
; %bb.0:
	s_load_dwordx4 s[16:19], s[0:1], 0x0
	s_mov_b32 s10, s3
	s_mov_b32 s11, 0
	s_waitcnt lgkmcnt(0)
	v_cmp_neq_f32_e64 s[6:7], s18, 0
	v_cmp_eq_f32_e64 s[8:9], s18, 0
	s_and_b64 vcc, exec, s[6:7]
	s_cbranch_vccnz .LBB603_2
; %bb.1:
	s_mov_b64 s[4:5], 0
	s_cbranch_execz .LBB603_3
	s_branch .LBB603_4
.LBB603_2:
                                        ; implicit-def: $sgpr4_sgpr5
.LBB603_3:
	s_load_dwordx4 s[12:15], s[0:1], 0x18
	s_lshl_b64 s[4:5], s[10:11], 3
	s_waitcnt lgkmcnt(0)
	s_add_u32 s4, s12, s4
	s_addc_u32 s5, s13, s5
	s_load_dwordx2 s[4:5], s[4:5], 0x0
	s_lshl_b64 s[12:13], s[14:15], 1
	s_waitcnt lgkmcnt(0)
	s_add_u32 s4, s4, s12
	s_addc_u32 s5, s5, s13
.LBB603_4:
	s_andn2_b64 vcc, exec, s[6:7]
	s_cbranch_vccnz .LBB603_6
; %bb.5:
	s_load_dwordx4 s[12:15], s[0:1], 0x38
	s_lshl_b64 s[6:7], s[10:11], 3
	s_waitcnt lgkmcnt(0)
	s_add_u32 s6, s12, s6
	s_addc_u32 s7, s13, s7
	s_load_dwordx2 s[6:7], s[6:7], 0x0
	s_lshl_b64 s[12:13], s[14:15], 1
	s_waitcnt lgkmcnt(0)
	s_add_u32 s20, s6, s12
	s_addc_u32 s21, s7, s13
	s_branch .LBB603_7
.LBB603_6:
	s_mov_b64 s[20:21], 0
.LBB603_7:
	s_load_dwordx2 s[6:7], s[0:1], 0x58
	s_load_dword s22, s[0:1], 0x68
	s_ashr_i32 s25, s17, 31
	s_mul_hi_u32 s3, s10, s17
	s_mul_i32 s12, s10, s25
	s_add_i32 s3, s3, s12
	s_mul_i32 s11, s11, s17
	s_add_i32 s11, s3, s11
	s_mul_i32 s10, s10, s17
	s_waitcnt lgkmcnt(0)
	s_mul_i32 s3, s11, s22
	s_mul_hi_u32 s12, s10, s22
	s_add_i32 s13, s12, s3
	s_mul_i32 s12, s10, s22
	s_lshl_b64 s[12:13], s[12:13], 2
	s_add_u32 s33, s6, s12
	s_mov_b32 s23, 0
	s_addc_u32 s44, s7, s13
	s_andn2_b64 vcc, exec, s[8:9]
	s_mov_b64 s[8:9], -1
	s_cbranch_vccnz .LBB603_17
; %bb.8:
	s_cmp_gt_i32 s17, 0
	v_cmp_eq_u32_e32 vcc, 0, v0
	s_cselect_b64 s[8:9], -1, 0
	s_and_b64 s[12:13], vcc, s[8:9]
	s_and_saveexec_b64 s[8:9], s[12:13]
	s_cbranch_execz .LBB603_16
; %bb.9:
	s_cmp_gt_u32 s17, 1
	s_cselect_b64 s[12:13], -1, 0
	s_cmp_eq_u32 s22, 1
	s_cselect_b64 s[26:27], -1, 0
	s_mov_b32 s3, 0
	s_and_b64 s[12:13], s[12:13], s[26:27]
	s_mov_b64 s[14:15], -1
	s_andn2_b64 vcc, exec, s[12:13]
	s_mov_b32 s12, s3
	s_cbranch_vccnz .LBB603_13
; %bb.10:
	s_lshl_b64 s[12:13], s[2:3], 2
	s_add_u32 s14, s33, s12
	s_addc_u32 s15, s44, s13
	s_and_b32 s12, s17, 0x7ffffffe
	v_mov_b32_e32 v2, 0
	v_mov_b32_e32 v3, v2
	s_mov_b32 s13, s12
.LBB603_11:                             ; =>This Inner Loop Header: Depth=1
	global_store_dwordx2 v2, v[2:3], s[14:15]
	s_add_u32 s14, s14, 8
	s_addc_u32 s15, s15, 0
	s_add_i32 s13, s13, -2
	s_cmp_lg_u32 s13, 0
	s_cbranch_scc1 .LBB603_11
; %bb.12:
	s_cmp_lg_u32 s12, s17
	s_cselect_b64 s[14:15], -1, 0
.LBB603_13:
	s_and_b64 vcc, exec, s[14:15]
	s_cbranch_vccz .LBB603_16
; %bb.14:
	s_mov_b32 s13, 0
	s_sub_i32 s14, s17, s12
	s_lshl_b64 s[10:11], s[10:11], 2
	s_lshl_b64 s[12:13], s[12:13], 2
	s_add_u32 s10, s10, s12
	s_addc_u32 s11, s11, s13
	s_mul_i32 s11, s11, s22
	s_mul_hi_u32 s12, s10, s22
	s_add_i32 s12, s12, s11
	s_mul_i32 s13, s10, s22
	s_lshl_b64 s[10:11], s[2:3], 2
	s_add_u32 s3, s13, s10
	s_addc_u32 s10, s12, s11
	s_add_u32 s6, s6, s3
	s_addc_u32 s7, s7, s10
	s_lshl_b64 s[10:11], s[22:23], 2
	v_mov_b32_e32 v1, 0
.LBB603_15:                             ; =>This Inner Loop Header: Depth=1
	s_add_i32 s14, s14, -1
	global_store_dword v1, v1, s[6:7]
	s_add_u32 s6, s6, s10
	s_addc_u32 s7, s7, s11
	s_cmp_eq_u32 s14, 0
	s_cbranch_scc0 .LBB603_15
.LBB603_16:
	s_or_b64 exec, exec, s[8:9]
	s_mov_b64 s[8:9], 0
.LBB603_17:
	s_andn2_b64 vcc, exec, s[8:9]
	s_cbranch_vccnz .LBB603_91
; %bb.18:
	s_load_dword s24, s[0:1], 0x28
	s_load_dword s19, s[0:1], 0x48
	s_lshl_b32 s0, s2, 10
	v_lshl_or_b32 v2, v0, 2, s0
	s_lshr_b32 s0, s25, 30
	s_add_i32 s0, s17, s0
	s_and_b32 s3, s0, -4
	s_ashr_i32 s0, s16, 31
	s_lshr_b32 s0, s0, 30
	s_add_i32 s0, s16, s0
	s_and_b32 s0, s0, -4
	v_ashrrev_i32_e32 v3, 31, v2
	s_sub_i32 s23, s16, s0
	v_lshl_add_u64 v[6:7], v[2:3], 1, s[4:5]
	s_cmp_lt_i32 s3, 1
	v_add_u32_e32 v27, 4, v2
	v_add_u32_e32 v28, s23, v2
	v_and_b32_e32 v1, 63, v0
	v_cmp_gt_u32_e64 s[0:1], 64, v0
	v_mbcnt_lo_u32_b32 v26, -1, 0
	v_cmp_gt_u32_e64 s[4:5], 4, v0
	v_lshrrev_b32_e32 v9, 4, v0
	v_cmp_eq_u32_e64 s[6:7], 0, v0
	s_waitcnt lgkmcnt(0)
	v_mul_lo_u32 v8, v2, s19
	s_cbranch_scc1 .LBB603_66
; %bb.19:
	v_mbcnt_hi_u32_b32 v3, -1, v26
	v_and_b32_e32 v4, 63, v3
	v_cmp_gt_u32_e32 vcc, 32, v4
	v_mul_lo_u32 v10, v2, s19
	v_add_u32_e32 v2, s19, v10
	v_cndmask_b32_e64 v5, 0, 1, vcc
	v_lshlrev_b32_e32 v5, 5, v5
	v_cmp_gt_u32_e32 vcc, 48, v4
	v_add_lshl_u32 v29, v5, v3, 2
	s_mov_b32 s27, 0
	v_cndmask_b32_e64 v5, 0, 1, vcc
	v_lshlrev_b32_e32 v5, 4, v5
	v_cmp_gt_u32_e32 vcc, 56, v4
	v_add_lshl_u32 v30, v5, v3, 2
	s_cmp_gt_i32 s23, 0
	v_cndmask_b32_e64 v5, 0, 1, vcc
	v_lshlrev_b32_e32 v5, 3, v5
	v_cmp_gt_u32_e32 vcc, 60, v4
	v_add_lshl_u32 v31, v5, v3, 2
	s_cselect_b64 s[28:29], -1, 0
	v_cndmask_b32_e64 v5, 0, 1, vcc
	v_lshlrev_b32_e32 v5, 2, v5
	v_cmp_gt_u32_e32 vcc, 62, v4
	v_add_lshl_u32 v32, v5, v3, 2
	v_ashrrev_i32_e32 v11, 31, v10
	v_cndmask_b32_e64 v5, 0, 1, vcc
	v_lshlrev_b32_e32 v5, 1, v5
	v_cmp_ne_u32_e32 vcc, 63, v4
	v_add_lshl_u32 v33, v5, v3, 2
	s_mov_b32 s25, s27
	v_addc_co_u32_e32 v3, vcc, 0, v3, vcc
	v_lshlrev_b32_e32 v34, 2, v3
	v_ashrrev_i32_e32 v3, 31, v2
	v_lshl_add_u64 v[14:15], v[2:3], 1, s[20:21]
	v_add_u32_e32 v2, s19, v2
	v_ashrrev_i32_e32 v3, 31, v2
	v_lshl_add_u64 v[16:17], v[2:3], 1, s[20:21]
	v_add_u32_e32 v2, s19, v2
	v_ashrrev_i32_e32 v3, 31, v2
	s_lshl_b32 s26, s24, 1
	v_cmp_ge_i32_e64 s[8:9], s16, v27
	v_cmp_ge_i32_e64 s[10:11], s16, v28
	v_cmp_eq_u32_e64 s[12:13], 0, v1
	v_lshlrev_b32_e32 v35, 2, v1
	v_and_b32_e32 v36, 12, v9
	v_lshl_add_u64 v[12:13], v[10:11], 1, s[20:21]
	v_lshl_add_u64 v[18:19], v[2:3], 1, s[20:21]
	s_lshl_b32 s45, s24, 2
	s_mul_i32 s46, s24, 3
	s_mov_b32 s47, s27
	v_mov_b32_e32 v11, 0
	s_mov_b32 s30, s27
	s_mov_b64 s[34:35], s[26:27]
	s_mov_b64 s[36:37], s[24:25]
	s_mov_b32 s25, 0
                                        ; implicit-def: $vgpr2_vgpr3_vgpr4_vgpr5
	s_branch .LBB603_21
.LBB603_20:                             ;   in Loop: Header=BB603_21 Depth=1
	s_or_b64 exec, exec, s[14:15]
	s_add_i32 s25, s25, 4
	s_add_u32 s36, s36, s45
	s_addc_u32 s37, s37, 0
	s_add_u32 s34, s34, s45
	s_addc_u32 s35, s35, 0
	;; [unrolled: 2-line block ×3, first 2 shown]
	s_add_i32 s30, s30, s45
	s_cmp_ge_i32 s25, s3
	s_cbranch_scc1 .LBB603_67
.LBB603_21:                             ; =>This Loop Header: Depth=1
                                        ;     Child Loop BB603_52 Depth 2
                                        ;     Child Loop BB603_55 Depth 2
                                        ; implicit-def: $vgpr21
                                        ; implicit-def: $vgpr23
	s_and_saveexec_b64 s[14:15], s[8:9]
	s_xor_b64 s[14:15], exec, s[14:15]
	s_cbranch_execnz .LBB603_48
; %bb.22:                               ;   in Loop: Header=BB603_21 Depth=1
	s_andn2_saveexec_b64 s[38:39], s[14:15]
	s_cbranch_execnz .LBB603_49
.LBB603_23:                             ;   in Loop: Header=BB603_21 Depth=1
	s_or_b64 exec, exec, s[38:39]
	s_and_saveexec_b64 s[14:15], s[0:1]
	s_cbranch_execz .LBB603_25
.LBB603_24:                             ;   in Loop: Header=BB603_21 Depth=1
	ds_write_b32 v35, v11
.LBB603_25:                             ;   in Loop: Header=BB603_21 Depth=1
	s_or_b64 exec, exec, s[14:15]
	ds_bpermute_b32 v24, v29, v22
	s_waitcnt lgkmcnt(0)
	s_barrier
	v_add_f32_e32 v22, v22, v24
	ds_bpermute_b32 v24, v30, v22
	s_waitcnt lgkmcnt(0)
	v_add_f32_e32 v22, v22, v24
	ds_bpermute_b32 v24, v31, v22
	s_waitcnt lgkmcnt(0)
	v_add_f32_e32 v22, v22, v24
	ds_bpermute_b32 v24, v32, v22
	s_waitcnt lgkmcnt(0)
	v_add_f32_e32 v22, v22, v24
	ds_bpermute_b32 v24, v33, v22
	s_waitcnt lgkmcnt(0)
	v_add_f32_e32 v22, v22, v24
	ds_bpermute_b32 v24, v34, v22
	s_and_saveexec_b64 s[14:15], s[12:13]
	s_cbranch_execz .LBB603_27
; %bb.26:                               ;   in Loop: Header=BB603_21 Depth=1
	s_waitcnt lgkmcnt(0)
	v_add_f32_e32 v22, v22, v24
	ds_write_b32 v36, v22
.LBB603_27:                             ;   in Loop: Header=BB603_21 Depth=1
	s_or_b64 exec, exec, s[14:15]
	v_mov_b32_e32 v22, 0
	s_waitcnt lgkmcnt(0)
	s_barrier
	s_and_saveexec_b64 s[14:15], s[4:5]
	s_cbranch_execnz .LBB603_57
; %bb.28:                               ;   in Loop: Header=BB603_21 Depth=1
	s_or_b64 exec, exec, s[14:15]
	s_and_saveexec_b64 s[14:15], s[0:1]
	s_cbranch_execnz .LBB603_58
.LBB603_29:                             ;   in Loop: Header=BB603_21 Depth=1
	s_or_b64 exec, exec, s[14:15]
	s_and_saveexec_b64 s[14:15], s[0:1]
	s_cbranch_execz .LBB603_31
.LBB603_30:                             ;   in Loop: Header=BB603_21 Depth=1
	ds_write_b32 v35, v11
.LBB603_31:                             ;   in Loop: Header=BB603_21 Depth=1
	s_or_b64 exec, exec, s[14:15]
	ds_bpermute_b32 v24, v29, v23
	s_waitcnt lgkmcnt(0)
	s_barrier
	v_add_f32_e32 v23, v23, v24
	ds_bpermute_b32 v24, v30, v23
	s_waitcnt lgkmcnt(0)
	v_add_f32_e32 v23, v23, v24
	ds_bpermute_b32 v24, v31, v23
	s_waitcnt lgkmcnt(0)
	;; [unrolled: 3-line block ×4, first 2 shown]
	v_add_f32_e32 v23, v23, v24
	ds_bpermute_b32 v24, v34, v23
	s_and_saveexec_b64 s[14:15], s[12:13]
	s_cbranch_execz .LBB603_33
; %bb.32:                               ;   in Loop: Header=BB603_21 Depth=1
	s_waitcnt lgkmcnt(0)
	v_add_f32_e32 v23, v23, v24
	ds_write_b32 v36, v23
.LBB603_33:                             ;   in Loop: Header=BB603_21 Depth=1
	s_or_b64 exec, exec, s[14:15]
	v_mov_b32_e32 v23, 0
	s_waitcnt lgkmcnt(0)
	s_barrier
	s_and_saveexec_b64 s[14:15], s[4:5]
	s_cbranch_execnz .LBB603_59
; %bb.34:                               ;   in Loop: Header=BB603_21 Depth=1
	s_or_b64 exec, exec, s[14:15]
	s_and_saveexec_b64 s[14:15], s[0:1]
	s_cbranch_execnz .LBB603_60
.LBB603_35:                             ;   in Loop: Header=BB603_21 Depth=1
	s_or_b64 exec, exec, s[14:15]
	s_and_saveexec_b64 s[14:15], s[0:1]
	s_cbranch_execz .LBB603_37
.LBB603_36:                             ;   in Loop: Header=BB603_21 Depth=1
	ds_write_b32 v35, v11
.LBB603_37:                             ;   in Loop: Header=BB603_21 Depth=1
	s_or_b64 exec, exec, s[14:15]
	ds_bpermute_b32 v24, v29, v20
	s_waitcnt lgkmcnt(0)
	s_barrier
	v_add_f32_e32 v20, v20, v24
	ds_bpermute_b32 v24, v30, v20
	s_waitcnt lgkmcnt(0)
	v_add_f32_e32 v20, v20, v24
	ds_bpermute_b32 v24, v31, v20
	s_waitcnt lgkmcnt(0)
	;; [unrolled: 3-line block ×4, first 2 shown]
	v_add_f32_e32 v20, v20, v24
	ds_bpermute_b32 v24, v34, v20
	s_and_saveexec_b64 s[14:15], s[12:13]
	s_cbranch_execz .LBB603_39
; %bb.38:                               ;   in Loop: Header=BB603_21 Depth=1
	s_waitcnt lgkmcnt(0)
	v_add_f32_e32 v20, v20, v24
	ds_write_b32 v36, v20
.LBB603_39:                             ;   in Loop: Header=BB603_21 Depth=1
	s_or_b64 exec, exec, s[14:15]
	v_mov_b32_e32 v20, 0
	s_waitcnt lgkmcnt(0)
	s_barrier
	s_and_saveexec_b64 s[14:15], s[4:5]
	s_cbranch_execnz .LBB603_61
; %bb.40:                               ;   in Loop: Header=BB603_21 Depth=1
	s_or_b64 exec, exec, s[14:15]
	s_and_saveexec_b64 s[14:15], s[0:1]
	s_cbranch_execnz .LBB603_62
.LBB603_41:                             ;   in Loop: Header=BB603_21 Depth=1
	s_or_b64 exec, exec, s[14:15]
	s_and_saveexec_b64 s[14:15], s[0:1]
	s_cbranch_execz .LBB603_43
.LBB603_42:                             ;   in Loop: Header=BB603_21 Depth=1
	ds_write_b32 v35, v11
.LBB603_43:                             ;   in Loop: Header=BB603_21 Depth=1
	s_or_b64 exec, exec, s[14:15]
	ds_bpermute_b32 v24, v29, v21
	s_waitcnt lgkmcnt(0)
	s_barrier
	v_add_f32_e32 v21, v21, v24
	ds_bpermute_b32 v24, v30, v21
	s_waitcnt lgkmcnt(0)
	v_add_f32_e32 v21, v21, v24
	ds_bpermute_b32 v24, v31, v21
	s_waitcnt lgkmcnt(0)
	;; [unrolled: 3-line block ×4, first 2 shown]
	v_add_f32_e32 v21, v21, v24
	ds_bpermute_b32 v24, v34, v21
	s_and_saveexec_b64 s[14:15], s[12:13]
	s_cbranch_execz .LBB603_45
; %bb.44:                               ;   in Loop: Header=BB603_21 Depth=1
	s_waitcnt lgkmcnt(0)
	v_add_f32_e32 v21, v21, v24
	ds_write_b32 v36, v21
.LBB603_45:                             ;   in Loop: Header=BB603_21 Depth=1
	s_or_b64 exec, exec, s[14:15]
	v_mov_b32_e32 v21, 0
	s_waitcnt lgkmcnt(0)
	s_barrier
	s_and_saveexec_b64 s[14:15], s[4:5]
	s_cbranch_execnz .LBB603_63
; %bb.46:                               ;   in Loop: Header=BB603_21 Depth=1
	s_or_b64 exec, exec, s[14:15]
	s_and_saveexec_b64 s[14:15], s[0:1]
	s_cbranch_execnz .LBB603_64
.LBB603_47:                             ;   in Loop: Header=BB603_21 Depth=1
	s_or_b64 exec, exec, s[14:15]
	s_and_saveexec_b64 s[14:15], s[6:7]
	s_cbranch_execz .LBB603_20
	s_branch .LBB603_65
.LBB603_48:                             ;   in Loop: Header=BB603_21 Depth=1
	s_mul_i32 s38, s25, s24
	s_ashr_i32 s39, s38, 31
	v_lshl_add_u64 v[2:3], s[38:39], 1, v[6:7]
	s_add_i32 s38, s38, s24
	s_ashr_i32 s39, s38, 31
	flat_load_ushort v4, v[12:13]
	flat_load_ushort v5, v[14:15]
	flat_load_ushort v37, v[16:17]
	flat_load_ushort v40, v[18:19]
	s_waitcnt lgkmcnt(0)
	flat_load_dwordx2 v[20:21], v[2:3]
	v_lshl_add_u64 v[2:3], s[38:39], 1, v[6:7]
	s_add_i32 s38, s38, s24
	s_ashr_i32 s39, s38, 31
	flat_load_dwordx2 v[22:23], v[2:3]
	v_lshl_add_u64 v[2:3], s[38:39], 1, v[6:7]
	s_add_i32 s38, s38, s24
	s_ashr_i32 s39, s38, 31
	flat_load_dwordx2 v[24:25], v[2:3]
	v_lshl_add_u64 v[2:3], s[38:39], 1, v[6:7]
	flat_load_dwordx2 v[38:39], v[2:3]
	s_waitcnt vmcnt(0) lgkmcnt(0)
	v_lshlrev_b32_e32 v2, 16, v4
	v_lshlrev_b32_e32 v41, 16, v5
	;; [unrolled: 1-line block ×5, first 2 shown]
	v_and_b32_e32 v54, 0xffff0000, v21
	v_mov_b32_e32 v46, v41
	v_lshlrev_b32_e32 v50, 16, v20
	v_lshlrev_b32_e32 v51, 16, v22
	v_and_b32_e32 v21, 0xffff0000, v22
	v_lshlrev_b32_e32 v53, 16, v23
	v_and_b32_e32 v55, 0xffff0000, v23
	;; [unrolled: 2-line block ×3, first 2 shown]
	v_and_b32_e32 v3, 0xffff0000, v38
	v_lshlrev_b32_e32 v40, 16, v38
	v_and_b32_e32 v43, 0xffff0000, v39
	v_lshlrev_b32_e32 v44, 16, v39
	v_pk_mul_f32 v[58:59], v[40:41], v[2:3]
	v_lshlrev_b32_e32 v37, 16, v25
	v_and_b32_e32 v25, 0xffff0000, v25
	v_mul_f32_e32 v22, v2, v22
	v_mul_f32_e32 v24, v41, v23
	v_mov_b32_e32 v3, v41
	v_pk_mul_f32 v[40:41], v[44:45], v[42:43]
	v_mov_b32_e32 v23, v58
	v_and_b32_e32 v20, 0xffff0000, v20
	v_mul_f32_e32 v56, v45, v25
	v_mov_b32_e32 v25, v59
	v_mov_b32_e32 v39, v40
	;; [unrolled: 1-line block ×3, first 2 shown]
	v_pk_fma_f32 v[40:41], v[2:3], v[50:51], 0 op_sel_hi:[0,1,0]
	v_pk_add_f32 v[22:23], v[22:23], 0 op_sel_hi:[1,0]
	v_mul_f32_e32 v38, v42, v37
	v_pk_fma_f32 v[20:21], v[46:47], v[20:21], v[40:41] op_sel_hi:[0,1,1]
	v_pk_add_f32 v[22:23], v[22:23], v[24:25]
	v_mov_b32_e32 v48, v45
	v_pk_fma_f32 v[24:25], v[42:43], v[52:53], v[20:21] op_sel_hi:[0,1,1]
	v_pk_add_f32 v[20:21], v[22:23], v[38:39]
	v_mov_b32_e32 v4, v42
	v_mov_b32_e32 v5, v45
	v_pk_add_f32 v[20:21], v[20:21], v[56:57]
	v_pk_fma_f32 v[22:23], v[48:49], v[54:55], v[24:25] op_sel_hi:[0,1,1]
	s_andn2_saveexec_b64 s[38:39], s[14:15]
	s_cbranch_execz .LBB603_23
.LBB603_49:                             ;   in Loop: Header=BB603_21 Depth=1
	s_waitcnt lgkmcnt(0)
	v_mov_b32_e32 v21, 0
	v_mov_b32_e32 v20, 0
	v_mov_b32_e32 v23, 0
	v_mov_b32_e32 v22, 0
	s_and_saveexec_b64 s[40:41], s[10:11]
	s_cbranch_execz .LBB603_56
; %bb.50:                               ;   in Loop: Header=BB603_21 Depth=1
	v_cndmask_b32_e64 v20, 0, 1, s[28:29]
	v_cmp_ne_u32_e64 s[14:15], 1, v20
	s_andn2_b64 vcc, exec, s[28:29]
	s_cbranch_vccnz .LBB603_53
; %bb.51:                               ;   in Loop: Header=BB603_21 Depth=1
	s_mov_b64 s[42:43], 0
	v_mov_b32_e32 v20, v10
.LBB603_52:                             ;   Parent Loop BB603_21 Depth=1
                                        ; =>  This Inner Loop Header: Depth=2
	v_ashrrev_i32_e32 v21, 31, v20
	v_lshl_add_u64 v[22:23], v[20:21], 1, s[20:21]
	flat_load_ushort v21, v[22:23]
	s_cmp_eq_u32 s42, 3
	s_cselect_b64 vcc, -1, 0
	s_cmp_eq_u32 s42, 2
	v_add_u32_e32 v20, s19, v20
	s_waitcnt vmcnt(0) lgkmcnt(0)
	v_lshlrev_b32_e32 v21, 16, v21
	v_cndmask_b32_e32 v5, v5, v21, vcc
	s_cselect_b64 vcc, -1, 0
	s_cmp_eq_u32 s42, 1
	v_cndmask_b32_e32 v4, v4, v21, vcc
	s_cselect_b64 vcc, -1, 0
	s_cmp_eq_u32 s42, 0
	v_cndmask_b32_e32 v3, v3, v21, vcc
	s_cselect_b64 vcc, -1, 0
	s_add_u32 s42, s42, 1
	s_addc_u32 s43, s43, 0
	s_cmp_eq_u32 s23, s42
	v_cndmask_b32_e32 v2, v2, v21, vcc
	s_cbranch_scc0 .LBB603_52
.LBB603_53:                             ;   in Loop: Header=BB603_21 Depth=1
	v_mov_b32_e32 v21, 0
	s_and_b64 vcc, exec, s[14:15]
	v_mov_b32_e32 v20, v21
	v_mov_b32_e32 v23, v21
	;; [unrolled: 1-line block ×3, first 2 shown]
	s_cbranch_vccnz .LBB603_56
; %bb.54:                               ;   in Loop: Header=BB603_21 Depth=1
	s_ashr_i32 s31, s30, 31
	v_mov_b32_e32 v22, 0
	v_lshl_add_u64 v[24:25], s[30:31], 1, v[6:7]
	s_mov_b64 s[14:15], 0
	v_mov_b32_e32 v23, v22
	v_mov_b32_e32 v20, v22
	;; [unrolled: 1-line block ×3, first 2 shown]
.LBB603_55:                             ;   Parent Loop BB603_21 Depth=1
                                        ; =>  This Inner Loop Header: Depth=2
	s_cmp_eq_u32 s14, 1
	s_cselect_b64 vcc, -1, 0
	s_cmp_eq_u32 s14, 2
	v_cndmask_b32_e32 v38, v2, v3, vcc
	s_cselect_b64 vcc, -1, 0
	s_cmp_eq_u32 s14, 3
	v_cndmask_b32_e32 v44, v38, v4, vcc
	s_cselect_b64 vcc, -1, 0
	s_add_i32 s42, s36, s14
	s_add_i32 s48, s34, s14
	;; [unrolled: 1-line block ×3, first 2 shown]
	s_ashr_i32 s43, s42, 31
	s_ashr_i32 s49, s48, 31
	;; [unrolled: 1-line block ×3, first 2 shown]
	v_lshl_add_u64 v[38:39], s[42:43], 1, v[6:7]
	flat_load_ushort v37, v[24:25]
	v_lshl_add_u64 v[40:41], s[48:49], 1, v[6:7]
	v_lshl_add_u64 v[42:43], s[50:51], 1, v[6:7]
	flat_load_ushort v39, v[38:39]
	s_nop 0
	flat_load_ushort v45, v[42:43]
	flat_load_ushort v46, v[40:41]
	s_add_u32 s14, s14, 1
	v_cndmask_b32_e32 v38, v44, v5, vcc
	s_addc_u32 s15, s15, 0
	v_lshl_add_u64 v[24:25], v[24:25], 0, 2
	s_cmp_lg_u32 s23, s14
	s_waitcnt vmcnt(0) lgkmcnt(0)
	v_lshlrev_b32_e32 v40, 16, v37
	v_lshlrev_b32_e32 v41, 16, v39
	;; [unrolled: 1-line block ×4, first 2 shown]
	v_pk_fma_f32 v[22:23], v[38:39], v[40:41], v[22:23] op_sel_hi:[0,1,1]
	v_pk_fma_f32 v[20:21], v[38:39], v[42:43], v[20:21] op_sel_hi:[0,1,1]
	s_cbranch_scc1 .LBB603_55
.LBB603_56:                             ;   in Loop: Header=BB603_21 Depth=1
	s_or_b64 exec, exec, s[40:41]
	s_or_b64 exec, exec, s[38:39]
	s_and_saveexec_b64 s[14:15], s[0:1]
	s_cbranch_execnz .LBB603_24
	s_branch .LBB603_25
.LBB603_57:                             ;   in Loop: Header=BB603_21 Depth=1
	ds_read_b32 v22, v35
	s_or_b64 exec, exec, s[14:15]
	s_and_saveexec_b64 s[14:15], s[0:1]
	s_cbranch_execz .LBB603_29
.LBB603_58:                             ;   in Loop: Header=BB603_21 Depth=1
	s_waitcnt lgkmcnt(0)
	ds_bpermute_b32 v24, v33, v22
	s_waitcnt lgkmcnt(0)
	v_add_f32_e32 v22, v22, v24
	ds_bpermute_b32 v24, v34, v22
	s_waitcnt lgkmcnt(0)
	v_add_f32_e32 v22, v22, v24
	s_or_b64 exec, exec, s[14:15]
	s_and_saveexec_b64 s[14:15], s[0:1]
	s_cbranch_execnz .LBB603_30
	s_branch .LBB603_31
.LBB603_59:                             ;   in Loop: Header=BB603_21 Depth=1
	ds_read_b32 v23, v35
	s_or_b64 exec, exec, s[14:15]
	s_and_saveexec_b64 s[14:15], s[0:1]
	s_cbranch_execz .LBB603_35
.LBB603_60:                             ;   in Loop: Header=BB603_21 Depth=1
	s_waitcnt lgkmcnt(0)
	ds_bpermute_b32 v24, v33, v23
	s_waitcnt lgkmcnt(0)
	v_add_f32_e32 v23, v23, v24
	ds_bpermute_b32 v24, v34, v23
	s_waitcnt lgkmcnt(0)
	v_add_f32_e32 v23, v23, v24
	s_or_b64 exec, exec, s[14:15]
	s_and_saveexec_b64 s[14:15], s[0:1]
	s_cbranch_execnz .LBB603_36
	s_branch .LBB603_37
.LBB603_61:                             ;   in Loop: Header=BB603_21 Depth=1
	ds_read_b32 v20, v35
	s_or_b64 exec, exec, s[14:15]
	s_and_saveexec_b64 s[14:15], s[0:1]
	s_cbranch_execz .LBB603_41
.LBB603_62:                             ;   in Loop: Header=BB603_21 Depth=1
	s_waitcnt lgkmcnt(0)
	ds_bpermute_b32 v24, v33, v20
	s_waitcnt lgkmcnt(0)
	v_add_f32_e32 v20, v20, v24
	ds_bpermute_b32 v24, v34, v20
	s_waitcnt lgkmcnt(0)
	v_add_f32_e32 v20, v20, v24
	s_or_b64 exec, exec, s[14:15]
	s_and_saveexec_b64 s[14:15], s[0:1]
	s_cbranch_execnz .LBB603_42
	s_branch .LBB603_43
.LBB603_63:                             ;   in Loop: Header=BB603_21 Depth=1
	ds_read_b32 v21, v35
	s_or_b64 exec, exec, s[14:15]
	s_and_saveexec_b64 s[14:15], s[0:1]
	s_cbranch_execz .LBB603_47
.LBB603_64:                             ;   in Loop: Header=BB603_21 Depth=1
	s_waitcnt lgkmcnt(0)
	ds_bpermute_b32 v24, v33, v21
	s_waitcnt lgkmcnt(0)
	v_add_f32_e32 v21, v21, v24
	ds_bpermute_b32 v24, v34, v21
	s_waitcnt lgkmcnt(0)
	v_add_f32_e32 v21, v21, v24
	s_or_b64 exec, exec, s[14:15]
	s_and_saveexec_b64 s[14:15], s[6:7]
	s_cbranch_execz .LBB603_20
.LBB603_65:                             ;   in Loop: Header=BB603_21 Depth=1
	s_mul_i32 s26, s25, s22
	s_add_i32 s26, s26, s2
	s_lshl_b64 s[38:39], s[26:27], 2
	s_add_u32 s38, s33, s38
	v_mul_f32_e32 v22, s18, v22
	s_addc_u32 s39, s44, s39
	s_add_i32 s26, s26, s22
	global_store_dword v11, v22, s[38:39]
	s_lshl_b64 s[38:39], s[26:27], 2
	s_add_u32 s38, s33, s38
	v_mul_f32_e32 v22, s18, v23
	s_addc_u32 s39, s44, s39
	s_add_i32 s26, s26, s22
	global_store_dword v11, v22, s[38:39]
	;; [unrolled: 6-line block ×3, first 2 shown]
	s_lshl_b64 s[38:39], s[26:27], 2
	s_add_u32 s38, s33, s38
	s_waitcnt lgkmcnt(0)
	v_mul_f32_e32 v20, s18, v21
	s_addc_u32 s39, s44, s39
	global_store_dword v11, v20, s[38:39]
	s_branch .LBB603_20
.LBB603_66:
	s_mov_b32 s25, 0
                                        ; implicit-def: $vgpr2_vgpr3_vgpr4_vgpr5
.LBB603_67:
	s_cmp_ge_i32 s25, s17
	s_cbranch_scc1 .LBB603_91
; %bb.68:
	v_mbcnt_hi_u32_b32 v10, -1, v26
	v_and_b32_e32 v11, 63, v10
	v_cmp_gt_u32_e32 vcc, 32, v11
	v_add_u32_e32 v14, s19, v8
	v_add_u32_e32 v16, s19, v14
	v_cndmask_b32_e64 v12, 0, 1, vcc
	v_lshlrev_b32_e32 v12, 5, v12
	v_cmp_gt_u32_e32 vcc, 48, v11
	s_waitcnt lgkmcnt(0)
	v_add_lshl_u32 v21, v12, v10, 2
	s_mov_b32 s3, 0
	v_cndmask_b32_e64 v12, 0, 1, vcc
	v_lshlrev_b32_e32 v12, 4, v12
	v_cmp_gt_u32_e32 vcc, 56, v11
	v_add_lshl_u32 v22, v12, v10, 2
	s_cmp_gt_i32 s23, 0
	v_cndmask_b32_e64 v12, 0, 1, vcc
	v_lshlrev_b32_e32 v12, 3, v12
	v_cmp_gt_u32_e32 vcc, 60, v11
	v_add_lshl_u32 v23, v12, v10, 2
	v_ashrrev_i32_e32 v15, 31, v14
	v_cndmask_b32_e64 v12, 0, 1, vcc
	v_lshlrev_b32_e32 v12, 2, v12
	v_cmp_gt_u32_e32 vcc, 62, v11
	v_add_lshl_u32 v24, v12, v10, 2
	v_ashrrev_i32_e32 v17, 31, v16
	v_cndmask_b32_e64 v12, 0, 1, vcc
	v_lshlrev_b32_e32 v12, 1, v12
	s_cselect_b64 s[26:27], -1, 0
	v_add_lshl_u32 v25, v12, v10, 2
	v_cmp_ne_u32_e32 vcc, 63, v11
	s_lshl_b64 s[14:15], s[2:3], 2
	v_lshl_add_u64 v[12:13], v[14:15], 1, s[20:21]
	v_lshl_add_u64 v[14:15], v[16:17], 1, s[20:21]
	v_add_u32_e32 v16, s19, v16
	v_lshlrev_b32_e32 v20, 2, v1
	v_addc_co_u32_e32 v10, vcc, 0, v10, vcc
	v_cmp_eq_u32_e64 s[8:9], 0, v1
	v_and_b32_e32 v1, 12, v9
	s_add_u32 s2, s33, s14
	v_ashrrev_i32_e32 v9, 31, v8
	v_ashrrev_i32_e32 v17, 31, v16
	v_cmp_ge_i32_e64 s[0:1], s16, v27
	v_cmp_ge_i32_e64 s[4:5], s16, v28
	v_cmp_gt_u32_e64 s[6:7], 64, v0
	v_lshlrev_b32_e32 v26, 2, v10
	v_cmp_gt_u32_e64 s[10:11], 4, v0
	v_cmp_eq_u32_e64 s[12:13], 0, v0
	s_addc_u32 s16, s44, s15
	v_lshl_add_u64 v[10:11], v[8:9], 1, s[20:21]
	v_lshl_add_u64 v[16:17], v[16:17], 1, s[20:21]
	s_mul_i32 s28, s25, s24
	v_mov_b32_e32 v9, 0
	s_branch .LBB603_70
.LBB603_69:                             ;   in Loop: Header=BB603_70 Depth=1
	s_or_b64 exec, exec, s[14:15]
	s_add_i32 s25, s25, 1
	s_add_i32 s28, s28, s24
	s_cmp_ge_i32 s25, s17
	s_cbranch_scc1 .LBB603_91
.LBB603_70:                             ; =>This Loop Header: Depth=1
                                        ;     Child Loop BB603_83 Depth 2
                                        ;     Child Loop BB603_86 Depth 2
	s_waitcnt lgkmcnt(0)
	v_mov_b32_e32 v0, s3
	s_and_saveexec_b64 s[14:15], s[0:1]
	s_xor_b64 s[14:15], exec, s[14:15]
	s_cbranch_execnz .LBB603_79
; %bb.71:                               ;   in Loop: Header=BB603_70 Depth=1
	s_andn2_saveexec_b64 s[30:31], s[14:15]
	s_cbranch_execnz .LBB603_80
.LBB603_72:                             ;   in Loop: Header=BB603_70 Depth=1
	s_or_b64 exec, exec, s[30:31]
	s_and_saveexec_b64 s[14:15], s[6:7]
	s_cbranch_execz .LBB603_74
.LBB603_73:                             ;   in Loop: Header=BB603_70 Depth=1
	ds_write_b32 v20, v9
.LBB603_74:                             ;   in Loop: Header=BB603_70 Depth=1
	s_or_b64 exec, exec, s[14:15]
	ds_bpermute_b32 v18, v21, v0
	s_waitcnt lgkmcnt(0)
	s_barrier
	v_add_f32_e32 v0, v0, v18
	ds_bpermute_b32 v18, v22, v0
	s_waitcnt lgkmcnt(0)
	v_add_f32_e32 v0, v0, v18
	ds_bpermute_b32 v18, v23, v0
	s_waitcnt lgkmcnt(0)
	;; [unrolled: 3-line block ×4, first 2 shown]
	v_add_f32_e32 v0, v0, v18
	ds_bpermute_b32 v18, v26, v0
	s_and_saveexec_b64 s[14:15], s[8:9]
	s_cbranch_execz .LBB603_76
; %bb.75:                               ;   in Loop: Header=BB603_70 Depth=1
	s_waitcnt lgkmcnt(0)
	v_add_f32_e32 v0, v0, v18
	ds_write_b32 v1, v0
.LBB603_76:                             ;   in Loop: Header=BB603_70 Depth=1
	s_or_b64 exec, exec, s[14:15]
	v_mov_b32_e32 v0, 0
	s_waitcnt lgkmcnt(0)
	s_barrier
	s_and_saveexec_b64 s[14:15], s[10:11]
	s_cbranch_execnz .LBB603_88
; %bb.77:                               ;   in Loop: Header=BB603_70 Depth=1
	s_or_b64 exec, exec, s[14:15]
	s_and_saveexec_b64 s[14:15], s[6:7]
	s_cbranch_execnz .LBB603_89
.LBB603_78:                             ;   in Loop: Header=BB603_70 Depth=1
	s_or_b64 exec, exec, s[14:15]
	s_and_saveexec_b64 s[14:15], s[12:13]
	s_cbranch_execz .LBB603_69
	s_branch .LBB603_90
.LBB603_79:                             ;   in Loop: Header=BB603_70 Depth=1
	s_mul_i32 s30, s25, s24
	s_ashr_i32 s31, s30, 31
	v_lshl_add_u64 v[2:3], s[30:31], 1, v[6:7]
	flat_load_ushort v0, v[10:11]
	flat_load_ushort v4, v[12:13]
	;; [unrolled: 1-line block ×4, first 2 shown]
	flat_load_dwordx2 v[18:19], v[2:3]
	s_waitcnt vmcnt(0) lgkmcnt(0)
	v_lshlrev_b32_e32 v2, 16, v0
	v_lshlrev_b32_e32 v3, 16, v4
	;; [unrolled: 1-line block ×4, first 2 shown]
	v_and_b32_e32 v29, 0xffff0000, v18
	v_lshlrev_b32_e32 v28, 16, v18
	v_and_b32_e32 v31, 0xffff0000, v19
	v_lshlrev_b32_e32 v30, 16, v19
	v_pk_mul_f32 v[18:19], v[2:3], v[28:29]
	s_nop 0
	v_add_f32_e32 v0, 0, v18
	v_add_f32_e32 v0, v0, v19
	v_pk_mul_f32 v[18:19], v[4:5], v[30:31]
	s_nop 0
	v_add_f32_e32 v0, v0, v18
	v_add_f32_e32 v0, v0, v19
	s_andn2_saveexec_b64 s[30:31], s[14:15]
	s_cbranch_execz .LBB603_72
.LBB603_80:                             ;   in Loop: Header=BB603_70 Depth=1
	s_and_saveexec_b64 s[34:35], s[4:5]
	s_cbranch_execz .LBB603_87
; %bb.81:                               ;   in Loop: Header=BB603_70 Depth=1
	v_cndmask_b32_e64 v18, 0, 1, s[26:27]
	v_cmp_ne_u32_e64 s[14:15], 1, v18
	s_andn2_b64 vcc, exec, s[26:27]
	s_cbranch_vccnz .LBB603_84
; %bb.82:                               ;   in Loop: Header=BB603_70 Depth=1
	s_mov_b64 s[36:37], 0
	v_mov_b32_e32 v18, v8
.LBB603_83:                             ;   Parent Loop BB603_70 Depth=1
                                        ; =>  This Inner Loop Header: Depth=2
	v_ashrrev_i32_e32 v19, 31, v18
	v_lshl_add_u64 v[28:29], v[18:19], 1, s[20:21]
	flat_load_ushort v19, v[28:29]
	s_cmp_eq_u32 s36, 3
	s_cselect_b64 vcc, -1, 0
	s_cmp_eq_u32 s36, 2
	v_add_u32_e32 v18, s19, v18
	s_waitcnt vmcnt(0) lgkmcnt(0)
	v_lshlrev_b32_e32 v19, 16, v19
	v_cndmask_b32_e32 v5, v5, v19, vcc
	s_cselect_b64 vcc, -1, 0
	s_cmp_eq_u32 s36, 1
	v_cndmask_b32_e32 v4, v4, v19, vcc
	s_cselect_b64 vcc, -1, 0
	s_cmp_eq_u32 s36, 0
	v_cndmask_b32_e32 v3, v3, v19, vcc
	s_cselect_b64 vcc, -1, 0
	s_add_u32 s36, s36, 1
	s_addc_u32 s37, s37, 0
	s_cmp_eq_u32 s23, s36
	v_cndmask_b32_e32 v2, v2, v19, vcc
	s_cbranch_scc0 .LBB603_83
.LBB603_84:                             ;   in Loop: Header=BB603_70 Depth=1
	s_and_b64 vcc, exec, s[14:15]
	s_cbranch_vccnz .LBB603_87
; %bb.85:                               ;   in Loop: Header=BB603_70 Depth=1
	s_ashr_i32 s29, s28, 31
	v_lshl_add_u64 v[18:19], s[28:29], 1, v[6:7]
	s_mov_b64 s[14:15], 0
.LBB603_86:                             ;   Parent Loop BB603_70 Depth=1
                                        ; =>  This Inner Loop Header: Depth=2
	flat_load_ushort v27, v[18:19]
	s_cmp_eq_u32 s14, 1
	s_cselect_b64 vcc, -1, 0
	s_cmp_eq_u32 s14, 2
	v_cndmask_b32_e32 v28, v2, v3, vcc
	s_cselect_b64 vcc, -1, 0
	s_cmp_eq_u32 s14, 3
	v_cndmask_b32_e32 v28, v28, v4, vcc
	s_cselect_b64 vcc, -1, 0
	s_add_u32 s14, s14, 1
	v_cndmask_b32_e32 v28, v28, v5, vcc
	s_addc_u32 s15, s15, 0
	v_lshl_add_u64 v[18:19], v[18:19], 0, 2
	s_cmp_lg_u32 s23, s14
	s_waitcnt vmcnt(0) lgkmcnt(0)
	v_lshlrev_b32_e32 v27, 16, v27
	v_fmac_f32_e32 v0, v28, v27
	s_cbranch_scc1 .LBB603_86
.LBB603_87:                             ;   in Loop: Header=BB603_70 Depth=1
	s_or_b64 exec, exec, s[34:35]
	s_or_b64 exec, exec, s[30:31]
	s_and_saveexec_b64 s[14:15], s[6:7]
	s_cbranch_execnz .LBB603_73
	s_branch .LBB603_74
.LBB603_88:                             ;   in Loop: Header=BB603_70 Depth=1
	ds_read_b32 v0, v20
	s_or_b64 exec, exec, s[14:15]
	s_and_saveexec_b64 s[14:15], s[6:7]
	s_cbranch_execz .LBB603_78
.LBB603_89:                             ;   in Loop: Header=BB603_70 Depth=1
	s_waitcnt lgkmcnt(0)
	ds_bpermute_b32 v18, v25, v0
	s_waitcnt lgkmcnt(0)
	v_add_f32_e32 v0, v0, v18
	ds_bpermute_b32 v18, v26, v0
	s_waitcnt lgkmcnt(0)
	v_add_f32_e32 v0, v0, v18
	s_or_b64 exec, exec, s[14:15]
	s_and_saveexec_b64 s[14:15], s[12:13]
	s_cbranch_execz .LBB603_69
.LBB603_90:                             ;   in Loop: Header=BB603_70 Depth=1
	s_mul_hi_u32 s31, s25, s22
	s_mul_i32 s30, s25, s22
	s_lshl_b64 s[30:31], s[30:31], 2
	s_add_u32 s30, s2, s30
	s_waitcnt lgkmcnt(0)
	v_mul_f32_e32 v0, s18, v0
	s_addc_u32 s31, s16, s31
	global_store_dword v9, v0, s[30:31]
	s_branch .LBB603_69
.LBB603_91:
	s_endpgm
	.section	.rodata,"a",@progbits
	.p2align	6, 0x0
	.amdhsa_kernel _ZL23rocblas_gemvt_sn_kernelILb0ELi256ELi4EiPK16rocblas_bfloat16ffEviiT4_lPKT3_lilS6_lilPT5_i
		.amdhsa_group_segment_fixed_size 256
		.amdhsa_private_segment_fixed_size 0
		.amdhsa_kernarg_size 360
		.amdhsa_user_sgpr_count 2
		.amdhsa_user_sgpr_dispatch_ptr 0
		.amdhsa_user_sgpr_queue_ptr 0
		.amdhsa_user_sgpr_kernarg_segment_ptr 1
		.amdhsa_user_sgpr_dispatch_id 0
		.amdhsa_user_sgpr_kernarg_preload_length 0
		.amdhsa_user_sgpr_kernarg_preload_offset 0
		.amdhsa_user_sgpr_private_segment_size 0
		.amdhsa_uses_dynamic_stack 0
		.amdhsa_enable_private_segment 0
		.amdhsa_system_sgpr_workgroup_id_x 1
		.amdhsa_system_sgpr_workgroup_id_y 0
		.amdhsa_system_sgpr_workgroup_id_z 1
		.amdhsa_system_sgpr_workgroup_info 0
		.amdhsa_system_vgpr_workitem_id 0
		.amdhsa_next_free_vgpr 60
		.amdhsa_next_free_sgpr 52
		.amdhsa_accum_offset 60
		.amdhsa_reserve_vcc 1
		.amdhsa_float_round_mode_32 0
		.amdhsa_float_round_mode_16_64 0
		.amdhsa_float_denorm_mode_32 3
		.amdhsa_float_denorm_mode_16_64 3
		.amdhsa_dx10_clamp 1
		.amdhsa_ieee_mode 1
		.amdhsa_fp16_overflow 0
		.amdhsa_tg_split 0
		.amdhsa_exception_fp_ieee_invalid_op 0
		.amdhsa_exception_fp_denorm_src 0
		.amdhsa_exception_fp_ieee_div_zero 0
		.amdhsa_exception_fp_ieee_overflow 0
		.amdhsa_exception_fp_ieee_underflow 0
		.amdhsa_exception_fp_ieee_inexact 0
		.amdhsa_exception_int_div_zero 0
	.end_amdhsa_kernel
	.section	.text._ZL23rocblas_gemvt_sn_kernelILb0ELi256ELi4EiPK16rocblas_bfloat16ffEviiT4_lPKT3_lilS6_lilPT5_i,"axG",@progbits,_ZL23rocblas_gemvt_sn_kernelILb0ELi256ELi4EiPK16rocblas_bfloat16ffEviiT4_lPKT3_lilS6_lilPT5_i,comdat
.Lfunc_end603:
	.size	_ZL23rocblas_gemvt_sn_kernelILb0ELi256ELi4EiPK16rocblas_bfloat16ffEviiT4_lPKT3_lilS6_lilPT5_i, .Lfunc_end603-_ZL23rocblas_gemvt_sn_kernelILb0ELi256ELi4EiPK16rocblas_bfloat16ffEviiT4_lPKT3_lilS6_lilPT5_i
                                        ; -- End function
	.section	.AMDGPU.csdata,"",@progbits
; Kernel info:
; codeLenInByte = 4016
; NumSgprs: 58
; NumVgprs: 60
; NumAgprs: 0
; TotalNumVgprs: 60
; ScratchSize: 0
; MemoryBound: 0
; FloatMode: 240
; IeeeMode: 1
; LDSByteSize: 256 bytes/workgroup (compile time only)
; SGPRBlocks: 7
; VGPRBlocks: 7
; NumSGPRsForWavesPerEU: 58
; NumVGPRsForWavesPerEU: 60
; AccumOffset: 60
; Occupancy: 8
; WaveLimiterHint : 0
; COMPUTE_PGM_RSRC2:SCRATCH_EN: 0
; COMPUTE_PGM_RSRC2:USER_SGPR: 2
; COMPUTE_PGM_RSRC2:TRAP_HANDLER: 0
; COMPUTE_PGM_RSRC2:TGID_X_EN: 1
; COMPUTE_PGM_RSRC2:TGID_Y_EN: 0
; COMPUTE_PGM_RSRC2:TGID_Z_EN: 1
; COMPUTE_PGM_RSRC2:TIDIG_COMP_CNT: 0
; COMPUTE_PGM_RSRC3_GFX90A:ACCUM_OFFSET: 14
; COMPUTE_PGM_RSRC3_GFX90A:TG_SPLIT: 0
	.section	.text._ZL23rocblas_gemvt_sn_kernelILb0ELi256ELi4ElPK16rocblas_bfloat16ffEviiT4_lPKT3_lilS6_lilPT5_i,"axG",@progbits,_ZL23rocblas_gemvt_sn_kernelILb0ELi256ELi4ElPK16rocblas_bfloat16ffEviiT4_lPKT3_lilS6_lilPT5_i,comdat
	.globl	_ZL23rocblas_gemvt_sn_kernelILb0ELi256ELi4ElPK16rocblas_bfloat16ffEviiT4_lPKT3_lilS6_lilPT5_i ; -- Begin function _ZL23rocblas_gemvt_sn_kernelILb0ELi256ELi4ElPK16rocblas_bfloat16ffEviiT4_lPKT3_lilS6_lilPT5_i
	.p2align	8
	.type	_ZL23rocblas_gemvt_sn_kernelILb0ELi256ELi4ElPK16rocblas_bfloat16ffEviiT4_lPKT3_lilS6_lilPT5_i,@function
_ZL23rocblas_gemvt_sn_kernelILb0ELi256ELi4ElPK16rocblas_bfloat16ffEviiT4_lPKT3_lilS6_lilPT5_i: ; @_ZL23rocblas_gemvt_sn_kernelILb0ELi256ELi4ElPK16rocblas_bfloat16ffEviiT4_lPKT3_lilS6_lilPT5_i
; %bb.0:
	s_load_dwordx4 s[16:19], s[0:1], 0x0
	s_mov_b32 s8, s3
	s_mov_b32 s9, 0
	s_waitcnt lgkmcnt(0)
	v_cmp_neq_f32_e64 s[4:5], s18, 0
	v_cmp_eq_f32_e64 s[6:7], s18, 0
	s_and_b64 vcc, exec, s[4:5]
	s_cbranch_vccnz .LBB604_2
; %bb.1:
	s_mov_b64 s[24:25], 0
	s_cbranch_execz .LBB604_3
	s_branch .LBB604_4
.LBB604_2:
                                        ; implicit-def: $sgpr24_sgpr25
.LBB604_3:
	s_load_dwordx4 s[12:15], s[0:1], 0x18
	s_lshl_b64 s[10:11], s[8:9], 3
	s_waitcnt lgkmcnt(0)
	s_add_u32 s10, s12, s10
	s_addc_u32 s11, s13, s11
	s_load_dwordx2 s[10:11], s[10:11], 0x0
	s_lshl_b64 s[12:13], s[14:15], 1
	s_waitcnt lgkmcnt(0)
	s_add_u32 s24, s10, s12
	s_addc_u32 s25, s11, s13
.LBB604_4:
	s_andn2_b64 vcc, exec, s[4:5]
	s_cbranch_vccnz .LBB604_6
; %bb.5:
	s_load_dwordx4 s[12:15], s[0:1], 0x38
	s_lshl_b64 s[4:5], s[8:9], 3
	s_waitcnt lgkmcnt(0)
	s_add_u32 s4, s12, s4
	s_addc_u32 s5, s13, s5
	s_load_dwordx2 s[4:5], s[4:5], 0x0
	s_lshl_b64 s[10:11], s[14:15], 1
	s_waitcnt lgkmcnt(0)
	s_add_u32 s26, s4, s10
	s_addc_u32 s27, s5, s11
	s_branch .LBB604_7
.LBB604_6:
	s_mov_b64 s[26:27], 0
.LBB604_7:
	s_load_dwordx2 s[4:5], s[0:1], 0x58
	s_load_dword s20, s[0:1], 0x68
	s_ashr_i32 s14, s17, 31
	s_mul_hi_u32 s3, s8, s17
	s_mul_i32 s10, s8, s14
	s_add_i32 s3, s3, s10
	s_mul_i32 s9, s9, s17
	s_add_i32 s9, s3, s9
	s_mul_i32 s8, s8, s17
	s_waitcnt lgkmcnt(0)
	s_mul_i32 s3, s9, s20
	s_mul_hi_u32 s10, s8, s20
	s_add_i32 s11, s10, s3
	s_mul_i32 s10, s8, s20
	s_lshl_b64 s[10:11], s[10:11], 2
	s_add_u32 s33, s4, s10
	s_mov_b32 s21, 0
	s_addc_u32 s50, s5, s11
	s_andn2_b64 vcc, exec, s[6:7]
	s_mov_b64 s[6:7], -1
	s_cbranch_vccnz .LBB604_17
; %bb.8:
	s_cmp_gt_i32 s17, 0
	v_cmp_eq_u32_e32 vcc, 0, v0
	s_cselect_b64 s[6:7], -1, 0
	s_and_b64 s[10:11], vcc, s[6:7]
	s_and_saveexec_b64 s[6:7], s[10:11]
	s_cbranch_execz .LBB604_16
; %bb.9:
	s_cmp_gt_u32 s17, 1
	s_cselect_b64 s[10:11], -1, 0
	s_cmp_eq_u32 s20, 1
	s_cselect_b64 s[22:23], -1, 0
	s_mov_b32 s3, 0
	s_and_b64 s[10:11], s[10:11], s[22:23]
	s_mov_b64 s[12:13], -1
	s_andn2_b64 vcc, exec, s[10:11]
	s_mov_b32 s10, s3
	s_cbranch_vccnz .LBB604_13
; %bb.10:
	s_lshl_b64 s[10:11], s[2:3], 2
	s_add_u32 s12, s33, s10
	s_addc_u32 s13, s50, s11
	s_and_b32 s10, s17, 0x7ffffffe
	v_mov_b32_e32 v2, 0
	v_mov_b32_e32 v3, v2
	s_mov_b32 s11, s10
.LBB604_11:                             ; =>This Inner Loop Header: Depth=1
	global_store_dwordx2 v2, v[2:3], s[12:13]
	s_add_u32 s12, s12, 8
	s_addc_u32 s13, s13, 0
	s_add_i32 s11, s11, -2
	s_cmp_lg_u32 s11, 0
	s_cbranch_scc1 .LBB604_11
; %bb.12:
	s_cmp_lg_u32 s10, s17
	s_cselect_b64 s[12:13], -1, 0
.LBB604_13:
	s_and_b64 vcc, exec, s[12:13]
	s_cbranch_vccz .LBB604_16
; %bb.14:
	s_mov_b32 s11, 0
	s_sub_i32 s12, s17, s10
	s_lshl_b64 s[8:9], s[8:9], 2
	s_lshl_b64 s[10:11], s[10:11], 2
	s_add_u32 s8, s8, s10
	s_addc_u32 s9, s9, s11
	s_mul_i32 s9, s9, s20
	s_mul_hi_u32 s10, s8, s20
	s_add_i32 s10, s10, s9
	s_mul_i32 s11, s8, s20
	s_lshl_b64 s[8:9], s[2:3], 2
	s_add_u32 s3, s11, s8
	s_addc_u32 s8, s10, s9
	s_add_u32 s4, s4, s3
	s_addc_u32 s5, s5, s8
	s_lshl_b64 s[8:9], s[20:21], 2
	v_mov_b32_e32 v1, 0
.LBB604_15:                             ; =>This Inner Loop Header: Depth=1
	s_add_i32 s12, s12, -1
	global_store_dword v1, v1, s[4:5]
	s_add_u32 s4, s4, s8
	s_addc_u32 s5, s5, s9
	s_cmp_eq_u32 s12, 0
	s_cbranch_scc0 .LBB604_15
.LBB604_16:
	s_or_b64 exec, exec, s[6:7]
	s_mov_b64 s[6:7], 0
.LBB604_17:
	s_andn2_b64 vcc, exec, s[6:7]
	s_cbranch_vccnz .LBB604_91
; %bb.18:
	s_load_dword s22, s[0:1], 0x28
	s_load_dword s28, s[0:1], 0x48
	s_lshl_b32 s0, s2, 10
	v_lshl_or_b32 v8, v0, 2, s0
	s_lshr_b32 s0, s14, 30
	s_add_i32 s0, s17, s0
	s_and_b32 s21, s0, -4
	s_ashr_i32 s0, s16, 31
	s_lshr_b32 s0, s0, 30
	s_add_i32 s0, s16, s0
	s_and_b32 s0, s0, -4
	s_waitcnt lgkmcnt(0)
	s_ashr_i32 s23, s22, 31
	s_ashr_i32 s29, s28, 31
	v_ashrrev_i32_e32 v9, 31, v8
	s_sub_i32 s19, s16, s0
	v_lshl_add_u64 v[6:7], v[8:9], 1, s[24:25]
	s_cmp_lt_i32 s21, 1
	v_add_u32_e32 v31, 4, v8
	v_add_u32_e32 v32, s19, v8
	v_and_b32_e32 v28, 63, v0
	v_cmp_gt_u32_e64 s[0:1], 64, v0
	v_mbcnt_lo_u32_b32 v30, -1, 0
	v_cmp_gt_u32_e64 s[4:5], 4, v0
	v_lshrrev_b32_e32 v29, 4, v0
	v_cmp_eq_u32_e64 s[6:7], 0, v0
	v_or_b32_e32 v27, 1, v8
	v_or_b32_e32 v26, 2, v8
	;; [unrolled: 1-line block ×3, first 2 shown]
	s_cbranch_scc1 .LBB604_66
; %bb.19:
	v_mbcnt_hi_u32_b32 v2, -1, v30
	v_and_b32_e32 v3, 63, v2
	v_cmp_gt_u32_e32 vcc, 32, v3
	s_mov_b32 s3, 0
	s_cmp_gt_i32 s19, 0
	v_cndmask_b32_e64 v4, 0, 1, vcc
	v_lshlrev_b32_e32 v4, 5, v4
	v_cmp_gt_u32_e32 vcc, 48, v3
	v_add_lshl_u32 v33, v4, v2, 2
	s_cselect_b64 s[30:31], -1, 0
	v_cndmask_b32_e64 v4, 0, 1, vcc
	v_lshlrev_b32_e32 v4, 4, v4
	v_cmp_gt_u32_e32 vcc, 56, v3
	v_add_lshl_u32 v34, v4, v2, 2
	s_lshl_b64 s[14:15], s[2:3], 2
	v_cndmask_b32_e64 v4, 0, 1, vcc
	v_lshlrev_b32_e32 v4, 3, v4
	v_cmp_gt_u32_e32 vcc, 60, v3
	v_add_lshl_u32 v35, v4, v2, 2
	s_add_u32 s51, s33, s14
	v_cndmask_b32_e64 v4, 0, 1, vcc
	v_lshlrev_b32_e32 v4, 2, v4
	v_cmp_gt_u32_e32 vcc, 62, v3
	v_add_lshl_u32 v36, v4, v2, 2
	s_addc_u32 s52, s50, s15
	v_cndmask_b32_e64 v4, 0, 1, vcc
	v_lshlrev_b32_e32 v4, 1, v4
	v_cmp_ne_u32_e32 vcc, 63, v3
	v_add_lshl_u32 v37, v4, v2, 2
	v_cmp_ge_i32_e64 s[8:9], s16, v31
	v_addc_co_u32_e32 v2, vcc, 0, v2, vcc
	v_lshlrev_b32_e32 v38, 2, v2
	v_mad_i64_i32 v[2:3], s[14:15], s28, v8, 0
	v_lshl_add_u64 v[10:11], v[2:3], 1, s[26:27]
	v_mad_i64_i32 v[2:3], s[14:15], s28, v27, 0
	v_lshl_add_u64 v[12:13], v[2:3], 1, s[26:27]
	;; [unrolled: 2-line block ×3, first 2 shown]
	v_mad_i64_i32 v[2:3], s[14:15], s28, v1, 0
	v_cmp_ge_i32_e64 s[10:11], s16, v32
	v_cmp_eq_u32_e64 s[12:13], 0, v28
	v_lshlrev_b32_e32 v39, 2, v28
	v_and_b32_e32 v40, 12, v29
	v_lshl_add_u64 v[16:17], v[2:3], 1, s[26:27]
	s_lshl_b64 s[34:35], s[28:29], 1
	s_mul_hi_i32 s37, s22, 6
	s_mul_i32 s36, s22, 6
	s_lshl_b64 s[38:39], s[22:23], 3
	s_lshl_b64 s[40:41], s[22:23], 2
	;; [unrolled: 1-line block ×3, first 2 shown]
	v_mov_b32_e32 v41, 0
	v_mov_b64_e32 v[18:19], v[6:7]
                                        ; implicit-def: $vgpr2_vgpr3_vgpr4_vgpr5
	s_branch .LBB604_21
.LBB604_20:                             ;   in Loop: Header=BB604_21 Depth=1
	s_or_b64 exec, exec, s[14:15]
	s_add_i32 s3, s3, 4
	s_cmp_ge_i32 s3, s21
	v_lshl_add_u64 v[18:19], v[18:19], 0, s[38:39]
	s_cbranch_scc1 .LBB604_67
.LBB604_21:                             ; =>This Loop Header: Depth=1
                                        ;     Child Loop BB604_52 Depth 2
                                        ;     Child Loop BB604_55 Depth 2
                                        ; implicit-def: $vgpr21
                                        ; implicit-def: $vgpr23
	s_and_saveexec_b64 s[14:15], s[8:9]
	s_xor_b64 s[14:15], exec, s[14:15]
	s_cbranch_execnz .LBB604_48
; %bb.22:                               ;   in Loop: Header=BB604_21 Depth=1
	s_andn2_saveexec_b64 s[44:45], s[14:15]
	s_cbranch_execnz .LBB604_49
.LBB604_23:                             ;   in Loop: Header=BB604_21 Depth=1
	s_or_b64 exec, exec, s[44:45]
	s_and_saveexec_b64 s[14:15], s[0:1]
	s_cbranch_execz .LBB604_25
.LBB604_24:                             ;   in Loop: Header=BB604_21 Depth=1
	ds_write_b32 v39, v41
.LBB604_25:                             ;   in Loop: Header=BB604_21 Depth=1
	s_or_b64 exec, exec, s[14:15]
	ds_bpermute_b32 v24, v33, v22
	s_waitcnt lgkmcnt(0)
	s_barrier
	v_add_f32_e32 v22, v22, v24
	ds_bpermute_b32 v24, v34, v22
	s_waitcnt lgkmcnt(0)
	v_add_f32_e32 v22, v22, v24
	ds_bpermute_b32 v24, v35, v22
	s_waitcnt lgkmcnt(0)
	;; [unrolled: 3-line block ×4, first 2 shown]
	v_add_f32_e32 v22, v22, v24
	ds_bpermute_b32 v24, v38, v22
	s_and_saveexec_b64 s[14:15], s[12:13]
	s_cbranch_execz .LBB604_27
; %bb.26:                               ;   in Loop: Header=BB604_21 Depth=1
	s_waitcnt lgkmcnt(0)
	v_add_f32_e32 v22, v22, v24
	ds_write_b32 v40, v22
.LBB604_27:                             ;   in Loop: Header=BB604_21 Depth=1
	s_or_b64 exec, exec, s[14:15]
	v_mov_b32_e32 v22, 0
	s_waitcnt lgkmcnt(0)
	s_barrier
	s_and_saveexec_b64 s[14:15], s[4:5]
	s_cbranch_execnz .LBB604_57
; %bb.28:                               ;   in Loop: Header=BB604_21 Depth=1
	s_or_b64 exec, exec, s[14:15]
	s_and_saveexec_b64 s[14:15], s[0:1]
	s_cbranch_execnz .LBB604_58
.LBB604_29:                             ;   in Loop: Header=BB604_21 Depth=1
	s_or_b64 exec, exec, s[14:15]
	s_and_saveexec_b64 s[14:15], s[0:1]
	s_cbranch_execz .LBB604_31
.LBB604_30:                             ;   in Loop: Header=BB604_21 Depth=1
	ds_write_b32 v39, v41
.LBB604_31:                             ;   in Loop: Header=BB604_21 Depth=1
	s_or_b64 exec, exec, s[14:15]
	ds_bpermute_b32 v24, v33, v23
	s_waitcnt lgkmcnt(0)
	s_barrier
	v_add_f32_e32 v23, v23, v24
	ds_bpermute_b32 v24, v34, v23
	s_waitcnt lgkmcnt(0)
	v_add_f32_e32 v23, v23, v24
	ds_bpermute_b32 v24, v35, v23
	s_waitcnt lgkmcnt(0)
	;; [unrolled: 3-line block ×4, first 2 shown]
	v_add_f32_e32 v23, v23, v24
	ds_bpermute_b32 v24, v38, v23
	s_and_saveexec_b64 s[14:15], s[12:13]
	s_cbranch_execz .LBB604_33
; %bb.32:                               ;   in Loop: Header=BB604_21 Depth=1
	s_waitcnt lgkmcnt(0)
	v_add_f32_e32 v23, v23, v24
	ds_write_b32 v40, v23
.LBB604_33:                             ;   in Loop: Header=BB604_21 Depth=1
	s_or_b64 exec, exec, s[14:15]
	v_mov_b32_e32 v23, 0
	s_waitcnt lgkmcnt(0)
	s_barrier
	s_and_saveexec_b64 s[14:15], s[4:5]
	s_cbranch_execnz .LBB604_59
; %bb.34:                               ;   in Loop: Header=BB604_21 Depth=1
	s_or_b64 exec, exec, s[14:15]
	s_and_saveexec_b64 s[14:15], s[0:1]
	s_cbranch_execnz .LBB604_60
.LBB604_35:                             ;   in Loop: Header=BB604_21 Depth=1
	s_or_b64 exec, exec, s[14:15]
	s_and_saveexec_b64 s[14:15], s[0:1]
	s_cbranch_execz .LBB604_37
.LBB604_36:                             ;   in Loop: Header=BB604_21 Depth=1
	ds_write_b32 v39, v41
.LBB604_37:                             ;   in Loop: Header=BB604_21 Depth=1
	s_or_b64 exec, exec, s[14:15]
	ds_bpermute_b32 v24, v33, v20
	s_waitcnt lgkmcnt(0)
	s_barrier
	v_add_f32_e32 v20, v20, v24
	ds_bpermute_b32 v24, v34, v20
	s_waitcnt lgkmcnt(0)
	v_add_f32_e32 v20, v20, v24
	ds_bpermute_b32 v24, v35, v20
	s_waitcnt lgkmcnt(0)
	v_add_f32_e32 v20, v20, v24
	ds_bpermute_b32 v24, v36, v20
	s_waitcnt lgkmcnt(0)
	v_add_f32_e32 v20, v20, v24
	ds_bpermute_b32 v24, v37, v20
	s_waitcnt lgkmcnt(0)
	v_add_f32_e32 v20, v20, v24
	ds_bpermute_b32 v24, v38, v20
	s_and_saveexec_b64 s[14:15], s[12:13]
	s_cbranch_execz .LBB604_39
; %bb.38:                               ;   in Loop: Header=BB604_21 Depth=1
	s_waitcnt lgkmcnt(0)
	v_add_f32_e32 v20, v20, v24
	ds_write_b32 v40, v20
.LBB604_39:                             ;   in Loop: Header=BB604_21 Depth=1
	s_or_b64 exec, exec, s[14:15]
	v_mov_b32_e32 v20, 0
	s_waitcnt lgkmcnt(0)
	s_barrier
	s_and_saveexec_b64 s[14:15], s[4:5]
	s_cbranch_execnz .LBB604_61
; %bb.40:                               ;   in Loop: Header=BB604_21 Depth=1
	s_or_b64 exec, exec, s[14:15]
	s_and_saveexec_b64 s[14:15], s[0:1]
	s_cbranch_execnz .LBB604_62
.LBB604_41:                             ;   in Loop: Header=BB604_21 Depth=1
	s_or_b64 exec, exec, s[14:15]
	s_and_saveexec_b64 s[14:15], s[0:1]
	s_cbranch_execz .LBB604_43
.LBB604_42:                             ;   in Loop: Header=BB604_21 Depth=1
	ds_write_b32 v39, v41
.LBB604_43:                             ;   in Loop: Header=BB604_21 Depth=1
	s_or_b64 exec, exec, s[14:15]
	ds_bpermute_b32 v24, v33, v21
	s_waitcnt lgkmcnt(0)
	s_barrier
	v_add_f32_e32 v21, v21, v24
	ds_bpermute_b32 v24, v34, v21
	s_waitcnt lgkmcnt(0)
	v_add_f32_e32 v21, v21, v24
	ds_bpermute_b32 v24, v35, v21
	s_waitcnt lgkmcnt(0)
	;; [unrolled: 3-line block ×4, first 2 shown]
	v_add_f32_e32 v21, v21, v24
	ds_bpermute_b32 v24, v38, v21
	s_and_saveexec_b64 s[14:15], s[12:13]
	s_cbranch_execz .LBB604_45
; %bb.44:                               ;   in Loop: Header=BB604_21 Depth=1
	s_waitcnt lgkmcnt(0)
	v_add_f32_e32 v21, v21, v24
	ds_write_b32 v40, v21
.LBB604_45:                             ;   in Loop: Header=BB604_21 Depth=1
	s_or_b64 exec, exec, s[14:15]
	v_mov_b32_e32 v21, 0
	s_waitcnt lgkmcnt(0)
	s_barrier
	s_and_saveexec_b64 s[14:15], s[4:5]
	s_cbranch_execnz .LBB604_63
; %bb.46:                               ;   in Loop: Header=BB604_21 Depth=1
	s_or_b64 exec, exec, s[14:15]
	s_and_saveexec_b64 s[14:15], s[0:1]
	s_cbranch_execnz .LBB604_64
.LBB604_47:                             ;   in Loop: Header=BB604_21 Depth=1
	s_or_b64 exec, exec, s[14:15]
	s_and_saveexec_b64 s[14:15], s[6:7]
	s_cbranch_execz .LBB604_20
	s_branch .LBB604_65
.LBB604_48:                             ;   in Loop: Header=BB604_21 Depth=1
	s_mul_i32 s44, s3, s23
	s_mul_hi_u32 s45, s3, s22
	s_add_i32 s45, s45, s44
	s_mul_i32 s44, s3, s22
	v_lshl_add_u64 v[2:3], s[44:45], 1, v[6:7]
	s_or_b32 s44, s3, 2
	s_mul_i32 s45, s44, s23
	s_mul_hi_u32 s47, s44, s22
	s_add_i32 s45, s47, s45
	s_mul_i32 s44, s44, s22
	s_waitcnt lgkmcnt(0)
	flat_load_dwordx2 v[20:21], v[2:3]
	v_lshl_add_u64 v[2:3], s[44:45], 1, v[6:7]
	s_or_b32 s44, s3, 3
	s_mul_i32 s45, s44, s23
	s_mul_hi_u32 s47, s44, s22
	s_or_b32 s46, s3, 1
	s_add_i32 s45, s47, s45
	s_mul_i32 s44, s44, s22
	flat_load_ushort v4, v[10:11]
	flat_load_ushort v5, v[12:13]
	;; [unrolled: 1-line block ×4, first 2 shown]
	flat_load_dwordx2 v[22:23], v[2:3]
	v_lshl_add_u64 v[2:3], s[44:45], 1, v[6:7]
	s_mul_i32 s44, s46, s23
	s_mul_hi_u32 s45, s46, s22
	flat_load_dwordx2 v[24:25], v[2:3]
	s_add_i32 s45, s45, s44
	s_mul_i32 s44, s46, s22
	v_lshl_add_u64 v[2:3], s[44:45], 1, v[6:7]
	flat_load_dwordx2 v[42:43], v[2:3]
	s_waitcnt vmcnt(0) lgkmcnt(0)
	v_lshlrev_b32_e32 v54, 16, v20
	v_and_b32_e32 v20, 0xffff0000, v20
	v_lshlrev_b32_e32 v56, 16, v21
	v_and_b32_e32 v58, 0xffff0000, v21
	v_lshlrev_b32_e32 v2, 16, v4
	v_lshlrev_b32_e32 v45, 16, v5
	;; [unrolled: 1-line block ×6, first 2 shown]
	v_and_b32_e32 v23, 0xffff0000, v23
	v_and_b32_e32 v53, 0xffff0000, v22
	v_and_b32_e32 v3, 0xffff0000, v24
	v_lshlrev_b32_e32 v44, 16, v24
	v_and_b32_e32 v47, 0xffff0000, v25
	v_lshlrev_b32_e32 v48, 16, v25
	v_pk_mul_f32 v[24:25], v[44:45], v[2:3]
	v_lshlrev_b32_e32 v55, 16, v42
	v_mul_f32_e32 v22, v2, v51
	v_mov_b32_e32 v3, v45
	v_mul_f32_e32 v44, v46, v60
	v_pk_mul_f32 v[60:61], v[48:49], v[46:47]
	v_mul_f32_e32 v48, v49, v23
	v_mov_b32_e32 v23, v24
	v_mov_b32_e32 v50, v45
	v_and_b32_e32 v21, 0xffff0000, v42
	v_lshlrev_b32_e32 v57, 16, v43
	v_and_b32_e32 v59, 0xffff0000, v43
	v_mul_f32_e32 v42, v45, v53
	v_mov_b32_e32 v43, v25
	v_pk_fma_f32 v[24:25], v[2:3], v[54:55], 0 op_sel_hi:[0,1,0]
	v_pk_add_f32 v[22:23], v[22:23], 0 op_sel_hi:[1,0]
	v_mov_b32_e32 v45, v60
	v_pk_fma_f32 v[20:21], v[50:51], v[20:21], v[24:25] op_sel_hi:[0,1,1]
	v_pk_add_f32 v[22:23], v[22:23], v[42:43]
	v_mov_b32_e32 v5, v49
	v_mov_b32_e32 v52, v49
	;; [unrolled: 1-line block ×3, first 2 shown]
	v_pk_fma_f32 v[24:25], v[46:47], v[56:57], v[20:21] op_sel_hi:[0,1,1]
	v_pk_add_f32 v[20:21], v[22:23], v[44:45]
	v_mov_b32_e32 v4, v46
	v_pk_add_f32 v[20:21], v[20:21], v[48:49]
	v_pk_fma_f32 v[22:23], v[52:53], v[58:59], v[24:25] op_sel_hi:[0,1,1]
	s_andn2_saveexec_b64 s[44:45], s[14:15]
	s_cbranch_execz .LBB604_23
.LBB604_49:                             ;   in Loop: Header=BB604_21 Depth=1
	s_waitcnt lgkmcnt(0)
	v_mov_b32_e32 v21, 0
	v_mov_b32_e32 v20, 0
	;; [unrolled: 1-line block ×4, first 2 shown]
	s_and_saveexec_b64 s[46:47], s[10:11]
	s_cbranch_execz .LBB604_56
; %bb.50:                               ;   in Loop: Header=BB604_21 Depth=1
	v_cndmask_b32_e64 v20, 0, 1, s[30:31]
	v_cmp_ne_u32_e64 s[14:15], 1, v20
	s_andn2_b64 vcc, exec, s[30:31]
	s_cbranch_vccnz .LBB604_53
; %bb.51:                               ;   in Loop: Header=BB604_21 Depth=1
	s_mov_b64 s[48:49], 0
	v_mov_b64_e32 v[20:21], v[10:11]
.LBB604_52:                             ;   Parent Loop BB604_21 Depth=1
                                        ; =>  This Inner Loop Header: Depth=2
	flat_load_ushort v22, v[20:21]
	s_cmp_eq_u32 s48, 3
	s_cselect_b64 vcc, -1, 0
	s_cmp_eq_u32 s48, 2
	v_lshl_add_u64 v[20:21], v[20:21], 0, s[34:35]
	s_waitcnt vmcnt(0) lgkmcnt(0)
	v_lshlrev_b32_e32 v22, 16, v22
	v_cndmask_b32_e32 v5, v5, v22, vcc
	s_cselect_b64 vcc, -1, 0
	s_cmp_eq_u32 s48, 1
	v_cndmask_b32_e32 v4, v4, v22, vcc
	s_cselect_b64 vcc, -1, 0
	s_cmp_eq_u32 s48, 0
	v_cndmask_b32_e32 v3, v3, v22, vcc
	s_cselect_b64 vcc, -1, 0
	s_add_u32 s48, s48, 1
	s_addc_u32 s49, s49, 0
	s_cmp_eq_u32 s19, s48
	v_cndmask_b32_e32 v2, v2, v22, vcc
	s_cbranch_scc0 .LBB604_52
.LBB604_53:                             ;   in Loop: Header=BB604_21 Depth=1
	v_mov_b32_e32 v21, 0
	s_and_b64 vcc, exec, s[14:15]
	v_mov_b32_e32 v20, v21
	v_mov_b32_e32 v23, v21
	;; [unrolled: 1-line block ×3, first 2 shown]
	s_cbranch_vccnz .LBB604_56
; %bb.54:                               ;   in Loop: Header=BB604_21 Depth=1
	v_mov_b32_e32 v22, 0
	s_mov_b64 s[14:15], 0
	v_mov_b64_e32 v[24:25], v[18:19]
	v_mov_b32_e32 v23, v22
	v_mov_b32_e32 v20, v22
	;; [unrolled: 1-line block ×3, first 2 shown]
.LBB604_55:                             ;   Parent Loop BB604_21 Depth=1
                                        ; =>  This Inner Loop Header: Depth=2
	v_lshl_add_u64 v[42:43], v[24:25], 0, s[42:43]
	v_lshl_add_u64 v[46:47], v[24:25], 0, s[36:37]
	;; [unrolled: 1-line block ×3, first 2 shown]
	flat_load_ushort v48, v[24:25]
	s_nop 0
	flat_load_ushort v43, v[42:43]
	s_nop 0
	;; [unrolled: 2-line block ×3, first 2 shown]
	flat_load_ushort v49, v[44:45]
	s_cmp_eq_u32 s14, 1
	s_cselect_b64 vcc, -1, 0
	s_cmp_eq_u32 s14, 2
	v_cndmask_b32_e32 v42, v2, v3, vcc
	s_cselect_b64 vcc, -1, 0
	s_cmp_eq_u32 s14, 3
	v_cndmask_b32_e32 v42, v42, v4, vcc
	s_cselect_b64 vcc, -1, 0
	s_add_u32 s14, s14, 1
	v_cndmask_b32_e32 v42, v42, v5, vcc
	s_addc_u32 s15, s15, 0
	v_lshl_add_u64 v[24:25], v[24:25], 0, 2
	s_cmp_lg_u32 s19, s14
	s_waitcnt vmcnt(0) lgkmcnt(0)
	v_lshlrev_b32_e32 v44, 16, v48
	v_lshlrev_b32_e32 v45, 16, v43
	;; [unrolled: 1-line block ×4, first 2 shown]
	v_pk_fma_f32 v[22:23], v[42:43], v[44:45], v[22:23] op_sel_hi:[0,1,1]
	v_pk_fma_f32 v[20:21], v[42:43], v[46:47], v[20:21] op_sel_hi:[0,1,1]
	s_cbranch_scc1 .LBB604_55
.LBB604_56:                             ;   in Loop: Header=BB604_21 Depth=1
	s_or_b64 exec, exec, s[46:47]
	s_or_b64 exec, exec, s[44:45]
	s_and_saveexec_b64 s[14:15], s[0:1]
	s_cbranch_execnz .LBB604_24
	s_branch .LBB604_25
.LBB604_57:                             ;   in Loop: Header=BB604_21 Depth=1
	ds_read_b32 v22, v39
	s_or_b64 exec, exec, s[14:15]
	s_and_saveexec_b64 s[14:15], s[0:1]
	s_cbranch_execz .LBB604_29
.LBB604_58:                             ;   in Loop: Header=BB604_21 Depth=1
	s_waitcnt lgkmcnt(0)
	ds_bpermute_b32 v24, v37, v22
	s_waitcnt lgkmcnt(0)
	v_add_f32_e32 v22, v22, v24
	ds_bpermute_b32 v24, v38, v22
	s_waitcnt lgkmcnt(0)
	v_add_f32_e32 v22, v22, v24
	s_or_b64 exec, exec, s[14:15]
	s_and_saveexec_b64 s[14:15], s[0:1]
	s_cbranch_execnz .LBB604_30
	s_branch .LBB604_31
.LBB604_59:                             ;   in Loop: Header=BB604_21 Depth=1
	ds_read_b32 v23, v39
	s_or_b64 exec, exec, s[14:15]
	s_and_saveexec_b64 s[14:15], s[0:1]
	s_cbranch_execz .LBB604_35
.LBB604_60:                             ;   in Loop: Header=BB604_21 Depth=1
	s_waitcnt lgkmcnt(0)
	ds_bpermute_b32 v24, v37, v23
	s_waitcnt lgkmcnt(0)
	v_add_f32_e32 v23, v23, v24
	ds_bpermute_b32 v24, v38, v23
	s_waitcnt lgkmcnt(0)
	v_add_f32_e32 v23, v23, v24
	s_or_b64 exec, exec, s[14:15]
	s_and_saveexec_b64 s[14:15], s[0:1]
	s_cbranch_execnz .LBB604_36
	s_branch .LBB604_37
.LBB604_61:                             ;   in Loop: Header=BB604_21 Depth=1
	ds_read_b32 v20, v39
	s_or_b64 exec, exec, s[14:15]
	s_and_saveexec_b64 s[14:15], s[0:1]
	s_cbranch_execz .LBB604_41
.LBB604_62:                             ;   in Loop: Header=BB604_21 Depth=1
	s_waitcnt lgkmcnt(0)
	ds_bpermute_b32 v24, v37, v20
	s_waitcnt lgkmcnt(0)
	v_add_f32_e32 v20, v20, v24
	ds_bpermute_b32 v24, v38, v20
	s_waitcnt lgkmcnt(0)
	v_add_f32_e32 v20, v20, v24
	s_or_b64 exec, exec, s[14:15]
	s_and_saveexec_b64 s[14:15], s[0:1]
	s_cbranch_execnz .LBB604_42
	s_branch .LBB604_43
.LBB604_63:                             ;   in Loop: Header=BB604_21 Depth=1
	ds_read_b32 v21, v39
	s_or_b64 exec, exec, s[14:15]
	s_and_saveexec_b64 s[14:15], s[0:1]
	s_cbranch_execz .LBB604_47
.LBB604_64:                             ;   in Loop: Header=BB604_21 Depth=1
	s_waitcnt lgkmcnt(0)
	ds_bpermute_b32 v24, v37, v21
	s_waitcnt lgkmcnt(0)
	v_add_f32_e32 v21, v21, v24
	ds_bpermute_b32 v24, v38, v21
	s_waitcnt lgkmcnt(0)
	v_add_f32_e32 v21, v21, v24
	s_or_b64 exec, exec, s[14:15]
	s_and_saveexec_b64 s[14:15], s[6:7]
	s_cbranch_execz .LBB604_20
.LBB604_65:                             ;   in Loop: Header=BB604_21 Depth=1
	s_mul_hi_u32 s45, s3, s20
	s_mul_i32 s44, s3, s20
	s_lshl_b64 s[44:45], s[44:45], 2
	s_add_u32 s44, s51, s44
	v_mul_f32_e32 v22, s18, v22
	s_addc_u32 s45, s52, s45
	global_store_dword v41, v22, s[44:45]
	s_or_b32 s44, s3, 1
	s_mul_hi_u32 s45, s44, s20
	s_mul_i32 s44, s44, s20
	s_lshl_b64 s[44:45], s[44:45], 2
	s_add_u32 s44, s51, s44
	v_mul_f32_e32 v22, s18, v23
	s_addc_u32 s45, s52, s45
	global_store_dword v41, v22, s[44:45]
	s_or_b32 s44, s3, 2
	;; [unrolled: 8-line block ×3, first 2 shown]
	s_mul_hi_u32 s45, s44, s20
	s_mul_i32 s44, s44, s20
	s_lshl_b64 s[44:45], s[44:45], 2
	s_add_u32 s44, s51, s44
	s_waitcnt lgkmcnt(0)
	v_mul_f32_e32 v20, s18, v21
	s_addc_u32 s45, s52, s45
	global_store_dword v41, v20, s[44:45]
	s_branch .LBB604_20
.LBB604_66:
	s_mov_b32 s3, 0
                                        ; implicit-def: $vgpr2_vgpr3_vgpr4_vgpr5
.LBB604_67:
	s_cmp_ge_i32 s3, s17
	s_cbranch_scc1 .LBB604_91
; %bb.68:
	v_mbcnt_hi_u32_b32 v10, -1, v30
	v_and_b32_e32 v11, 63, v10
	v_cmp_gt_u32_e32 vcc, 32, v11
	s_mov_b32 s31, 0
	s_cmp_gt_i32 s19, 0
	v_cndmask_b32_e64 v12, 0, 1, vcc
	v_lshlrev_b32_e32 v12, 5, v12
	v_cmp_gt_u32_e32 vcc, 48, v11
	s_waitcnt lgkmcnt(0)
	v_add_lshl_u32 v21, v12, v10, 2
	s_mov_b32 s30, s2
	v_cndmask_b32_e64 v12, 0, 1, vcc
	v_lshlrev_b32_e32 v12, 4, v12
	v_cmp_gt_u32_e32 vcc, 56, v11
	v_add_lshl_u32 v22, v12, v10, 2
	s_cselect_b64 s[34:35], -1, 0
	v_cndmask_b32_e64 v12, 0, 1, vcc
	v_lshlrev_b32_e32 v12, 3, v12
	v_cmp_gt_u32_e32 vcc, 60, v11
	v_add_lshl_u32 v23, v12, v10, 2
	s_lshl_b64 s[14:15], s[30:31], 2
	v_cndmask_b32_e64 v12, 0, 1, vcc
	v_lshlrev_b32_e32 v12, 2, v12
	v_cmp_gt_u32_e32 vcc, 62, v11
	v_add_lshl_u32 v24, v12, v10, 2
	s_add_u32 s2, s33, s14
	v_cndmask_b32_e64 v12, 0, 1, vcc
	v_lshlrev_b32_e32 v12, 1, v12
	v_cmp_ne_u32_e32 vcc, 63, v11
	v_add_lshl_u32 v25, v12, v10, 2
	v_cmp_ge_i32_e64 s[0:1], s16, v31
	v_addc_co_u32_e32 v10, vcc, 0, v10, vcc
	v_cmp_ge_i32_e64 s[4:5], s16, v32
	v_cmp_gt_u32_e64 s[6:7], 64, v0
	v_lshlrev_b32_e32 v30, 2, v10
	v_cmp_gt_u32_e64 s[10:11], 4, v0
	v_cmp_eq_u32_e64 s[12:13], 0, v0
	s_addc_u32 s16, s50, s15
	v_mad_i64_i32 v[10:11], s[14:15], s28, v8, 0
	v_mad_i64_i32 v[12:13], s[14:15], s28, v27, 0
	;; [unrolled: 1-line block ×4, first 2 shown]
	s_mul_i32 s14, s23, s3
	s_mul_hi_u32 s15, s22, s3
	s_add_i32 s15, s15, s14
	s_mul_i32 s14, s22, s3
	v_lshl_add_u64 v[10:11], v[10:11], 1, s[26:27]
	v_lshl_add_u64 v[12:13], v[12:13], 1, s[26:27]
	;; [unrolled: 1-line block ×4, first 2 shown]
	s_lshl_b64 s[26:27], s[28:29], 1
	s_lshl_b64 s[14:15], s[14:15], 1
	s_add_u32 s14, s24, s14
	s_addc_u32 s15, s25, s15
	v_lshlrev_b32_e32 v20, 2, v28
	v_cmp_eq_u32_e64 s[8:9], 0, v28
	v_and_b32_e32 v28, 12, v29
	v_lshl_add_u64 v[8:9], v[8:9], 1, s[14:15]
	s_lshl_b64 s[24:25], s[22:23], 1
	v_mov_b32_e32 v1, 0
	s_branch .LBB604_70
.LBB604_69:                             ;   in Loop: Header=BB604_70 Depth=1
	s_or_b64 exec, exec, s[14:15]
	s_add_i32 s3, s3, 1
	s_cmp_ge_i32 s3, s17
	v_lshl_add_u64 v[8:9], v[8:9], 0, s[24:25]
	s_cbranch_scc1 .LBB604_91
.LBB604_70:                             ; =>This Loop Header: Depth=1
                                        ;     Child Loop BB604_83 Depth 2
                                        ;     Child Loop BB604_86 Depth 2
	s_waitcnt lgkmcnt(0)
	v_mov_b32_e32 v0, s31
	s_and_saveexec_b64 s[14:15], s[0:1]
	s_xor_b64 s[14:15], exec, s[14:15]
	s_cbranch_execnz .LBB604_79
; %bb.71:                               ;   in Loop: Header=BB604_70 Depth=1
	s_andn2_saveexec_b64 s[28:29], s[14:15]
	s_cbranch_execnz .LBB604_80
.LBB604_72:                             ;   in Loop: Header=BB604_70 Depth=1
	s_or_b64 exec, exec, s[28:29]
	s_and_saveexec_b64 s[14:15], s[6:7]
	s_cbranch_execz .LBB604_74
.LBB604_73:                             ;   in Loop: Header=BB604_70 Depth=1
	ds_write_b32 v20, v1
.LBB604_74:                             ;   in Loop: Header=BB604_70 Depth=1
	s_or_b64 exec, exec, s[14:15]
	ds_bpermute_b32 v18, v21, v0
	s_waitcnt lgkmcnt(0)
	s_barrier
	v_add_f32_e32 v0, v0, v18
	ds_bpermute_b32 v18, v22, v0
	s_waitcnt lgkmcnt(0)
	v_add_f32_e32 v0, v0, v18
	ds_bpermute_b32 v18, v23, v0
	s_waitcnt lgkmcnt(0)
	;; [unrolled: 3-line block ×4, first 2 shown]
	v_add_f32_e32 v0, v0, v18
	ds_bpermute_b32 v18, v30, v0
	s_and_saveexec_b64 s[14:15], s[8:9]
	s_cbranch_execz .LBB604_76
; %bb.75:                               ;   in Loop: Header=BB604_70 Depth=1
	s_waitcnt lgkmcnt(0)
	v_add_f32_e32 v0, v0, v18
	ds_write_b32 v28, v0
.LBB604_76:                             ;   in Loop: Header=BB604_70 Depth=1
	s_or_b64 exec, exec, s[14:15]
	v_mov_b32_e32 v0, 0
	s_waitcnt lgkmcnt(0)
	s_barrier
	s_and_saveexec_b64 s[14:15], s[10:11]
	s_cbranch_execnz .LBB604_88
; %bb.77:                               ;   in Loop: Header=BB604_70 Depth=1
	s_or_b64 exec, exec, s[14:15]
	s_and_saveexec_b64 s[14:15], s[6:7]
	s_cbranch_execnz .LBB604_89
.LBB604_78:                             ;   in Loop: Header=BB604_70 Depth=1
	s_or_b64 exec, exec, s[14:15]
	s_and_saveexec_b64 s[14:15], s[12:13]
	s_cbranch_execz .LBB604_69
	s_branch .LBB604_90
.LBB604_79:                             ;   in Loop: Header=BB604_70 Depth=1
	s_mul_i32 s21, s3, s23
	s_mul_hi_u32 s28, s3, s22
	s_add_i32 s29, s28, s21
	s_mul_i32 s28, s3, s22
	v_lshl_add_u64 v[2:3], s[28:29], 1, v[6:7]
	flat_load_ushort v0, v[12:13]
	flat_load_ushort v4, v[14:15]
	;; [unrolled: 1-line block ×4, first 2 shown]
	flat_load_dwordx2 v[18:19], v[2:3]
	s_waitcnt vmcnt(0) lgkmcnt(0)
	v_lshlrev_b32_e32 v3, 16, v0
	v_lshlrev_b32_e32 v4, 16, v4
	v_lshlrev_b32_e32 v2, 16, v5
	v_lshlrev_b32_e32 v5, 16, v26
	v_and_b32_e32 v27, 0xffff0000, v18
	v_lshlrev_b32_e32 v26, 16, v18
	v_and_b32_e32 v33, 0xffff0000, v19
	v_lshlrev_b32_e32 v32, 16, v19
	v_pk_mul_f32 v[18:19], v[2:3], v[26:27]
	s_nop 0
	v_add_f32_e32 v0, 0, v18
	v_add_f32_e32 v0, v0, v19
	v_pk_mul_f32 v[18:19], v[4:5], v[32:33]
	s_nop 0
	v_add_f32_e32 v0, v0, v18
	v_add_f32_e32 v0, v0, v19
	s_andn2_saveexec_b64 s[28:29], s[14:15]
	s_cbranch_execz .LBB604_72
.LBB604_80:                             ;   in Loop: Header=BB604_70 Depth=1
	s_and_saveexec_b64 s[36:37], s[4:5]
	s_cbranch_execz .LBB604_87
; %bb.81:                               ;   in Loop: Header=BB604_70 Depth=1
	v_cndmask_b32_e64 v18, 0, 1, s[34:35]
	v_cmp_ne_u32_e64 s[14:15], 1, v18
	s_andn2_b64 vcc, exec, s[34:35]
	s_cbranch_vccnz .LBB604_84
; %bb.82:                               ;   in Loop: Header=BB604_70 Depth=1
	s_mov_b64 s[38:39], 0
	v_mov_b64_e32 v[18:19], v[10:11]
.LBB604_83:                             ;   Parent Loop BB604_70 Depth=1
                                        ; =>  This Inner Loop Header: Depth=2
	flat_load_ushort v26, v[18:19]
	s_cmp_eq_u32 s38, 3
	s_cselect_b64 vcc, -1, 0
	s_cmp_eq_u32 s38, 2
	v_lshl_add_u64 v[18:19], v[18:19], 0, s[26:27]
	s_waitcnt vmcnt(0) lgkmcnt(0)
	v_lshlrev_b32_e32 v26, 16, v26
	v_cndmask_b32_e32 v5, v5, v26, vcc
	s_cselect_b64 vcc, -1, 0
	s_cmp_eq_u32 s38, 1
	v_cndmask_b32_e32 v4, v4, v26, vcc
	s_cselect_b64 vcc, -1, 0
	s_cmp_eq_u32 s38, 0
	v_cndmask_b32_e32 v3, v3, v26, vcc
	s_cselect_b64 vcc, -1, 0
	s_add_u32 s38, s38, 1
	s_addc_u32 s39, s39, 0
	s_cmp_eq_u32 s19, s38
	v_cndmask_b32_e32 v2, v2, v26, vcc
	s_cbranch_scc0 .LBB604_83
.LBB604_84:                             ;   in Loop: Header=BB604_70 Depth=1
	s_and_b64 vcc, exec, s[14:15]
	s_cbranch_vccnz .LBB604_87
; %bb.85:                               ;   in Loop: Header=BB604_70 Depth=1
	s_mov_b64 s[14:15], 0
	v_mov_b64_e32 v[18:19], v[8:9]
.LBB604_86:                             ;   Parent Loop BB604_70 Depth=1
                                        ; =>  This Inner Loop Header: Depth=2
	flat_load_ushort v26, v[18:19]
	s_cmp_eq_u32 s14, 1
	s_cselect_b64 vcc, -1, 0
	s_cmp_eq_u32 s14, 2
	v_cndmask_b32_e32 v27, v2, v3, vcc
	s_cselect_b64 vcc, -1, 0
	s_cmp_eq_u32 s14, 3
	v_cndmask_b32_e32 v27, v27, v4, vcc
	s_cselect_b64 vcc, -1, 0
	s_add_u32 s14, s14, 1
	v_cndmask_b32_e32 v27, v27, v5, vcc
	s_addc_u32 s15, s15, 0
	v_lshl_add_u64 v[18:19], v[18:19], 0, 2
	s_cmp_lg_u32 s19, s14
	s_waitcnt vmcnt(0) lgkmcnt(0)
	v_lshlrev_b32_e32 v26, 16, v26
	v_fmac_f32_e32 v0, v27, v26
	s_cbranch_scc1 .LBB604_86
.LBB604_87:                             ;   in Loop: Header=BB604_70 Depth=1
	s_or_b64 exec, exec, s[36:37]
	s_or_b64 exec, exec, s[28:29]
	s_and_saveexec_b64 s[14:15], s[6:7]
	s_cbranch_execnz .LBB604_73
	s_branch .LBB604_74
.LBB604_88:                             ;   in Loop: Header=BB604_70 Depth=1
	ds_read_b32 v0, v20
	s_or_b64 exec, exec, s[14:15]
	s_and_saveexec_b64 s[14:15], s[6:7]
	s_cbranch_execz .LBB604_78
.LBB604_89:                             ;   in Loop: Header=BB604_70 Depth=1
	s_waitcnt lgkmcnt(0)
	ds_bpermute_b32 v18, v25, v0
	s_waitcnt lgkmcnt(0)
	v_add_f32_e32 v0, v0, v18
	ds_bpermute_b32 v18, v30, v0
	s_waitcnt lgkmcnt(0)
	v_add_f32_e32 v0, v0, v18
	s_or_b64 exec, exec, s[14:15]
	s_and_saveexec_b64 s[14:15], s[12:13]
	s_cbranch_execz .LBB604_69
.LBB604_90:                             ;   in Loop: Header=BB604_70 Depth=1
	s_mul_hi_u32 s29, s3, s20
	s_mul_i32 s28, s3, s20
	s_lshl_b64 s[28:29], s[28:29], 2
	s_add_u32 s28, s2, s28
	s_waitcnt lgkmcnt(0)
	v_mul_f32_e32 v0, s18, v0
	s_addc_u32 s29, s16, s29
	global_store_dword v1, v0, s[28:29]
	s_branch .LBB604_69
.LBB604_91:
	s_endpgm
	.section	.rodata,"a",@progbits
	.p2align	6, 0x0
	.amdhsa_kernel _ZL23rocblas_gemvt_sn_kernelILb0ELi256ELi4ElPK16rocblas_bfloat16ffEviiT4_lPKT3_lilS6_lilPT5_i
		.amdhsa_group_segment_fixed_size 256
		.amdhsa_private_segment_fixed_size 0
		.amdhsa_kernarg_size 360
		.amdhsa_user_sgpr_count 2
		.amdhsa_user_sgpr_dispatch_ptr 0
		.amdhsa_user_sgpr_queue_ptr 0
		.amdhsa_user_sgpr_kernarg_segment_ptr 1
		.amdhsa_user_sgpr_dispatch_id 0
		.amdhsa_user_sgpr_kernarg_preload_length 0
		.amdhsa_user_sgpr_kernarg_preload_offset 0
		.amdhsa_user_sgpr_private_segment_size 0
		.amdhsa_uses_dynamic_stack 0
		.amdhsa_enable_private_segment 0
		.amdhsa_system_sgpr_workgroup_id_x 1
		.amdhsa_system_sgpr_workgroup_id_y 0
		.amdhsa_system_sgpr_workgroup_id_z 1
		.amdhsa_system_sgpr_workgroup_info 0
		.amdhsa_system_vgpr_workitem_id 0
		.amdhsa_next_free_vgpr 62
		.amdhsa_next_free_sgpr 53
		.amdhsa_accum_offset 64
		.amdhsa_reserve_vcc 1
		.amdhsa_float_round_mode_32 0
		.amdhsa_float_round_mode_16_64 0
		.amdhsa_float_denorm_mode_32 3
		.amdhsa_float_denorm_mode_16_64 3
		.amdhsa_dx10_clamp 1
		.amdhsa_ieee_mode 1
		.amdhsa_fp16_overflow 0
		.amdhsa_tg_split 0
		.amdhsa_exception_fp_ieee_invalid_op 0
		.amdhsa_exception_fp_denorm_src 0
		.amdhsa_exception_fp_ieee_div_zero 0
		.amdhsa_exception_fp_ieee_overflow 0
		.amdhsa_exception_fp_ieee_underflow 0
		.amdhsa_exception_fp_ieee_inexact 0
		.amdhsa_exception_int_div_zero 0
	.end_amdhsa_kernel
	.section	.text._ZL23rocblas_gemvt_sn_kernelILb0ELi256ELi4ElPK16rocblas_bfloat16ffEviiT4_lPKT3_lilS6_lilPT5_i,"axG",@progbits,_ZL23rocblas_gemvt_sn_kernelILb0ELi256ELi4ElPK16rocblas_bfloat16ffEviiT4_lPKT3_lilS6_lilPT5_i,comdat
.Lfunc_end604:
	.size	_ZL23rocblas_gemvt_sn_kernelILb0ELi256ELi4ElPK16rocblas_bfloat16ffEviiT4_lPKT3_lilS6_lilPT5_i, .Lfunc_end604-_ZL23rocblas_gemvt_sn_kernelILb0ELi256ELi4ElPK16rocblas_bfloat16ffEviiT4_lPKT3_lilS6_lilPT5_i
                                        ; -- End function
	.section	.AMDGPU.csdata,"",@progbits
; Kernel info:
; codeLenInByte = 4088
; NumSgprs: 59
; NumVgprs: 62
; NumAgprs: 0
; TotalNumVgprs: 62
; ScratchSize: 0
; MemoryBound: 0
; FloatMode: 240
; IeeeMode: 1
; LDSByteSize: 256 bytes/workgroup (compile time only)
; SGPRBlocks: 7
; VGPRBlocks: 7
; NumSGPRsForWavesPerEU: 59
; NumVGPRsForWavesPerEU: 62
; AccumOffset: 64
; Occupancy: 8
; WaveLimiterHint : 0
; COMPUTE_PGM_RSRC2:SCRATCH_EN: 0
; COMPUTE_PGM_RSRC2:USER_SGPR: 2
; COMPUTE_PGM_RSRC2:TRAP_HANDLER: 0
; COMPUTE_PGM_RSRC2:TGID_X_EN: 1
; COMPUTE_PGM_RSRC2:TGID_Y_EN: 0
; COMPUTE_PGM_RSRC2:TGID_Z_EN: 1
; COMPUTE_PGM_RSRC2:TIDIG_COMP_CNT: 0
; COMPUTE_PGM_RSRC3_GFX90A:ACCUM_OFFSET: 15
; COMPUTE_PGM_RSRC3_GFX90A:TG_SPLIT: 0
	.section	.text._ZL23rocblas_gemvt_sn_reduceILi256ELi8EffKP16rocblas_bfloat16EviT2_lPT3_lilPT1_i,"axG",@progbits,_ZL23rocblas_gemvt_sn_reduceILi256ELi8EffKP16rocblas_bfloat16EviT2_lPT3_lilPT1_i,comdat
	.globl	_ZL23rocblas_gemvt_sn_reduceILi256ELi8EffKP16rocblas_bfloat16EviT2_lPT3_lilPT1_i ; -- Begin function _ZL23rocblas_gemvt_sn_reduceILi256ELi8EffKP16rocblas_bfloat16EviT2_lPT3_lilPT1_i
	.p2align	8
	.type	_ZL23rocblas_gemvt_sn_reduceILi256ELi8EffKP16rocblas_bfloat16EviT2_lPT3_lilPT1_i,@function
_ZL23rocblas_gemvt_sn_reduceILi256ELi8EffKP16rocblas_bfloat16EviT2_lPT3_lilPT1_i: ; @_ZL23rocblas_gemvt_sn_reduceILi256ELi8EffKP16rocblas_bfloat16EviT2_lPT3_lilPT1_i
; %bb.0:
	s_load_dwordx4 s[8:11], s[0:1], 0x10
	s_load_dwordx2 s[6:7], s[0:1], 0x0
	s_mov_b32 s5, 0
	s_lshl_b64 s[12:13], s[4:5], 3
	v_lshlrev_b32_e32 v1, 3, v0
	s_waitcnt lgkmcnt(0)
	s_add_u32 s14, s8, s12
	s_addc_u32 s15, s9, s13
	s_load_dwordx2 s[12:13], s[0:1], 0x30
	s_load_dword s2, s[0:1], 0x44
	s_load_dwordx2 s[8:9], s[14:15], 0x0
	s_ashr_i32 s16, s6, 31
	s_add_u32 s18, s0, 64
	s_addc_u32 s19, s1, 0
	s_waitcnt lgkmcnt(0)
	s_mul_i32 s2, s2, s4
	s_add_i32 s2, s2, s3
	s_mul_i32 s4, s2, s16
	s_mul_hi_u32 s14, s2, s6
	s_add_i32 s15, s14, s4
	s_mul_i32 s14, s2, s6
	s_lshr_b32 s2, s16, 29
	s_add_i32 s2, s6, s2
	s_and_b32 s2, s2, -8
	v_cmp_gt_i32_e32 vcc, s2, v1
	v_mov_b32_e32 v3, 0
	s_and_saveexec_b64 s[16:17], vcc
	s_cbranch_execz .LBB605_4
; %bb.1:
	s_load_dword s4, s[18:19], 0xc
	s_lshl_b64 s[18:19], s[14:15], 2
	v_lshlrev_b32_e32 v2, 5, v0
	v_mov_b32_e32 v3, 0
	s_waitcnt lgkmcnt(0)
	s_and_b32 s4, s4, 0xffff
	s_lshl_b32 s20, s4, 3
	s_add_u32 s18, s12, s18
	s_addc_u32 s19, s13, s19
	v_lshl_add_u64 v[4:5], s[18:19], 0, v[2:3]
	s_lshl_b32 s4, s4, 5
	v_lshl_add_u64 v[4:5], v[4:5], 0, 28
	s_mov_b64 s[18:19], 0
.LBB605_2:                              ; =>This Inner Loop Header: Depth=1
	global_load_dwordx4 v[6:9], v[4:5], off offset:-28
	global_load_dwordx4 v[10:13], v[4:5], off offset:-12
	v_add_u32_e32 v1, s20, v1
	v_cmp_le_i32_e32 vcc, s2, v1
	v_lshl_add_u64 v[4:5], v[4:5], 0, s[4:5]
	s_or_b64 s[18:19], vcc, s[18:19]
	s_waitcnt vmcnt(1)
	v_add_f32_e32 v2, v3, v6
	v_add_f32_e32 v2, v2, v7
	;; [unrolled: 1-line block ×4, first 2 shown]
	s_waitcnt vmcnt(0)
	v_add_f32_e32 v2, v2, v10
	v_add_f32_e32 v2, v2, v11
	;; [unrolled: 1-line block ×4, first 2 shown]
	s_andn2_b64 exec, exec, s[18:19]
	s_cbranch_execnz .LBB605_2
; %bb.3:
	s_or_b64 exec, exec, s[18:19]
.LBB605_4:
	s_or_b64 exec, exec, s[16:17]
	s_sub_i32 s2, s6, s2
	v_cmp_gt_u32_e32 vcc, s2, v0
	s_and_saveexec_b64 s[4:5], vcc
	s_cbranch_execz .LBB605_6
; %bb.5:
	s_lshl_b64 s[14:15], s[14:15], 2
	s_add_u32 s12, s12, s14
	s_addc_u32 s13, s13, s15
	v_xad_u32 v4, v0, -1, s6
	v_mov_b32_e32 v5, 0
	v_lshl_add_u64 v[4:5], v[4:5], 2, s[12:13]
	global_load_dword v1, v[4:5], off
	s_waitcnt vmcnt(0)
	v_add_f32_e32 v3, v3, v1
.LBB605_6:
	s_or_b64 exec, exec, s[4:5]
	v_and_b32_e32 v1, 63, v0
	v_cmp_gt_u32_e32 vcc, 64, v0
	v_lshlrev_b32_e32 v2, 2, v1
	s_and_saveexec_b64 s[4:5], vcc
	s_cbranch_execz .LBB605_8
; %bb.7:
	v_mov_b32_e32 v4, 0
	ds_write_b32 v2, v4
.LBB605_8:
	s_or_b64 exec, exec, s[4:5]
	v_mbcnt_lo_u32_b32 v4, -1, 0
	v_mbcnt_hi_u32_b32 v4, -1, v4
	v_and_b32_e32 v5, 63, v4
	v_cmp_gt_u32_e64 s[4:5], 32, v5
	s_waitcnt lgkmcnt(0)
	s_barrier
	v_cndmask_b32_e64 v6, 0, 1, s[4:5]
	v_lshlrev_b32_e32 v6, 5, v6
	v_add_lshl_u32 v6, v6, v4, 2
	ds_bpermute_b32 v6, v6, v3
	v_cmp_gt_u32_e64 s[4:5], 48, v5
	s_waitcnt lgkmcnt(0)
	v_add_f32_e32 v3, v3, v6
	v_cndmask_b32_e64 v7, 0, 1, s[4:5]
	v_lshlrev_b32_e32 v7, 4, v7
	v_add_lshl_u32 v6, v7, v4, 2
	ds_bpermute_b32 v6, v6, v3
	v_cmp_gt_u32_e64 s[4:5], 56, v5
	s_waitcnt lgkmcnt(0)
	v_add_f32_e32 v3, v3, v6
	;; [unrolled: 7-line block ×4, first 2 shown]
	v_cndmask_b32_e64 v7, 0, 1, s[4:5]
	v_lshlrev_b32_e32 v7, 1, v7
	v_add_lshl_u32 v3, v7, v4, 2
	ds_bpermute_b32 v7, v3, v6
	v_cmp_ne_u32_e64 s[4:5], 63, v5
	s_waitcnt lgkmcnt(0)
	v_add_f32_e32 v5, v6, v7
	v_addc_co_u32_e64 v4, s[4:5], 0, v4, s[4:5]
	v_lshlrev_b32_e32 v4, 2, v4
	ds_bpermute_b32 v6, v4, v5
	v_cmp_eq_u32_e64 s[4:5], 0, v1
	s_and_saveexec_b64 s[12:13], s[4:5]
	s_cbranch_execz .LBB605_10
; %bb.9:
	v_lshrrev_b32_e32 v1, 4, v0
	v_and_b32_e32 v1, 12, v1
	s_waitcnt lgkmcnt(0)
	v_add_f32_e32 v5, v5, v6
	ds_write_b32 v1, v5
.LBB605_10:
	s_or_b64 exec, exec, s[12:13]
	v_cmp_gt_u32_e64 s[4:5], 4, v0
	v_mov_b32_e32 v1, 0
	s_waitcnt lgkmcnt(0)
	s_barrier
	s_and_saveexec_b64 s[12:13], s[4:5]
	s_cbranch_execnz .LBB605_14
; %bb.11:
	s_or_b64 exec, exec, s[12:13]
	s_and_saveexec_b64 s[4:5], vcc
	s_cbranch_execnz .LBB605_15
.LBB605_12:
	s_or_b64 exec, exec, s[4:5]
	v_cmp_eq_u32_e32 vcc, 0, v0
	s_and_saveexec_b64 s[4:5], vcc
	s_cbranch_execnz .LBB605_16
.LBB605_13:
	s_endpgm
.LBB605_14:
	ds_read_b32 v1, v2
	s_or_b64 exec, exec, s[12:13]
	s_and_saveexec_b64 s[4:5], vcc
	s_cbranch_execz .LBB605_12
.LBB605_15:
	s_waitcnt lgkmcnt(0)
	ds_bpermute_b32 v2, v3, v1
	s_waitcnt lgkmcnt(0)
	v_add_f32_e32 v1, v1, v2
	ds_bpermute_b32 v2, v4, v1
	s_waitcnt lgkmcnt(0)
	v_add_f32_e32 v1, v1, v2
	s_or_b64 exec, exec, s[4:5]
	v_cmp_eq_u32_e32 vcc, 0, v0
	s_and_saveexec_b64 s[4:5], vcc
	s_cbranch_execz .LBB605_13
.LBB605_16:
	s_load_dword s12, s[0:1], 0x20
	s_lshl_b64 s[0:1], s[10:11], 1
	s_add_u32 s2, s8, s0
	s_addc_u32 s6, s9, s1
	v_cmp_eq_f32_e64 s[0:1], s7, 0
	s_and_b64 vcc, exec, s[0:1]
	s_cbranch_vccz .LBB605_22
; %bb.17:
	s_mov_b32 s0, 0x7f800000
	s_waitcnt lgkmcnt(0)
	v_and_b32_e32 v0, 0x7f800000, v1
	v_cmp_ne_u32_e32 vcc, s0, v0
                                        ; implicit-def: $vgpr0
	s_and_saveexec_b64 s[0:1], vcc
	s_xor_b64 s[0:1], exec, s[0:1]
; %bb.18:
	v_bfe_u32 v0, v1, 16, 1
	s_movk_i32 s4, 0x7fff
	v_add3_u32 v0, v1, v0, s4
; %bb.19:
	s_andn2_saveexec_b64 s[0:1], s[0:1]
; %bb.20:
	v_mov_b32_e32 v0, 0
	v_or_b32_e32 v2, 0x10000, v1
	v_cmp_eq_u32_sdwa vcc, v1, v0 src0_sel:WORD_0 src1_sel:DWORD
	s_nop 1
	v_cndmask_b32_e32 v0, v2, v1, vcc
; %bb.21:
	s_or_b64 exec, exec, s[0:1]
	s_mul_hi_u32 s8, s12, s3
	s_mul_i32 s0, s12, s3
	s_cbranch_execz .LBB605_23
	s_branch .LBB605_28
.LBB605_22:
                                        ; implicit-def: $vgpr0
	s_waitcnt lgkmcnt(0)
	s_mul_hi_u32 s8, s12, s3
	s_mul_i32 s0, s12, s3
.LBB605_23:
	s_ashr_i32 s1, s12, 31
	s_mul_i32 s1, s1, s3
	s_add_i32 s1, s8, s1
	s_lshl_b64 s[4:5], s[0:1], 1
	s_add_u32 s4, s2, s4
	s_addc_u32 s5, s6, s5
	v_mov_b32_e32 v0, 0
	global_load_ushort v0, v0, s[4:5]
	s_mov_b32 s1, 0x7f800000
	s_waitcnt vmcnt(0)
	v_lshlrev_b32_e32 v0, 16, v0
	v_fmac_f32_e32 v1, s7, v0
	v_and_b32_e32 v0, 0x7f800000, v1
	v_cmp_ne_u32_e32 vcc, s1, v0
                                        ; implicit-def: $vgpr0
	s_and_saveexec_b64 s[4:5], vcc
	s_xor_b64 s[4:5], exec, s[4:5]
; %bb.24:
	v_bfe_u32 v0, v1, 16, 1
	s_movk_i32 s1, 0x7fff
	v_add3_u32 v0, v1, v0, s1
                                        ; implicit-def: $vgpr1
; %bb.25:
	s_andn2_saveexec_b64 s[4:5], s[4:5]
; %bb.26:
	v_mov_b32_e32 v0, 0
	v_or_b32_e32 v2, 0x10000, v1
	v_cmp_eq_u32_sdwa vcc, v1, v0 src0_sel:WORD_0 src1_sel:DWORD
	s_nop 1
	v_cndmask_b32_e32 v0, v2, v1, vcc
; %bb.27:
	s_or_b64 exec, exec, s[4:5]
.LBB605_28:
	s_ashr_i32 s1, s12, 31
	s_mul_i32 s1, s1, s3
	s_add_i32 s1, s8, s1
	s_lshl_b64 s[0:1], s[0:1], 1
	s_add_u32 s0, s2, s0
	s_addc_u32 s1, s6, s1
	v_mov_b32_e32 v1, 0
	global_store_short_d16_hi v1, v0, s[0:1]
	s_endpgm
	.section	.rodata,"a",@progbits
	.p2align	6, 0x0
	.amdhsa_kernel _ZL23rocblas_gemvt_sn_reduceILi256ELi8EffKP16rocblas_bfloat16EviT2_lPT3_lilPT1_i
		.amdhsa_group_segment_fixed_size 256
		.amdhsa_private_segment_fixed_size 0
		.amdhsa_kernarg_size 320
		.amdhsa_user_sgpr_count 2
		.amdhsa_user_sgpr_dispatch_ptr 0
		.amdhsa_user_sgpr_queue_ptr 0
		.amdhsa_user_sgpr_kernarg_segment_ptr 1
		.amdhsa_user_sgpr_dispatch_id 0
		.amdhsa_user_sgpr_kernarg_preload_length 0
		.amdhsa_user_sgpr_kernarg_preload_offset 0
		.amdhsa_user_sgpr_private_segment_size 0
		.amdhsa_uses_dynamic_stack 0
		.amdhsa_enable_private_segment 0
		.amdhsa_system_sgpr_workgroup_id_x 1
		.amdhsa_system_sgpr_workgroup_id_y 1
		.amdhsa_system_sgpr_workgroup_id_z 1
		.amdhsa_system_sgpr_workgroup_info 0
		.amdhsa_system_vgpr_workitem_id 0
		.amdhsa_next_free_vgpr 14
		.amdhsa_next_free_sgpr 21
		.amdhsa_accum_offset 16
		.amdhsa_reserve_vcc 1
		.amdhsa_float_round_mode_32 0
		.amdhsa_float_round_mode_16_64 0
		.amdhsa_float_denorm_mode_32 3
		.amdhsa_float_denorm_mode_16_64 3
		.amdhsa_dx10_clamp 1
		.amdhsa_ieee_mode 1
		.amdhsa_fp16_overflow 0
		.amdhsa_tg_split 0
		.amdhsa_exception_fp_ieee_invalid_op 0
		.amdhsa_exception_fp_denorm_src 0
		.amdhsa_exception_fp_ieee_div_zero 0
		.amdhsa_exception_fp_ieee_overflow 0
		.amdhsa_exception_fp_ieee_underflow 0
		.amdhsa_exception_fp_ieee_inexact 0
		.amdhsa_exception_int_div_zero 0
	.end_amdhsa_kernel
	.section	.text._ZL23rocblas_gemvt_sn_reduceILi256ELi8EffKP16rocblas_bfloat16EviT2_lPT3_lilPT1_i,"axG",@progbits,_ZL23rocblas_gemvt_sn_reduceILi256ELi8EffKP16rocblas_bfloat16EviT2_lPT3_lilPT1_i,comdat
.Lfunc_end605:
	.size	_ZL23rocblas_gemvt_sn_reduceILi256ELi8EffKP16rocblas_bfloat16EviT2_lPT3_lilPT1_i, .Lfunc_end605-_ZL23rocblas_gemvt_sn_reduceILi256ELi8EffKP16rocblas_bfloat16EviT2_lPT3_lilPT1_i
                                        ; -- End function
	.section	.AMDGPU.csdata,"",@progbits
; Kernel info:
; codeLenInByte = 1172
; NumSgprs: 27
; NumVgprs: 14
; NumAgprs: 0
; TotalNumVgprs: 14
; ScratchSize: 0
; MemoryBound: 0
; FloatMode: 240
; IeeeMode: 1
; LDSByteSize: 256 bytes/workgroup (compile time only)
; SGPRBlocks: 3
; VGPRBlocks: 1
; NumSGPRsForWavesPerEU: 27
; NumVGPRsForWavesPerEU: 14
; AccumOffset: 16
; Occupancy: 8
; WaveLimiterHint : 1
; COMPUTE_PGM_RSRC2:SCRATCH_EN: 0
; COMPUTE_PGM_RSRC2:USER_SGPR: 2
; COMPUTE_PGM_RSRC2:TRAP_HANDLER: 0
; COMPUTE_PGM_RSRC2:TGID_X_EN: 1
; COMPUTE_PGM_RSRC2:TGID_Y_EN: 1
; COMPUTE_PGM_RSRC2:TGID_Z_EN: 1
; COMPUTE_PGM_RSRC2:TIDIG_COMP_CNT: 0
; COMPUTE_PGM_RSRC3_GFX90A:ACCUM_OFFSET: 3
; COMPUTE_PGM_RSRC3_GFX90A:TG_SPLIT: 0
	.section	.text._ZL32rocblas_gemvt_warp_reduce_kernelILb0ELi256EiPK16rocblas_bfloat16PKfKPS0_EviiT3_lPKT2_lT1_lSA_lSB_lS7_lPT4_lSB_li,"axG",@progbits,_ZL32rocblas_gemvt_warp_reduce_kernelILb0ELi256EiPK16rocblas_bfloat16PKfKPS0_EviiT3_lPKT2_lT1_lSA_lSB_lS7_lPT4_lSB_li,comdat
	.globl	_ZL32rocblas_gemvt_warp_reduce_kernelILb0ELi256EiPK16rocblas_bfloat16PKfKPS0_EviiT3_lPKT2_lT1_lSA_lSB_lS7_lPT4_lSB_li ; -- Begin function _ZL32rocblas_gemvt_warp_reduce_kernelILb0ELi256EiPK16rocblas_bfloat16PKfKPS0_EviiT3_lPKT2_lT1_lSA_lSB_lS7_lPT4_lSB_li
	.p2align	8
	.type	_ZL32rocblas_gemvt_warp_reduce_kernelILb0ELi256EiPK16rocblas_bfloat16PKfKPS0_EviiT3_lPKT2_lT1_lSA_lSB_lS7_lPT4_lSB_li,@function
_ZL32rocblas_gemvt_warp_reduce_kernelILb0ELi256EiPK16rocblas_bfloat16PKfKPS0_EviiT3_lPKT2_lT1_lSA_lSB_lS7_lPT4_lSB_li: ; @_ZL32rocblas_gemvt_warp_reduce_kernelILb0ELi256EiPK16rocblas_bfloat16PKfKPS0_EviiT3_lPKT2_lT1_lSA_lSB_lS7_lPT4_lSB_li
; %bb.0:
	s_load_dwordx8 s[12:19], s[0:1], 0x8
	s_load_dwordx8 s[4:11], s[0:1], 0x58
	s_mov_b32 s20, s3
	s_waitcnt lgkmcnt(0)
	s_mul_i32 s3, s3, s15
	s_mul_hi_u32 s15, s20, s14
	s_add_i32 s15, s15, s3
	s_mul_i32 s14, s20, s14
	s_lshl_b64 s[14:15], s[14:15], 2
	s_add_u32 s12, s12, s14
	s_mul_i32 s3, s20, s7
	s_mul_hi_u32 s7, s20, s6
	s_addc_u32 s13, s13, s15
	s_add_i32 s7, s7, s3
	s_mul_i32 s6, s20, s6
	s_lshl_b64 s[6:7], s[6:7], 2
	s_add_u32 s4, s4, s6
	s_addc_u32 s5, s5, s7
	s_load_dword s22, s[12:13], 0x0
	s_load_dword s3, s[4:5], 0x0
	s_waitcnt lgkmcnt(0)
	v_cmp_eq_f32_e64 s[4:5], s22, 0
	v_cmp_eq_f32_e64 s[6:7], s3, 1.0
	s_and_b64 s[6:7], s[4:5], s[6:7]
	s_and_b64 vcc, exec, s[6:7]
	s_cbranch_vccnz .LBB606_43
; %bb.1:
	s_mov_b32 s21, 0
	v_cmp_neq_f32_e64 s[6:7], s22, 0
	s_mov_b64 s[12:13], 0
	s_and_b64 vcc, exec, s[4:5]
	s_mov_b64 s[14:15], 0
	s_cbranch_vccnz .LBB606_3
; %bb.2:
	s_lshl_b64 s[14:15], s[20:21], 3
	s_add_u32 s14, s16, s14
	s_addc_u32 s15, s17, s15
	s_load_dwordx2 s[14:15], s[14:15], 0x0
	s_lshl_b64 s[16:17], s[18:19], 1
	s_waitcnt lgkmcnt(0)
	s_add_u32 s14, s14, s16
	s_addc_u32 s15, s15, s17
.LBB606_3:
	s_andn2_b64 vcc, exec, s[6:7]
	s_cbranch_vccnz .LBB606_5
; %bb.4:
	s_load_dwordx4 s[16:19], s[0:1], 0x38
	s_lshl_b64 s[6:7], s[20:21], 3
	s_waitcnt lgkmcnt(0)
	s_add_u32 s6, s16, s6
	s_addc_u32 s7, s17, s7
	s_load_dwordx2 s[6:7], s[6:7], 0x0
	s_lshl_b64 s[12:13], s[18:19], 1
	s_waitcnt lgkmcnt(0)
	s_add_u32 s12, s6, s12
	s_addc_u32 s13, s7, s13
.LBB606_5:
	s_lshl_b64 s[6:7], s[20:21], 3
	s_add_u32 s6, s8, s6
	s_addc_u32 s7, s9, s7
	s_load_dwordx2 s[8:9], s[6:7], 0x0
	s_load_dword s20, s[0:1], 0x78
	s_lshl_b64 s[6:7], s[10:11], 1
	s_waitcnt lgkmcnt(0)
	s_add_u32 s18, s8, s6
	s_addc_u32 s19, s9, s7
	s_andn2_b64 vcc, exec, s[4:5]
	v_cmp_eq_u32_e64 s[4:5], 0, v0
	s_cbranch_vccnz .LBB606_10
; %bb.6:
	s_mov_b64 s[10:11], 0
	s_mov_b64 s[6:7], 0
                                        ; implicit-def: $sgpr21
                                        ; implicit-def: $sgpr8_sgpr9
	s_and_saveexec_b64 s[16:17], s[4:5]
	s_cbranch_execz .LBB606_18
; %bb.7:
	v_cmp_eq_f32_e64 s[4:5], s3, 0
	s_mul_i32 s8, s2, s20
	s_mov_b32 s21, 0
	s_ashr_i32 s9, s8, 31
	s_and_b64 vcc, exec, s[4:5]
	s_cbranch_vccnz .LBB606_51
; %bb.8:
	s_lshl_b64 s[4:5], s[8:9], 1
	s_add_u32 s4, s18, s4
	s_addc_u32 s5, s19, s5
	v_mov_b32_e32 v1, 0
	global_load_ushort v1, v1, s[4:5]
	s_mov_b32 s4, 0x7f800000
	s_waitcnt vmcnt(0)
	v_lshlrev_b32_e32 v1, 16, v1
	v_mul_f32_e32 v1, s3, v1
	v_and_b32_e32 v2, 0x7f800000, v1
	v_cmp_eq_u32_e32 vcc, s4, v2
	v_readfirstlane_b32 s6, v1
	s_cbranch_vccnz .LBB606_47
; %bb.9:
	s_bfe_u32 s4, s6, 0x10010
	s_add_i32 s4, s6, s4
	s_add_i32 s7, s4, 0x7fff
	s_mov_b64 s[4:5], 0
	s_branch .LBB606_48
.LBB606_10:
	s_mov_b64 s[6:7], 0
                                        ; implicit-def: $sgpr21
                                        ; implicit-def: $sgpr8_sgpr9
	s_cbranch_execz .LBB606_52
.LBB606_11:
	s_load_dword s17, s[0:1], 0x0
	s_load_dword s4, s[0:1], 0x28
	;; [unrolled: 1-line block ×3, first 2 shown]
	v_mov_b32_e32 v3, 0
	s_waitcnt lgkmcnt(0)
	v_cmp_gt_i32_e32 vcc, s17, v0
	s_mul_i32 s0, s2, s4
	s_ashr_i32 s1, s0, 31
	s_lshl_b64 s[0:1], s[0:1], 1
	v_cndmask_b32_e32 v1, 0, v0, vcc
	s_add_u32 s0, s0, s14
	v_lshlrev_b32_e32 v2, 1, v1
	s_addc_u32 s1, s1, s15
	v_lshl_add_u64 v[4:5], s[0:1], 0, v[2:3]
	s_ashr_i32 s0, s17, 31
	s_lshr_b32 s0, s0, 24
	s_add_i32 s0, s17, s0
	s_and_b32 s0, s0, 0xffffff00
	v_cmp_gt_i32_e32 vcc, s0, v0
	s_and_saveexec_b64 s[4:5], vcc
	s_cbranch_execz .LBB606_20
; %bb.12:
	v_mul_lo_u32 v6, v0, s16
	s_lshl_b32 s1, s16, 8
	s_mov_b64 s[8:9], 0
	v_mov_b32_e32 v1, 0
	s_mov_b32 s21, 0x7f800000
	s_movk_i32 s23, 0x7fff
	s_mov_b64 s[10:11], 0x200
	v_mov_b64_e32 v[8:9], v[4:5]
	v_mov_b32_e32 v2, v0
	v_mov_b32_e32 v3, 0
	s_branch .LBB606_14
.LBB606_13:                             ;   in Loop: Header=BB606_14 Depth=1
	s_or_b64 exec, exec, s[14:15]
	v_add_u32_e32 v2, 0x100, v2
	v_and_b32_e32 v7, 0xffff0000, v7
	v_cmp_le_i32_e32 vcc, s0, v2
	v_add_f32_e32 v3, v3, v7
	v_lshl_add_u64 v[8:9], v[8:9], 0, s[10:11]
	s_or_b64 s[8:9], vcc, s[8:9]
	v_add_u32_e32 v6, s1, v6
	s_andn2_b64 exec, exec, s[8:9]
	s_cbranch_execz .LBB606_19
.LBB606_14:                             ; =>This Inner Loop Header: Depth=1
	v_ashrrev_i32_e32 v7, 31, v6
	v_lshl_add_u64 v[10:11], v[6:7], 1, s[12:13]
	flat_load_ushort v7, v[10:11]
	flat_load_ushort v12, v[8:9]
	s_waitcnt vmcnt(0) lgkmcnt(0)
	v_lshlrev_b32_e32 v10, 16, v7
	v_lshlrev_b32_e32 v12, 16, v12
	v_pk_mul_f32 v[10:11], v[10:11], v[12:13] op_sel_hi:[0,1]
	v_and_b32_e32 v7, 0x7f800000, v10
	v_cmp_ne_u32_e32 vcc, s21, v7
                                        ; implicit-def: $vgpr7
	s_and_saveexec_b64 s[14:15], vcc
	s_xor_b64 s[14:15], exec, s[14:15]
; %bb.15:                               ;   in Loop: Header=BB606_14 Depth=1
	v_bfe_u32 v7, v10, 16, 1
	v_add3_u32 v7, v10, v7, s23
                                        ; implicit-def: $vgpr10_vgpr11
; %bb.16:                               ;   in Loop: Header=BB606_14 Depth=1
	s_andn2_saveexec_b64 s[14:15], s[14:15]
	s_cbranch_execz .LBB606_13
; %bb.17:                               ;   in Loop: Header=BB606_14 Depth=1
	v_or_b32_e32 v7, 0x10000, v10
	v_cmp_eq_u32_sdwa vcc, v10, v1 src0_sel:WORD_0 src1_sel:DWORD
	s_nop 1
	v_cndmask_b32_e32 v7, v7, v10, vcc
	s_branch .LBB606_13
.LBB606_18:
	s_or_b64 exec, exec, s[16:17]
	s_and_b64 vcc, exec, s[10:11]
	s_cbranch_vccnz .LBB606_11
	s_branch .LBB606_52
.LBB606_19:
	s_or_b64 exec, exec, s[8:9]
.LBB606_20:
	s_or_b64 exec, exec, s[4:5]
	v_add_u32_e32 v1, s0, v0
	v_cmp_gt_i32_e32 vcc, s17, v1
	s_and_saveexec_b64 s[4:5], vcc
	s_cbranch_execz .LBB606_26
; %bb.21:
	s_ashr_i32 s1, s0, 31
	v_mul_lo_u32 v6, v1, s16
	v_lshl_add_u64 v[4:5], s[0:1], 1, v[4:5]
	v_ashrrev_i32_e32 v7, 31, v6
	v_lshl_add_u64 v[6:7], v[6:7], 1, s[12:13]
	flat_load_ushort v1, v[4:5]
	flat_load_ushort v8, v[6:7]
	s_mov_b32 s0, 0x7f800000
	s_waitcnt vmcnt(0) lgkmcnt(0)
	v_lshlrev_b32_e32 v2, 16, v1
	v_lshlrev_b32_e32 v4, 16, v8
	v_pk_mul_f32 v[4:5], v[4:5], v[2:3] op_sel_hi:[0,1]
	v_and_b32_e32 v1, 0x7f800000, v4
	v_cmp_ne_u32_e32 vcc, s0, v1
                                        ; implicit-def: $vgpr1
	s_and_saveexec_b64 s[0:1], vcc
	s_xor_b64 s[0:1], exec, s[0:1]
; %bb.22:
	v_bfe_u32 v1, v4, 16, 1
	s_movk_i32 s8, 0x7fff
	v_add3_u32 v1, v4, v1, s8
                                        ; implicit-def: $vgpr4_vgpr5
; %bb.23:
	s_andn2_saveexec_b64 s[0:1], s[0:1]
; %bb.24:
	v_mov_b32_e32 v1, 0
	v_or_b32_e32 v2, 0x10000, v4
	v_cmp_eq_u32_sdwa vcc, v4, v1 src0_sel:WORD_0 src1_sel:DWORD
	s_nop 1
	v_cndmask_b32_e32 v1, v2, v4, vcc
; %bb.25:
	s_or_b64 exec, exec, s[0:1]
	v_and_b32_e32 v1, 0xffff0000, v1
	v_add_f32_e32 v3, v3, v1
.LBB606_26:
	s_or_b64 exec, exec, s[4:5]
	v_and_b32_e32 v2, 63, v0
	v_cmp_gt_u32_e32 vcc, 64, v0
	v_lshlrev_b32_e32 v1, 2, v2
	s_and_saveexec_b64 s[0:1], vcc
	s_cbranch_execz .LBB606_28
; %bb.27:
	v_mov_b32_e32 v4, 0
	ds_write_b32 v1, v4
.LBB606_28:
	s_or_b64 exec, exec, s[0:1]
	v_mbcnt_lo_u32_b32 v4, -1, 0
	v_mbcnt_hi_u32_b32 v4, -1, v4
	v_and_b32_e32 v5, 63, v4
	v_cmp_gt_u32_e64 s[0:1], 32, v5
	s_waitcnt lgkmcnt(0)
	s_barrier
	v_cndmask_b32_e64 v6, 0, 1, s[0:1]
	v_lshlrev_b32_e32 v6, 5, v6
	v_add_lshl_u32 v6, v6, v4, 2
	ds_bpermute_b32 v6, v6, v3
	v_cmp_gt_u32_e64 s[0:1], 48, v5
	s_waitcnt lgkmcnt(0)
	v_add_f32_e32 v3, v3, v6
	v_cndmask_b32_e64 v7, 0, 1, s[0:1]
	v_lshlrev_b32_e32 v7, 4, v7
	v_add_lshl_u32 v6, v7, v4, 2
	ds_bpermute_b32 v6, v6, v3
	v_cmp_gt_u32_e64 s[0:1], 56, v5
	s_waitcnt lgkmcnt(0)
	v_add_f32_e32 v3, v3, v6
	;; [unrolled: 7-line block ×4, first 2 shown]
	v_cndmask_b32_e64 v7, 0, 1, s[0:1]
	v_lshlrev_b32_e32 v7, 1, v7
	v_add_lshl_u32 v3, v7, v4, 2
	ds_bpermute_b32 v7, v3, v6
	v_cmp_ne_u32_e64 s[0:1], 63, v5
	s_waitcnt lgkmcnt(0)
	v_add_f32_e32 v5, v6, v7
	v_addc_co_u32_e64 v4, s[0:1], 0, v4, s[0:1]
	v_lshlrev_b32_e32 v4, 2, v4
	ds_bpermute_b32 v6, v4, v5
	v_cmp_eq_u32_e64 s[0:1], 0, v2
	s_and_saveexec_b64 s[4:5], s[0:1]
	s_cbranch_execz .LBB606_30
; %bb.29:
	v_lshrrev_b32_e32 v2, 4, v0
	v_and_b32_e32 v2, 12, v2
	s_waitcnt lgkmcnt(0)
	v_add_f32_e32 v5, v5, v6
	ds_write_b32 v2, v5
.LBB606_30:
	s_or_b64 exec, exec, s[4:5]
	v_cmp_gt_u32_e64 s[0:1], 4, v0
	v_mov_b32_e32 v2, 0
	s_waitcnt lgkmcnt(0)
	s_barrier
	s_and_saveexec_b64 s[4:5], s[0:1]
	s_cbranch_execz .LBB606_32
; %bb.31:
	ds_read_b32 v2, v1
	s_or_b64 exec, exec, s[4:5]
	s_and_saveexec_b64 s[0:1], vcc
	s_cbranch_execz .LBB606_34
	s_branch .LBB606_33
.LBB606_32:
	s_or_b64 exec, exec, s[4:5]
	s_and_saveexec_b64 s[0:1], vcc
	s_cbranch_execz .LBB606_34
.LBB606_33:
	s_waitcnt lgkmcnt(0)
	ds_bpermute_b32 v1, v3, v2
	s_waitcnt lgkmcnt(0)
	v_add_f32_e32 v1, v2, v1
	ds_bpermute_b32 v2, v4, v1
	s_waitcnt lgkmcnt(0)
	v_add_f32_e32 v2, v1, v2
.LBB606_34:
	s_or_b64 exec, exec, s[0:1]
	v_cmp_eq_u32_e32 vcc, 0, v0
                                        ; implicit-def: $vgpr1
                                        ; implicit-def: $sgpr8_sgpr9
	s_and_saveexec_b64 s[0:1], vcc
	s_cbranch_execz .LBB606_41
; %bb.35:
	v_cmp_eq_f32_e64 s[4:5], s3, 0
	s_waitcnt lgkmcnt(0)
	v_mul_f32_e32 v0, s22, v2
	s_and_b64 vcc, exec, s[4:5]
	s_cbranch_vccz .LBB606_44
; %bb.36:
	s_mov_b32 s4, 0x7f800000
	v_and_b32_e32 v1, 0x7f800000, v0
	v_cmp_ne_u32_e32 vcc, s4, v1
                                        ; implicit-def: $vgpr1
	s_and_saveexec_b64 s[4:5], vcc
	s_xor_b64 s[4:5], exec, s[4:5]
; %bb.37:
	v_bfe_u32 v1, v0, 16, 1
	s_movk_i32 s8, 0x7fff
	v_add3_u32 v1, v0, v1, s8
; %bb.38:
	s_andn2_saveexec_b64 s[4:5], s[4:5]
; %bb.39:
	v_mov_b32_e32 v1, 0
	v_or_b32_e32 v2, 0x10000, v0
	v_cmp_eq_u32_sdwa vcc, v0, v1 src0_sel:WORD_0 src1_sel:DWORD
	s_nop 1
	v_cndmask_b32_e32 v1, v2, v0, vcc
; %bb.40:
	s_or_b64 exec, exec, s[4:5]
	s_mul_i32 s8, s2, s20
	s_cbranch_execz .LBB606_45
	s_branch .LBB606_61
.LBB606_41:
	s_or_b64 exec, exec, s[0:1]
	s_and_saveexec_b64 s[0:1], s[6:7]
	s_cbranch_execz .LBB606_43
.LBB606_42:
	s_lshl_b64 s[0:1], s[8:9], 1
	s_add_u32 s0, s18, s0
	s_addc_u32 s1, s19, s1
	v_mov_b32_e32 v0, 0
	global_store_short v0, v1, s[0:1]
.LBB606_43:
	s_endpgm
.LBB606_44:
                                        ; implicit-def: $vgpr1
	s_mul_i32 s8, s2, s20
.LBB606_45:
	s_ashr_i32 s9, s8, 31
	s_lshl_b64 s[4:5], s[8:9], 1
	s_add_u32 s4, s18, s4
	s_addc_u32 s5, s19, s5
	v_mov_b32_e32 v1, 0
	global_load_ushort v1, v1, s[4:5]
	s_mov_b32 s2, 0x7f800000
	s_waitcnt vmcnt(0)
	v_lshlrev_b32_e32 v1, 16, v1
	v_mul_f32_e32 v1, s3, v1
	v_and_b32_e32 v2, 0x7f800000, v1
	v_cmp_eq_u32_e32 vcc, s2, v2
	v_readfirstlane_b32 s4, v1
	s_cbranch_vccnz .LBB606_53
; %bb.46:
	s_bfe_u32 s2, s4, 0x10010
	s_add_i32 s2, s4, s2
	s_add_i32 s5, s2, 0x7fff
	s_mov_b64 s[2:3], 0
	s_branch .LBB606_54
.LBB606_47:
	s_mov_b64 s[4:5], -1
                                        ; implicit-def: $sgpr7
.LBB606_48:
	s_andn2_b64 vcc, exec, s[4:5]
	s_cbranch_vccnz .LBB606_50
; %bb.49:
	s_and_b32 s4, s6, 0xffff
	s_or_b32 s5, s6, 0x10000
	s_cmp_eq_u32 s4, 0
	s_cselect_b32 s7, s6, s5
.LBB606_50:
	s_lshr_b32 s21, s7, 16
.LBB606_51:
	s_mov_b64 s[6:7], exec
	s_or_b64 exec, exec, s[16:17]
	s_and_b64 vcc, exec, s[10:11]
	s_cbranch_vccnz .LBB606_11
.LBB606_52:
	v_mov_b32_e32 v1, s21
	s_and_saveexec_b64 s[0:1], s[6:7]
	s_cbranch_execnz .LBB606_42
	s_branch .LBB606_43
.LBB606_53:
	s_mov_b64 s[2:3], -1
                                        ; implicit-def: $sgpr5
.LBB606_54:
	s_andn2_b64 vcc, exec, s[2:3]
	s_cbranch_vccnz .LBB606_56
; %bb.55:
	s_and_b32 s2, s4, 0xffff
	s_or_b32 s3, s4, 0x10000
	s_cmp_eq_u32 s2, 0
	s_cselect_b32 s5, s4, s3
.LBB606_56:
	s_and_b32 s2, s5, 0xffff0000
	v_add_f32_e32 v0, s2, v0
	s_mov_b32 s2, 0x7f800000
	v_and_b32_e32 v1, 0x7f800000, v0
	v_cmp_ne_u32_e32 vcc, s2, v1
                                        ; implicit-def: $vgpr1
	s_and_saveexec_b64 s[2:3], vcc
	s_xor_b64 s[2:3], exec, s[2:3]
; %bb.57:
	v_bfe_u32 v1, v0, 16, 1
	s_movk_i32 s4, 0x7fff
	v_add3_u32 v1, v0, v1, s4
                                        ; implicit-def: $vgpr0
; %bb.58:
	s_andn2_saveexec_b64 s[2:3], s[2:3]
; %bb.59:
	v_mov_b32_e32 v1, 0
	v_or_b32_e32 v2, 0x10000, v0
	v_cmp_eq_u32_sdwa vcc, v0, v1 src0_sel:WORD_0 src1_sel:DWORD
	s_nop 1
	v_cndmask_b32_e32 v1, v2, v0, vcc
; %bb.60:
	s_or_b64 exec, exec, s[2:3]
.LBB606_61:
	v_lshrrev_b32_e32 v1, 16, v1
	s_ashr_i32 s9, s8, 31
	s_or_b64 s[6:7], s[6:7], exec
	s_or_b64 exec, exec, s[0:1]
	s_and_saveexec_b64 s[0:1], s[6:7]
	s_cbranch_execnz .LBB606_42
	s_branch .LBB606_43
	.section	.rodata,"a",@progbits
	.p2align	6, 0x0
	.amdhsa_kernel _ZL32rocblas_gemvt_warp_reduce_kernelILb0ELi256EiPK16rocblas_bfloat16PKfKPS0_EviiT3_lPKT2_lT1_lSA_lSB_lS7_lPT4_lSB_li
		.amdhsa_group_segment_fixed_size 256
		.amdhsa_private_segment_fixed_size 0
		.amdhsa_kernarg_size 140
		.amdhsa_user_sgpr_count 2
		.amdhsa_user_sgpr_dispatch_ptr 0
		.amdhsa_user_sgpr_queue_ptr 0
		.amdhsa_user_sgpr_kernarg_segment_ptr 1
		.amdhsa_user_sgpr_dispatch_id 0
		.amdhsa_user_sgpr_kernarg_preload_length 0
		.amdhsa_user_sgpr_kernarg_preload_offset 0
		.amdhsa_user_sgpr_private_segment_size 0
		.amdhsa_uses_dynamic_stack 0
		.amdhsa_enable_private_segment 0
		.amdhsa_system_sgpr_workgroup_id_x 1
		.amdhsa_system_sgpr_workgroup_id_y 0
		.amdhsa_system_sgpr_workgroup_id_z 1
		.amdhsa_system_sgpr_workgroup_info 0
		.amdhsa_system_vgpr_workitem_id 0
		.amdhsa_next_free_vgpr 14
		.amdhsa_next_free_sgpr 24
		.amdhsa_accum_offset 16
		.amdhsa_reserve_vcc 1
		.amdhsa_float_round_mode_32 0
		.amdhsa_float_round_mode_16_64 0
		.amdhsa_float_denorm_mode_32 3
		.amdhsa_float_denorm_mode_16_64 3
		.amdhsa_dx10_clamp 1
		.amdhsa_ieee_mode 1
		.amdhsa_fp16_overflow 0
		.amdhsa_tg_split 0
		.amdhsa_exception_fp_ieee_invalid_op 0
		.amdhsa_exception_fp_denorm_src 0
		.amdhsa_exception_fp_ieee_div_zero 0
		.amdhsa_exception_fp_ieee_overflow 0
		.amdhsa_exception_fp_ieee_underflow 0
		.amdhsa_exception_fp_ieee_inexact 0
		.amdhsa_exception_int_div_zero 0
	.end_amdhsa_kernel
	.section	.text._ZL32rocblas_gemvt_warp_reduce_kernelILb0ELi256EiPK16rocblas_bfloat16PKfKPS0_EviiT3_lPKT2_lT1_lSA_lSB_lS7_lPT4_lSB_li,"axG",@progbits,_ZL32rocblas_gemvt_warp_reduce_kernelILb0ELi256EiPK16rocblas_bfloat16PKfKPS0_EviiT3_lPKT2_lT1_lSA_lSB_lS7_lPT4_lSB_li,comdat
.Lfunc_end606:
	.size	_ZL32rocblas_gemvt_warp_reduce_kernelILb0ELi256EiPK16rocblas_bfloat16PKfKPS0_EviiT3_lPKT2_lT1_lSA_lSB_lS7_lPT4_lSB_li, .Lfunc_end606-_ZL32rocblas_gemvt_warp_reduce_kernelILb0ELi256EiPK16rocblas_bfloat16PKfKPS0_EviiT3_lPKT2_lT1_lSA_lSB_lS7_lPT4_lSB_li
                                        ; -- End function
	.section	.AMDGPU.csdata,"",@progbits
; Kernel info:
; codeLenInByte = 1956
; NumSgprs: 30
; NumVgprs: 14
; NumAgprs: 0
; TotalNumVgprs: 14
; ScratchSize: 0
; MemoryBound: 0
; FloatMode: 240
; IeeeMode: 1
; LDSByteSize: 256 bytes/workgroup (compile time only)
; SGPRBlocks: 3
; VGPRBlocks: 1
; NumSGPRsForWavesPerEU: 30
; NumVGPRsForWavesPerEU: 14
; AccumOffset: 16
; Occupancy: 8
; WaveLimiterHint : 1
; COMPUTE_PGM_RSRC2:SCRATCH_EN: 0
; COMPUTE_PGM_RSRC2:USER_SGPR: 2
; COMPUTE_PGM_RSRC2:TRAP_HANDLER: 0
; COMPUTE_PGM_RSRC2:TGID_X_EN: 1
; COMPUTE_PGM_RSRC2:TGID_Y_EN: 0
; COMPUTE_PGM_RSRC2:TGID_Z_EN: 1
; COMPUTE_PGM_RSRC2:TIDIG_COMP_CNT: 0
; COMPUTE_PGM_RSRC3_GFX90A:ACCUM_OFFSET: 3
; COMPUTE_PGM_RSRC3_GFX90A:TG_SPLIT: 0
	.section	.text._ZL32rocblas_gemvt_warp_reduce_kernelILb0ELi256ElPK16rocblas_bfloat16PKfKPS0_EviiT3_lPKT2_lT1_lSA_lSB_lS7_lPT4_lSB_li,"axG",@progbits,_ZL32rocblas_gemvt_warp_reduce_kernelILb0ELi256ElPK16rocblas_bfloat16PKfKPS0_EviiT3_lPKT2_lT1_lSA_lSB_lS7_lPT4_lSB_li,comdat
	.globl	_ZL32rocblas_gemvt_warp_reduce_kernelILb0ELi256ElPK16rocblas_bfloat16PKfKPS0_EviiT3_lPKT2_lT1_lSA_lSB_lS7_lPT4_lSB_li ; -- Begin function _ZL32rocblas_gemvt_warp_reduce_kernelILb0ELi256ElPK16rocblas_bfloat16PKfKPS0_EviiT3_lPKT2_lT1_lSA_lSB_lS7_lPT4_lSB_li
	.p2align	8
	.type	_ZL32rocblas_gemvt_warp_reduce_kernelILb0ELi256ElPK16rocblas_bfloat16PKfKPS0_EviiT3_lPKT2_lT1_lSA_lSB_lS7_lPT4_lSB_li,@function
_ZL32rocblas_gemvt_warp_reduce_kernelILb0ELi256ElPK16rocblas_bfloat16PKfKPS0_EviiT3_lPKT2_lT1_lSA_lSB_lS7_lPT4_lSB_li: ; @_ZL32rocblas_gemvt_warp_reduce_kernelILb0ELi256ElPK16rocblas_bfloat16PKfKPS0_EviiT3_lPKT2_lT1_lSA_lSB_lS7_lPT4_lSB_li
; %bb.0:
	s_load_dwordx8 s[12:19], s[0:1], 0x8
	s_load_dwordx8 s[4:11], s[0:1], 0x58
	s_mov_b32 s24, s3
	s_waitcnt lgkmcnt(0)
	s_mul_i32 s3, s3, s15
	s_mul_hi_u32 s15, s24, s14
	s_add_i32 s15, s15, s3
	s_mul_i32 s14, s24, s14
	s_lshl_b64 s[14:15], s[14:15], 2
	s_add_u32 s12, s12, s14
	s_mul_i32 s3, s24, s7
	s_mul_hi_u32 s7, s24, s6
	s_addc_u32 s13, s13, s15
	s_add_i32 s7, s7, s3
	s_mul_i32 s6, s24, s6
	s_lshl_b64 s[6:7], s[6:7], 2
	s_add_u32 s4, s4, s6
	s_addc_u32 s5, s5, s7
	s_load_dword s30, s[12:13], 0x0
	s_load_dword s3, s[4:5], 0x0
	s_waitcnt lgkmcnt(0)
	v_cmp_eq_f32_e64 s[26:27], s30, 0
	v_cmp_eq_f32_e64 s[4:5], s3, 1.0
	s_and_b64 s[4:5], s[26:27], s[4:5]
	s_and_b64 vcc, exec, s[4:5]
	s_cbranch_vccnz .LBB607_43
; %bb.1:
	s_load_dwordx2 s[20:21], s[0:1], 0x28
	s_load_dwordx2 s[12:13], s[0:1], 0x78
	s_mov_b32 s25, 0
	v_cmp_neq_f32_e64 s[28:29], s30, 0
	s_mov_b64 s[14:15], 0
	s_and_b64 vcc, exec, s[26:27]
	s_mov_b64 s[22:23], 0
	s_cbranch_vccnz .LBB607_3
; %bb.2:
	s_lshl_b64 s[4:5], s[24:25], 3
	s_add_u32 s4, s16, s4
	s_addc_u32 s5, s17, s5
	s_load_dwordx2 s[4:5], s[4:5], 0x0
	s_lshl_b64 s[6:7], s[18:19], 1
	s_waitcnt lgkmcnt(0)
	s_add_u32 s22, s4, s6
	s_addc_u32 s23, s5, s7
.LBB607_3:
	s_load_dwordx4 s[4:7], s[0:1], 0x38
	s_load_dwordx2 s[16:17], s[0:1], 0x48
	s_andn2_b64 vcc, exec, s[28:29]
	s_cbranch_vccnz .LBB607_5
; %bb.4:
	s_lshl_b64 s[14:15], s[24:25], 3
	s_waitcnt lgkmcnt(0)
	s_add_u32 s4, s4, s14
	s_addc_u32 s5, s5, s15
	s_load_dwordx2 s[4:5], s[4:5], 0x0
	s_lshl_b64 s[6:7], s[6:7], 1
	s_waitcnt lgkmcnt(0)
	s_add_u32 s14, s4, s6
	s_addc_u32 s15, s5, s7
.LBB607_5:
	s_waitcnt lgkmcnt(0)
	s_lshl_b64 s[4:5], s[24:25], 3
	s_add_u32 s4, s8, s4
	s_addc_u32 s5, s9, s5
	s_load_dwordx2 s[4:5], s[4:5], 0x0
	s_lshl_b64 s[6:7], s[10:11], 1
	s_waitcnt lgkmcnt(0)
	s_add_u32 s24, s4, s6
	s_addc_u32 s25, s5, s7
	s_andn2_b64 vcc, exec, s[26:27]
	v_cmp_eq_u32_e64 s[4:5], 0, v0
	s_cbranch_vccnz .LBB607_10
; %bb.6:
	s_mov_b64 s[10:11], 0
	s_mov_b64 s[6:7], 0
                                        ; implicit-def: $sgpr26
                                        ; implicit-def: $sgpr8_sgpr9
	s_and_saveexec_b64 s[18:19], s[4:5]
	s_cbranch_execz .LBB607_18
; %bb.7:
	s_ashr_i32 s6, s2, 31
	s_mul_i32 s7, s2, s13
	s_mul_hi_u32 s8, s2, s12
	v_cmp_eq_f32_e64 s[4:5], s3, 0
	s_add_i32 s7, s8, s7
	s_mul_i32 s6, s6, s12
	s_mov_b32 s26, 0
	s_add_i32 s9, s7, s6
	s_mul_i32 s8, s2, s12
	s_and_b64 vcc, exec, s[4:5]
	s_cbranch_vccnz .LBB607_52
; %bb.8:
	s_lshl_b64 s[4:5], s[8:9], 1
	s_add_u32 s4, s24, s4
	s_addc_u32 s5, s25, s5
	v_mov_b32_e32 v1, 0
	global_load_ushort v1, v1, s[4:5]
	s_mov_b32 s4, 0x7f800000
	s_waitcnt vmcnt(0)
	v_lshlrev_b32_e32 v1, 16, v1
	v_mul_f32_e32 v1, s3, v1
	v_and_b32_e32 v2, 0x7f800000, v1
	v_cmp_eq_u32_e32 vcc, s4, v2
	v_readfirstlane_b32 s6, v1
	s_cbranch_vccnz .LBB607_48
; %bb.9:
	s_bfe_u32 s4, s6, 0x10010
	s_add_i32 s4, s6, s4
	s_add_i32 s7, s4, 0x7fff
	s_mov_b64 s[4:5], 0
	s_branch .LBB607_49
.LBB607_10:
	s_mov_b64 s[6:7], 0
                                        ; implicit-def: $sgpr26
                                        ; implicit-def: $sgpr8_sgpr9
	s_cbranch_execz .LBB607_53
.LBB607_11:
	s_load_dword s1, s[0:1], 0x0
	s_ashr_i32 s26, s2, 31
	s_mul_i32 s0, s2, s21
	s_mul_hi_u32 s4, s2, s20
	s_add_i32 s0, s4, s0
	s_mul_i32 s4, s26, s20
	s_add_i32 s5, s0, s4
	s_mul_i32 s4, s2, s20
	s_lshl_b64 s[4:5], s[4:5], 1
	s_add_u32 s4, s4, s22
	s_addc_u32 s5, s5, s23
	s_waitcnt lgkmcnt(0)
	s_ashr_i32 s0, s1, 31
	v_cmp_gt_i32_e32 vcc, s1, v0
	s_lshr_b32 s0, s0, 24
	s_add_i32 s0, s1, s0
	v_cndmask_b32_e32 v1, 0, v0, vcc
	v_mov_b32_e32 v3, 0
	v_lshlrev_b32_e32 v2, 1, v1
	s_and_b32 s0, s0, 0xffffff00
	v_lshl_add_u64 v[4:5], s[4:5], 0, v[2:3]
	v_cmp_gt_i32_e32 vcc, s0, v0
	s_and_saveexec_b64 s[4:5], vcc
	s_cbranch_execz .LBB607_20
; %bb.12:
	v_mad_u64_u32 v[2:3], s[8:9], s16, v0, 0
	v_mov_b32_e32 v6, v3
	v_mad_u64_u32 v[6:7], s[8:9], s17, v0, v[6:7]
	v_mov_b32_e32 v3, v6
	v_lshl_add_u64 v[6:7], v[2:3], 1, s[14:15]
	s_lshl_b64 s[10:11], s[16:17], 9
	s_mov_b64 s[8:9], 0
	v_mov_b32_e32 v1, 0
	s_mov_b32 s22, 0x7f800000
	s_movk_i32 s23, 0x7fff
	s_mov_b64 s[18:19], 0x200
	v_mov_b64_e32 v[8:9], v[4:5]
	v_mov_b32_e32 v2, v0
	v_mov_b32_e32 v3, 0
	s_branch .LBB607_14
.LBB607_13:                             ;   in Loop: Header=BB607_14 Depth=1
	s_or_b64 exec, exec, s[20:21]
	v_add_u32_e32 v2, 0x100, v2
	v_and_b32_e32 v10, 0xffff0000, v12
	v_cmp_le_i32_e32 vcc, s0, v2
	v_add_f32_e32 v3, v3, v10
	v_lshl_add_u64 v[8:9], v[8:9], 0, s[18:19]
	s_or_b64 s[8:9], vcc, s[8:9]
	v_lshl_add_u64 v[6:7], v[6:7], 0, s[10:11]
	s_andn2_b64 exec, exec, s[8:9]
	s_cbranch_execz .LBB607_19
.LBB607_14:                             ; =>This Inner Loop Header: Depth=1
	flat_load_ushort v10, v[6:7]
	flat_load_ushort v11, v[8:9]
	s_waitcnt vmcnt(0) lgkmcnt(0)
	v_lshlrev_b32_e32 v10, 16, v10
	v_lshlrev_b32_e32 v12, 16, v11
	v_pk_mul_f32 v[10:11], v[10:11], v[12:13] op_sel_hi:[0,1]
	v_and_b32_e32 v11, 0x7f800000, v10
	v_cmp_ne_u32_e32 vcc, s22, v11
                                        ; implicit-def: $vgpr12
	s_and_saveexec_b64 s[20:21], vcc
	s_xor_b64 s[20:21], exec, s[20:21]
; %bb.15:                               ;   in Loop: Header=BB607_14 Depth=1
	v_bfe_u32 v11, v10, 16, 1
	v_add3_u32 v12, v10, v11, s23
                                        ; implicit-def: $vgpr10_vgpr11
; %bb.16:                               ;   in Loop: Header=BB607_14 Depth=1
	s_andn2_saveexec_b64 s[20:21], s[20:21]
	s_cbranch_execz .LBB607_13
; %bb.17:                               ;   in Loop: Header=BB607_14 Depth=1
	v_or_b32_e32 v11, 0x10000, v10
	v_cmp_eq_u32_sdwa vcc, v10, v1 src0_sel:WORD_0 src1_sel:DWORD
	s_nop 1
	v_cndmask_b32_e32 v12, v11, v10, vcc
	s_branch .LBB607_13
.LBB607_18:
	s_or_b64 exec, exec, s[18:19]
	s_and_b64 vcc, exec, s[10:11]
	s_cbranch_vccnz .LBB607_11
	s_branch .LBB607_53
.LBB607_19:
	s_or_b64 exec, exec, s[8:9]
.LBB607_20:
	s_or_b64 exec, exec, s[4:5]
	v_add_u32_e32 v1, s0, v0
	v_cmp_gt_i32_e32 vcc, s1, v1
	s_and_saveexec_b64 s[4:5], vcc
	s_cbranch_execz .LBB607_26
; %bb.21:
	s_ashr_i32 s1, s0, 31
	v_ashrrev_i32_e32 v2, 31, v1
	v_lshl_add_u64 v[4:5], s[0:1], 1, v[4:5]
	v_mul_lo_u32 v8, v1, s17
	v_mul_lo_u32 v2, v2, s16
	v_mad_u64_u32 v[6:7], s[0:1], v1, s16, 0
	v_add3_u32 v7, v7, v8, v2
	v_lshl_add_u64 v[6:7], v[6:7], 1, s[14:15]
	flat_load_ushort v1, v[4:5]
	flat_load_ushort v8, v[6:7]
	s_mov_b32 s0, 0x7f800000
	s_waitcnt vmcnt(0) lgkmcnt(0)
	v_lshlrev_b32_e32 v2, 16, v1
	v_lshlrev_b32_e32 v4, 16, v8
	v_pk_mul_f32 v[4:5], v[4:5], v[2:3] op_sel_hi:[0,1]
	v_and_b32_e32 v1, 0x7f800000, v4
	v_cmp_ne_u32_e32 vcc, s0, v1
                                        ; implicit-def: $vgpr1
	s_and_saveexec_b64 s[0:1], vcc
	s_xor_b64 s[0:1], exec, s[0:1]
; %bb.22:
	v_bfe_u32 v1, v4, 16, 1
	s_movk_i32 s8, 0x7fff
	v_add3_u32 v1, v4, v1, s8
                                        ; implicit-def: $vgpr4_vgpr5
; %bb.23:
	s_andn2_saveexec_b64 s[0:1], s[0:1]
; %bb.24:
	v_mov_b32_e32 v1, 0
	v_or_b32_e32 v2, 0x10000, v4
	v_cmp_eq_u32_sdwa vcc, v4, v1 src0_sel:WORD_0 src1_sel:DWORD
	s_nop 1
	v_cndmask_b32_e32 v1, v2, v4, vcc
; %bb.25:
	s_or_b64 exec, exec, s[0:1]
	v_and_b32_e32 v1, 0xffff0000, v1
	v_add_f32_e32 v3, v3, v1
.LBB607_26:
	s_or_b64 exec, exec, s[4:5]
	v_and_b32_e32 v2, 63, v0
	v_cmp_gt_u32_e32 vcc, 64, v0
	v_lshlrev_b32_e32 v1, 2, v2
	s_and_saveexec_b64 s[0:1], vcc
	s_cbranch_execz .LBB607_28
; %bb.27:
	v_mov_b32_e32 v4, 0
	ds_write_b32 v1, v4
.LBB607_28:
	s_or_b64 exec, exec, s[0:1]
	v_mbcnt_lo_u32_b32 v4, -1, 0
	v_mbcnt_hi_u32_b32 v4, -1, v4
	v_and_b32_e32 v5, 63, v4
	v_cmp_gt_u32_e64 s[0:1], 32, v5
	s_waitcnt lgkmcnt(0)
	s_barrier
	v_cndmask_b32_e64 v6, 0, 1, s[0:1]
	v_lshlrev_b32_e32 v6, 5, v6
	v_add_lshl_u32 v6, v6, v4, 2
	ds_bpermute_b32 v6, v6, v3
	v_cmp_gt_u32_e64 s[0:1], 48, v5
	s_waitcnt lgkmcnt(0)
	v_add_f32_e32 v3, v3, v6
	v_cndmask_b32_e64 v7, 0, 1, s[0:1]
	v_lshlrev_b32_e32 v7, 4, v7
	v_add_lshl_u32 v6, v7, v4, 2
	ds_bpermute_b32 v6, v6, v3
	v_cmp_gt_u32_e64 s[0:1], 56, v5
	s_waitcnt lgkmcnt(0)
	v_add_f32_e32 v3, v3, v6
	;; [unrolled: 7-line block ×4, first 2 shown]
	v_cndmask_b32_e64 v7, 0, 1, s[0:1]
	v_lshlrev_b32_e32 v7, 1, v7
	v_add_lshl_u32 v3, v7, v4, 2
	ds_bpermute_b32 v7, v3, v6
	v_cmp_ne_u32_e64 s[0:1], 63, v5
	s_waitcnt lgkmcnt(0)
	v_add_f32_e32 v5, v6, v7
	v_addc_co_u32_e64 v4, s[0:1], 0, v4, s[0:1]
	v_lshlrev_b32_e32 v4, 2, v4
	ds_bpermute_b32 v6, v4, v5
	v_cmp_eq_u32_e64 s[0:1], 0, v2
	s_and_saveexec_b64 s[4:5], s[0:1]
	s_cbranch_execz .LBB607_30
; %bb.29:
	v_lshrrev_b32_e32 v2, 4, v0
	v_and_b32_e32 v2, 12, v2
	s_waitcnt lgkmcnt(0)
	v_add_f32_e32 v5, v5, v6
	ds_write_b32 v2, v5
.LBB607_30:
	s_or_b64 exec, exec, s[4:5]
	v_cmp_gt_u32_e64 s[0:1], 4, v0
	v_mov_b32_e32 v2, 0
	s_waitcnt lgkmcnt(0)
	s_barrier
	s_and_saveexec_b64 s[4:5], s[0:1]
	s_cbranch_execz .LBB607_32
; %bb.31:
	ds_read_b32 v2, v1
	s_or_b64 exec, exec, s[4:5]
	s_and_saveexec_b64 s[0:1], vcc
	s_cbranch_execz .LBB607_34
	s_branch .LBB607_33
.LBB607_32:
	s_or_b64 exec, exec, s[4:5]
	s_and_saveexec_b64 s[0:1], vcc
	s_cbranch_execz .LBB607_34
.LBB607_33:
	s_waitcnt lgkmcnt(0)
	ds_bpermute_b32 v1, v3, v2
	s_waitcnt lgkmcnt(0)
	v_add_f32_e32 v1, v2, v1
	ds_bpermute_b32 v2, v4, v1
	s_waitcnt lgkmcnt(0)
	v_add_f32_e32 v2, v1, v2
.LBB607_34:
	s_or_b64 exec, exec, s[0:1]
	v_cmp_eq_u32_e32 vcc, 0, v0
                                        ; implicit-def: $vgpr1
                                        ; implicit-def: $sgpr8_sgpr9
	s_and_saveexec_b64 s[0:1], vcc
	s_cbranch_execz .LBB607_41
; %bb.35:
	v_cmp_eq_f32_e64 s[4:5], s3, 0
	s_waitcnt lgkmcnt(0)
	v_mul_f32_e32 v0, s30, v2
	s_and_b64 vcc, exec, s[4:5]
	s_cbranch_vccz .LBB607_44
; %bb.36:
	s_mov_b32 s4, 0x7f800000
	v_and_b32_e32 v1, 0x7f800000, v0
	v_cmp_ne_u32_e32 vcc, s4, v1
                                        ; implicit-def: $vgpr1
	s_and_saveexec_b64 s[4:5], vcc
	s_xor_b64 s[4:5], exec, s[4:5]
; %bb.37:
	v_bfe_u32 v1, v0, 16, 1
	s_movk_i32 s8, 0x7fff
	v_add3_u32 v1, v0, v1, s8
; %bb.38:
	s_andn2_saveexec_b64 s[4:5], s[4:5]
; %bb.39:
	v_mov_b32_e32 v1, 0
	v_or_b32_e32 v2, 0x10000, v0
	v_cmp_eq_u32_sdwa vcc, v0, v1 src0_sel:WORD_0 src1_sel:DWORD
	s_nop 1
	v_cndmask_b32_e32 v1, v2, v0, vcc
; %bb.40:
	s_or_b64 exec, exec, s[4:5]
	s_mov_b64 s[4:5], 0
	s_branch .LBB607_45
.LBB607_41:
	s_or_b64 exec, exec, s[0:1]
	s_and_saveexec_b64 s[0:1], s[6:7]
	s_cbranch_execz .LBB607_43
.LBB607_42:
	s_lshl_b64 s[0:1], s[8:9], 1
	s_add_u32 s0, s24, s0
	s_addc_u32 s1, s25, s1
	v_mov_b32_e32 v0, 0
	global_store_short v0, v1, s[0:1]
.LBB607_43:
	s_endpgm
.LBB607_44:
	s_mov_b64 s[4:5], -1
                                        ; implicit-def: $vgpr1
.LBB607_45:
	s_andn2_b64 vcc, exec, s[4:5]
	s_mul_i32 s4, s2, s13
	s_mul_hi_u32 s5, s2, s12
	s_mul_i32 s10, s26, s12
	s_mul_i32 s8, s2, s12
	s_cbranch_vccnz .LBB607_62
; %bb.46:
	s_add_i32 s2, s5, s4
	s_add_i32 s9, s2, s10
	s_lshl_b64 s[12:13], s[8:9], 1
	s_add_u32 s12, s24, s12
	s_addc_u32 s13, s25, s13
	v_mov_b32_e32 v1, 0
	global_load_ushort v1, v1, s[12:13]
	s_mov_b32 s2, 0x7f800000
	s_waitcnt vmcnt(0)
	v_lshlrev_b32_e32 v1, 16, v1
	v_mul_f32_e32 v1, s3, v1
	v_and_b32_e32 v2, 0x7f800000, v1
	v_cmp_eq_u32_e32 vcc, s2, v2
	v_readfirstlane_b32 s9, v1
	s_cbranch_vccnz .LBB607_54
; %bb.47:
	s_bfe_u32 s2, s9, 0x10010
	s_add_i32 s2, s9, s2
	s_add_i32 s11, s2, 0x7fff
	s_mov_b64 s[2:3], 0
	s_branch .LBB607_55
.LBB607_48:
	s_mov_b64 s[4:5], -1
                                        ; implicit-def: $sgpr7
.LBB607_49:
	s_andn2_b64 vcc, exec, s[4:5]
	s_cbranch_vccnz .LBB607_51
; %bb.50:
	s_and_b32 s4, s6, 0xffff
	s_or_b32 s5, s6, 0x10000
	s_cmp_eq_u32 s4, 0
	s_cselect_b32 s7, s6, s5
.LBB607_51:
	s_lshr_b32 s26, s7, 16
.LBB607_52:
	s_mov_b64 s[6:7], exec
	s_or_b64 exec, exec, s[18:19]
	s_and_b64 vcc, exec, s[10:11]
	s_cbranch_vccnz .LBB607_11
.LBB607_53:
	v_mov_b32_e32 v1, s26
	s_and_saveexec_b64 s[0:1], s[6:7]
	s_cbranch_execnz .LBB607_42
	s_branch .LBB607_43
.LBB607_54:
	s_mov_b64 s[2:3], -1
                                        ; implicit-def: $sgpr11
.LBB607_55:
	s_andn2_b64 vcc, exec, s[2:3]
	s_cbranch_vccnz .LBB607_57
; %bb.56:
	s_and_b32 s2, s9, 0xffff
	s_or_b32 s3, s9, 0x10000
	s_cmp_eq_u32 s2, 0
	s_cselect_b32 s11, s9, s3
.LBB607_57:
	s_and_b32 s2, s11, 0xffff0000
	v_add_f32_e32 v0, s2, v0
	s_mov_b32 s2, 0x7f800000
	v_and_b32_e32 v1, 0x7f800000, v0
	v_cmp_ne_u32_e32 vcc, s2, v1
                                        ; implicit-def: $vgpr1
	s_and_saveexec_b64 s[2:3], vcc
	s_xor_b64 s[2:3], exec, s[2:3]
; %bb.58:
	v_bfe_u32 v1, v0, 16, 1
	s_movk_i32 s9, 0x7fff
	v_add3_u32 v1, v0, v1, s9
                                        ; implicit-def: $vgpr0
; %bb.59:
	s_andn2_saveexec_b64 s[2:3], s[2:3]
; %bb.60:
	v_mov_b32_e32 v1, 0
	v_or_b32_e32 v2, 0x10000, v0
	v_cmp_eq_u32_sdwa vcc, v0, v1 src0_sel:WORD_0 src1_sel:DWORD
	s_nop 1
	v_cndmask_b32_e32 v1, v2, v0, vcc
; %bb.61:
	s_or_b64 exec, exec, s[2:3]
.LBB607_62:
	s_add_i32 s2, s5, s4
	v_lshrrev_b32_e32 v1, 16, v1
	s_add_i32 s9, s2, s10
	s_or_b64 s[6:7], s[6:7], exec
	s_or_b64 exec, exec, s[0:1]
	s_and_saveexec_b64 s[0:1], s[6:7]
	s_cbranch_execnz .LBB607_42
	s_branch .LBB607_43
	.section	.rodata,"a",@progbits
	.p2align	6, 0x0
	.amdhsa_kernel _ZL32rocblas_gemvt_warp_reduce_kernelILb0ELi256ElPK16rocblas_bfloat16PKfKPS0_EviiT3_lPKT2_lT1_lSA_lSB_lS7_lPT4_lSB_li
		.amdhsa_group_segment_fixed_size 256
		.amdhsa_private_segment_fixed_size 0
		.amdhsa_kernarg_size 140
		.amdhsa_user_sgpr_count 2
		.amdhsa_user_sgpr_dispatch_ptr 0
		.amdhsa_user_sgpr_queue_ptr 0
		.amdhsa_user_sgpr_kernarg_segment_ptr 1
		.amdhsa_user_sgpr_dispatch_id 0
		.amdhsa_user_sgpr_kernarg_preload_length 0
		.amdhsa_user_sgpr_kernarg_preload_offset 0
		.amdhsa_user_sgpr_private_segment_size 0
		.amdhsa_uses_dynamic_stack 0
		.amdhsa_enable_private_segment 0
		.amdhsa_system_sgpr_workgroup_id_x 1
		.amdhsa_system_sgpr_workgroup_id_y 0
		.amdhsa_system_sgpr_workgroup_id_z 1
		.amdhsa_system_sgpr_workgroup_info 0
		.amdhsa_system_vgpr_workitem_id 0
		.amdhsa_next_free_vgpr 14
		.amdhsa_next_free_sgpr 31
		.amdhsa_accum_offset 16
		.amdhsa_reserve_vcc 1
		.amdhsa_float_round_mode_32 0
		.amdhsa_float_round_mode_16_64 0
		.amdhsa_float_denorm_mode_32 3
		.amdhsa_float_denorm_mode_16_64 3
		.amdhsa_dx10_clamp 1
		.amdhsa_ieee_mode 1
		.amdhsa_fp16_overflow 0
		.amdhsa_tg_split 0
		.amdhsa_exception_fp_ieee_invalid_op 0
		.amdhsa_exception_fp_denorm_src 0
		.amdhsa_exception_fp_ieee_div_zero 0
		.amdhsa_exception_fp_ieee_overflow 0
		.amdhsa_exception_fp_ieee_underflow 0
		.amdhsa_exception_fp_ieee_inexact 0
		.amdhsa_exception_int_div_zero 0
	.end_amdhsa_kernel
	.section	.text._ZL32rocblas_gemvt_warp_reduce_kernelILb0ELi256ElPK16rocblas_bfloat16PKfKPS0_EviiT3_lPKT2_lT1_lSA_lSB_lS7_lPT4_lSB_li,"axG",@progbits,_ZL32rocblas_gemvt_warp_reduce_kernelILb0ELi256ElPK16rocblas_bfloat16PKfKPS0_EviiT3_lPKT2_lT1_lSA_lSB_lS7_lPT4_lSB_li,comdat
.Lfunc_end607:
	.size	_ZL32rocblas_gemvt_warp_reduce_kernelILb0ELi256ElPK16rocblas_bfloat16PKfKPS0_EviiT3_lPKT2_lT1_lSA_lSB_lS7_lPT4_lSB_li, .Lfunc_end607-_ZL32rocblas_gemvt_warp_reduce_kernelILb0ELi256ElPK16rocblas_bfloat16PKfKPS0_EviiT3_lPKT2_lT1_lSA_lSB_lS7_lPT4_lSB_li
                                        ; -- End function
	.section	.AMDGPU.csdata,"",@progbits
; Kernel info:
; codeLenInByte = 2068
; NumSgprs: 37
; NumVgprs: 14
; NumAgprs: 0
; TotalNumVgprs: 14
; ScratchSize: 0
; MemoryBound: 0
; FloatMode: 240
; IeeeMode: 1
; LDSByteSize: 256 bytes/workgroup (compile time only)
; SGPRBlocks: 4
; VGPRBlocks: 1
; NumSGPRsForWavesPerEU: 37
; NumVGPRsForWavesPerEU: 14
; AccumOffset: 16
; Occupancy: 8
; WaveLimiterHint : 1
; COMPUTE_PGM_RSRC2:SCRATCH_EN: 0
; COMPUTE_PGM_RSRC2:USER_SGPR: 2
; COMPUTE_PGM_RSRC2:TRAP_HANDLER: 0
; COMPUTE_PGM_RSRC2:TGID_X_EN: 1
; COMPUTE_PGM_RSRC2:TGID_Y_EN: 0
; COMPUTE_PGM_RSRC2:TGID_Z_EN: 1
; COMPUTE_PGM_RSRC2:TIDIG_COMP_CNT: 0
; COMPUTE_PGM_RSRC3_GFX90A:ACCUM_OFFSET: 3
; COMPUTE_PGM_RSRC3_GFX90A:TG_SPLIT: 0
	.section	.text._ZL32rocblas_gemvt_warp_reduce_kernelILb0ELi256EiPK16rocblas_bfloat16fKPS0_EviiT3_lPKT2_lT1_lS8_lS9_lS5_lPT4_lS9_li,"axG",@progbits,_ZL32rocblas_gemvt_warp_reduce_kernelILb0ELi256EiPK16rocblas_bfloat16fKPS0_EviiT3_lPKT2_lT1_lS8_lS9_lS5_lPT4_lS9_li,comdat
	.globl	_ZL32rocblas_gemvt_warp_reduce_kernelILb0ELi256EiPK16rocblas_bfloat16fKPS0_EviiT3_lPKT2_lT1_lS8_lS9_lS5_lPT4_lS9_li ; -- Begin function _ZL32rocblas_gemvt_warp_reduce_kernelILb0ELi256EiPK16rocblas_bfloat16fKPS0_EviiT3_lPKT2_lT1_lS8_lS9_lS5_lPT4_lS9_li
	.p2align	8
	.type	_ZL32rocblas_gemvt_warp_reduce_kernelILb0ELi256EiPK16rocblas_bfloat16fKPS0_EviiT3_lPKT2_lT1_lS8_lS9_lS5_lPT4_lS9_li,@function
_ZL32rocblas_gemvt_warp_reduce_kernelILb0ELi256EiPK16rocblas_bfloat16fKPS0_EviiT3_lPKT2_lT1_lS8_lS9_lS5_lPT4_lS9_li: ; @_ZL32rocblas_gemvt_warp_reduce_kernelILb0ELi256EiPK16rocblas_bfloat16fKPS0_EviiT3_lPKT2_lT1_lS8_lS9_lS5_lPT4_lS9_li
; %bb.0:
	s_mov_b32 s10, s3
	s_load_dword s20, s[0:1], 0x8
	s_load_dword s3, s[0:1], 0x58
	s_waitcnt lgkmcnt(0)
	v_cmp_eq_f32_e64 s[4:5], s20, 0
	v_cmp_eq_f32_e64 s[6:7], s3, 1.0
	s_and_b64 s[6:7], s[4:5], s[6:7]
	s_and_b64 vcc, exec, s[6:7]
	s_cbranch_vccnz .LBB608_45
; %bb.1:
	v_cmp_neq_f32_e64 s[8:9], s20, 0
	s_mov_b32 s11, 0
	s_and_b64 vcc, exec, s[8:9]
	s_cbranch_vccnz .LBB608_3
; %bb.2:
	s_mov_b64 s[12:13], 0
	s_cbranch_execz .LBB608_4
	s_branch .LBB608_5
.LBB608_3:
                                        ; implicit-def: $sgpr12_sgpr13
.LBB608_4:
	s_load_dwordx4 s[12:15], s[0:1], 0x18
	s_lshl_b64 s[6:7], s[10:11], 3
	s_waitcnt lgkmcnt(0)
	s_add_u32 s6, s12, s6
	s_addc_u32 s7, s13, s7
	s_load_dwordx2 s[6:7], s[6:7], 0x0
	s_lshl_b64 s[12:13], s[14:15], 1
	s_waitcnt lgkmcnt(0)
	s_add_u32 s12, s6, s12
	s_addc_u32 s13, s7, s13
.LBB608_5:
	s_mov_b64 s[6:7], 0
	s_andn2_b64 vcc, exec, s[8:9]
	s_mov_b64 s[8:9], 0
	s_cbranch_vccnz .LBB608_7
; %bb.6:
	s_load_dwordx4 s[16:19], s[0:1], 0x38
	s_lshl_b64 s[8:9], s[10:11], 3
	s_waitcnt lgkmcnt(0)
	s_add_u32 s8, s16, s8
	s_addc_u32 s9, s17, s9
	s_load_dwordx2 s[8:9], s[8:9], 0x0
	s_lshl_b64 s[14:15], s[18:19], 1
	s_waitcnt lgkmcnt(0)
	s_add_u32 s8, s8, s14
	s_addc_u32 s9, s9, s15
.LBB608_7:
	s_load_dwordx4 s[16:19], s[0:1], 0x68
	s_load_dword s21, s[0:1], 0x78
	s_lshl_b64 s[10:11], s[10:11], 3
	s_waitcnt lgkmcnt(0)
	s_add_u32 s10, s16, s10
	s_addc_u32 s11, s17, s11
	s_load_dwordx2 s[10:11], s[10:11], 0x0
	s_lshl_b64 s[14:15], s[18:19], 1
	s_waitcnt lgkmcnt(0)
	s_add_u32 s18, s10, s14
	s_addc_u32 s19, s11, s15
	s_andn2_b64 vcc, exec, s[4:5]
	v_cmp_eq_u32_e64 s[4:5], 0, v0
	s_cbranch_vccnz .LBB608_12
; %bb.8:
	s_mov_b64 s[14:15], 0
                                        ; implicit-def: $sgpr22
                                        ; implicit-def: $sgpr10_sgpr11
	s_and_saveexec_b64 s[16:17], s[4:5]
	s_cbranch_execz .LBB608_20
; %bb.9:
	v_cmp_eq_f32_e64 s[4:5], s3, 0
	s_mul_i32 s10, s2, s21
	s_mov_b32 s22, 0
	s_ashr_i32 s11, s10, 31
	s_and_b64 vcc, exec, s[4:5]
	s_cbranch_vccnz .LBB608_53
; %bb.10:
	s_lshl_b64 s[4:5], s[10:11], 1
	s_add_u32 s4, s18, s4
	s_addc_u32 s5, s19, s5
	v_mov_b32_e32 v1, 0
	global_load_ushort v1, v1, s[4:5]
	s_mov_b32 s4, 0x7f800000
	s_waitcnt vmcnt(0)
	v_lshlrev_b32_e32 v1, 16, v1
	v_mul_f32_e32 v1, s3, v1
	v_and_b32_e32 v2, 0x7f800000, v1
	v_cmp_eq_u32_e32 vcc, s4, v2
	v_readfirstlane_b32 s6, v1
	s_cbranch_vccnz .LBB608_49
; %bb.11:
	s_bfe_u32 s4, s6, 0x10010
	s_add_i32 s4, s6, s4
	s_add_i32 s7, s4, 0x7fff
	s_mov_b64 s[4:5], 0
	s_branch .LBB608_50
.LBB608_12:
                                        ; implicit-def: $sgpr22
                                        ; implicit-def: $sgpr10_sgpr11
	s_cbranch_execz .LBB608_54
.LBB608_13:
	s_load_dword s17, s[0:1], 0x0
	s_load_dword s4, s[0:1], 0x28
	;; [unrolled: 1-line block ×3, first 2 shown]
	v_mov_b32_e32 v3, 0
	s_waitcnt lgkmcnt(0)
	v_cmp_gt_i32_e32 vcc, s17, v0
	s_mul_i32 s0, s2, s4
	s_ashr_i32 s1, s0, 31
	s_lshl_b64 s[0:1], s[0:1], 1
	v_cndmask_b32_e32 v1, 0, v0, vcc
	s_add_u32 s0, s0, s12
	v_lshlrev_b32_e32 v2, 1, v1
	s_addc_u32 s1, s1, s13
	v_lshl_add_u64 v[4:5], s[0:1], 0, v[2:3]
	s_ashr_i32 s0, s17, 31
	s_lshr_b32 s0, s0, 24
	s_add_i32 s0, s17, s0
	s_and_b32 s0, s0, 0xffffff00
	v_cmp_gt_i32_e32 vcc, s0, v0
	s_and_saveexec_b64 s[4:5], vcc
	s_cbranch_execz .LBB608_22
; %bb.14:
	v_mul_lo_u32 v6, v0, s16
	s_lshl_b32 s1, s16, 8
	s_mov_b64 s[10:11], 0
	v_mov_b32_e32 v1, 0
	s_mov_b32 s22, 0x7f800000
	s_movk_i32 s23, 0x7fff
	s_mov_b64 s[12:13], 0x200
	v_mov_b64_e32 v[8:9], v[4:5]
	v_mov_b32_e32 v2, v0
	v_mov_b32_e32 v3, 0
	s_branch .LBB608_16
.LBB608_15:                             ;   in Loop: Header=BB608_16 Depth=1
	s_or_b64 exec, exec, s[14:15]
	v_add_u32_e32 v2, 0x100, v2
	v_and_b32_e32 v7, 0xffff0000, v7
	v_cmp_le_i32_e32 vcc, s0, v2
	v_add_f32_e32 v3, v3, v7
	v_lshl_add_u64 v[8:9], v[8:9], 0, s[12:13]
	s_or_b64 s[10:11], vcc, s[10:11]
	v_add_u32_e32 v6, s1, v6
	s_andn2_b64 exec, exec, s[10:11]
	s_cbranch_execz .LBB608_21
.LBB608_16:                             ; =>This Inner Loop Header: Depth=1
	v_ashrrev_i32_e32 v7, 31, v6
	v_lshl_add_u64 v[10:11], v[6:7], 1, s[8:9]
	flat_load_ushort v7, v[10:11]
	flat_load_ushort v12, v[8:9]
	s_waitcnt vmcnt(0) lgkmcnt(0)
	v_lshlrev_b32_e32 v10, 16, v7
	v_lshlrev_b32_e32 v12, 16, v12
	v_pk_mul_f32 v[10:11], v[10:11], v[12:13] op_sel_hi:[0,1]
	v_and_b32_e32 v7, 0x7f800000, v10
	v_cmp_ne_u32_e32 vcc, s22, v7
                                        ; implicit-def: $vgpr7
	s_and_saveexec_b64 s[14:15], vcc
	s_xor_b64 s[14:15], exec, s[14:15]
; %bb.17:                               ;   in Loop: Header=BB608_16 Depth=1
	v_bfe_u32 v7, v10, 16, 1
	v_add3_u32 v7, v10, v7, s23
                                        ; implicit-def: $vgpr10_vgpr11
; %bb.18:                               ;   in Loop: Header=BB608_16 Depth=1
	s_andn2_saveexec_b64 s[14:15], s[14:15]
	s_cbranch_execz .LBB608_15
; %bb.19:                               ;   in Loop: Header=BB608_16 Depth=1
	v_or_b32_e32 v7, 0x10000, v10
	v_cmp_eq_u32_sdwa vcc, v10, v1 src0_sel:WORD_0 src1_sel:DWORD
	s_nop 1
	v_cndmask_b32_e32 v7, v7, v10, vcc
	s_branch .LBB608_15
.LBB608_20:
	s_or_b64 exec, exec, s[16:17]
	s_and_b64 vcc, exec, s[14:15]
	s_cbranch_vccnz .LBB608_13
	s_branch .LBB608_54
.LBB608_21:
	s_or_b64 exec, exec, s[10:11]
.LBB608_22:
	s_or_b64 exec, exec, s[4:5]
	v_add_u32_e32 v1, s0, v0
	v_cmp_gt_i32_e32 vcc, s17, v1
	s_and_saveexec_b64 s[4:5], vcc
	s_cbranch_execz .LBB608_28
; %bb.23:
	s_ashr_i32 s1, s0, 31
	v_mul_lo_u32 v6, v1, s16
	v_lshl_add_u64 v[4:5], s[0:1], 1, v[4:5]
	v_ashrrev_i32_e32 v7, 31, v6
	v_lshl_add_u64 v[6:7], v[6:7], 1, s[8:9]
	flat_load_ushort v1, v[4:5]
	flat_load_ushort v8, v[6:7]
	s_mov_b32 s0, 0x7f800000
	s_waitcnt vmcnt(0) lgkmcnt(0)
	v_lshlrev_b32_e32 v2, 16, v1
	v_lshlrev_b32_e32 v4, 16, v8
	v_pk_mul_f32 v[4:5], v[4:5], v[2:3] op_sel_hi:[0,1]
	v_and_b32_e32 v1, 0x7f800000, v4
	v_cmp_ne_u32_e32 vcc, s0, v1
                                        ; implicit-def: $vgpr1
	s_and_saveexec_b64 s[0:1], vcc
	s_xor_b64 s[0:1], exec, s[0:1]
; %bb.24:
	v_bfe_u32 v1, v4, 16, 1
	s_movk_i32 s8, 0x7fff
	v_add3_u32 v1, v4, v1, s8
                                        ; implicit-def: $vgpr4_vgpr5
; %bb.25:
	s_andn2_saveexec_b64 s[0:1], s[0:1]
; %bb.26:
	v_mov_b32_e32 v1, 0
	v_or_b32_e32 v2, 0x10000, v4
	v_cmp_eq_u32_sdwa vcc, v4, v1 src0_sel:WORD_0 src1_sel:DWORD
	s_nop 1
	v_cndmask_b32_e32 v1, v2, v4, vcc
; %bb.27:
	s_or_b64 exec, exec, s[0:1]
	v_and_b32_e32 v1, 0xffff0000, v1
	v_add_f32_e32 v3, v3, v1
.LBB608_28:
	s_or_b64 exec, exec, s[4:5]
	v_and_b32_e32 v2, 63, v0
	v_cmp_gt_u32_e32 vcc, 64, v0
	v_lshlrev_b32_e32 v1, 2, v2
	s_and_saveexec_b64 s[0:1], vcc
	s_cbranch_execz .LBB608_30
; %bb.29:
	v_mov_b32_e32 v4, 0
	ds_write_b32 v1, v4
.LBB608_30:
	s_or_b64 exec, exec, s[0:1]
	v_mbcnt_lo_u32_b32 v4, -1, 0
	v_mbcnt_hi_u32_b32 v4, -1, v4
	v_and_b32_e32 v5, 63, v4
	v_cmp_gt_u32_e64 s[0:1], 32, v5
	s_waitcnt lgkmcnt(0)
	s_barrier
	v_cndmask_b32_e64 v6, 0, 1, s[0:1]
	v_lshlrev_b32_e32 v6, 5, v6
	v_add_lshl_u32 v6, v6, v4, 2
	ds_bpermute_b32 v6, v6, v3
	v_cmp_gt_u32_e64 s[0:1], 48, v5
	s_waitcnt lgkmcnt(0)
	v_add_f32_e32 v3, v3, v6
	v_cndmask_b32_e64 v7, 0, 1, s[0:1]
	v_lshlrev_b32_e32 v7, 4, v7
	v_add_lshl_u32 v6, v7, v4, 2
	ds_bpermute_b32 v6, v6, v3
	v_cmp_gt_u32_e64 s[0:1], 56, v5
	s_waitcnt lgkmcnt(0)
	v_add_f32_e32 v3, v3, v6
	;; [unrolled: 7-line block ×4, first 2 shown]
	v_cndmask_b32_e64 v7, 0, 1, s[0:1]
	v_lshlrev_b32_e32 v7, 1, v7
	v_add_lshl_u32 v3, v7, v4, 2
	ds_bpermute_b32 v7, v3, v6
	v_cmp_ne_u32_e64 s[0:1], 63, v5
	s_waitcnt lgkmcnt(0)
	v_add_f32_e32 v5, v6, v7
	v_addc_co_u32_e64 v4, s[0:1], 0, v4, s[0:1]
	v_lshlrev_b32_e32 v4, 2, v4
	ds_bpermute_b32 v6, v4, v5
	v_cmp_eq_u32_e64 s[0:1], 0, v2
	s_and_saveexec_b64 s[4:5], s[0:1]
	s_cbranch_execz .LBB608_32
; %bb.31:
	v_lshrrev_b32_e32 v2, 4, v0
	v_and_b32_e32 v2, 12, v2
	s_waitcnt lgkmcnt(0)
	v_add_f32_e32 v5, v5, v6
	ds_write_b32 v2, v5
.LBB608_32:
	s_or_b64 exec, exec, s[4:5]
	v_cmp_gt_u32_e64 s[0:1], 4, v0
	v_mov_b32_e32 v2, 0
	s_waitcnt lgkmcnt(0)
	s_barrier
	s_and_saveexec_b64 s[4:5], s[0:1]
	s_cbranch_execz .LBB608_34
; %bb.33:
	ds_read_b32 v2, v1
	s_or_b64 exec, exec, s[4:5]
	s_and_saveexec_b64 s[0:1], vcc
	s_cbranch_execz .LBB608_36
	s_branch .LBB608_35
.LBB608_34:
	s_or_b64 exec, exec, s[4:5]
	s_and_saveexec_b64 s[0:1], vcc
	s_cbranch_execz .LBB608_36
.LBB608_35:
	s_waitcnt lgkmcnt(0)
	ds_bpermute_b32 v1, v3, v2
	s_waitcnt lgkmcnt(0)
	v_add_f32_e32 v1, v2, v1
	ds_bpermute_b32 v2, v4, v1
	s_waitcnt lgkmcnt(0)
	v_add_f32_e32 v2, v1, v2
.LBB608_36:
	s_or_b64 exec, exec, s[0:1]
	v_cmp_eq_u32_e32 vcc, 0, v0
                                        ; implicit-def: $vgpr1
                                        ; implicit-def: $sgpr10_sgpr11
	s_and_saveexec_b64 s[0:1], vcc
	s_cbranch_execz .LBB608_43
; %bb.37:
	v_cmp_eq_f32_e64 s[4:5], s3, 0
	s_waitcnt lgkmcnt(0)
	v_mul_f32_e32 v0, s20, v2
	s_and_b64 vcc, exec, s[4:5]
	s_cbranch_vccz .LBB608_46
; %bb.38:
	s_mov_b32 s4, 0x7f800000
	v_and_b32_e32 v1, 0x7f800000, v0
	v_cmp_ne_u32_e32 vcc, s4, v1
                                        ; implicit-def: $vgpr1
	s_and_saveexec_b64 s[4:5], vcc
	s_xor_b64 s[4:5], exec, s[4:5]
; %bb.39:
	v_bfe_u32 v1, v0, 16, 1
	s_movk_i32 s8, 0x7fff
	v_add3_u32 v1, v0, v1, s8
; %bb.40:
	s_andn2_saveexec_b64 s[4:5], s[4:5]
; %bb.41:
	v_mov_b32_e32 v1, 0
	v_or_b32_e32 v2, 0x10000, v0
	v_cmp_eq_u32_sdwa vcc, v0, v1 src0_sel:WORD_0 src1_sel:DWORD
	s_nop 1
	v_cndmask_b32_e32 v1, v2, v0, vcc
; %bb.42:
	s_or_b64 exec, exec, s[4:5]
	s_mul_i32 s10, s2, s21
	s_cbranch_execz .LBB608_47
	s_branch .LBB608_63
.LBB608_43:
	s_or_b64 exec, exec, s[0:1]
	s_and_saveexec_b64 s[0:1], s[6:7]
	s_cbranch_execz .LBB608_45
.LBB608_44:
	s_lshl_b64 s[0:1], s[10:11], 1
	s_add_u32 s0, s18, s0
	s_addc_u32 s1, s19, s1
	v_mov_b32_e32 v0, 0
	global_store_short v0, v1, s[0:1]
.LBB608_45:
	s_endpgm
.LBB608_46:
                                        ; implicit-def: $vgpr1
	s_mul_i32 s10, s2, s21
.LBB608_47:
	s_ashr_i32 s11, s10, 31
	s_lshl_b64 s[4:5], s[10:11], 1
	s_add_u32 s4, s18, s4
	s_addc_u32 s5, s19, s5
	v_mov_b32_e32 v1, 0
	global_load_ushort v1, v1, s[4:5]
	s_mov_b32 s2, 0x7f800000
	s_waitcnt vmcnt(0)
	v_lshlrev_b32_e32 v1, 16, v1
	v_mul_f32_e32 v1, s3, v1
	v_and_b32_e32 v2, 0x7f800000, v1
	v_cmp_eq_u32_e32 vcc, s2, v2
	v_readfirstlane_b32 s4, v1
	s_cbranch_vccnz .LBB608_55
; %bb.48:
	s_bfe_u32 s2, s4, 0x10010
	s_add_i32 s2, s4, s2
	s_add_i32 s5, s2, 0x7fff
	s_mov_b64 s[2:3], 0
	s_branch .LBB608_56
.LBB608_49:
	s_mov_b64 s[4:5], -1
                                        ; implicit-def: $sgpr7
.LBB608_50:
	s_andn2_b64 vcc, exec, s[4:5]
	s_cbranch_vccnz .LBB608_52
; %bb.51:
	s_and_b32 s4, s6, 0xffff
	s_or_b32 s5, s6, 0x10000
	s_cmp_eq_u32 s4, 0
	s_cselect_b32 s7, s6, s5
.LBB608_52:
	s_lshr_b32 s22, s7, 16
.LBB608_53:
	s_mov_b64 s[6:7], exec
	s_or_b64 exec, exec, s[16:17]
	s_and_b64 vcc, exec, s[14:15]
	s_cbranch_vccnz .LBB608_13
.LBB608_54:
	v_mov_b32_e32 v1, s22
	s_and_saveexec_b64 s[0:1], s[6:7]
	s_cbranch_execnz .LBB608_44
	s_branch .LBB608_45
.LBB608_55:
	s_mov_b64 s[2:3], -1
                                        ; implicit-def: $sgpr5
.LBB608_56:
	s_andn2_b64 vcc, exec, s[2:3]
	s_cbranch_vccnz .LBB608_58
; %bb.57:
	s_and_b32 s2, s4, 0xffff
	s_or_b32 s3, s4, 0x10000
	s_cmp_eq_u32 s2, 0
	s_cselect_b32 s5, s4, s3
.LBB608_58:
	s_and_b32 s2, s5, 0xffff0000
	v_add_f32_e32 v0, s2, v0
	s_mov_b32 s2, 0x7f800000
	v_and_b32_e32 v1, 0x7f800000, v0
	v_cmp_ne_u32_e32 vcc, s2, v1
                                        ; implicit-def: $vgpr1
	s_and_saveexec_b64 s[2:3], vcc
	s_xor_b64 s[2:3], exec, s[2:3]
; %bb.59:
	v_bfe_u32 v1, v0, 16, 1
	s_movk_i32 s4, 0x7fff
	v_add3_u32 v1, v0, v1, s4
                                        ; implicit-def: $vgpr0
; %bb.60:
	s_andn2_saveexec_b64 s[2:3], s[2:3]
; %bb.61:
	v_mov_b32_e32 v1, 0
	v_or_b32_e32 v2, 0x10000, v0
	v_cmp_eq_u32_sdwa vcc, v0, v1 src0_sel:WORD_0 src1_sel:DWORD
	s_nop 1
	v_cndmask_b32_e32 v1, v2, v0, vcc
; %bb.62:
	s_or_b64 exec, exec, s[2:3]
.LBB608_63:
	v_lshrrev_b32_e32 v1, 16, v1
	s_ashr_i32 s11, s10, 31
	s_or_b64 s[6:7], s[6:7], exec
	s_or_b64 exec, exec, s[0:1]
	s_and_saveexec_b64 s[0:1], s[6:7]
	s_cbranch_execnz .LBB608_44
	s_branch .LBB608_45
	.section	.rodata,"a",@progbits
	.p2align	6, 0x0
	.amdhsa_kernel _ZL32rocblas_gemvt_warp_reduce_kernelILb0ELi256EiPK16rocblas_bfloat16fKPS0_EviiT3_lPKT2_lT1_lS8_lS9_lS5_lPT4_lS9_li
		.amdhsa_group_segment_fixed_size 256
		.amdhsa_private_segment_fixed_size 0
		.amdhsa_kernarg_size 140
		.amdhsa_user_sgpr_count 2
		.amdhsa_user_sgpr_dispatch_ptr 0
		.amdhsa_user_sgpr_queue_ptr 0
		.amdhsa_user_sgpr_kernarg_segment_ptr 1
		.amdhsa_user_sgpr_dispatch_id 0
		.amdhsa_user_sgpr_kernarg_preload_length 0
		.amdhsa_user_sgpr_kernarg_preload_offset 0
		.amdhsa_user_sgpr_private_segment_size 0
		.amdhsa_uses_dynamic_stack 0
		.amdhsa_enable_private_segment 0
		.amdhsa_system_sgpr_workgroup_id_x 1
		.amdhsa_system_sgpr_workgroup_id_y 0
		.amdhsa_system_sgpr_workgroup_id_z 1
		.amdhsa_system_sgpr_workgroup_info 0
		.amdhsa_system_vgpr_workitem_id 0
		.amdhsa_next_free_vgpr 14
		.amdhsa_next_free_sgpr 24
		.amdhsa_accum_offset 16
		.amdhsa_reserve_vcc 1
		.amdhsa_float_round_mode_32 0
		.amdhsa_float_round_mode_16_64 0
		.amdhsa_float_denorm_mode_32 3
		.amdhsa_float_denorm_mode_16_64 3
		.amdhsa_dx10_clamp 1
		.amdhsa_ieee_mode 1
		.amdhsa_fp16_overflow 0
		.amdhsa_tg_split 0
		.amdhsa_exception_fp_ieee_invalid_op 0
		.amdhsa_exception_fp_denorm_src 0
		.amdhsa_exception_fp_ieee_div_zero 0
		.amdhsa_exception_fp_ieee_overflow 0
		.amdhsa_exception_fp_ieee_underflow 0
		.amdhsa_exception_fp_ieee_inexact 0
		.amdhsa_exception_int_div_zero 0
	.end_amdhsa_kernel
	.section	.text._ZL32rocblas_gemvt_warp_reduce_kernelILb0ELi256EiPK16rocblas_bfloat16fKPS0_EviiT3_lPKT2_lT1_lS8_lS9_lS5_lPT4_lS9_li,"axG",@progbits,_ZL32rocblas_gemvt_warp_reduce_kernelILb0ELi256EiPK16rocblas_bfloat16fKPS0_EviiT3_lPKT2_lT1_lS8_lS9_lS5_lPT4_lS9_li,comdat
.Lfunc_end608:
	.size	_ZL32rocblas_gemvt_warp_reduce_kernelILb0ELi256EiPK16rocblas_bfloat16fKPS0_EviiT3_lPKT2_lT1_lS8_lS9_lS5_lPT4_lS9_li, .Lfunc_end608-_ZL32rocblas_gemvt_warp_reduce_kernelILb0ELi256EiPK16rocblas_bfloat16fKPS0_EviiT3_lPKT2_lT1_lS8_lS9_lS5_lPT4_lS9_li
                                        ; -- End function
	.section	.AMDGPU.csdata,"",@progbits
; Kernel info:
; codeLenInByte = 1908
; NumSgprs: 30
; NumVgprs: 14
; NumAgprs: 0
; TotalNumVgprs: 14
; ScratchSize: 0
; MemoryBound: 0
; FloatMode: 240
; IeeeMode: 1
; LDSByteSize: 256 bytes/workgroup (compile time only)
; SGPRBlocks: 3
; VGPRBlocks: 1
; NumSGPRsForWavesPerEU: 30
; NumVGPRsForWavesPerEU: 14
; AccumOffset: 16
; Occupancy: 8
; WaveLimiterHint : 1
; COMPUTE_PGM_RSRC2:SCRATCH_EN: 0
; COMPUTE_PGM_RSRC2:USER_SGPR: 2
; COMPUTE_PGM_RSRC2:TRAP_HANDLER: 0
; COMPUTE_PGM_RSRC2:TGID_X_EN: 1
; COMPUTE_PGM_RSRC2:TGID_Y_EN: 0
; COMPUTE_PGM_RSRC2:TGID_Z_EN: 1
; COMPUTE_PGM_RSRC2:TIDIG_COMP_CNT: 0
; COMPUTE_PGM_RSRC3_GFX90A:ACCUM_OFFSET: 3
; COMPUTE_PGM_RSRC3_GFX90A:TG_SPLIT: 0
	.section	.text._ZL32rocblas_gemvt_warp_reduce_kernelILb0ELi256ElPK16rocblas_bfloat16fKPS0_EviiT3_lPKT2_lT1_lS8_lS9_lS5_lPT4_lS9_li,"axG",@progbits,_ZL32rocblas_gemvt_warp_reduce_kernelILb0ELi256ElPK16rocblas_bfloat16fKPS0_EviiT3_lPKT2_lT1_lS8_lS9_lS5_lPT4_lS9_li,comdat
	.globl	_ZL32rocblas_gemvt_warp_reduce_kernelILb0ELi256ElPK16rocblas_bfloat16fKPS0_EviiT3_lPKT2_lT1_lS8_lS9_lS5_lPT4_lS9_li ; -- Begin function _ZL32rocblas_gemvt_warp_reduce_kernelILb0ELi256ElPK16rocblas_bfloat16fKPS0_EviiT3_lPKT2_lT1_lS8_lS9_lS5_lPT4_lS9_li
	.p2align	8
	.type	_ZL32rocblas_gemvt_warp_reduce_kernelILb0ELi256ElPK16rocblas_bfloat16fKPS0_EviiT3_lPKT2_lT1_lS8_lS9_lS5_lPT4_lS9_li,@function
_ZL32rocblas_gemvt_warp_reduce_kernelILb0ELi256ElPK16rocblas_bfloat16fKPS0_EviiT3_lPKT2_lT1_lS8_lS9_lS5_lPT4_lS9_li: ; @_ZL32rocblas_gemvt_warp_reduce_kernelILb0ELi256ElPK16rocblas_bfloat16fKPS0_EviiT3_lPKT2_lT1_lS8_lS9_lS5_lPT4_lS9_li
; %bb.0:
	s_mov_b32 s20, s3
	s_load_dword s26, s[0:1], 0x8
	s_load_dword s3, s[0:1], 0x58
	s_waitcnt lgkmcnt(0)
	v_cmp_eq_f32_e64 s[16:17], s26, 0
	v_cmp_eq_f32_e64 s[4:5], s3, 1.0
	s_and_b64 s[4:5], s[16:17], s[4:5]
	s_and_b64 vcc, exec, s[4:5]
	s_cbranch_vccnz .LBB609_45
; %bb.1:
	s_load_dwordx4 s[4:7], s[0:1], 0x18
	s_load_dwordx2 s[14:15], s[0:1], 0x28
	v_cmp_neq_f32_e64 s[12:13], s26, 0
	s_mov_b32 s21, 0
	s_and_b64 vcc, exec, s[12:13]
	s_cbranch_vccnz .LBB609_3
; %bb.2:
	s_mov_b64 s[18:19], 0
	s_cbranch_execz .LBB609_4
	s_branch .LBB609_5
.LBB609_3:
                                        ; implicit-def: $sgpr18_sgpr19
.LBB609_4:
	s_lshl_b64 s[8:9], s[20:21], 3
	s_waitcnt lgkmcnt(0)
	s_add_u32 s4, s4, s8
	s_addc_u32 s5, s5, s9
	s_load_dwordx2 s[4:5], s[4:5], 0x0
	s_lshl_b64 s[6:7], s[6:7], 1
	s_waitcnt lgkmcnt(0)
	s_add_u32 s18, s4, s6
	s_addc_u32 s19, s5, s7
.LBB609_5:
	s_waitcnt lgkmcnt(0)
	s_load_dwordx4 s[4:7], s[0:1], 0x38
	s_load_dwordx2 s[10:11], s[0:1], 0x48
	s_mov_b64 s[8:9], 0
	s_andn2_b64 vcc, exec, s[12:13]
	s_mov_b64 s[12:13], 0
	s_cbranch_vccnz .LBB609_7
; %bb.6:
	s_lshl_b64 s[12:13], s[20:21], 3
	s_waitcnt lgkmcnt(0)
	s_add_u32 s4, s4, s12
	s_addc_u32 s5, s5, s13
	s_load_dwordx2 s[4:5], s[4:5], 0x0
	s_lshl_b64 s[6:7], s[6:7], 1
	s_waitcnt lgkmcnt(0)
	s_add_u32 s12, s4, s6
	s_addc_u32 s13, s5, s7
.LBB609_7:
	s_load_dwordx4 s[28:31], s[0:1], 0x68
	s_waitcnt lgkmcnt(0)
	s_load_dwordx2 s[6:7], s[0:1], 0x78
	s_lshl_b64 s[4:5], s[20:21], 3
	s_add_u32 s4, s28, s4
	s_addc_u32 s5, s29, s5
	s_load_dwordx2 s[4:5], s[4:5], 0x0
	s_lshl_b64 s[20:21], s[30:31], 1
	s_waitcnt lgkmcnt(0)
	s_add_u32 s24, s4, s20
	s_addc_u32 s25, s5, s21
	s_andn2_b64 vcc, exec, s[16:17]
	v_cmp_eq_u32_e64 s[4:5], 0, v0
	s_cbranch_vccnz .LBB609_12
; %bb.8:
	s_mov_b64 s[20:21], 0
                                        ; implicit-def: $sgpr27
                                        ; implicit-def: $sgpr16_sgpr17
	s_and_saveexec_b64 s[22:23], s[4:5]
	s_cbranch_execz .LBB609_20
; %bb.9:
	s_ashr_i32 s8, s2, 31
	s_mul_i32 s9, s2, s7
	s_mul_hi_u32 s16, s2, s6
	v_cmp_eq_f32_e64 s[4:5], s3, 0
	s_add_i32 s9, s16, s9
	s_mul_i32 s8, s8, s6
	s_mov_b32 s27, 0
	s_add_i32 s17, s9, s8
	s_mul_i32 s16, s2, s6
	s_and_b64 vcc, exec, s[4:5]
	s_cbranch_vccnz .LBB609_54
; %bb.10:
	s_lshl_b64 s[4:5], s[16:17], 1
	s_add_u32 s4, s24, s4
	s_addc_u32 s5, s25, s5
	v_mov_b32_e32 v1, 0
	global_load_ushort v1, v1, s[4:5]
	s_mov_b32 s4, 0x7f800000
	s_waitcnt vmcnt(0)
	v_lshlrev_b32_e32 v1, 16, v1
	v_mul_f32_e32 v1, s3, v1
	v_and_b32_e32 v2, 0x7f800000, v1
	v_cmp_eq_u32_e32 vcc, s4, v2
	v_readfirstlane_b32 s8, v1
	s_cbranch_vccnz .LBB609_50
; %bb.11:
	s_bfe_u32 s4, s8, 0x10010
	s_add_i32 s4, s8, s4
	s_add_i32 s9, s4, 0x7fff
	s_mov_b64 s[4:5], 0
	s_branch .LBB609_51
.LBB609_12:
                                        ; implicit-def: $sgpr27
                                        ; implicit-def: $sgpr16_sgpr17
	s_cbranch_execz .LBB609_55
.LBB609_13:
	s_load_dword s1, s[0:1], 0x0
	s_ashr_i32 s22, s2, 31
	s_mul_i32 s0, s2, s15
	s_mul_hi_u32 s4, s2, s14
	s_add_i32 s0, s4, s0
	s_mul_i32 s4, s22, s14
	s_add_i32 s5, s0, s4
	s_mul_i32 s4, s2, s14
	s_lshl_b64 s[4:5], s[4:5], 1
	s_add_u32 s4, s4, s18
	s_addc_u32 s5, s5, s19
	s_waitcnt lgkmcnt(0)
	s_ashr_i32 s0, s1, 31
	v_cmp_gt_i32_e32 vcc, s1, v0
	s_lshr_b32 s0, s0, 24
	s_add_i32 s0, s1, s0
	v_cndmask_b32_e32 v1, 0, v0, vcc
	v_mov_b32_e32 v3, 0
	v_lshlrev_b32_e32 v2, 1, v1
	s_and_b32 s0, s0, 0xffffff00
	v_lshl_add_u64 v[4:5], s[4:5], 0, v[2:3]
	v_cmp_gt_i32_e32 vcc, s0, v0
	s_and_saveexec_b64 s[4:5], vcc
	s_cbranch_execz .LBB609_22
; %bb.14:
	v_mad_u64_u32 v[2:3], s[14:15], s10, v0, 0
	v_mov_b32_e32 v6, v3
	v_mad_u64_u32 v[6:7], s[14:15], s11, v0, v[6:7]
	v_mov_b32_e32 v3, v6
	v_lshl_add_u64 v[6:7], v[2:3], 1, s[12:13]
	s_lshl_b64 s[16:17], s[10:11], 9
	s_mov_b64 s[14:15], 0
	v_mov_b32_e32 v1, 0
	s_mov_b32 s23, 0x7f800000
	s_movk_i32 s27, 0x7fff
	s_mov_b64 s[18:19], 0x200
	v_mov_b64_e32 v[8:9], v[4:5]
	v_mov_b32_e32 v2, v0
	v_mov_b32_e32 v3, 0
	s_branch .LBB609_16
.LBB609_15:                             ;   in Loop: Header=BB609_16 Depth=1
	s_or_b64 exec, exec, s[20:21]
	v_add_u32_e32 v2, 0x100, v2
	v_and_b32_e32 v10, 0xffff0000, v12
	v_cmp_le_i32_e32 vcc, s0, v2
	v_add_f32_e32 v3, v3, v10
	v_lshl_add_u64 v[8:9], v[8:9], 0, s[18:19]
	s_or_b64 s[14:15], vcc, s[14:15]
	v_lshl_add_u64 v[6:7], v[6:7], 0, s[16:17]
	s_andn2_b64 exec, exec, s[14:15]
	s_cbranch_execz .LBB609_21
.LBB609_16:                             ; =>This Inner Loop Header: Depth=1
	flat_load_ushort v10, v[6:7]
	flat_load_ushort v11, v[8:9]
	s_waitcnt vmcnt(0) lgkmcnt(0)
	v_lshlrev_b32_e32 v10, 16, v10
	v_lshlrev_b32_e32 v12, 16, v11
	v_pk_mul_f32 v[10:11], v[10:11], v[12:13] op_sel_hi:[0,1]
	v_and_b32_e32 v11, 0x7f800000, v10
	v_cmp_ne_u32_e32 vcc, s23, v11
                                        ; implicit-def: $vgpr12
	s_and_saveexec_b64 s[20:21], vcc
	s_xor_b64 s[20:21], exec, s[20:21]
; %bb.17:                               ;   in Loop: Header=BB609_16 Depth=1
	v_bfe_u32 v11, v10, 16, 1
	v_add3_u32 v12, v10, v11, s27
                                        ; implicit-def: $vgpr10_vgpr11
; %bb.18:                               ;   in Loop: Header=BB609_16 Depth=1
	s_andn2_saveexec_b64 s[20:21], s[20:21]
	s_cbranch_execz .LBB609_15
; %bb.19:                               ;   in Loop: Header=BB609_16 Depth=1
	v_or_b32_e32 v11, 0x10000, v10
	v_cmp_eq_u32_sdwa vcc, v10, v1 src0_sel:WORD_0 src1_sel:DWORD
	s_nop 1
	v_cndmask_b32_e32 v12, v11, v10, vcc
	s_branch .LBB609_15
.LBB609_20:
	s_or_b64 exec, exec, s[22:23]
	s_and_b64 vcc, exec, s[20:21]
	s_cbranch_vccnz .LBB609_13
	s_branch .LBB609_55
.LBB609_21:
	s_or_b64 exec, exec, s[14:15]
.LBB609_22:
	s_or_b64 exec, exec, s[4:5]
	v_add_u32_e32 v1, s0, v0
	v_cmp_gt_i32_e32 vcc, s1, v1
	s_and_saveexec_b64 s[4:5], vcc
	s_cbranch_execz .LBB609_28
; %bb.23:
	s_ashr_i32 s1, s0, 31
	v_ashrrev_i32_e32 v2, 31, v1
	v_lshl_add_u64 v[4:5], s[0:1], 1, v[4:5]
	v_mul_lo_u32 v8, v1, s11
	v_mul_lo_u32 v2, v2, s10
	v_mad_u64_u32 v[6:7], s[0:1], v1, s10, 0
	v_add3_u32 v7, v7, v8, v2
	v_lshl_add_u64 v[6:7], v[6:7], 1, s[12:13]
	flat_load_ushort v1, v[4:5]
	flat_load_ushort v8, v[6:7]
	s_mov_b32 s0, 0x7f800000
	s_waitcnt vmcnt(0) lgkmcnt(0)
	v_lshlrev_b32_e32 v2, 16, v1
	v_lshlrev_b32_e32 v4, 16, v8
	v_pk_mul_f32 v[4:5], v[4:5], v[2:3] op_sel_hi:[0,1]
	v_and_b32_e32 v1, 0x7f800000, v4
	v_cmp_ne_u32_e32 vcc, s0, v1
                                        ; implicit-def: $vgpr1
	s_and_saveexec_b64 s[0:1], vcc
	s_xor_b64 s[0:1], exec, s[0:1]
; %bb.24:
	v_bfe_u32 v1, v4, 16, 1
	s_movk_i32 s10, 0x7fff
	v_add3_u32 v1, v4, v1, s10
                                        ; implicit-def: $vgpr4_vgpr5
; %bb.25:
	s_andn2_saveexec_b64 s[0:1], s[0:1]
; %bb.26:
	v_mov_b32_e32 v1, 0
	v_or_b32_e32 v2, 0x10000, v4
	v_cmp_eq_u32_sdwa vcc, v4, v1 src0_sel:WORD_0 src1_sel:DWORD
	s_nop 1
	v_cndmask_b32_e32 v1, v2, v4, vcc
; %bb.27:
	s_or_b64 exec, exec, s[0:1]
	v_and_b32_e32 v1, 0xffff0000, v1
	v_add_f32_e32 v3, v3, v1
.LBB609_28:
	s_or_b64 exec, exec, s[4:5]
	v_and_b32_e32 v2, 63, v0
	v_cmp_gt_u32_e32 vcc, 64, v0
	v_lshlrev_b32_e32 v1, 2, v2
	s_and_saveexec_b64 s[0:1], vcc
	s_cbranch_execz .LBB609_30
; %bb.29:
	v_mov_b32_e32 v4, 0
	ds_write_b32 v1, v4
.LBB609_30:
	s_or_b64 exec, exec, s[0:1]
	v_mbcnt_lo_u32_b32 v4, -1, 0
	v_mbcnt_hi_u32_b32 v4, -1, v4
	v_and_b32_e32 v5, 63, v4
	v_cmp_gt_u32_e64 s[0:1], 32, v5
	s_waitcnt lgkmcnt(0)
	s_barrier
	v_cndmask_b32_e64 v6, 0, 1, s[0:1]
	v_lshlrev_b32_e32 v6, 5, v6
	v_add_lshl_u32 v6, v6, v4, 2
	ds_bpermute_b32 v6, v6, v3
	v_cmp_gt_u32_e64 s[0:1], 48, v5
	s_waitcnt lgkmcnt(0)
	v_add_f32_e32 v3, v3, v6
	v_cndmask_b32_e64 v7, 0, 1, s[0:1]
	v_lshlrev_b32_e32 v7, 4, v7
	v_add_lshl_u32 v6, v7, v4, 2
	ds_bpermute_b32 v6, v6, v3
	v_cmp_gt_u32_e64 s[0:1], 56, v5
	s_waitcnt lgkmcnt(0)
	v_add_f32_e32 v3, v3, v6
	;; [unrolled: 7-line block ×4, first 2 shown]
	v_cndmask_b32_e64 v7, 0, 1, s[0:1]
	v_lshlrev_b32_e32 v7, 1, v7
	v_add_lshl_u32 v3, v7, v4, 2
	ds_bpermute_b32 v7, v3, v6
	v_cmp_ne_u32_e64 s[0:1], 63, v5
	s_waitcnt lgkmcnt(0)
	v_add_f32_e32 v5, v6, v7
	v_addc_co_u32_e64 v4, s[0:1], 0, v4, s[0:1]
	v_lshlrev_b32_e32 v4, 2, v4
	ds_bpermute_b32 v6, v4, v5
	v_cmp_eq_u32_e64 s[0:1], 0, v2
	s_and_saveexec_b64 s[4:5], s[0:1]
	s_cbranch_execz .LBB609_32
; %bb.31:
	v_lshrrev_b32_e32 v2, 4, v0
	v_and_b32_e32 v2, 12, v2
	s_waitcnt lgkmcnt(0)
	v_add_f32_e32 v5, v5, v6
	ds_write_b32 v2, v5
.LBB609_32:
	s_or_b64 exec, exec, s[4:5]
	v_cmp_gt_u32_e64 s[0:1], 4, v0
	v_mov_b32_e32 v2, 0
	s_waitcnt lgkmcnt(0)
	s_barrier
	s_and_saveexec_b64 s[4:5], s[0:1]
	s_cbranch_execz .LBB609_34
; %bb.33:
	ds_read_b32 v2, v1
	s_or_b64 exec, exec, s[4:5]
	s_and_saveexec_b64 s[0:1], vcc
	s_cbranch_execz .LBB609_36
	s_branch .LBB609_35
.LBB609_34:
	s_or_b64 exec, exec, s[4:5]
	s_and_saveexec_b64 s[0:1], vcc
	s_cbranch_execz .LBB609_36
.LBB609_35:
	s_waitcnt lgkmcnt(0)
	ds_bpermute_b32 v1, v3, v2
	s_waitcnt lgkmcnt(0)
	v_add_f32_e32 v1, v2, v1
	ds_bpermute_b32 v2, v4, v1
	s_waitcnt lgkmcnt(0)
	v_add_f32_e32 v2, v1, v2
.LBB609_36:
	s_or_b64 exec, exec, s[0:1]
	v_cmp_eq_u32_e32 vcc, 0, v0
                                        ; implicit-def: $vgpr1
                                        ; implicit-def: $sgpr16_sgpr17
	s_and_saveexec_b64 s[0:1], vcc
	s_cbranch_execz .LBB609_43
; %bb.37:
	v_cmp_eq_f32_e64 s[4:5], s3, 0
	s_waitcnt lgkmcnt(0)
	v_mul_f32_e32 v0, s26, v2
	s_and_b64 vcc, exec, s[4:5]
	s_cbranch_vccz .LBB609_46
; %bb.38:
	s_mov_b32 s4, 0x7f800000
	v_and_b32_e32 v1, 0x7f800000, v0
	v_cmp_ne_u32_e32 vcc, s4, v1
                                        ; implicit-def: $vgpr1
	s_and_saveexec_b64 s[4:5], vcc
	s_xor_b64 s[4:5], exec, s[4:5]
; %bb.39:
	v_bfe_u32 v1, v0, 16, 1
	s_movk_i32 s10, 0x7fff
	v_add3_u32 v1, v0, v1, s10
; %bb.40:
	s_andn2_saveexec_b64 s[4:5], s[4:5]
; %bb.41:
	v_mov_b32_e32 v1, 0
	v_or_b32_e32 v2, 0x10000, v0
	v_cmp_eq_u32_sdwa vcc, v0, v1 src0_sel:WORD_0 src1_sel:DWORD
	s_nop 1
	v_cndmask_b32_e32 v1, v2, v0, vcc
; %bb.42:
	s_or_b64 exec, exec, s[4:5]
	s_mov_b64 s[4:5], 0
	s_branch .LBB609_47
.LBB609_43:
	s_or_b64 exec, exec, s[0:1]
	s_and_saveexec_b64 s[0:1], s[8:9]
	s_cbranch_execz .LBB609_45
.LBB609_44:
	s_lshl_b64 s[0:1], s[16:17], 1
	s_add_u32 s0, s24, s0
	s_addc_u32 s1, s25, s1
	v_mov_b32_e32 v0, 0
	global_store_short v0, v1, s[0:1]
.LBB609_45:
	s_endpgm
.LBB609_46:
	s_mov_b64 s[4:5], -1
                                        ; implicit-def: $vgpr1
.LBB609_47:
	s_andn2_b64 vcc, exec, s[4:5]
	s_mul_i32 s4, s2, s7
	s_mul_hi_u32 s5, s2, s6
	s_mul_i32 s7, s22, s6
	s_mul_i32 s16, s2, s6
	s_cbranch_vccnz .LBB609_64
; %bb.48:
	s_add_i32 s2, s5, s4
	s_add_i32 s17, s2, s7
	s_lshl_b64 s[10:11], s[16:17], 1
	s_add_u32 s10, s24, s10
	s_addc_u32 s11, s25, s11
	v_mov_b32_e32 v1, 0
	global_load_ushort v1, v1, s[10:11]
	s_mov_b32 s2, 0x7f800000
	s_waitcnt vmcnt(0)
	v_lshlrev_b32_e32 v1, 16, v1
	v_mul_f32_e32 v1, s3, v1
	v_and_b32_e32 v2, 0x7f800000, v1
	v_cmp_eq_u32_e32 vcc, s2, v2
	v_readfirstlane_b32 s6, v1
	s_cbranch_vccnz .LBB609_56
; %bb.49:
	s_bfe_u32 s2, s6, 0x10010
	s_add_i32 s2, s6, s2
	s_add_i32 s10, s2, 0x7fff
	s_mov_b64 s[2:3], 0
	s_branch .LBB609_57
.LBB609_50:
	s_mov_b64 s[4:5], -1
                                        ; implicit-def: $sgpr9
.LBB609_51:
	s_andn2_b64 vcc, exec, s[4:5]
	s_cbranch_vccnz .LBB609_53
; %bb.52:
	s_and_b32 s4, s8, 0xffff
	s_or_b32 s5, s8, 0x10000
	s_cmp_eq_u32 s4, 0
	s_cselect_b32 s9, s8, s5
.LBB609_53:
	s_lshr_b32 s27, s9, 16
.LBB609_54:
	s_mov_b64 s[8:9], exec
	s_or_b64 exec, exec, s[22:23]
	s_and_b64 vcc, exec, s[20:21]
	s_cbranch_vccnz .LBB609_13
.LBB609_55:
	v_mov_b32_e32 v1, s27
	s_and_saveexec_b64 s[0:1], s[8:9]
	s_cbranch_execnz .LBB609_44
	s_branch .LBB609_45
.LBB609_56:
	s_mov_b64 s[2:3], -1
                                        ; implicit-def: $sgpr10
.LBB609_57:
	s_andn2_b64 vcc, exec, s[2:3]
	s_cbranch_vccnz .LBB609_59
; %bb.58:
	s_and_b32 s2, s6, 0xffff
	s_or_b32 s3, s6, 0x10000
	s_cmp_eq_u32 s2, 0
	s_cselect_b32 s10, s6, s3
.LBB609_59:
	s_and_b32 s2, s10, 0xffff0000
	v_add_f32_e32 v0, s2, v0
	s_mov_b32 s2, 0x7f800000
	v_and_b32_e32 v1, 0x7f800000, v0
	v_cmp_ne_u32_e32 vcc, s2, v1
                                        ; implicit-def: $vgpr1
	s_and_saveexec_b64 s[2:3], vcc
	s_xor_b64 s[2:3], exec, s[2:3]
; %bb.60:
	v_bfe_u32 v1, v0, 16, 1
	s_movk_i32 s6, 0x7fff
	v_add3_u32 v1, v0, v1, s6
                                        ; implicit-def: $vgpr0
; %bb.61:
	s_andn2_saveexec_b64 s[2:3], s[2:3]
; %bb.62:
	v_mov_b32_e32 v1, 0
	v_or_b32_e32 v2, 0x10000, v0
	v_cmp_eq_u32_sdwa vcc, v0, v1 src0_sel:WORD_0 src1_sel:DWORD
	s_nop 1
	v_cndmask_b32_e32 v1, v2, v0, vcc
; %bb.63:
	s_or_b64 exec, exec, s[2:3]
.LBB609_64:
	s_add_i32 s2, s5, s4
	v_lshrrev_b32_e32 v1, 16, v1
	s_add_i32 s17, s2, s7
	s_or_b64 s[8:9], s[8:9], exec
	s_or_b64 exec, exec, s[0:1]
	s_and_saveexec_b64 s[0:1], s[8:9]
	s_cbranch_execnz .LBB609_44
	s_branch .LBB609_45
	.section	.rodata,"a",@progbits
	.p2align	6, 0x0
	.amdhsa_kernel _ZL32rocblas_gemvt_warp_reduce_kernelILb0ELi256ElPK16rocblas_bfloat16fKPS0_EviiT3_lPKT2_lT1_lS8_lS9_lS5_lPT4_lS9_li
		.amdhsa_group_segment_fixed_size 256
		.amdhsa_private_segment_fixed_size 0
		.amdhsa_kernarg_size 140
		.amdhsa_user_sgpr_count 2
		.amdhsa_user_sgpr_dispatch_ptr 0
		.amdhsa_user_sgpr_queue_ptr 0
		.amdhsa_user_sgpr_kernarg_segment_ptr 1
		.amdhsa_user_sgpr_dispatch_id 0
		.amdhsa_user_sgpr_kernarg_preload_length 0
		.amdhsa_user_sgpr_kernarg_preload_offset 0
		.amdhsa_user_sgpr_private_segment_size 0
		.amdhsa_uses_dynamic_stack 0
		.amdhsa_enable_private_segment 0
		.amdhsa_system_sgpr_workgroup_id_x 1
		.amdhsa_system_sgpr_workgroup_id_y 0
		.amdhsa_system_sgpr_workgroup_id_z 1
		.amdhsa_system_sgpr_workgroup_info 0
		.amdhsa_system_vgpr_workitem_id 0
		.amdhsa_next_free_vgpr 14
		.amdhsa_next_free_sgpr 32
		.amdhsa_accum_offset 16
		.amdhsa_reserve_vcc 1
		.amdhsa_float_round_mode_32 0
		.amdhsa_float_round_mode_16_64 0
		.amdhsa_float_denorm_mode_32 3
		.amdhsa_float_denorm_mode_16_64 3
		.amdhsa_dx10_clamp 1
		.amdhsa_ieee_mode 1
		.amdhsa_fp16_overflow 0
		.amdhsa_tg_split 0
		.amdhsa_exception_fp_ieee_invalid_op 0
		.amdhsa_exception_fp_denorm_src 0
		.amdhsa_exception_fp_ieee_div_zero 0
		.amdhsa_exception_fp_ieee_overflow 0
		.amdhsa_exception_fp_ieee_underflow 0
		.amdhsa_exception_fp_ieee_inexact 0
		.amdhsa_exception_int_div_zero 0
	.end_amdhsa_kernel
	.section	.text._ZL32rocblas_gemvt_warp_reduce_kernelILb0ELi256ElPK16rocblas_bfloat16fKPS0_EviiT3_lPKT2_lT1_lS8_lS9_lS5_lPT4_lS9_li,"axG",@progbits,_ZL32rocblas_gemvt_warp_reduce_kernelILb0ELi256ElPK16rocblas_bfloat16fKPS0_EviiT3_lPKT2_lT1_lS8_lS9_lS5_lPT4_lS9_li,comdat
.Lfunc_end609:
	.size	_ZL32rocblas_gemvt_warp_reduce_kernelILb0ELi256ElPK16rocblas_bfloat16fKPS0_EviiT3_lPKT2_lT1_lS8_lS9_lS5_lPT4_lS9_li, .Lfunc_end609-_ZL32rocblas_gemvt_warp_reduce_kernelILb0ELi256ElPK16rocblas_bfloat16fKPS0_EviiT3_lPKT2_lT1_lS8_lS9_lS5_lPT4_lS9_li
                                        ; -- End function
	.section	.AMDGPU.csdata,"",@progbits
; Kernel info:
; codeLenInByte = 2020
; NumSgprs: 38
; NumVgprs: 14
; NumAgprs: 0
; TotalNumVgprs: 14
; ScratchSize: 0
; MemoryBound: 0
; FloatMode: 240
; IeeeMode: 1
; LDSByteSize: 256 bytes/workgroup (compile time only)
; SGPRBlocks: 4
; VGPRBlocks: 1
; NumSGPRsForWavesPerEU: 38
; NumVGPRsForWavesPerEU: 14
; AccumOffset: 16
; Occupancy: 8
; WaveLimiterHint : 1
; COMPUTE_PGM_RSRC2:SCRATCH_EN: 0
; COMPUTE_PGM_RSRC2:USER_SGPR: 2
; COMPUTE_PGM_RSRC2:TRAP_HANDLER: 0
; COMPUTE_PGM_RSRC2:TGID_X_EN: 1
; COMPUTE_PGM_RSRC2:TGID_Y_EN: 0
; COMPUTE_PGM_RSRC2:TGID_Z_EN: 1
; COMPUTE_PGM_RSRC2:TIDIG_COMP_CNT: 0
; COMPUTE_PGM_RSRC3_GFX90A:ACCUM_OFFSET: 3
; COMPUTE_PGM_RSRC3_GFX90A:TG_SPLIT: 0
	.section	.text._ZL20rocblas_gemvt_kernelILb0ELi256EPK16rocblas_bfloat16PKfKPS0_EviiT2_lPKT1_lilSA_lilS7_lPT3_lili,"axG",@progbits,_ZL20rocblas_gemvt_kernelILb0ELi256EPK16rocblas_bfloat16PKfKPS0_EviiT2_lPKT1_lilSA_lilS7_lPT3_lili,comdat
	.globl	_ZL20rocblas_gemvt_kernelILb0ELi256EPK16rocblas_bfloat16PKfKPS0_EviiT2_lPKT1_lilSA_lilS7_lPT3_lili ; -- Begin function _ZL20rocblas_gemvt_kernelILb0ELi256EPK16rocblas_bfloat16PKfKPS0_EviiT2_lPKT1_lilSA_lilS7_lPT3_lili
	.p2align	8
	.type	_ZL20rocblas_gemvt_kernelILb0ELi256EPK16rocblas_bfloat16PKfKPS0_EviiT2_lPKT1_lilSA_lilS7_lPT3_lili,@function
_ZL20rocblas_gemvt_kernelILb0ELi256EPK16rocblas_bfloat16PKfKPS0_EviiT2_lPKT1_lilSA_lilS7_lPT3_lili: ; @_ZL20rocblas_gemvt_kernelILb0ELi256EPK16rocblas_bfloat16PKfKPS0_EviiT2_lPKT1_lilSA_lilS7_lPT3_lili
; %bb.0:
	s_load_dwordx8 s[12:19], s[0:1], 0x8
	s_load_dwordx8 s[4:11], s[0:1], 0x58
	s_mov_b32 s20, s3
	s_waitcnt lgkmcnt(0)
	s_mul_i32 s3, s3, s15
	s_mul_hi_u32 s15, s20, s14
	s_add_i32 s15, s15, s3
	s_mul_i32 s14, s20, s14
	s_lshl_b64 s[14:15], s[14:15], 2
	s_add_u32 s12, s12, s14
	s_mul_i32 s3, s20, s7
	s_mul_hi_u32 s7, s20, s6
	s_addc_u32 s13, s13, s15
	s_add_i32 s7, s7, s3
	s_mul_i32 s6, s20, s6
	s_lshl_b64 s[6:7], s[6:7], 2
	s_add_u32 s4, s4, s6
	s_addc_u32 s5, s5, s7
	s_load_dword s22, s[12:13], 0x0
	s_load_dword s3, s[4:5], 0x0
	s_waitcnt lgkmcnt(0)
	v_cmp_eq_f32_e64 s[4:5], s22, 0
	v_cmp_eq_f32_e64 s[6:7], s3, 1.0
	s_and_b64 s[6:7], s[4:5], s[6:7]
	s_and_b64 vcc, exec, s[6:7]
	s_cbranch_vccnz .LBB610_69
; %bb.1:
	s_mov_b32 s21, 0
	v_cmp_neq_f32_e64 s[6:7], s22, 0
	s_mov_b64 s[12:13], 0
	s_and_b64 vcc, exec, s[4:5]
	s_mov_b64 s[14:15], 0
	s_cbranch_vccnz .LBB610_3
; %bb.2:
	s_lshl_b64 s[14:15], s[20:21], 3
	s_add_u32 s14, s16, s14
	s_addc_u32 s15, s17, s15
	s_load_dwordx2 s[14:15], s[14:15], 0x0
	s_lshl_b64 s[16:17], s[18:19], 1
	s_waitcnt lgkmcnt(0)
	s_add_u32 s14, s14, s16
	s_addc_u32 s15, s15, s17
.LBB610_3:
	s_andn2_b64 vcc, exec, s[6:7]
	s_cbranch_vccnz .LBB610_5
; %bb.4:
	s_load_dwordx4 s[16:19], s[0:1], 0x38
	s_lshl_b64 s[6:7], s[20:21], 3
	s_waitcnt lgkmcnt(0)
	s_add_u32 s6, s16, s6
	s_addc_u32 s7, s17, s7
	s_load_dwordx2 s[6:7], s[6:7], 0x0
	s_lshl_b64 s[12:13], s[18:19], 1
	s_waitcnt lgkmcnt(0)
	s_add_u32 s12, s6, s12
	s_addc_u32 s13, s7, s13
.LBB610_5:
	s_lshl_b64 s[6:7], s[20:21], 3
	s_add_u32 s6, s8, s6
	s_addc_u32 s7, s9, s7
	s_load_dwordx2 s[8:9], s[6:7], 0x0
	s_load_dword s20, s[0:1], 0x78
	s_lshl_b64 s[6:7], s[10:11], 1
	s_waitcnt lgkmcnt(0)
	s_add_u32 s18, s8, s6
	s_addc_u32 s19, s9, s7
	s_andn2_b64 vcc, exec, s[4:5]
	v_cmp_eq_u32_e64 s[4:5], 0, v0
	s_cbranch_vccnz .LBB610_10
; %bb.6:
	s_mov_b64 s[10:11], 0
	s_mov_b64 s[6:7], 0
                                        ; implicit-def: $sgpr21
                                        ; implicit-def: $sgpr8_sgpr9
	s_and_saveexec_b64 s[16:17], s[4:5]
	s_cbranch_execz .LBB610_11
; %bb.7:
	v_cmp_eq_f32_e64 s[4:5], s3, 0
	s_mov_b32 s21, 0
	s_mul_hi_i32 s9, s20, s2
	s_mul_i32 s8, s20, s2
	s_and_b64 vcc, exec, s[4:5]
	s_cbranch_vccnz .LBB610_16
; %bb.8:
	s_lshl_b64 s[4:5], s[8:9], 1
	s_add_u32 s4, s18, s4
	s_addc_u32 s5, s19, s5
	v_mov_b32_e32 v1, 0
	global_load_ushort v1, v1, s[4:5]
	s_mov_b32 s4, 0x7f800000
	s_waitcnt vmcnt(0)
	v_lshlrev_b32_e32 v1, 16, v1
	v_mul_f32_e32 v1, s3, v1
	v_and_b32_e32 v2, 0x7f800000, v1
	v_cmp_eq_u32_e32 vcc, s4, v2
	v_readfirstlane_b32 s6, v1
	s_cbranch_vccnz .LBB610_12
; %bb.9:
	s_bfe_u32 s4, s6, 0x10010
	s_add_i32 s4, s6, s4
	s_add_i32 s7, s4, 0x7fff
	s_mov_b64 s[4:5], 0
	s_branch .LBB610_13
.LBB610_10:
	s_mov_b64 s[6:7], 0
                                        ; implicit-def: $sgpr21
                                        ; implicit-def: $sgpr8_sgpr9
	s_cbranch_execnz .LBB610_17
	s_branch .LBB610_67
.LBB610_11:
	s_or_b64 exec, exec, s[16:17]
	s_and_b64 vcc, exec, s[10:11]
	s_cbranch_vccnz .LBB610_17
	s_branch .LBB610_67
.LBB610_12:
	s_mov_b64 s[4:5], -1
                                        ; implicit-def: $sgpr7
.LBB610_13:
	s_andn2_b64 vcc, exec, s[4:5]
	s_cbranch_vccnz .LBB610_15
; %bb.14:
	s_and_b32 s4, s6, 0xffff
	s_or_b32 s5, s6, 0x10000
	s_cmp_eq_u32 s4, 0
	s_cselect_b32 s7, s6, s5
.LBB610_15:
	s_lshr_b32 s21, s7, 16
.LBB610_16:
	s_mov_b64 s[6:7], exec
	s_or_b64 exec, exec, s[16:17]
	s_and_b64 vcc, exec, s[10:11]
	s_cbranch_vccz .LBB610_67
.LBB610_17:
	s_load_dword s16, s[0:1], 0x0
	s_load_dword s5, s[0:1], 0x28
	;; [unrolled: 1-line block ×3, first 2 shown]
	v_mov_b32_e32 v3, 0
	s_mov_b32 s1, 0
	s_waitcnt lgkmcnt(0)
	v_cmp_gt_i32_e32 vcc, s16, v0
	s_mul_hi_i32 s9, s5, s2
	s_mul_i32 s8, s5, s2
	s_lshl_b64 s[8:9], s[8:9], 1
	s_add_u32 s8, s8, s14
	s_addc_u32 s9, s9, s15
	s_ashr_i32 s0, s16, 31
	s_lshr_b32 s0, s0, 24
	v_cndmask_b32_e32 v1, 0, v0, vcc
	s_add_i32 s0, s16, s0
	v_lshlrev_b32_e32 v2, 1, v1
	s_and_b32 s0, s0, 0xffffff00
	s_cmpk_lt_i32 s16, 0x100
	v_lshl_add_u64 v[4:5], s[8:9], 0, v[2:3]
	s_cbranch_scc1 .LBB610_24
; %bb.18:
	s_ashr_i32 s5, s4, 31
	v_mad_i64_i32 v[2:3], s[8:9], s4, v0, 0
	v_lshl_add_u64 v[6:7], v[2:3], 1, s[12:13]
	s_lshl_b64 s[8:9], s[4:5], 9
	v_mov_b32_e32 v1, 0
	s_mov_b32 s5, 0x7f800000
	s_movk_i32 s17, 0x7fff
	s_mov_b64 s[10:11], 0x200
	v_mov_b64_e32 v[8:9], v[4:5]
	v_mov_b32_e32 v3, 0
	s_branch .LBB610_20
.LBB610_19:                             ;   in Loop: Header=BB610_20 Depth=1
	s_or_b64 exec, exec, s[14:15]
	v_and_b32_e32 v2, 0xffff0000, v2
	s_addk_i32 s1, 0x100
	v_add_f32_e32 v3, v3, v2
	v_lshl_add_u64 v[6:7], v[6:7], 0, s[8:9]
	s_cmp_ge_i32 s1, s0
	v_lshl_add_u64 v[8:9], v[8:9], 0, s[10:11]
	s_cbranch_scc1 .LBB610_24
.LBB610_20:                             ; =>This Inner Loop Header: Depth=1
	flat_load_ushort v2, v[6:7]
	flat_load_ushort v10, v[8:9]
	s_waitcnt vmcnt(0) lgkmcnt(0)
	v_lshlrev_b32_e32 v2, 16, v2
	v_lshlrev_b32_e32 v10, 16, v10
	v_pk_mul_f32 v[10:11], v[2:3], v[10:11] op_sel_hi:[0,1]
	v_and_b32_e32 v2, 0x7f800000, v10
	v_cmp_ne_u32_e32 vcc, s5, v2
                                        ; implicit-def: $vgpr2
	s_and_saveexec_b64 s[14:15], vcc
	s_xor_b64 s[14:15], exec, s[14:15]
; %bb.21:                               ;   in Loop: Header=BB610_20 Depth=1
	v_bfe_u32 v2, v10, 16, 1
	v_add3_u32 v2, v10, v2, s17
                                        ; implicit-def: $vgpr10_vgpr11
; %bb.22:                               ;   in Loop: Header=BB610_20 Depth=1
	s_andn2_saveexec_b64 s[14:15], s[14:15]
	s_cbranch_execz .LBB610_19
; %bb.23:                               ;   in Loop: Header=BB610_20 Depth=1
	v_or_b32_e32 v2, 0x10000, v10
	v_cmp_eq_u32_sdwa vcc, v10, v1 src0_sel:WORD_0 src1_sel:DWORD
	s_nop 1
	v_cndmask_b32_e32 v2, v2, v10, vcc
	s_branch .LBB610_19
.LBB610_24:
	v_add_u32_e32 v1, s0, v0
	v_cmp_gt_i32_e32 vcc, s16, v1
	s_and_saveexec_b64 s[8:9], vcc
	s_cbranch_execz .LBB610_30
; %bb.25:
	s_ashr_i32 s1, s0, 31
	v_lshl_add_u64 v[4:5], s[0:1], 1, v[4:5]
	v_mad_i64_i32 v[6:7], s[0:1], s4, v1, 0
	v_lshl_add_u64 v[6:7], v[6:7], 1, s[12:13]
	flat_load_ushort v1, v[6:7]
	flat_load_ushort v8, v[4:5]
	s_mov_b32 s0, 0x7f800000
	s_waitcnt vmcnt(0) lgkmcnt(0)
	v_lshlrev_b32_e32 v2, 16, v1
	v_lshlrev_b32_e32 v4, 16, v8
	v_pk_mul_f32 v[4:5], v[2:3], v[4:5] op_sel_hi:[0,1]
	v_and_b32_e32 v1, 0x7f800000, v4
	v_cmp_ne_u32_e32 vcc, s0, v1
                                        ; implicit-def: $vgpr1
	s_and_saveexec_b64 s[0:1], vcc
	s_xor_b64 s[0:1], exec, s[0:1]
; %bb.26:
	v_bfe_u32 v1, v4, 16, 1
	s_movk_i32 s4, 0x7fff
	v_add3_u32 v1, v4, v1, s4
                                        ; implicit-def: $vgpr4_vgpr5
; %bb.27:
	s_andn2_saveexec_b64 s[0:1], s[0:1]
; %bb.28:
	v_mov_b32_e32 v1, 0
	v_or_b32_e32 v2, 0x10000, v4
	v_cmp_eq_u32_sdwa vcc, v4, v1 src0_sel:WORD_0 src1_sel:DWORD
	s_nop 1
	v_cndmask_b32_e32 v1, v2, v4, vcc
; %bb.29:
	s_or_b64 exec, exec, s[0:1]
	v_and_b32_e32 v1, 0xffff0000, v1
	v_add_f32_e32 v3, v3, v1
.LBB610_30:
	s_or_b64 exec, exec, s[8:9]
	s_movk_i32 s0, 0x80
	v_lshlrev_b32_e32 v1, 2, v0
	v_cmp_gt_u32_e32 vcc, s0, v0
	ds_write_b32 v1, v3
	s_waitcnt lgkmcnt(0)
	s_barrier
	s_and_saveexec_b64 s[0:1], vcc
	s_cbranch_execz .LBB610_32
; %bb.31:
	ds_read2st64_b32 v[2:3], v1 offset1:2
	s_waitcnt lgkmcnt(0)
	v_add_f32_e32 v2, v3, v2
	ds_write_b32 v1, v2
.LBB610_32:
	s_or_b64 exec, exec, s[0:1]
	v_cmp_gt_u32_e32 vcc, 64, v0
	s_waitcnt lgkmcnt(0)
	s_barrier
	s_and_saveexec_b64 s[0:1], vcc
	s_cbranch_execz .LBB610_34
; %bb.33:
	ds_read2st64_b32 v[2:3], v1 offset1:1
	s_waitcnt lgkmcnt(0)
	v_add_f32_e32 v2, v3, v2
	ds_write_b32 v1, v2
.LBB610_34:
	s_or_b64 exec, exec, s[0:1]
	v_cmp_gt_u32_e32 vcc, 32, v0
	s_waitcnt lgkmcnt(0)
	s_barrier
	s_and_saveexec_b64 s[0:1], vcc
	s_cbranch_execz .LBB610_36
; %bb.35:
	ds_read2_b32 v[2:3], v1 offset1:32
	s_waitcnt lgkmcnt(0)
	v_add_f32_e32 v2, v3, v2
	ds_write_b32 v1, v2
.LBB610_36:
	s_or_b64 exec, exec, s[0:1]
	v_cmp_gt_u32_e32 vcc, 16, v0
	s_waitcnt lgkmcnt(0)
	s_barrier
	s_and_saveexec_b64 s[0:1], vcc
	s_cbranch_execz .LBB610_38
; %bb.37:
	ds_read2_b32 v[2:3], v1 offset1:16
	s_waitcnt lgkmcnt(0)
	v_add_f32_e32 v2, v3, v2
	ds_write_b32 v1, v2
.LBB610_38:
	;; [unrolled: 12-line block ×5, first 2 shown]
	s_or_b64 exec, exec, s[0:1]
	v_cmp_eq_u32_e32 vcc, 0, v0
	s_waitcnt lgkmcnt(0)
	s_barrier
	s_and_saveexec_b64 s[0:1], vcc
	s_cbranch_execz .LBB610_46
; %bb.45:
	v_mov_b32_e32 v2, 0
	ds_read_b64 v[0:1], v2
	s_waitcnt lgkmcnt(0)
	v_add_f32_e32 v0, v1, v0
	ds_write_b32 v2, v0
.LBB610_46:
	s_or_b64 exec, exec, s[0:1]
	s_waitcnt lgkmcnt(0)
	s_barrier
	s_waitcnt lgkmcnt(0)
                                        ; implicit-def: $sgpr21
                                        ; implicit-def: $sgpr8_sgpr9
	s_and_saveexec_b64 s[0:1], vcc
	s_cbranch_execz .LBB610_66
; %bb.47:
	v_mov_b32_e32 v0, 0
	ds_read_b32 v0, v0
	v_cmp_eq_f32_e64 s[4:5], s3, 0
	s_and_b64 vcc, exec, s[4:5]
	s_waitcnt lgkmcnt(0)
	v_mul_f32_e32 v0, s22, v0
	s_nop 0
	v_readfirstlane_b32 s10, v0
	s_cbranch_vccz .LBB610_50
; %bb.48:
	s_and_b32 s4, s10, 0x7f800000
	s_cmp_eq_u32 s4, 0x7f800000
	s_cbranch_scc1 .LBB610_51
; %bb.49:
	s_bfe_u32 s4, s10, 0x10010
	s_add_i32 s4, s10, s4
	s_add_i32 s11, s4, 0x7fff
	s_mov_b64 s[4:5], 0
	s_branch .LBB610_52
.LBB610_50:
                                        ; implicit-def: $sgpr11
	s_mul_hi_i32 s9, s20, s2
	s_mul_i32 s8, s20, s2
	s_branch .LBB610_55
.LBB610_51:
	s_mov_b64 s[4:5], -1
                                        ; implicit-def: $sgpr11
.LBB610_52:
	s_andn2_b64 vcc, exec, s[4:5]
	s_cbranch_vccnz .LBB610_54
; %bb.53:
	s_and_b32 s4, s10, 0xffff
	s_or_b32 s5, s10, 0x10000
	s_cmp_eq_u32 s4, 0
	s_cselect_b32 s11, s10, s5
.LBB610_54:
	s_mul_hi_i32 s9, s20, s2
	s_mul_i32 s8, s20, s2
	s_cbranch_execnz .LBB610_65
.LBB610_55:
	s_lshl_b64 s[4:5], s[8:9], 1
	s_add_u32 s4, s18, s4
	s_addc_u32 s5, s19, s5
	v_mov_b32_e32 v0, 0
	global_load_ushort v0, v0, s[4:5]
	s_mov_b32 s2, 0x7f800000
	s_waitcnt vmcnt(0)
	v_lshlrev_b32_e32 v0, 16, v0
	v_mul_f32_e32 v0, s3, v0
	v_and_b32_e32 v1, 0x7f800000, v0
	v_cmp_eq_u32_e32 vcc, s2, v1
	v_readfirstlane_b32 s4, v0
	s_cbranch_vccnz .LBB610_57
; %bb.56:
	s_bfe_u32 s2, s4, 0x10010
	s_add_i32 s2, s4, s2
	s_add_i32 s5, s2, 0x7fff
	s_mov_b64 s[2:3], 0
	s_branch .LBB610_58
.LBB610_57:
	s_mov_b64 s[2:3], -1
                                        ; implicit-def: $sgpr5
.LBB610_58:
	s_andn2_b64 vcc, exec, s[2:3]
	s_cbranch_vccnz .LBB610_60
; %bb.59:
	s_and_b32 s2, s4, 0xffff
	s_or_b32 s3, s4, 0x10000
	s_cmp_eq_u32 s2, 0
	s_cselect_b32 s5, s4, s3
.LBB610_60:
	s_and_b32 s2, s5, 0xffff0000
	v_mov_b32_e32 v0, s2
	v_add_f32_e32 v0, s10, v0
	s_mov_b32 s2, 0x7f800000
	v_and_b32_e32 v1, 0x7f800000, v0
	v_cmp_eq_u32_e32 vcc, s2, v1
	v_readfirstlane_b32 s4, v0
	s_cbranch_vccnz .LBB610_62
; %bb.61:
	s_bfe_u32 s2, s4, 0x10010
	s_add_i32 s2, s4, s2
	s_add_i32 s11, s2, 0x7fff
	s_mov_b64 s[2:3], 0
	s_branch .LBB610_63
.LBB610_62:
	s_mov_b64 s[2:3], -1
                                        ; implicit-def: $sgpr11
.LBB610_63:
	s_andn2_b64 vcc, exec, s[2:3]
	s_cbranch_vccnz .LBB610_65
; %bb.64:
	s_and_b32 s2, s4, 0xffff
	s_or_b32 s3, s4, 0x10000
	s_cmp_eq_u32 s2, 0
	s_cselect_b32 s11, s4, s3
.LBB610_65:
	s_lshr_b32 s21, s11, 16
	s_or_b64 s[6:7], s[6:7], exec
.LBB610_66:
	s_or_b64 exec, exec, s[0:1]
.LBB610_67:
	s_and_saveexec_b64 s[0:1], s[6:7]
	s_cbranch_execz .LBB610_69
; %bb.68:
	s_lshl_b64 s[0:1], s[8:9], 1
	s_add_u32 s0, s18, s0
	s_addc_u32 s1, s19, s1
	v_mov_b32_e32 v0, 0
	v_mov_b32_e32 v1, s21
	global_store_short v0, v1, s[0:1]
.LBB610_69:
	s_endpgm
	.section	.rodata,"a",@progbits
	.p2align	6, 0x0
	.amdhsa_kernel _ZL20rocblas_gemvt_kernelILb0ELi256EPK16rocblas_bfloat16PKfKPS0_EviiT2_lPKT1_lilSA_lilS7_lPT3_lili
		.amdhsa_group_segment_fixed_size 1024
		.amdhsa_private_segment_fixed_size 0
		.amdhsa_kernarg_size 140
		.amdhsa_user_sgpr_count 2
		.amdhsa_user_sgpr_dispatch_ptr 0
		.amdhsa_user_sgpr_queue_ptr 0
		.amdhsa_user_sgpr_kernarg_segment_ptr 1
		.amdhsa_user_sgpr_dispatch_id 0
		.amdhsa_user_sgpr_kernarg_preload_length 0
		.amdhsa_user_sgpr_kernarg_preload_offset 0
		.amdhsa_user_sgpr_private_segment_size 0
		.amdhsa_uses_dynamic_stack 0
		.amdhsa_enable_private_segment 0
		.amdhsa_system_sgpr_workgroup_id_x 1
		.amdhsa_system_sgpr_workgroup_id_y 0
		.amdhsa_system_sgpr_workgroup_id_z 1
		.amdhsa_system_sgpr_workgroup_info 0
		.amdhsa_system_vgpr_workitem_id 0
		.amdhsa_next_free_vgpr 12
		.amdhsa_next_free_sgpr 23
		.amdhsa_accum_offset 12
		.amdhsa_reserve_vcc 1
		.amdhsa_float_round_mode_32 0
		.amdhsa_float_round_mode_16_64 0
		.amdhsa_float_denorm_mode_32 3
		.amdhsa_float_denorm_mode_16_64 3
		.amdhsa_dx10_clamp 1
		.amdhsa_ieee_mode 1
		.amdhsa_fp16_overflow 0
		.amdhsa_tg_split 0
		.amdhsa_exception_fp_ieee_invalid_op 0
		.amdhsa_exception_fp_denorm_src 0
		.amdhsa_exception_fp_ieee_div_zero 0
		.amdhsa_exception_fp_ieee_overflow 0
		.amdhsa_exception_fp_ieee_underflow 0
		.amdhsa_exception_fp_ieee_inexact 0
		.amdhsa_exception_int_div_zero 0
	.end_amdhsa_kernel
	.section	.text._ZL20rocblas_gemvt_kernelILb0ELi256EPK16rocblas_bfloat16PKfKPS0_EviiT2_lPKT1_lilSA_lilS7_lPT3_lili,"axG",@progbits,_ZL20rocblas_gemvt_kernelILb0ELi256EPK16rocblas_bfloat16PKfKPS0_EviiT2_lPKT1_lilSA_lilS7_lPT3_lili,comdat
.Lfunc_end610:
	.size	_ZL20rocblas_gemvt_kernelILb0ELi256EPK16rocblas_bfloat16PKfKPS0_EviiT2_lPKT1_lilSA_lilS7_lPT3_lili, .Lfunc_end610-_ZL20rocblas_gemvt_kernelILb0ELi256EPK16rocblas_bfloat16PKfKPS0_EviiT2_lPKT1_lilSA_lilS7_lPT3_lili
                                        ; -- End function
	.section	.AMDGPU.csdata,"",@progbits
; Kernel info:
; codeLenInByte = 1888
; NumSgprs: 29
; NumVgprs: 12
; NumAgprs: 0
; TotalNumVgprs: 12
; ScratchSize: 0
; MemoryBound: 0
; FloatMode: 240
; IeeeMode: 1
; LDSByteSize: 1024 bytes/workgroup (compile time only)
; SGPRBlocks: 3
; VGPRBlocks: 1
; NumSGPRsForWavesPerEU: 29
; NumVGPRsForWavesPerEU: 12
; AccumOffset: 12
; Occupancy: 8
; WaveLimiterHint : 1
; COMPUTE_PGM_RSRC2:SCRATCH_EN: 0
; COMPUTE_PGM_RSRC2:USER_SGPR: 2
; COMPUTE_PGM_RSRC2:TRAP_HANDLER: 0
; COMPUTE_PGM_RSRC2:TGID_X_EN: 1
; COMPUTE_PGM_RSRC2:TGID_Y_EN: 0
; COMPUTE_PGM_RSRC2:TGID_Z_EN: 1
; COMPUTE_PGM_RSRC2:TIDIG_COMP_CNT: 0
; COMPUTE_PGM_RSRC3_GFX90A:ACCUM_OFFSET: 2
; COMPUTE_PGM_RSRC3_GFX90A:TG_SPLIT: 0
	.section	.text._ZL20rocblas_gemvt_kernelILb0ELi256EPK16rocblas_bfloat16fKPS0_EviiT2_lPKT1_lilS8_lilS5_lPT3_lili,"axG",@progbits,_ZL20rocblas_gemvt_kernelILb0ELi256EPK16rocblas_bfloat16fKPS0_EviiT2_lPKT1_lilS8_lilS5_lPT3_lili,comdat
	.globl	_ZL20rocblas_gemvt_kernelILb0ELi256EPK16rocblas_bfloat16fKPS0_EviiT2_lPKT1_lilS8_lilS5_lPT3_lili ; -- Begin function _ZL20rocblas_gemvt_kernelILb0ELi256EPK16rocblas_bfloat16fKPS0_EviiT2_lPKT1_lilS8_lilS5_lPT3_lili
	.p2align	8
	.type	_ZL20rocblas_gemvt_kernelILb0ELi256EPK16rocblas_bfloat16fKPS0_EviiT2_lPKT1_lilS8_lilS5_lPT3_lili,@function
_ZL20rocblas_gemvt_kernelILb0ELi256EPK16rocblas_bfloat16fKPS0_EviiT2_lPKT1_lilS8_lilS5_lPT3_lili: ; @_ZL20rocblas_gemvt_kernelILb0ELi256EPK16rocblas_bfloat16fKPS0_EviiT2_lPKT1_lilS8_lilS5_lPT3_lili
; %bb.0:
	s_mov_b32 s10, s3
	s_load_dword s20, s[0:1], 0x8
	s_load_dword s3, s[0:1], 0x58
	s_waitcnt lgkmcnt(0)
	v_cmp_eq_f32_e64 s[4:5], s20, 0
	v_cmp_eq_f32_e64 s[6:7], s3, 1.0
	s_and_b64 s[6:7], s[4:5], s[6:7]
	s_and_b64 vcc, exec, s[6:7]
	s_cbranch_vccnz .LBB611_71
; %bb.1:
	v_cmp_neq_f32_e64 s[8:9], s20, 0
	s_mov_b32 s11, 0
	s_and_b64 vcc, exec, s[8:9]
	s_cbranch_vccnz .LBB611_3
; %bb.2:
	s_mov_b64 s[12:13], 0
	s_cbranch_execz .LBB611_4
	s_branch .LBB611_5
.LBB611_3:
                                        ; implicit-def: $sgpr12_sgpr13
.LBB611_4:
	s_load_dwordx4 s[12:15], s[0:1], 0x18
	s_lshl_b64 s[6:7], s[10:11], 3
	s_waitcnt lgkmcnt(0)
	s_add_u32 s6, s12, s6
	s_addc_u32 s7, s13, s7
	s_load_dwordx2 s[6:7], s[6:7], 0x0
	s_lshl_b64 s[12:13], s[14:15], 1
	s_waitcnt lgkmcnt(0)
	s_add_u32 s12, s6, s12
	s_addc_u32 s13, s7, s13
.LBB611_5:
	s_mov_b64 s[6:7], 0
	s_andn2_b64 vcc, exec, s[8:9]
	s_mov_b64 s[8:9], 0
	s_cbranch_vccnz .LBB611_7
; %bb.6:
	s_load_dwordx4 s[16:19], s[0:1], 0x38
	s_lshl_b64 s[8:9], s[10:11], 3
	s_waitcnt lgkmcnt(0)
	s_add_u32 s8, s16, s8
	s_addc_u32 s9, s17, s9
	s_load_dwordx2 s[8:9], s[8:9], 0x0
	s_lshl_b64 s[14:15], s[18:19], 1
	s_waitcnt lgkmcnt(0)
	s_add_u32 s8, s8, s14
	s_addc_u32 s9, s9, s15
.LBB611_7:
	s_load_dwordx4 s[16:19], s[0:1], 0x68
	s_load_dword s21, s[0:1], 0x78
	s_lshl_b64 s[10:11], s[10:11], 3
	s_waitcnt lgkmcnt(0)
	s_add_u32 s10, s16, s10
	s_addc_u32 s11, s17, s11
	s_load_dwordx2 s[10:11], s[10:11], 0x0
	s_lshl_b64 s[14:15], s[18:19], 1
	s_waitcnt lgkmcnt(0)
	s_add_u32 s18, s10, s14
	s_addc_u32 s19, s11, s15
	s_andn2_b64 vcc, exec, s[4:5]
	v_cmp_eq_u32_e64 s[4:5], 0, v0
	s_cbranch_vccnz .LBB611_12
; %bb.8:
	s_mov_b64 s[14:15], 0
                                        ; implicit-def: $sgpr22
                                        ; implicit-def: $sgpr10_sgpr11
	s_and_saveexec_b64 s[16:17], s[4:5]
	s_cbranch_execz .LBB611_13
; %bb.9:
	v_cmp_eq_f32_e64 s[4:5], s3, 0
	s_mov_b32 s22, 0
	s_mul_hi_i32 s11, s21, s2
	s_mul_i32 s10, s21, s2
	s_and_b64 vcc, exec, s[4:5]
	s_cbranch_vccnz .LBB611_18
; %bb.10:
	s_lshl_b64 s[4:5], s[10:11], 1
	s_add_u32 s4, s18, s4
	s_addc_u32 s5, s19, s5
	v_mov_b32_e32 v1, 0
	global_load_ushort v1, v1, s[4:5]
	s_mov_b32 s4, 0x7f800000
	s_waitcnt vmcnt(0)
	v_lshlrev_b32_e32 v1, 16, v1
	v_mul_f32_e32 v1, s3, v1
	v_and_b32_e32 v2, 0x7f800000, v1
	v_cmp_eq_u32_e32 vcc, s4, v2
	v_readfirstlane_b32 s6, v1
	s_cbranch_vccnz .LBB611_14
; %bb.11:
	s_bfe_u32 s4, s6, 0x10010
	s_add_i32 s4, s6, s4
	s_add_i32 s7, s4, 0x7fff
	s_mov_b64 s[4:5], 0
	s_branch .LBB611_15
.LBB611_12:
                                        ; implicit-def: $sgpr22
                                        ; implicit-def: $sgpr10_sgpr11
	s_cbranch_execnz .LBB611_19
	s_branch .LBB611_69
.LBB611_13:
	s_or_b64 exec, exec, s[16:17]
	s_and_b64 vcc, exec, s[14:15]
	s_cbranch_vccnz .LBB611_19
	s_branch .LBB611_69
.LBB611_14:
	s_mov_b64 s[4:5], -1
                                        ; implicit-def: $sgpr7
.LBB611_15:
	s_andn2_b64 vcc, exec, s[4:5]
	s_cbranch_vccnz .LBB611_17
; %bb.16:
	s_and_b32 s4, s6, 0xffff
	s_or_b32 s5, s6, 0x10000
	s_cmp_eq_u32 s4, 0
	s_cselect_b32 s7, s6, s5
.LBB611_17:
	s_lshr_b32 s22, s7, 16
.LBB611_18:
	s_mov_b64 s[6:7], exec
	s_or_b64 exec, exec, s[16:17]
	s_and_b64 vcc, exec, s[14:15]
	s_cbranch_vccz .LBB611_69
.LBB611_19:
	s_load_dword s16, s[0:1], 0x0
	s_load_dword s5, s[0:1], 0x28
	;; [unrolled: 1-line block ×3, first 2 shown]
	v_mov_b32_e32 v3, 0
	s_mov_b32 s1, 0
	s_waitcnt lgkmcnt(0)
	v_cmp_gt_i32_e32 vcc, s16, v0
	s_mul_hi_i32 s11, s5, s2
	s_mul_i32 s10, s5, s2
	s_lshl_b64 s[10:11], s[10:11], 1
	s_add_u32 s10, s10, s12
	s_addc_u32 s11, s11, s13
	s_ashr_i32 s0, s16, 31
	s_lshr_b32 s0, s0, 24
	v_cndmask_b32_e32 v1, 0, v0, vcc
	s_add_i32 s0, s16, s0
	v_lshlrev_b32_e32 v2, 1, v1
	s_and_b32 s0, s0, 0xffffff00
	s_cmpk_lt_i32 s16, 0x100
	v_lshl_add_u64 v[4:5], s[10:11], 0, v[2:3]
	s_cbranch_scc1 .LBB611_26
; %bb.20:
	s_ashr_i32 s5, s4, 31
	v_mad_i64_i32 v[2:3], s[10:11], s4, v0, 0
	v_lshl_add_u64 v[6:7], v[2:3], 1, s[8:9]
	s_lshl_b64 s[10:11], s[4:5], 9
	v_mov_b32_e32 v1, 0
	s_mov_b32 s5, 0x7f800000
	s_movk_i32 s17, 0x7fff
	s_mov_b64 s[12:13], 0x200
	v_mov_b64_e32 v[8:9], v[4:5]
	v_mov_b32_e32 v3, 0
	s_branch .LBB611_22
.LBB611_21:                             ;   in Loop: Header=BB611_22 Depth=1
	s_or_b64 exec, exec, s[14:15]
	v_and_b32_e32 v2, 0xffff0000, v2
	s_addk_i32 s1, 0x100
	v_add_f32_e32 v3, v3, v2
	v_lshl_add_u64 v[6:7], v[6:7], 0, s[10:11]
	s_cmp_ge_i32 s1, s0
	v_lshl_add_u64 v[8:9], v[8:9], 0, s[12:13]
	s_cbranch_scc1 .LBB611_26
.LBB611_22:                             ; =>This Inner Loop Header: Depth=1
	flat_load_ushort v2, v[6:7]
	flat_load_ushort v10, v[8:9]
	s_waitcnt vmcnt(0) lgkmcnt(0)
	v_lshlrev_b32_e32 v2, 16, v2
	v_lshlrev_b32_e32 v10, 16, v10
	v_pk_mul_f32 v[10:11], v[2:3], v[10:11] op_sel_hi:[0,1]
	v_and_b32_e32 v2, 0x7f800000, v10
	v_cmp_ne_u32_e32 vcc, s5, v2
                                        ; implicit-def: $vgpr2
	s_and_saveexec_b64 s[14:15], vcc
	s_xor_b64 s[14:15], exec, s[14:15]
; %bb.23:                               ;   in Loop: Header=BB611_22 Depth=1
	v_bfe_u32 v2, v10, 16, 1
	v_add3_u32 v2, v10, v2, s17
                                        ; implicit-def: $vgpr10_vgpr11
; %bb.24:                               ;   in Loop: Header=BB611_22 Depth=1
	s_andn2_saveexec_b64 s[14:15], s[14:15]
	s_cbranch_execz .LBB611_21
; %bb.25:                               ;   in Loop: Header=BB611_22 Depth=1
	v_or_b32_e32 v2, 0x10000, v10
	v_cmp_eq_u32_sdwa vcc, v10, v1 src0_sel:WORD_0 src1_sel:DWORD
	s_nop 1
	v_cndmask_b32_e32 v2, v2, v10, vcc
	s_branch .LBB611_21
.LBB611_26:
	v_add_u32_e32 v1, s0, v0
	v_cmp_gt_i32_e32 vcc, s16, v1
	s_and_saveexec_b64 s[10:11], vcc
	s_cbranch_execz .LBB611_32
; %bb.27:
	s_ashr_i32 s1, s0, 31
	v_lshl_add_u64 v[4:5], s[0:1], 1, v[4:5]
	v_mad_i64_i32 v[6:7], s[0:1], s4, v1, 0
	v_lshl_add_u64 v[6:7], v[6:7], 1, s[8:9]
	flat_load_ushort v1, v[6:7]
	flat_load_ushort v8, v[4:5]
	s_mov_b32 s0, 0x7f800000
	s_waitcnt vmcnt(0) lgkmcnt(0)
	v_lshlrev_b32_e32 v2, 16, v1
	v_lshlrev_b32_e32 v4, 16, v8
	v_pk_mul_f32 v[4:5], v[2:3], v[4:5] op_sel_hi:[0,1]
	v_and_b32_e32 v1, 0x7f800000, v4
	v_cmp_ne_u32_e32 vcc, s0, v1
                                        ; implicit-def: $vgpr1
	s_and_saveexec_b64 s[0:1], vcc
	s_xor_b64 s[0:1], exec, s[0:1]
; %bb.28:
	v_bfe_u32 v1, v4, 16, 1
	s_movk_i32 s4, 0x7fff
	v_add3_u32 v1, v4, v1, s4
                                        ; implicit-def: $vgpr4_vgpr5
; %bb.29:
	s_andn2_saveexec_b64 s[0:1], s[0:1]
; %bb.30:
	v_mov_b32_e32 v1, 0
	v_or_b32_e32 v2, 0x10000, v4
	v_cmp_eq_u32_sdwa vcc, v4, v1 src0_sel:WORD_0 src1_sel:DWORD
	s_nop 1
	v_cndmask_b32_e32 v1, v2, v4, vcc
; %bb.31:
	s_or_b64 exec, exec, s[0:1]
	v_and_b32_e32 v1, 0xffff0000, v1
	v_add_f32_e32 v3, v3, v1
.LBB611_32:
	s_or_b64 exec, exec, s[10:11]
	s_movk_i32 s0, 0x80
	v_lshlrev_b32_e32 v1, 2, v0
	v_cmp_gt_u32_e32 vcc, s0, v0
	ds_write_b32 v1, v3
	s_waitcnt lgkmcnt(0)
	s_barrier
	s_and_saveexec_b64 s[0:1], vcc
	s_cbranch_execz .LBB611_34
; %bb.33:
	ds_read2st64_b32 v[2:3], v1 offset1:2
	s_waitcnt lgkmcnt(0)
	v_add_f32_e32 v2, v3, v2
	ds_write_b32 v1, v2
.LBB611_34:
	s_or_b64 exec, exec, s[0:1]
	v_cmp_gt_u32_e32 vcc, 64, v0
	s_waitcnt lgkmcnt(0)
	s_barrier
	s_and_saveexec_b64 s[0:1], vcc
	s_cbranch_execz .LBB611_36
; %bb.35:
	ds_read2st64_b32 v[2:3], v1 offset1:1
	s_waitcnt lgkmcnt(0)
	v_add_f32_e32 v2, v3, v2
	ds_write_b32 v1, v2
.LBB611_36:
	s_or_b64 exec, exec, s[0:1]
	v_cmp_gt_u32_e32 vcc, 32, v0
	s_waitcnt lgkmcnt(0)
	s_barrier
	s_and_saveexec_b64 s[0:1], vcc
	s_cbranch_execz .LBB611_38
; %bb.37:
	ds_read2_b32 v[2:3], v1 offset1:32
	s_waitcnt lgkmcnt(0)
	v_add_f32_e32 v2, v3, v2
	ds_write_b32 v1, v2
.LBB611_38:
	s_or_b64 exec, exec, s[0:1]
	v_cmp_gt_u32_e32 vcc, 16, v0
	s_waitcnt lgkmcnt(0)
	s_barrier
	s_and_saveexec_b64 s[0:1], vcc
	s_cbranch_execz .LBB611_40
; %bb.39:
	ds_read2_b32 v[2:3], v1 offset1:16
	s_waitcnt lgkmcnt(0)
	v_add_f32_e32 v2, v3, v2
	ds_write_b32 v1, v2
.LBB611_40:
	;; [unrolled: 12-line block ×5, first 2 shown]
	s_or_b64 exec, exec, s[0:1]
	v_cmp_eq_u32_e32 vcc, 0, v0
	s_waitcnt lgkmcnt(0)
	s_barrier
	s_and_saveexec_b64 s[0:1], vcc
	s_cbranch_execz .LBB611_48
; %bb.47:
	v_mov_b32_e32 v2, 0
	ds_read_b64 v[0:1], v2
	s_waitcnt lgkmcnt(0)
	v_add_f32_e32 v0, v1, v0
	ds_write_b32 v2, v0
.LBB611_48:
	s_or_b64 exec, exec, s[0:1]
	s_waitcnt lgkmcnt(0)
	s_barrier
	s_waitcnt lgkmcnt(0)
                                        ; implicit-def: $sgpr22
                                        ; implicit-def: $sgpr10_sgpr11
	s_and_saveexec_b64 s[0:1], vcc
	s_cbranch_execz .LBB611_68
; %bb.49:
	v_mov_b32_e32 v0, 0
	ds_read_b32 v0, v0
	v_cmp_eq_f32_e64 s[4:5], s3, 0
	s_and_b64 vcc, exec, s[4:5]
	s_waitcnt lgkmcnt(0)
	v_mul_f32_e32 v0, s20, v0
	s_nop 0
	v_readfirstlane_b32 s8, v0
	s_cbranch_vccz .LBB611_52
; %bb.50:
	s_and_b32 s4, s8, 0x7f800000
	s_cmp_eq_u32 s4, 0x7f800000
	s_cbranch_scc1 .LBB611_53
; %bb.51:
	s_bfe_u32 s4, s8, 0x10010
	s_add_i32 s4, s8, s4
	s_add_i32 s9, s4, 0x7fff
	s_mov_b64 s[4:5], 0
	s_branch .LBB611_54
.LBB611_52:
                                        ; implicit-def: $sgpr9
	s_mul_hi_i32 s11, s21, s2
	s_mul_i32 s10, s21, s2
	s_branch .LBB611_57
.LBB611_53:
	s_mov_b64 s[4:5], -1
                                        ; implicit-def: $sgpr9
.LBB611_54:
	s_andn2_b64 vcc, exec, s[4:5]
	s_cbranch_vccnz .LBB611_56
; %bb.55:
	s_and_b32 s4, s8, 0xffff
	s_or_b32 s5, s8, 0x10000
	s_cmp_eq_u32 s4, 0
	s_cselect_b32 s9, s8, s5
.LBB611_56:
	s_mul_hi_i32 s11, s21, s2
	s_mul_i32 s10, s21, s2
	s_cbranch_execnz .LBB611_67
.LBB611_57:
	s_lshl_b64 s[4:5], s[10:11], 1
	s_add_u32 s4, s18, s4
	s_addc_u32 s5, s19, s5
	v_mov_b32_e32 v0, 0
	global_load_ushort v0, v0, s[4:5]
	s_mov_b32 s2, 0x7f800000
	s_waitcnt vmcnt(0)
	v_lshlrev_b32_e32 v0, 16, v0
	v_mul_f32_e32 v0, s3, v0
	v_and_b32_e32 v1, 0x7f800000, v0
	v_cmp_eq_u32_e32 vcc, s2, v1
	v_readfirstlane_b32 s4, v0
	s_cbranch_vccnz .LBB611_59
; %bb.58:
	s_bfe_u32 s2, s4, 0x10010
	s_add_i32 s2, s4, s2
	s_add_i32 s5, s2, 0x7fff
	s_mov_b64 s[2:3], 0
	s_branch .LBB611_60
.LBB611_59:
	s_mov_b64 s[2:3], -1
                                        ; implicit-def: $sgpr5
.LBB611_60:
	s_andn2_b64 vcc, exec, s[2:3]
	s_cbranch_vccnz .LBB611_62
; %bb.61:
	s_and_b32 s2, s4, 0xffff
	s_or_b32 s3, s4, 0x10000
	s_cmp_eq_u32 s2, 0
	s_cselect_b32 s5, s4, s3
.LBB611_62:
	s_and_b32 s2, s5, 0xffff0000
	v_mov_b32_e32 v0, s2
	v_add_f32_e32 v0, s8, v0
	s_mov_b32 s2, 0x7f800000
	v_and_b32_e32 v1, 0x7f800000, v0
	v_cmp_eq_u32_e32 vcc, s2, v1
	v_readfirstlane_b32 s4, v0
	s_cbranch_vccnz .LBB611_64
; %bb.63:
	s_bfe_u32 s2, s4, 0x10010
	s_add_i32 s2, s4, s2
	s_add_i32 s9, s2, 0x7fff
	s_mov_b64 s[2:3], 0
	s_branch .LBB611_65
.LBB611_64:
	s_mov_b64 s[2:3], -1
                                        ; implicit-def: $sgpr9
.LBB611_65:
	s_andn2_b64 vcc, exec, s[2:3]
	s_cbranch_vccnz .LBB611_67
; %bb.66:
	s_and_b32 s2, s4, 0xffff
	s_or_b32 s3, s4, 0x10000
	s_cmp_eq_u32 s2, 0
	s_cselect_b32 s9, s4, s3
.LBB611_67:
	s_lshr_b32 s22, s9, 16
	s_or_b64 s[6:7], s[6:7], exec
.LBB611_68:
	s_or_b64 exec, exec, s[0:1]
.LBB611_69:
	s_and_saveexec_b64 s[0:1], s[6:7]
	s_cbranch_execz .LBB611_71
; %bb.70:
	s_lshl_b64 s[0:1], s[10:11], 1
	s_add_u32 s0, s18, s0
	s_addc_u32 s1, s19, s1
	v_mov_b32_e32 v0, 0
	v_mov_b32_e32 v1, s22
	global_store_short v0, v1, s[0:1]
.LBB611_71:
	s_endpgm
	.section	.rodata,"a",@progbits
	.p2align	6, 0x0
	.amdhsa_kernel _ZL20rocblas_gemvt_kernelILb0ELi256EPK16rocblas_bfloat16fKPS0_EviiT2_lPKT1_lilS8_lilS5_lPT3_lili
		.amdhsa_group_segment_fixed_size 1024
		.amdhsa_private_segment_fixed_size 0
		.amdhsa_kernarg_size 140
		.amdhsa_user_sgpr_count 2
		.amdhsa_user_sgpr_dispatch_ptr 0
		.amdhsa_user_sgpr_queue_ptr 0
		.amdhsa_user_sgpr_kernarg_segment_ptr 1
		.amdhsa_user_sgpr_dispatch_id 0
		.amdhsa_user_sgpr_kernarg_preload_length 0
		.amdhsa_user_sgpr_kernarg_preload_offset 0
		.amdhsa_user_sgpr_private_segment_size 0
		.amdhsa_uses_dynamic_stack 0
		.amdhsa_enable_private_segment 0
		.amdhsa_system_sgpr_workgroup_id_x 1
		.amdhsa_system_sgpr_workgroup_id_y 0
		.amdhsa_system_sgpr_workgroup_id_z 1
		.amdhsa_system_sgpr_workgroup_info 0
		.amdhsa_system_vgpr_workitem_id 0
		.amdhsa_next_free_vgpr 12
		.amdhsa_next_free_sgpr 23
		.amdhsa_accum_offset 12
		.amdhsa_reserve_vcc 1
		.amdhsa_float_round_mode_32 0
		.amdhsa_float_round_mode_16_64 0
		.amdhsa_float_denorm_mode_32 3
		.amdhsa_float_denorm_mode_16_64 3
		.amdhsa_dx10_clamp 1
		.amdhsa_ieee_mode 1
		.amdhsa_fp16_overflow 0
		.amdhsa_tg_split 0
		.amdhsa_exception_fp_ieee_invalid_op 0
		.amdhsa_exception_fp_denorm_src 0
		.amdhsa_exception_fp_ieee_div_zero 0
		.amdhsa_exception_fp_ieee_overflow 0
		.amdhsa_exception_fp_ieee_underflow 0
		.amdhsa_exception_fp_ieee_inexact 0
		.amdhsa_exception_int_div_zero 0
	.end_amdhsa_kernel
	.section	.text._ZL20rocblas_gemvt_kernelILb0ELi256EPK16rocblas_bfloat16fKPS0_EviiT2_lPKT1_lilS8_lilS5_lPT3_lili,"axG",@progbits,_ZL20rocblas_gemvt_kernelILb0ELi256EPK16rocblas_bfloat16fKPS0_EviiT2_lPKT1_lilS8_lilS5_lPT3_lili,comdat
.Lfunc_end611:
	.size	_ZL20rocblas_gemvt_kernelILb0ELi256EPK16rocblas_bfloat16fKPS0_EviiT2_lPKT1_lilS8_lilS5_lPT3_lili, .Lfunc_end611-_ZL20rocblas_gemvt_kernelILb0ELi256EPK16rocblas_bfloat16fKPS0_EviiT2_lPKT1_lilS8_lilS5_lPT3_lili
                                        ; -- End function
	.section	.AMDGPU.csdata,"",@progbits
; Kernel info:
; codeLenInByte = 1840
; NumSgprs: 29
; NumVgprs: 12
; NumAgprs: 0
; TotalNumVgprs: 12
; ScratchSize: 0
; MemoryBound: 0
; FloatMode: 240
; IeeeMode: 1
; LDSByteSize: 1024 bytes/workgroup (compile time only)
; SGPRBlocks: 3
; VGPRBlocks: 1
; NumSGPRsForWavesPerEU: 29
; NumVGPRsForWavesPerEU: 12
; AccumOffset: 12
; Occupancy: 8
; WaveLimiterHint : 1
; COMPUTE_PGM_RSRC2:SCRATCH_EN: 0
; COMPUTE_PGM_RSRC2:USER_SGPR: 2
; COMPUTE_PGM_RSRC2:TRAP_HANDLER: 0
; COMPUTE_PGM_RSRC2:TGID_X_EN: 1
; COMPUTE_PGM_RSRC2:TGID_Y_EN: 0
; COMPUTE_PGM_RSRC2:TGID_Z_EN: 1
; COMPUTE_PGM_RSRC2:TIDIG_COMP_CNT: 0
; COMPUTE_PGM_RSRC3_GFX90A:ACCUM_OFFSET: 2
; COMPUTE_PGM_RSRC3_GFX90A:TG_SPLIT: 0
	.section	.text._ZL32rocblas_gemvt_warp_reduce_kernelILb0ELi1024EiPK16rocblas_bfloat16PKfKPS0_EviiT3_lPKT2_lT1_lSA_lSB_lS7_lPT4_lSB_li,"axG",@progbits,_ZL32rocblas_gemvt_warp_reduce_kernelILb0ELi1024EiPK16rocblas_bfloat16PKfKPS0_EviiT3_lPKT2_lT1_lSA_lSB_lS7_lPT4_lSB_li,comdat
	.globl	_ZL32rocblas_gemvt_warp_reduce_kernelILb0ELi1024EiPK16rocblas_bfloat16PKfKPS0_EviiT3_lPKT2_lT1_lSA_lSB_lS7_lPT4_lSB_li ; -- Begin function _ZL32rocblas_gemvt_warp_reduce_kernelILb0ELi1024EiPK16rocblas_bfloat16PKfKPS0_EviiT3_lPKT2_lT1_lSA_lSB_lS7_lPT4_lSB_li
	.p2align	8
	.type	_ZL32rocblas_gemvt_warp_reduce_kernelILb0ELi1024EiPK16rocblas_bfloat16PKfKPS0_EviiT3_lPKT2_lT1_lSA_lSB_lS7_lPT4_lSB_li,@function
_ZL32rocblas_gemvt_warp_reduce_kernelILb0ELi1024EiPK16rocblas_bfloat16PKfKPS0_EviiT3_lPKT2_lT1_lSA_lSB_lS7_lPT4_lSB_li: ; @_ZL32rocblas_gemvt_warp_reduce_kernelILb0ELi1024EiPK16rocblas_bfloat16PKfKPS0_EviiT3_lPKT2_lT1_lSA_lSB_lS7_lPT4_lSB_li
; %bb.0:
	s_load_dwordx8 s[12:19], s[0:1], 0x8
	s_load_dwordx8 s[4:11], s[0:1], 0x58
	s_mov_b32 s20, s3
	s_waitcnt lgkmcnt(0)
	s_mul_i32 s3, s3, s15
	s_mul_hi_u32 s15, s20, s14
	s_add_i32 s15, s15, s3
	s_mul_i32 s14, s20, s14
	s_lshl_b64 s[14:15], s[14:15], 2
	s_add_u32 s12, s12, s14
	s_mul_i32 s3, s20, s7
	s_mul_hi_u32 s7, s20, s6
	s_addc_u32 s13, s13, s15
	s_add_i32 s7, s7, s3
	s_mul_i32 s6, s20, s6
	s_lshl_b64 s[6:7], s[6:7], 2
	s_add_u32 s4, s4, s6
	s_addc_u32 s5, s5, s7
	s_load_dword s22, s[12:13], 0x0
	s_load_dword s3, s[4:5], 0x0
	s_waitcnt lgkmcnt(0)
	v_cmp_eq_f32_e64 s[4:5], s22, 0
	v_cmp_eq_f32_e64 s[6:7], s3, 1.0
	s_and_b64 s[6:7], s[4:5], s[6:7]
	s_and_b64 vcc, exec, s[6:7]
	s_cbranch_vccnz .LBB612_43
; %bb.1:
	s_mov_b32 s21, 0
	v_cmp_neq_f32_e64 s[6:7], s22, 0
	s_mov_b64 s[12:13], 0
	s_and_b64 vcc, exec, s[4:5]
	s_mov_b64 s[14:15], 0
	s_cbranch_vccnz .LBB612_3
; %bb.2:
	s_lshl_b64 s[14:15], s[20:21], 3
	s_add_u32 s14, s16, s14
	s_addc_u32 s15, s17, s15
	s_load_dwordx2 s[14:15], s[14:15], 0x0
	s_lshl_b64 s[16:17], s[18:19], 1
	s_waitcnt lgkmcnt(0)
	s_add_u32 s14, s14, s16
	s_addc_u32 s15, s15, s17
.LBB612_3:
	s_andn2_b64 vcc, exec, s[6:7]
	s_cbranch_vccnz .LBB612_5
; %bb.4:
	s_load_dwordx4 s[16:19], s[0:1], 0x38
	s_lshl_b64 s[6:7], s[20:21], 3
	s_waitcnt lgkmcnt(0)
	s_add_u32 s6, s16, s6
	s_addc_u32 s7, s17, s7
	s_load_dwordx2 s[6:7], s[6:7], 0x0
	s_lshl_b64 s[12:13], s[18:19], 1
	s_waitcnt lgkmcnt(0)
	s_add_u32 s12, s6, s12
	s_addc_u32 s13, s7, s13
.LBB612_5:
	s_lshl_b64 s[6:7], s[20:21], 3
	s_add_u32 s6, s8, s6
	s_addc_u32 s7, s9, s7
	s_load_dwordx2 s[8:9], s[6:7], 0x0
	s_load_dword s20, s[0:1], 0x78
	s_lshl_b64 s[6:7], s[10:11], 1
	s_waitcnt lgkmcnt(0)
	s_add_u32 s18, s8, s6
	s_addc_u32 s19, s9, s7
	s_andn2_b64 vcc, exec, s[4:5]
	v_cmp_eq_u32_e64 s[4:5], 0, v0
	s_cbranch_vccnz .LBB612_10
; %bb.6:
	s_mov_b64 s[10:11], 0
	s_mov_b64 s[6:7], 0
                                        ; implicit-def: $sgpr21
                                        ; implicit-def: $sgpr8_sgpr9
	s_and_saveexec_b64 s[16:17], s[4:5]
	s_cbranch_execz .LBB612_18
; %bb.7:
	v_cmp_eq_f32_e64 s[4:5], s3, 0
	s_mul_i32 s8, s2, s20
	s_mov_b32 s21, 0
	s_ashr_i32 s9, s8, 31
	s_and_b64 vcc, exec, s[4:5]
	s_cbranch_vccnz .LBB612_51
; %bb.8:
	s_lshl_b64 s[4:5], s[8:9], 1
	s_add_u32 s4, s18, s4
	s_addc_u32 s5, s19, s5
	v_mov_b32_e32 v1, 0
	global_load_ushort v1, v1, s[4:5]
	s_mov_b32 s4, 0x7f800000
	s_waitcnt vmcnt(0)
	v_lshlrev_b32_e32 v1, 16, v1
	v_mul_f32_e32 v1, s3, v1
	v_and_b32_e32 v2, 0x7f800000, v1
	v_cmp_eq_u32_e32 vcc, s4, v2
	v_readfirstlane_b32 s6, v1
	s_cbranch_vccnz .LBB612_47
; %bb.9:
	s_bfe_u32 s4, s6, 0x10010
	s_add_i32 s4, s6, s4
	s_add_i32 s7, s4, 0x7fff
	s_mov_b64 s[4:5], 0
	s_branch .LBB612_48
.LBB612_10:
	s_mov_b64 s[6:7], 0
                                        ; implicit-def: $sgpr21
                                        ; implicit-def: $sgpr8_sgpr9
	s_cbranch_execz .LBB612_52
.LBB612_11:
	s_load_dword s17, s[0:1], 0x0
	s_load_dword s4, s[0:1], 0x28
	;; [unrolled: 1-line block ×3, first 2 shown]
	v_mov_b32_e32 v3, 0
	s_waitcnt lgkmcnt(0)
	v_cmp_gt_i32_e32 vcc, s17, v0
	s_mul_i32 s0, s2, s4
	s_ashr_i32 s1, s0, 31
	s_lshl_b64 s[0:1], s[0:1], 1
	v_cndmask_b32_e32 v1, 0, v0, vcc
	s_add_u32 s0, s0, s14
	v_lshlrev_b32_e32 v2, 1, v1
	s_addc_u32 s1, s1, s15
	v_lshl_add_u64 v[4:5], s[0:1], 0, v[2:3]
	s_ashr_i32 s0, s17, 31
	s_lshr_b32 s0, s0, 22
	s_add_i32 s0, s17, s0
	s_and_b32 s0, s0, 0xfffffc00
	v_cmp_gt_i32_e32 vcc, s0, v0
	s_and_saveexec_b64 s[4:5], vcc
	s_cbranch_execz .LBB612_20
; %bb.12:
	v_mul_lo_u32 v6, v0, s16
	s_lshl_b32 s1, s16, 10
	s_mov_b64 s[8:9], 0
	v_mov_b32_e32 v1, 0
	s_mov_b32 s21, 0x7f800000
	s_movk_i32 s23, 0x7fff
	s_mov_b64 s[10:11], 0x800
	v_mov_b64_e32 v[8:9], v[4:5]
	v_mov_b32_e32 v2, v0
	v_mov_b32_e32 v3, 0
	s_branch .LBB612_14
.LBB612_13:                             ;   in Loop: Header=BB612_14 Depth=1
	s_or_b64 exec, exec, s[14:15]
	v_add_u32_e32 v2, 0x400, v2
	v_and_b32_e32 v7, 0xffff0000, v7
	v_cmp_le_i32_e32 vcc, s0, v2
	v_add_f32_e32 v3, v3, v7
	v_add_u32_e32 v6, s1, v6
	s_or_b64 s[8:9], vcc, s[8:9]
	v_lshl_add_u64 v[8:9], v[8:9], 0, s[10:11]
	s_andn2_b64 exec, exec, s[8:9]
	s_cbranch_execz .LBB612_19
.LBB612_14:                             ; =>This Inner Loop Header: Depth=1
	v_ashrrev_i32_e32 v7, 31, v6
	v_lshl_add_u64 v[10:11], v[6:7], 1, s[12:13]
	flat_load_ushort v7, v[10:11]
	flat_load_ushort v12, v[8:9]
	s_waitcnt vmcnt(0) lgkmcnt(0)
	v_lshlrev_b32_e32 v10, 16, v7
	v_lshlrev_b32_e32 v12, 16, v12
	v_pk_mul_f32 v[10:11], v[10:11], v[12:13] op_sel_hi:[0,1]
	v_and_b32_e32 v7, 0x7f800000, v10
	v_cmp_ne_u32_e32 vcc, s21, v7
                                        ; implicit-def: $vgpr7
	s_and_saveexec_b64 s[14:15], vcc
	s_xor_b64 s[14:15], exec, s[14:15]
; %bb.15:                               ;   in Loop: Header=BB612_14 Depth=1
	v_bfe_u32 v7, v10, 16, 1
	v_add3_u32 v7, v10, v7, s23
                                        ; implicit-def: $vgpr10_vgpr11
; %bb.16:                               ;   in Loop: Header=BB612_14 Depth=1
	s_andn2_saveexec_b64 s[14:15], s[14:15]
	s_cbranch_execz .LBB612_13
; %bb.17:                               ;   in Loop: Header=BB612_14 Depth=1
	v_or_b32_e32 v7, 0x10000, v10
	v_cmp_eq_u32_sdwa vcc, v10, v1 src0_sel:WORD_0 src1_sel:DWORD
	s_nop 1
	v_cndmask_b32_e32 v7, v7, v10, vcc
	s_branch .LBB612_13
.LBB612_18:
	s_or_b64 exec, exec, s[16:17]
	s_and_b64 vcc, exec, s[10:11]
	s_cbranch_vccnz .LBB612_11
	s_branch .LBB612_52
.LBB612_19:
	s_or_b64 exec, exec, s[8:9]
.LBB612_20:
	s_or_b64 exec, exec, s[4:5]
	v_or_b32_e32 v1, s0, v0
	v_cmp_gt_i32_e32 vcc, s17, v1
	s_and_saveexec_b64 s[4:5], vcc
	s_cbranch_execz .LBB612_26
; %bb.21:
	s_ashr_i32 s1, s0, 31
	v_mul_lo_u32 v6, v1, s16
	v_lshl_add_u64 v[4:5], s[0:1], 1, v[4:5]
	v_ashrrev_i32_e32 v7, 31, v6
	v_lshl_add_u64 v[6:7], v[6:7], 1, s[12:13]
	flat_load_ushort v1, v[4:5]
	flat_load_ushort v8, v[6:7]
	s_mov_b32 s0, 0x7f800000
	s_waitcnt vmcnt(0) lgkmcnt(0)
	v_lshlrev_b32_e32 v2, 16, v1
	v_lshlrev_b32_e32 v4, 16, v8
	v_pk_mul_f32 v[4:5], v[4:5], v[2:3] op_sel_hi:[0,1]
	v_and_b32_e32 v1, 0x7f800000, v4
	v_cmp_ne_u32_e32 vcc, s0, v1
                                        ; implicit-def: $vgpr1
	s_and_saveexec_b64 s[0:1], vcc
	s_xor_b64 s[0:1], exec, s[0:1]
; %bb.22:
	v_bfe_u32 v1, v4, 16, 1
	s_movk_i32 s8, 0x7fff
	v_add3_u32 v1, v4, v1, s8
                                        ; implicit-def: $vgpr4_vgpr5
; %bb.23:
	s_andn2_saveexec_b64 s[0:1], s[0:1]
; %bb.24:
	v_mov_b32_e32 v1, 0
	v_or_b32_e32 v2, 0x10000, v4
	v_cmp_eq_u32_sdwa vcc, v4, v1 src0_sel:WORD_0 src1_sel:DWORD
	s_nop 1
	v_cndmask_b32_e32 v1, v2, v4, vcc
; %bb.25:
	s_or_b64 exec, exec, s[0:1]
	v_and_b32_e32 v1, 0xffff0000, v1
	v_add_f32_e32 v3, v3, v1
.LBB612_26:
	s_or_b64 exec, exec, s[4:5]
	v_and_b32_e32 v2, 63, v0
	v_cmp_gt_u32_e32 vcc, 64, v0
	v_lshlrev_b32_e32 v1, 2, v2
	s_and_saveexec_b64 s[0:1], vcc
	s_cbranch_execz .LBB612_28
; %bb.27:
	v_mov_b32_e32 v4, 0
	ds_write_b32 v1, v4
.LBB612_28:
	s_or_b64 exec, exec, s[0:1]
	v_mbcnt_lo_u32_b32 v4, -1, 0
	v_mbcnt_hi_u32_b32 v6, -1, v4
	v_and_b32_e32 v7, 63, v6
	v_cmp_gt_u32_e64 s[0:1], 32, v7
	s_waitcnt lgkmcnt(0)
	s_barrier
	v_cndmask_b32_e64 v4, 0, 1, s[0:1]
	v_lshlrev_b32_e32 v4, 5, v4
	v_add_lshl_u32 v4, v4, v6, 2
	ds_bpermute_b32 v4, v4, v3
	v_cmp_gt_u32_e64 s[0:1], 48, v7
	s_waitcnt lgkmcnt(0)
	v_add_f32_e32 v3, v3, v4
	v_cndmask_b32_e64 v5, 0, 1, s[0:1]
	v_lshlrev_b32_e32 v5, 4, v5
	v_add_lshl_u32 v4, v5, v6, 2
	ds_bpermute_b32 v4, v4, v3
	v_cmp_gt_u32_e64 s[0:1], 56, v7
	s_waitcnt lgkmcnt(0)
	v_add_f32_e32 v4, v3, v4
	;; [unrolled: 7-line block ×4, first 2 shown]
	v_cndmask_b32_e64 v9, 0, 1, s[0:1]
	v_lshlrev_b32_e32 v9, 1, v9
	v_add_lshl_u32 v5, v9, v6, 2
	ds_bpermute_b32 v9, v5, v8
	v_cmp_ne_u32_e64 s[0:1], 63, v7
	s_waitcnt lgkmcnt(0)
	v_add_f32_e32 v7, v8, v9
	v_addc_co_u32_e64 v6, s[0:1], 0, v6, s[0:1]
	v_lshlrev_b32_e32 v6, 2, v6
	ds_bpermute_b32 v8, v6, v7
	v_cmp_eq_u32_e64 s[0:1], 0, v2
	s_and_saveexec_b64 s[4:5], s[0:1]
	s_cbranch_execz .LBB612_30
; %bb.29:
	v_lshrrev_b32_e32 v2, 4, v0
	v_and_b32_e32 v2, 60, v2
	s_waitcnt lgkmcnt(0)
	v_add_f32_e32 v7, v7, v8
	ds_write_b32 v2, v7
.LBB612_30:
	s_or_b64 exec, exec, s[4:5]
	v_cmp_gt_u32_e64 s[0:1], 16, v0
	v_mov_b32_e32 v2, 0
	s_waitcnt lgkmcnt(0)
	s_barrier
	s_and_saveexec_b64 s[4:5], s[0:1]
	s_cbranch_execz .LBB612_32
; %bb.31:
	ds_read_b32 v2, v1
	s_or_b64 exec, exec, s[4:5]
	s_and_saveexec_b64 s[0:1], vcc
	s_cbranch_execz .LBB612_34
	s_branch .LBB612_33
.LBB612_32:
	s_or_b64 exec, exec, s[4:5]
	s_and_saveexec_b64 s[0:1], vcc
	s_cbranch_execz .LBB612_34
.LBB612_33:
	s_waitcnt lgkmcnt(0)
	ds_bpermute_b32 v1, v3, v2
	s_waitcnt lgkmcnt(0)
	v_add_f32_e32 v1, v2, v1
	ds_bpermute_b32 v2, v4, v1
	s_waitcnt lgkmcnt(0)
	v_add_f32_e32 v1, v1, v2
	;; [unrolled: 3-line block ×4, first 2 shown]
.LBB612_34:
	s_or_b64 exec, exec, s[0:1]
	v_cmp_eq_u32_e32 vcc, 0, v0
                                        ; implicit-def: $vgpr1
                                        ; implicit-def: $sgpr8_sgpr9
	s_and_saveexec_b64 s[0:1], vcc
	s_cbranch_execz .LBB612_41
; %bb.35:
	v_cmp_eq_f32_e64 s[4:5], s3, 0
	s_waitcnt lgkmcnt(0)
	v_mul_f32_e32 v0, s22, v2
	s_and_b64 vcc, exec, s[4:5]
	s_cbranch_vccz .LBB612_44
; %bb.36:
	s_mov_b32 s4, 0x7f800000
	v_and_b32_e32 v1, 0x7f800000, v0
	v_cmp_ne_u32_e32 vcc, s4, v1
                                        ; implicit-def: $vgpr1
	s_and_saveexec_b64 s[4:5], vcc
	s_xor_b64 s[4:5], exec, s[4:5]
; %bb.37:
	v_bfe_u32 v1, v0, 16, 1
	s_movk_i32 s8, 0x7fff
	v_add3_u32 v1, v0, v1, s8
; %bb.38:
	s_andn2_saveexec_b64 s[4:5], s[4:5]
; %bb.39:
	v_mov_b32_e32 v1, 0
	v_or_b32_e32 v2, 0x10000, v0
	v_cmp_eq_u32_sdwa vcc, v0, v1 src0_sel:WORD_0 src1_sel:DWORD
	s_nop 1
	v_cndmask_b32_e32 v1, v2, v0, vcc
; %bb.40:
	s_or_b64 exec, exec, s[4:5]
	s_mul_i32 s8, s2, s20
	s_cbranch_execz .LBB612_45
	s_branch .LBB612_61
.LBB612_41:
	s_or_b64 exec, exec, s[0:1]
	s_and_saveexec_b64 s[0:1], s[6:7]
	s_cbranch_execz .LBB612_43
.LBB612_42:
	s_lshl_b64 s[0:1], s[8:9], 1
	s_add_u32 s0, s18, s0
	s_addc_u32 s1, s19, s1
	v_mov_b32_e32 v0, 0
	global_store_short v0, v1, s[0:1]
.LBB612_43:
	s_endpgm
.LBB612_44:
                                        ; implicit-def: $vgpr1
	s_mul_i32 s8, s2, s20
.LBB612_45:
	s_ashr_i32 s9, s8, 31
	s_lshl_b64 s[4:5], s[8:9], 1
	s_add_u32 s4, s18, s4
	s_addc_u32 s5, s19, s5
	v_mov_b32_e32 v1, 0
	global_load_ushort v1, v1, s[4:5]
	s_mov_b32 s2, 0x7f800000
	s_waitcnt vmcnt(0)
	v_lshlrev_b32_e32 v1, 16, v1
	v_mul_f32_e32 v1, s3, v1
	v_and_b32_e32 v2, 0x7f800000, v1
	v_cmp_eq_u32_e32 vcc, s2, v2
	v_readfirstlane_b32 s4, v1
	s_cbranch_vccnz .LBB612_53
; %bb.46:
	s_bfe_u32 s2, s4, 0x10010
	s_add_i32 s2, s4, s2
	s_add_i32 s5, s2, 0x7fff
	s_mov_b64 s[2:3], 0
	s_branch .LBB612_54
.LBB612_47:
	s_mov_b64 s[4:5], -1
                                        ; implicit-def: $sgpr7
.LBB612_48:
	s_andn2_b64 vcc, exec, s[4:5]
	s_cbranch_vccnz .LBB612_50
; %bb.49:
	s_and_b32 s4, s6, 0xffff
	s_or_b32 s5, s6, 0x10000
	s_cmp_eq_u32 s4, 0
	s_cselect_b32 s7, s6, s5
.LBB612_50:
	s_lshr_b32 s21, s7, 16
.LBB612_51:
	s_mov_b64 s[6:7], exec
	s_or_b64 exec, exec, s[16:17]
	s_and_b64 vcc, exec, s[10:11]
	s_cbranch_vccnz .LBB612_11
.LBB612_52:
	v_mov_b32_e32 v1, s21
	s_and_saveexec_b64 s[0:1], s[6:7]
	s_cbranch_execnz .LBB612_42
	s_branch .LBB612_43
.LBB612_53:
	s_mov_b64 s[2:3], -1
                                        ; implicit-def: $sgpr5
.LBB612_54:
	s_andn2_b64 vcc, exec, s[2:3]
	s_cbranch_vccnz .LBB612_56
; %bb.55:
	s_and_b32 s2, s4, 0xffff
	s_or_b32 s3, s4, 0x10000
	s_cmp_eq_u32 s2, 0
	s_cselect_b32 s5, s4, s3
.LBB612_56:
	s_and_b32 s2, s5, 0xffff0000
	v_add_f32_e32 v0, s2, v0
	s_mov_b32 s2, 0x7f800000
	v_and_b32_e32 v1, 0x7f800000, v0
	v_cmp_ne_u32_e32 vcc, s2, v1
                                        ; implicit-def: $vgpr1
	s_and_saveexec_b64 s[2:3], vcc
	s_xor_b64 s[2:3], exec, s[2:3]
; %bb.57:
	v_bfe_u32 v1, v0, 16, 1
	s_movk_i32 s4, 0x7fff
	v_add3_u32 v1, v0, v1, s4
                                        ; implicit-def: $vgpr0
; %bb.58:
	s_andn2_saveexec_b64 s[2:3], s[2:3]
; %bb.59:
	v_mov_b32_e32 v1, 0
	v_or_b32_e32 v2, 0x10000, v0
	v_cmp_eq_u32_sdwa vcc, v0, v1 src0_sel:WORD_0 src1_sel:DWORD
	s_nop 1
	v_cndmask_b32_e32 v1, v2, v0, vcc
; %bb.60:
	s_or_b64 exec, exec, s[2:3]
.LBB612_61:
	v_lshrrev_b32_e32 v1, 16, v1
	s_ashr_i32 s9, s8, 31
	s_or_b64 s[6:7], s[6:7], exec
	s_or_b64 exec, exec, s[0:1]
	s_and_saveexec_b64 s[0:1], s[6:7]
	s_cbranch_execnz .LBB612_42
	s_branch .LBB612_43
	.section	.rodata,"a",@progbits
	.p2align	6, 0x0
	.amdhsa_kernel _ZL32rocblas_gemvt_warp_reduce_kernelILb0ELi1024EiPK16rocblas_bfloat16PKfKPS0_EviiT3_lPKT2_lT1_lSA_lSB_lS7_lPT4_lSB_li
		.amdhsa_group_segment_fixed_size 256
		.amdhsa_private_segment_fixed_size 0
		.amdhsa_kernarg_size 140
		.amdhsa_user_sgpr_count 2
		.amdhsa_user_sgpr_dispatch_ptr 0
		.amdhsa_user_sgpr_queue_ptr 0
		.amdhsa_user_sgpr_kernarg_segment_ptr 1
		.amdhsa_user_sgpr_dispatch_id 0
		.amdhsa_user_sgpr_kernarg_preload_length 0
		.amdhsa_user_sgpr_kernarg_preload_offset 0
		.amdhsa_user_sgpr_private_segment_size 0
		.amdhsa_uses_dynamic_stack 0
		.amdhsa_enable_private_segment 0
		.amdhsa_system_sgpr_workgroup_id_x 1
		.amdhsa_system_sgpr_workgroup_id_y 0
		.amdhsa_system_sgpr_workgroup_id_z 1
		.amdhsa_system_sgpr_workgroup_info 0
		.amdhsa_system_vgpr_workitem_id 0
		.amdhsa_next_free_vgpr 14
		.amdhsa_next_free_sgpr 24
		.amdhsa_accum_offset 16
		.amdhsa_reserve_vcc 1
		.amdhsa_float_round_mode_32 0
		.amdhsa_float_round_mode_16_64 0
		.amdhsa_float_denorm_mode_32 3
		.amdhsa_float_denorm_mode_16_64 3
		.amdhsa_dx10_clamp 1
		.amdhsa_ieee_mode 1
		.amdhsa_fp16_overflow 0
		.amdhsa_tg_split 0
		.amdhsa_exception_fp_ieee_invalid_op 0
		.amdhsa_exception_fp_denorm_src 0
		.amdhsa_exception_fp_ieee_div_zero 0
		.amdhsa_exception_fp_ieee_overflow 0
		.amdhsa_exception_fp_ieee_underflow 0
		.amdhsa_exception_fp_ieee_inexact 0
		.amdhsa_exception_int_div_zero 0
	.end_amdhsa_kernel
	.section	.text._ZL32rocblas_gemvt_warp_reduce_kernelILb0ELi1024EiPK16rocblas_bfloat16PKfKPS0_EviiT3_lPKT2_lT1_lSA_lSB_lS7_lPT4_lSB_li,"axG",@progbits,_ZL32rocblas_gemvt_warp_reduce_kernelILb0ELi1024EiPK16rocblas_bfloat16PKfKPS0_EviiT3_lPKT2_lT1_lSA_lSB_lS7_lPT4_lSB_li,comdat
.Lfunc_end612:
	.size	_ZL32rocblas_gemvt_warp_reduce_kernelILb0ELi1024EiPK16rocblas_bfloat16PKfKPS0_EviiT3_lPKT2_lT1_lSA_lSB_lS7_lPT4_lSB_li, .Lfunc_end612-_ZL32rocblas_gemvt_warp_reduce_kernelILb0ELi1024EiPK16rocblas_bfloat16PKfKPS0_EviiT3_lPKT2_lT1_lSA_lSB_lS7_lPT4_lSB_li
                                        ; -- End function
	.section	.AMDGPU.csdata,"",@progbits
; Kernel info:
; codeLenInByte = 1988
; NumSgprs: 30
; NumVgprs: 14
; NumAgprs: 0
; TotalNumVgprs: 14
; ScratchSize: 0
; MemoryBound: 0
; FloatMode: 240
; IeeeMode: 1
; LDSByteSize: 256 bytes/workgroup (compile time only)
; SGPRBlocks: 3
; VGPRBlocks: 1
; NumSGPRsForWavesPerEU: 30
; NumVGPRsForWavesPerEU: 14
; AccumOffset: 16
; Occupancy: 8
; WaveLimiterHint : 1
; COMPUTE_PGM_RSRC2:SCRATCH_EN: 0
; COMPUTE_PGM_RSRC2:USER_SGPR: 2
; COMPUTE_PGM_RSRC2:TRAP_HANDLER: 0
; COMPUTE_PGM_RSRC2:TGID_X_EN: 1
; COMPUTE_PGM_RSRC2:TGID_Y_EN: 0
; COMPUTE_PGM_RSRC2:TGID_Z_EN: 1
; COMPUTE_PGM_RSRC2:TIDIG_COMP_CNT: 0
; COMPUTE_PGM_RSRC3_GFX90A:ACCUM_OFFSET: 3
; COMPUTE_PGM_RSRC3_GFX90A:TG_SPLIT: 0
	.section	.text._ZL32rocblas_gemvt_warp_reduce_kernelILb0ELi1024ElPK16rocblas_bfloat16PKfKPS0_EviiT3_lPKT2_lT1_lSA_lSB_lS7_lPT4_lSB_li,"axG",@progbits,_ZL32rocblas_gemvt_warp_reduce_kernelILb0ELi1024ElPK16rocblas_bfloat16PKfKPS0_EviiT3_lPKT2_lT1_lSA_lSB_lS7_lPT4_lSB_li,comdat
	.globl	_ZL32rocblas_gemvt_warp_reduce_kernelILb0ELi1024ElPK16rocblas_bfloat16PKfKPS0_EviiT3_lPKT2_lT1_lSA_lSB_lS7_lPT4_lSB_li ; -- Begin function _ZL32rocblas_gemvt_warp_reduce_kernelILb0ELi1024ElPK16rocblas_bfloat16PKfKPS0_EviiT3_lPKT2_lT1_lSA_lSB_lS7_lPT4_lSB_li
	.p2align	8
	.type	_ZL32rocblas_gemvt_warp_reduce_kernelILb0ELi1024ElPK16rocblas_bfloat16PKfKPS0_EviiT3_lPKT2_lT1_lSA_lSB_lS7_lPT4_lSB_li,@function
_ZL32rocblas_gemvt_warp_reduce_kernelILb0ELi1024ElPK16rocblas_bfloat16PKfKPS0_EviiT3_lPKT2_lT1_lSA_lSB_lS7_lPT4_lSB_li: ; @_ZL32rocblas_gemvt_warp_reduce_kernelILb0ELi1024ElPK16rocblas_bfloat16PKfKPS0_EviiT3_lPKT2_lT1_lSA_lSB_lS7_lPT4_lSB_li
; %bb.0:
	s_load_dwordx8 s[12:19], s[0:1], 0x8
	s_load_dwordx8 s[4:11], s[0:1], 0x58
	s_mov_b32 s24, s3
	s_waitcnt lgkmcnt(0)
	s_mul_i32 s3, s3, s15
	s_mul_hi_u32 s15, s24, s14
	s_add_i32 s15, s15, s3
	s_mul_i32 s14, s24, s14
	s_lshl_b64 s[14:15], s[14:15], 2
	s_add_u32 s12, s12, s14
	s_mul_i32 s3, s24, s7
	s_mul_hi_u32 s7, s24, s6
	s_addc_u32 s13, s13, s15
	s_add_i32 s7, s7, s3
	s_mul_i32 s6, s24, s6
	s_lshl_b64 s[6:7], s[6:7], 2
	s_add_u32 s4, s4, s6
	s_addc_u32 s5, s5, s7
	s_load_dword s30, s[12:13], 0x0
	s_load_dword s3, s[4:5], 0x0
	s_waitcnt lgkmcnt(0)
	v_cmp_eq_f32_e64 s[26:27], s30, 0
	v_cmp_eq_f32_e64 s[4:5], s3, 1.0
	s_and_b64 s[4:5], s[26:27], s[4:5]
	s_and_b64 vcc, exec, s[4:5]
	s_cbranch_vccnz .LBB613_43
; %bb.1:
	s_load_dwordx2 s[20:21], s[0:1], 0x28
	s_load_dwordx2 s[12:13], s[0:1], 0x78
	s_mov_b32 s25, 0
	v_cmp_neq_f32_e64 s[28:29], s30, 0
	s_mov_b64 s[14:15], 0
	s_and_b64 vcc, exec, s[26:27]
	s_mov_b64 s[22:23], 0
	s_cbranch_vccnz .LBB613_3
; %bb.2:
	s_lshl_b64 s[4:5], s[24:25], 3
	s_add_u32 s4, s16, s4
	s_addc_u32 s5, s17, s5
	s_load_dwordx2 s[4:5], s[4:5], 0x0
	s_lshl_b64 s[6:7], s[18:19], 1
	s_waitcnt lgkmcnt(0)
	s_add_u32 s22, s4, s6
	s_addc_u32 s23, s5, s7
.LBB613_3:
	s_load_dwordx4 s[4:7], s[0:1], 0x38
	s_load_dwordx2 s[16:17], s[0:1], 0x48
	s_andn2_b64 vcc, exec, s[28:29]
	s_cbranch_vccnz .LBB613_5
; %bb.4:
	s_lshl_b64 s[14:15], s[24:25], 3
	s_waitcnt lgkmcnt(0)
	s_add_u32 s4, s4, s14
	s_addc_u32 s5, s5, s15
	s_load_dwordx2 s[4:5], s[4:5], 0x0
	s_lshl_b64 s[6:7], s[6:7], 1
	s_waitcnt lgkmcnt(0)
	s_add_u32 s14, s4, s6
	s_addc_u32 s15, s5, s7
.LBB613_5:
	s_waitcnt lgkmcnt(0)
	s_lshl_b64 s[4:5], s[24:25], 3
	s_add_u32 s4, s8, s4
	s_addc_u32 s5, s9, s5
	s_load_dwordx2 s[4:5], s[4:5], 0x0
	s_lshl_b64 s[6:7], s[10:11], 1
	s_waitcnt lgkmcnt(0)
	s_add_u32 s24, s4, s6
	s_addc_u32 s25, s5, s7
	s_andn2_b64 vcc, exec, s[26:27]
	v_cmp_eq_u32_e64 s[4:5], 0, v0
	s_cbranch_vccnz .LBB613_10
; %bb.6:
	s_mov_b64 s[10:11], 0
	s_mov_b64 s[6:7], 0
                                        ; implicit-def: $sgpr26
                                        ; implicit-def: $sgpr8_sgpr9
	s_and_saveexec_b64 s[18:19], s[4:5]
	s_cbranch_execz .LBB613_18
; %bb.7:
	s_ashr_i32 s6, s2, 31
	s_mul_i32 s7, s2, s13
	s_mul_hi_u32 s8, s2, s12
	v_cmp_eq_f32_e64 s[4:5], s3, 0
	s_add_i32 s7, s8, s7
	s_mul_i32 s6, s6, s12
	s_mov_b32 s26, 0
	s_add_i32 s9, s7, s6
	s_mul_i32 s8, s2, s12
	s_and_b64 vcc, exec, s[4:5]
	s_cbranch_vccnz .LBB613_52
; %bb.8:
	s_lshl_b64 s[4:5], s[8:9], 1
	s_add_u32 s4, s24, s4
	s_addc_u32 s5, s25, s5
	v_mov_b32_e32 v1, 0
	global_load_ushort v1, v1, s[4:5]
	s_mov_b32 s4, 0x7f800000
	s_waitcnt vmcnt(0)
	v_lshlrev_b32_e32 v1, 16, v1
	v_mul_f32_e32 v1, s3, v1
	v_and_b32_e32 v2, 0x7f800000, v1
	v_cmp_eq_u32_e32 vcc, s4, v2
	v_readfirstlane_b32 s6, v1
	s_cbranch_vccnz .LBB613_48
; %bb.9:
	s_bfe_u32 s4, s6, 0x10010
	s_add_i32 s4, s6, s4
	s_add_i32 s7, s4, 0x7fff
	s_mov_b64 s[4:5], 0
	s_branch .LBB613_49
.LBB613_10:
	s_mov_b64 s[6:7], 0
                                        ; implicit-def: $sgpr26
                                        ; implicit-def: $sgpr8_sgpr9
	s_cbranch_execz .LBB613_53
.LBB613_11:
	s_load_dword s1, s[0:1], 0x0
	s_ashr_i32 s26, s2, 31
	s_mul_i32 s0, s2, s21
	s_mul_hi_u32 s4, s2, s20
	s_add_i32 s0, s4, s0
	s_mul_i32 s4, s26, s20
	s_add_i32 s5, s0, s4
	s_mul_i32 s4, s2, s20
	s_lshl_b64 s[4:5], s[4:5], 1
	s_add_u32 s4, s4, s22
	s_addc_u32 s5, s5, s23
	s_waitcnt lgkmcnt(0)
	s_ashr_i32 s0, s1, 31
	v_cmp_gt_i32_e32 vcc, s1, v0
	s_lshr_b32 s0, s0, 22
	s_add_i32 s0, s1, s0
	v_cndmask_b32_e32 v1, 0, v0, vcc
	v_mov_b32_e32 v3, 0
	v_lshlrev_b32_e32 v2, 1, v1
	s_and_b32 s0, s0, 0xfffffc00
	v_lshl_add_u64 v[4:5], s[4:5], 0, v[2:3]
	v_cmp_gt_i32_e32 vcc, s0, v0
	s_and_saveexec_b64 s[4:5], vcc
	s_cbranch_execz .LBB613_20
; %bb.12:
	v_mad_u64_u32 v[2:3], s[8:9], s16, v0, 0
	v_mov_b32_e32 v6, v3
	v_mad_u64_u32 v[6:7], s[8:9], s17, v0, v[6:7]
	v_mov_b32_e32 v3, v6
	v_lshl_add_u64 v[6:7], v[2:3], 1, s[14:15]
	s_lshl_b64 s[10:11], s[16:17], 11
	s_mov_b64 s[8:9], 0
	v_mov_b32_e32 v1, 0
	s_mov_b32 s22, 0x7f800000
	s_movk_i32 s23, 0x7fff
	s_mov_b64 s[18:19], 0x800
	v_mov_b64_e32 v[8:9], v[4:5]
	v_mov_b32_e32 v2, v0
	v_mov_b32_e32 v3, 0
	s_branch .LBB613_14
.LBB613_13:                             ;   in Loop: Header=BB613_14 Depth=1
	s_or_b64 exec, exec, s[20:21]
	v_add_u32_e32 v2, 0x400, v2
	v_and_b32_e32 v10, 0xffff0000, v12
	v_cmp_le_i32_e32 vcc, s0, v2
	v_add_f32_e32 v3, v3, v10
	v_lshl_add_u64 v[8:9], v[8:9], 0, s[18:19]
	s_or_b64 s[8:9], vcc, s[8:9]
	v_lshl_add_u64 v[6:7], v[6:7], 0, s[10:11]
	s_andn2_b64 exec, exec, s[8:9]
	s_cbranch_execz .LBB613_19
.LBB613_14:                             ; =>This Inner Loop Header: Depth=1
	flat_load_ushort v10, v[6:7]
	flat_load_ushort v11, v[8:9]
	s_waitcnt vmcnt(0) lgkmcnt(0)
	v_lshlrev_b32_e32 v10, 16, v10
	v_lshlrev_b32_e32 v12, 16, v11
	v_pk_mul_f32 v[10:11], v[10:11], v[12:13] op_sel_hi:[0,1]
	v_and_b32_e32 v11, 0x7f800000, v10
	v_cmp_ne_u32_e32 vcc, s22, v11
                                        ; implicit-def: $vgpr12
	s_and_saveexec_b64 s[20:21], vcc
	s_xor_b64 s[20:21], exec, s[20:21]
; %bb.15:                               ;   in Loop: Header=BB613_14 Depth=1
	v_bfe_u32 v11, v10, 16, 1
	v_add3_u32 v12, v10, v11, s23
                                        ; implicit-def: $vgpr10_vgpr11
; %bb.16:                               ;   in Loop: Header=BB613_14 Depth=1
	s_andn2_saveexec_b64 s[20:21], s[20:21]
	s_cbranch_execz .LBB613_13
; %bb.17:                               ;   in Loop: Header=BB613_14 Depth=1
	v_or_b32_e32 v11, 0x10000, v10
	v_cmp_eq_u32_sdwa vcc, v10, v1 src0_sel:WORD_0 src1_sel:DWORD
	s_nop 1
	v_cndmask_b32_e32 v12, v11, v10, vcc
	s_branch .LBB613_13
.LBB613_18:
	s_or_b64 exec, exec, s[18:19]
	s_and_b64 vcc, exec, s[10:11]
	s_cbranch_vccnz .LBB613_11
	s_branch .LBB613_53
.LBB613_19:
	s_or_b64 exec, exec, s[8:9]
.LBB613_20:
	s_or_b64 exec, exec, s[4:5]
	v_or_b32_e32 v1, s0, v0
	v_cmp_gt_i32_e32 vcc, s1, v1
	s_and_saveexec_b64 s[4:5], vcc
	s_cbranch_execz .LBB613_26
; %bb.21:
	s_ashr_i32 s1, s0, 31
	v_ashrrev_i32_e32 v2, 31, v1
	v_lshl_add_u64 v[4:5], s[0:1], 1, v[4:5]
	v_mul_lo_u32 v8, v1, s17
	v_mul_lo_u32 v2, v2, s16
	v_mad_u64_u32 v[6:7], s[0:1], v1, s16, 0
	v_add3_u32 v7, v7, v8, v2
	v_lshl_add_u64 v[6:7], v[6:7], 1, s[14:15]
	flat_load_ushort v1, v[4:5]
	flat_load_ushort v8, v[6:7]
	s_mov_b32 s0, 0x7f800000
	s_waitcnt vmcnt(0) lgkmcnt(0)
	v_lshlrev_b32_e32 v2, 16, v1
	v_lshlrev_b32_e32 v4, 16, v8
	v_pk_mul_f32 v[4:5], v[4:5], v[2:3] op_sel_hi:[0,1]
	v_and_b32_e32 v1, 0x7f800000, v4
	v_cmp_ne_u32_e32 vcc, s0, v1
                                        ; implicit-def: $vgpr1
	s_and_saveexec_b64 s[0:1], vcc
	s_xor_b64 s[0:1], exec, s[0:1]
; %bb.22:
	v_bfe_u32 v1, v4, 16, 1
	s_movk_i32 s8, 0x7fff
	v_add3_u32 v1, v4, v1, s8
                                        ; implicit-def: $vgpr4_vgpr5
; %bb.23:
	s_andn2_saveexec_b64 s[0:1], s[0:1]
; %bb.24:
	v_mov_b32_e32 v1, 0
	v_or_b32_e32 v2, 0x10000, v4
	v_cmp_eq_u32_sdwa vcc, v4, v1 src0_sel:WORD_0 src1_sel:DWORD
	s_nop 1
	v_cndmask_b32_e32 v1, v2, v4, vcc
; %bb.25:
	s_or_b64 exec, exec, s[0:1]
	v_and_b32_e32 v1, 0xffff0000, v1
	v_add_f32_e32 v3, v3, v1
.LBB613_26:
	s_or_b64 exec, exec, s[4:5]
	v_and_b32_e32 v2, 63, v0
	v_cmp_gt_u32_e32 vcc, 64, v0
	v_lshlrev_b32_e32 v1, 2, v2
	s_and_saveexec_b64 s[0:1], vcc
	s_cbranch_execz .LBB613_28
; %bb.27:
	v_mov_b32_e32 v4, 0
	ds_write_b32 v1, v4
.LBB613_28:
	s_or_b64 exec, exec, s[0:1]
	v_mbcnt_lo_u32_b32 v4, -1, 0
	v_mbcnt_hi_u32_b32 v6, -1, v4
	v_and_b32_e32 v7, 63, v6
	v_cmp_gt_u32_e64 s[0:1], 32, v7
	s_waitcnt lgkmcnt(0)
	s_barrier
	v_cndmask_b32_e64 v4, 0, 1, s[0:1]
	v_lshlrev_b32_e32 v4, 5, v4
	v_add_lshl_u32 v4, v4, v6, 2
	ds_bpermute_b32 v4, v4, v3
	v_cmp_gt_u32_e64 s[0:1], 48, v7
	s_waitcnt lgkmcnt(0)
	v_add_f32_e32 v3, v3, v4
	v_cndmask_b32_e64 v5, 0, 1, s[0:1]
	v_lshlrev_b32_e32 v5, 4, v5
	v_add_lshl_u32 v4, v5, v6, 2
	ds_bpermute_b32 v4, v4, v3
	v_cmp_gt_u32_e64 s[0:1], 56, v7
	s_waitcnt lgkmcnt(0)
	v_add_f32_e32 v4, v3, v4
	;; [unrolled: 7-line block ×4, first 2 shown]
	v_cndmask_b32_e64 v9, 0, 1, s[0:1]
	v_lshlrev_b32_e32 v9, 1, v9
	v_add_lshl_u32 v5, v9, v6, 2
	ds_bpermute_b32 v9, v5, v8
	v_cmp_ne_u32_e64 s[0:1], 63, v7
	s_waitcnt lgkmcnt(0)
	v_add_f32_e32 v7, v8, v9
	v_addc_co_u32_e64 v6, s[0:1], 0, v6, s[0:1]
	v_lshlrev_b32_e32 v6, 2, v6
	ds_bpermute_b32 v8, v6, v7
	v_cmp_eq_u32_e64 s[0:1], 0, v2
	s_and_saveexec_b64 s[4:5], s[0:1]
	s_cbranch_execz .LBB613_30
; %bb.29:
	v_lshrrev_b32_e32 v2, 4, v0
	v_and_b32_e32 v2, 60, v2
	s_waitcnt lgkmcnt(0)
	v_add_f32_e32 v7, v7, v8
	ds_write_b32 v2, v7
.LBB613_30:
	s_or_b64 exec, exec, s[4:5]
	v_cmp_gt_u32_e64 s[0:1], 16, v0
	v_mov_b32_e32 v2, 0
	s_waitcnt lgkmcnt(0)
	s_barrier
	s_and_saveexec_b64 s[4:5], s[0:1]
	s_cbranch_execz .LBB613_32
; %bb.31:
	ds_read_b32 v2, v1
	s_or_b64 exec, exec, s[4:5]
	s_and_saveexec_b64 s[0:1], vcc
	s_cbranch_execz .LBB613_34
	s_branch .LBB613_33
.LBB613_32:
	s_or_b64 exec, exec, s[4:5]
	s_and_saveexec_b64 s[0:1], vcc
	s_cbranch_execz .LBB613_34
.LBB613_33:
	s_waitcnt lgkmcnt(0)
	ds_bpermute_b32 v1, v3, v2
	s_waitcnt lgkmcnt(0)
	v_add_f32_e32 v1, v2, v1
	ds_bpermute_b32 v2, v4, v1
	s_waitcnt lgkmcnt(0)
	v_add_f32_e32 v1, v1, v2
	;; [unrolled: 3-line block ×4, first 2 shown]
.LBB613_34:
	s_or_b64 exec, exec, s[0:1]
	v_cmp_eq_u32_e32 vcc, 0, v0
                                        ; implicit-def: $vgpr1
                                        ; implicit-def: $sgpr8_sgpr9
	s_and_saveexec_b64 s[0:1], vcc
	s_cbranch_execz .LBB613_41
; %bb.35:
	v_cmp_eq_f32_e64 s[4:5], s3, 0
	s_waitcnt lgkmcnt(0)
	v_mul_f32_e32 v0, s30, v2
	s_and_b64 vcc, exec, s[4:5]
	s_cbranch_vccz .LBB613_44
; %bb.36:
	s_mov_b32 s4, 0x7f800000
	v_and_b32_e32 v1, 0x7f800000, v0
	v_cmp_ne_u32_e32 vcc, s4, v1
                                        ; implicit-def: $vgpr1
	s_and_saveexec_b64 s[4:5], vcc
	s_xor_b64 s[4:5], exec, s[4:5]
; %bb.37:
	v_bfe_u32 v1, v0, 16, 1
	s_movk_i32 s8, 0x7fff
	v_add3_u32 v1, v0, v1, s8
; %bb.38:
	s_andn2_saveexec_b64 s[4:5], s[4:5]
; %bb.39:
	v_mov_b32_e32 v1, 0
	v_or_b32_e32 v2, 0x10000, v0
	v_cmp_eq_u32_sdwa vcc, v0, v1 src0_sel:WORD_0 src1_sel:DWORD
	s_nop 1
	v_cndmask_b32_e32 v1, v2, v0, vcc
; %bb.40:
	s_or_b64 exec, exec, s[4:5]
	s_mov_b64 s[4:5], 0
	s_branch .LBB613_45
.LBB613_41:
	s_or_b64 exec, exec, s[0:1]
	s_and_saveexec_b64 s[0:1], s[6:7]
	s_cbranch_execz .LBB613_43
.LBB613_42:
	s_lshl_b64 s[0:1], s[8:9], 1
	s_add_u32 s0, s24, s0
	s_addc_u32 s1, s25, s1
	v_mov_b32_e32 v0, 0
	global_store_short v0, v1, s[0:1]
.LBB613_43:
	s_endpgm
.LBB613_44:
	s_mov_b64 s[4:5], -1
                                        ; implicit-def: $vgpr1
.LBB613_45:
	s_andn2_b64 vcc, exec, s[4:5]
	s_mul_i32 s4, s2, s13
	s_mul_hi_u32 s5, s2, s12
	s_mul_i32 s10, s26, s12
	s_mul_i32 s8, s2, s12
	s_cbranch_vccnz .LBB613_62
; %bb.46:
	s_add_i32 s2, s5, s4
	s_add_i32 s9, s2, s10
	s_lshl_b64 s[12:13], s[8:9], 1
	s_add_u32 s12, s24, s12
	s_addc_u32 s13, s25, s13
	v_mov_b32_e32 v1, 0
	global_load_ushort v1, v1, s[12:13]
	s_mov_b32 s2, 0x7f800000
	s_waitcnt vmcnt(0)
	v_lshlrev_b32_e32 v1, 16, v1
	v_mul_f32_e32 v1, s3, v1
	v_and_b32_e32 v2, 0x7f800000, v1
	v_cmp_eq_u32_e32 vcc, s2, v2
	v_readfirstlane_b32 s9, v1
	s_cbranch_vccnz .LBB613_54
; %bb.47:
	s_bfe_u32 s2, s9, 0x10010
	s_add_i32 s2, s9, s2
	s_add_i32 s11, s2, 0x7fff
	s_mov_b64 s[2:3], 0
	s_branch .LBB613_55
.LBB613_48:
	s_mov_b64 s[4:5], -1
                                        ; implicit-def: $sgpr7
.LBB613_49:
	s_andn2_b64 vcc, exec, s[4:5]
	s_cbranch_vccnz .LBB613_51
; %bb.50:
	s_and_b32 s4, s6, 0xffff
	s_or_b32 s5, s6, 0x10000
	s_cmp_eq_u32 s4, 0
	s_cselect_b32 s7, s6, s5
.LBB613_51:
	s_lshr_b32 s26, s7, 16
.LBB613_52:
	s_mov_b64 s[6:7], exec
	s_or_b64 exec, exec, s[18:19]
	s_and_b64 vcc, exec, s[10:11]
	s_cbranch_vccnz .LBB613_11
.LBB613_53:
	v_mov_b32_e32 v1, s26
	s_and_saveexec_b64 s[0:1], s[6:7]
	s_cbranch_execnz .LBB613_42
	s_branch .LBB613_43
.LBB613_54:
	s_mov_b64 s[2:3], -1
                                        ; implicit-def: $sgpr11
.LBB613_55:
	s_andn2_b64 vcc, exec, s[2:3]
	s_cbranch_vccnz .LBB613_57
; %bb.56:
	s_and_b32 s2, s9, 0xffff
	s_or_b32 s3, s9, 0x10000
	s_cmp_eq_u32 s2, 0
	s_cselect_b32 s11, s9, s3
.LBB613_57:
	s_and_b32 s2, s11, 0xffff0000
	v_add_f32_e32 v0, s2, v0
	s_mov_b32 s2, 0x7f800000
	v_and_b32_e32 v1, 0x7f800000, v0
	v_cmp_ne_u32_e32 vcc, s2, v1
                                        ; implicit-def: $vgpr1
	s_and_saveexec_b64 s[2:3], vcc
	s_xor_b64 s[2:3], exec, s[2:3]
; %bb.58:
	v_bfe_u32 v1, v0, 16, 1
	s_movk_i32 s9, 0x7fff
	v_add3_u32 v1, v0, v1, s9
                                        ; implicit-def: $vgpr0
; %bb.59:
	s_andn2_saveexec_b64 s[2:3], s[2:3]
; %bb.60:
	v_mov_b32_e32 v1, 0
	v_or_b32_e32 v2, 0x10000, v0
	v_cmp_eq_u32_sdwa vcc, v0, v1 src0_sel:WORD_0 src1_sel:DWORD
	s_nop 1
	v_cndmask_b32_e32 v1, v2, v0, vcc
; %bb.61:
	s_or_b64 exec, exec, s[2:3]
.LBB613_62:
	s_add_i32 s2, s5, s4
	v_lshrrev_b32_e32 v1, 16, v1
	s_add_i32 s9, s2, s10
	s_or_b64 s[6:7], s[6:7], exec
	s_or_b64 exec, exec, s[0:1]
	s_and_saveexec_b64 s[0:1], s[6:7]
	s_cbranch_execnz .LBB613_42
	s_branch .LBB613_43
	.section	.rodata,"a",@progbits
	.p2align	6, 0x0
	.amdhsa_kernel _ZL32rocblas_gemvt_warp_reduce_kernelILb0ELi1024ElPK16rocblas_bfloat16PKfKPS0_EviiT3_lPKT2_lT1_lSA_lSB_lS7_lPT4_lSB_li
		.amdhsa_group_segment_fixed_size 256
		.amdhsa_private_segment_fixed_size 0
		.amdhsa_kernarg_size 140
		.amdhsa_user_sgpr_count 2
		.amdhsa_user_sgpr_dispatch_ptr 0
		.amdhsa_user_sgpr_queue_ptr 0
		.amdhsa_user_sgpr_kernarg_segment_ptr 1
		.amdhsa_user_sgpr_dispatch_id 0
		.amdhsa_user_sgpr_kernarg_preload_length 0
		.amdhsa_user_sgpr_kernarg_preload_offset 0
		.amdhsa_user_sgpr_private_segment_size 0
		.amdhsa_uses_dynamic_stack 0
		.amdhsa_enable_private_segment 0
		.amdhsa_system_sgpr_workgroup_id_x 1
		.amdhsa_system_sgpr_workgroup_id_y 0
		.amdhsa_system_sgpr_workgroup_id_z 1
		.amdhsa_system_sgpr_workgroup_info 0
		.amdhsa_system_vgpr_workitem_id 0
		.amdhsa_next_free_vgpr 14
		.amdhsa_next_free_sgpr 31
		.amdhsa_accum_offset 16
		.amdhsa_reserve_vcc 1
		.amdhsa_float_round_mode_32 0
		.amdhsa_float_round_mode_16_64 0
		.amdhsa_float_denorm_mode_32 3
		.amdhsa_float_denorm_mode_16_64 3
		.amdhsa_dx10_clamp 1
		.amdhsa_ieee_mode 1
		.amdhsa_fp16_overflow 0
		.amdhsa_tg_split 0
		.amdhsa_exception_fp_ieee_invalid_op 0
		.amdhsa_exception_fp_denorm_src 0
		.amdhsa_exception_fp_ieee_div_zero 0
		.amdhsa_exception_fp_ieee_overflow 0
		.amdhsa_exception_fp_ieee_underflow 0
		.amdhsa_exception_fp_ieee_inexact 0
		.amdhsa_exception_int_div_zero 0
	.end_amdhsa_kernel
	.section	.text._ZL32rocblas_gemvt_warp_reduce_kernelILb0ELi1024ElPK16rocblas_bfloat16PKfKPS0_EviiT3_lPKT2_lT1_lSA_lSB_lS7_lPT4_lSB_li,"axG",@progbits,_ZL32rocblas_gemvt_warp_reduce_kernelILb0ELi1024ElPK16rocblas_bfloat16PKfKPS0_EviiT3_lPKT2_lT1_lSA_lSB_lS7_lPT4_lSB_li,comdat
.Lfunc_end613:
	.size	_ZL32rocblas_gemvt_warp_reduce_kernelILb0ELi1024ElPK16rocblas_bfloat16PKfKPS0_EviiT3_lPKT2_lT1_lSA_lSB_lS7_lPT4_lSB_li, .Lfunc_end613-_ZL32rocblas_gemvt_warp_reduce_kernelILb0ELi1024ElPK16rocblas_bfloat16PKfKPS0_EviiT3_lPKT2_lT1_lSA_lSB_lS7_lPT4_lSB_li
                                        ; -- End function
	.section	.AMDGPU.csdata,"",@progbits
; Kernel info:
; codeLenInByte = 2100
; NumSgprs: 37
; NumVgprs: 14
; NumAgprs: 0
; TotalNumVgprs: 14
; ScratchSize: 0
; MemoryBound: 0
; FloatMode: 240
; IeeeMode: 1
; LDSByteSize: 256 bytes/workgroup (compile time only)
; SGPRBlocks: 4
; VGPRBlocks: 1
; NumSGPRsForWavesPerEU: 37
; NumVGPRsForWavesPerEU: 14
; AccumOffset: 16
; Occupancy: 8
; WaveLimiterHint : 1
; COMPUTE_PGM_RSRC2:SCRATCH_EN: 0
; COMPUTE_PGM_RSRC2:USER_SGPR: 2
; COMPUTE_PGM_RSRC2:TRAP_HANDLER: 0
; COMPUTE_PGM_RSRC2:TGID_X_EN: 1
; COMPUTE_PGM_RSRC2:TGID_Y_EN: 0
; COMPUTE_PGM_RSRC2:TGID_Z_EN: 1
; COMPUTE_PGM_RSRC2:TIDIG_COMP_CNT: 0
; COMPUTE_PGM_RSRC3_GFX90A:ACCUM_OFFSET: 3
; COMPUTE_PGM_RSRC3_GFX90A:TG_SPLIT: 0
	.section	.text._ZL32rocblas_gemvt_warp_reduce_kernelILb0ELi1024EiPK16rocblas_bfloat16fKPS0_EviiT3_lPKT2_lT1_lS8_lS9_lS5_lPT4_lS9_li,"axG",@progbits,_ZL32rocblas_gemvt_warp_reduce_kernelILb0ELi1024EiPK16rocblas_bfloat16fKPS0_EviiT3_lPKT2_lT1_lS8_lS9_lS5_lPT4_lS9_li,comdat
	.globl	_ZL32rocblas_gemvt_warp_reduce_kernelILb0ELi1024EiPK16rocblas_bfloat16fKPS0_EviiT3_lPKT2_lT1_lS8_lS9_lS5_lPT4_lS9_li ; -- Begin function _ZL32rocblas_gemvt_warp_reduce_kernelILb0ELi1024EiPK16rocblas_bfloat16fKPS0_EviiT3_lPKT2_lT1_lS8_lS9_lS5_lPT4_lS9_li
	.p2align	8
	.type	_ZL32rocblas_gemvt_warp_reduce_kernelILb0ELi1024EiPK16rocblas_bfloat16fKPS0_EviiT3_lPKT2_lT1_lS8_lS9_lS5_lPT4_lS9_li,@function
_ZL32rocblas_gemvt_warp_reduce_kernelILb0ELi1024EiPK16rocblas_bfloat16fKPS0_EviiT3_lPKT2_lT1_lS8_lS9_lS5_lPT4_lS9_li: ; @_ZL32rocblas_gemvt_warp_reduce_kernelILb0ELi1024EiPK16rocblas_bfloat16fKPS0_EviiT3_lPKT2_lT1_lS8_lS9_lS5_lPT4_lS9_li
; %bb.0:
	s_mov_b32 s10, s3
	s_load_dword s20, s[0:1], 0x8
	s_load_dword s3, s[0:1], 0x58
	s_waitcnt lgkmcnt(0)
	v_cmp_eq_f32_e64 s[4:5], s20, 0
	v_cmp_eq_f32_e64 s[6:7], s3, 1.0
	s_and_b64 s[6:7], s[4:5], s[6:7]
	s_and_b64 vcc, exec, s[6:7]
	s_cbranch_vccnz .LBB614_45
; %bb.1:
	v_cmp_neq_f32_e64 s[8:9], s20, 0
	s_mov_b32 s11, 0
	s_and_b64 vcc, exec, s[8:9]
	s_cbranch_vccnz .LBB614_3
; %bb.2:
	s_mov_b64 s[12:13], 0
	s_cbranch_execz .LBB614_4
	s_branch .LBB614_5
.LBB614_3:
                                        ; implicit-def: $sgpr12_sgpr13
.LBB614_4:
	s_load_dwordx4 s[12:15], s[0:1], 0x18
	s_lshl_b64 s[6:7], s[10:11], 3
	s_waitcnt lgkmcnt(0)
	s_add_u32 s6, s12, s6
	s_addc_u32 s7, s13, s7
	s_load_dwordx2 s[6:7], s[6:7], 0x0
	s_lshl_b64 s[12:13], s[14:15], 1
	s_waitcnt lgkmcnt(0)
	s_add_u32 s12, s6, s12
	s_addc_u32 s13, s7, s13
.LBB614_5:
	s_mov_b64 s[6:7], 0
	s_andn2_b64 vcc, exec, s[8:9]
	s_mov_b64 s[8:9], 0
	s_cbranch_vccnz .LBB614_7
; %bb.6:
	s_load_dwordx4 s[16:19], s[0:1], 0x38
	s_lshl_b64 s[8:9], s[10:11], 3
	s_waitcnt lgkmcnt(0)
	s_add_u32 s8, s16, s8
	s_addc_u32 s9, s17, s9
	s_load_dwordx2 s[8:9], s[8:9], 0x0
	s_lshl_b64 s[14:15], s[18:19], 1
	s_waitcnt lgkmcnt(0)
	s_add_u32 s8, s8, s14
	s_addc_u32 s9, s9, s15
.LBB614_7:
	s_load_dwordx4 s[16:19], s[0:1], 0x68
	s_load_dword s21, s[0:1], 0x78
	s_lshl_b64 s[10:11], s[10:11], 3
	s_waitcnt lgkmcnt(0)
	s_add_u32 s10, s16, s10
	s_addc_u32 s11, s17, s11
	s_load_dwordx2 s[10:11], s[10:11], 0x0
	s_lshl_b64 s[14:15], s[18:19], 1
	s_waitcnt lgkmcnt(0)
	s_add_u32 s18, s10, s14
	s_addc_u32 s19, s11, s15
	s_andn2_b64 vcc, exec, s[4:5]
	v_cmp_eq_u32_e64 s[4:5], 0, v0
	s_cbranch_vccnz .LBB614_12
; %bb.8:
	s_mov_b64 s[14:15], 0
                                        ; implicit-def: $sgpr22
                                        ; implicit-def: $sgpr10_sgpr11
	s_and_saveexec_b64 s[16:17], s[4:5]
	s_cbranch_execz .LBB614_20
; %bb.9:
	v_cmp_eq_f32_e64 s[4:5], s3, 0
	s_mul_i32 s10, s2, s21
	s_mov_b32 s22, 0
	s_ashr_i32 s11, s10, 31
	s_and_b64 vcc, exec, s[4:5]
	s_cbranch_vccnz .LBB614_53
; %bb.10:
	s_lshl_b64 s[4:5], s[10:11], 1
	s_add_u32 s4, s18, s4
	s_addc_u32 s5, s19, s5
	v_mov_b32_e32 v1, 0
	global_load_ushort v1, v1, s[4:5]
	s_mov_b32 s4, 0x7f800000
	s_waitcnt vmcnt(0)
	v_lshlrev_b32_e32 v1, 16, v1
	v_mul_f32_e32 v1, s3, v1
	v_and_b32_e32 v2, 0x7f800000, v1
	v_cmp_eq_u32_e32 vcc, s4, v2
	v_readfirstlane_b32 s6, v1
	s_cbranch_vccnz .LBB614_49
; %bb.11:
	s_bfe_u32 s4, s6, 0x10010
	s_add_i32 s4, s6, s4
	s_add_i32 s7, s4, 0x7fff
	s_mov_b64 s[4:5], 0
	s_branch .LBB614_50
.LBB614_12:
                                        ; implicit-def: $sgpr22
                                        ; implicit-def: $sgpr10_sgpr11
	s_cbranch_execz .LBB614_54
.LBB614_13:
	s_load_dword s17, s[0:1], 0x0
	s_load_dword s4, s[0:1], 0x28
	s_load_dword s16, s[0:1], 0x48
	v_mov_b32_e32 v3, 0
	s_waitcnt lgkmcnt(0)
	v_cmp_gt_i32_e32 vcc, s17, v0
	s_mul_i32 s0, s2, s4
	s_ashr_i32 s1, s0, 31
	s_lshl_b64 s[0:1], s[0:1], 1
	v_cndmask_b32_e32 v1, 0, v0, vcc
	s_add_u32 s0, s0, s12
	v_lshlrev_b32_e32 v2, 1, v1
	s_addc_u32 s1, s1, s13
	v_lshl_add_u64 v[4:5], s[0:1], 0, v[2:3]
	s_ashr_i32 s0, s17, 31
	s_lshr_b32 s0, s0, 22
	s_add_i32 s0, s17, s0
	s_and_b32 s0, s0, 0xfffffc00
	v_cmp_gt_i32_e32 vcc, s0, v0
	s_and_saveexec_b64 s[4:5], vcc
	s_cbranch_execz .LBB614_22
; %bb.14:
	v_mul_lo_u32 v6, v0, s16
	s_lshl_b32 s1, s16, 10
	s_mov_b64 s[10:11], 0
	v_mov_b32_e32 v1, 0
	s_mov_b32 s22, 0x7f800000
	s_movk_i32 s23, 0x7fff
	s_mov_b64 s[12:13], 0x800
	v_mov_b64_e32 v[8:9], v[4:5]
	v_mov_b32_e32 v2, v0
	v_mov_b32_e32 v3, 0
	s_branch .LBB614_16
.LBB614_15:                             ;   in Loop: Header=BB614_16 Depth=1
	s_or_b64 exec, exec, s[14:15]
	v_add_u32_e32 v2, 0x400, v2
	v_and_b32_e32 v7, 0xffff0000, v7
	v_cmp_le_i32_e32 vcc, s0, v2
	v_add_f32_e32 v3, v3, v7
	v_add_u32_e32 v6, s1, v6
	s_or_b64 s[10:11], vcc, s[10:11]
	v_lshl_add_u64 v[8:9], v[8:9], 0, s[12:13]
	s_andn2_b64 exec, exec, s[10:11]
	s_cbranch_execz .LBB614_21
.LBB614_16:                             ; =>This Inner Loop Header: Depth=1
	v_ashrrev_i32_e32 v7, 31, v6
	v_lshl_add_u64 v[10:11], v[6:7], 1, s[8:9]
	flat_load_ushort v7, v[10:11]
	flat_load_ushort v12, v[8:9]
	s_waitcnt vmcnt(0) lgkmcnt(0)
	v_lshlrev_b32_e32 v10, 16, v7
	v_lshlrev_b32_e32 v12, 16, v12
	v_pk_mul_f32 v[10:11], v[10:11], v[12:13] op_sel_hi:[0,1]
	v_and_b32_e32 v7, 0x7f800000, v10
	v_cmp_ne_u32_e32 vcc, s22, v7
                                        ; implicit-def: $vgpr7
	s_and_saveexec_b64 s[14:15], vcc
	s_xor_b64 s[14:15], exec, s[14:15]
; %bb.17:                               ;   in Loop: Header=BB614_16 Depth=1
	v_bfe_u32 v7, v10, 16, 1
	v_add3_u32 v7, v10, v7, s23
                                        ; implicit-def: $vgpr10_vgpr11
; %bb.18:                               ;   in Loop: Header=BB614_16 Depth=1
	s_andn2_saveexec_b64 s[14:15], s[14:15]
	s_cbranch_execz .LBB614_15
; %bb.19:                               ;   in Loop: Header=BB614_16 Depth=1
	v_or_b32_e32 v7, 0x10000, v10
	v_cmp_eq_u32_sdwa vcc, v10, v1 src0_sel:WORD_0 src1_sel:DWORD
	s_nop 1
	v_cndmask_b32_e32 v7, v7, v10, vcc
	s_branch .LBB614_15
.LBB614_20:
	s_or_b64 exec, exec, s[16:17]
	s_and_b64 vcc, exec, s[14:15]
	s_cbranch_vccnz .LBB614_13
	s_branch .LBB614_54
.LBB614_21:
	s_or_b64 exec, exec, s[10:11]
.LBB614_22:
	s_or_b64 exec, exec, s[4:5]
	v_or_b32_e32 v1, s0, v0
	v_cmp_gt_i32_e32 vcc, s17, v1
	s_and_saveexec_b64 s[4:5], vcc
	s_cbranch_execz .LBB614_28
; %bb.23:
	s_ashr_i32 s1, s0, 31
	v_mul_lo_u32 v6, v1, s16
	v_lshl_add_u64 v[4:5], s[0:1], 1, v[4:5]
	v_ashrrev_i32_e32 v7, 31, v6
	v_lshl_add_u64 v[6:7], v[6:7], 1, s[8:9]
	flat_load_ushort v1, v[4:5]
	flat_load_ushort v8, v[6:7]
	s_mov_b32 s0, 0x7f800000
	s_waitcnt vmcnt(0) lgkmcnt(0)
	v_lshlrev_b32_e32 v2, 16, v1
	v_lshlrev_b32_e32 v4, 16, v8
	v_pk_mul_f32 v[4:5], v[4:5], v[2:3] op_sel_hi:[0,1]
	v_and_b32_e32 v1, 0x7f800000, v4
	v_cmp_ne_u32_e32 vcc, s0, v1
                                        ; implicit-def: $vgpr1
	s_and_saveexec_b64 s[0:1], vcc
	s_xor_b64 s[0:1], exec, s[0:1]
; %bb.24:
	v_bfe_u32 v1, v4, 16, 1
	s_movk_i32 s8, 0x7fff
	v_add3_u32 v1, v4, v1, s8
                                        ; implicit-def: $vgpr4_vgpr5
; %bb.25:
	s_andn2_saveexec_b64 s[0:1], s[0:1]
; %bb.26:
	v_mov_b32_e32 v1, 0
	v_or_b32_e32 v2, 0x10000, v4
	v_cmp_eq_u32_sdwa vcc, v4, v1 src0_sel:WORD_0 src1_sel:DWORD
	s_nop 1
	v_cndmask_b32_e32 v1, v2, v4, vcc
; %bb.27:
	s_or_b64 exec, exec, s[0:1]
	v_and_b32_e32 v1, 0xffff0000, v1
	v_add_f32_e32 v3, v3, v1
.LBB614_28:
	s_or_b64 exec, exec, s[4:5]
	v_and_b32_e32 v2, 63, v0
	v_cmp_gt_u32_e32 vcc, 64, v0
	v_lshlrev_b32_e32 v1, 2, v2
	s_and_saveexec_b64 s[0:1], vcc
	s_cbranch_execz .LBB614_30
; %bb.29:
	v_mov_b32_e32 v4, 0
	ds_write_b32 v1, v4
.LBB614_30:
	s_or_b64 exec, exec, s[0:1]
	v_mbcnt_lo_u32_b32 v4, -1, 0
	v_mbcnt_hi_u32_b32 v6, -1, v4
	v_and_b32_e32 v7, 63, v6
	v_cmp_gt_u32_e64 s[0:1], 32, v7
	s_waitcnt lgkmcnt(0)
	s_barrier
	v_cndmask_b32_e64 v4, 0, 1, s[0:1]
	v_lshlrev_b32_e32 v4, 5, v4
	v_add_lshl_u32 v4, v4, v6, 2
	ds_bpermute_b32 v4, v4, v3
	v_cmp_gt_u32_e64 s[0:1], 48, v7
	s_waitcnt lgkmcnt(0)
	v_add_f32_e32 v3, v3, v4
	v_cndmask_b32_e64 v5, 0, 1, s[0:1]
	v_lshlrev_b32_e32 v5, 4, v5
	v_add_lshl_u32 v4, v5, v6, 2
	ds_bpermute_b32 v4, v4, v3
	v_cmp_gt_u32_e64 s[0:1], 56, v7
	s_waitcnt lgkmcnt(0)
	v_add_f32_e32 v4, v3, v4
	;; [unrolled: 7-line block ×4, first 2 shown]
	v_cndmask_b32_e64 v9, 0, 1, s[0:1]
	v_lshlrev_b32_e32 v9, 1, v9
	v_add_lshl_u32 v5, v9, v6, 2
	ds_bpermute_b32 v9, v5, v8
	v_cmp_ne_u32_e64 s[0:1], 63, v7
	s_waitcnt lgkmcnt(0)
	v_add_f32_e32 v7, v8, v9
	v_addc_co_u32_e64 v6, s[0:1], 0, v6, s[0:1]
	v_lshlrev_b32_e32 v6, 2, v6
	ds_bpermute_b32 v8, v6, v7
	v_cmp_eq_u32_e64 s[0:1], 0, v2
	s_and_saveexec_b64 s[4:5], s[0:1]
	s_cbranch_execz .LBB614_32
; %bb.31:
	v_lshrrev_b32_e32 v2, 4, v0
	v_and_b32_e32 v2, 60, v2
	s_waitcnt lgkmcnt(0)
	v_add_f32_e32 v7, v7, v8
	ds_write_b32 v2, v7
.LBB614_32:
	s_or_b64 exec, exec, s[4:5]
	v_cmp_gt_u32_e64 s[0:1], 16, v0
	v_mov_b32_e32 v2, 0
	s_waitcnt lgkmcnt(0)
	s_barrier
	s_and_saveexec_b64 s[4:5], s[0:1]
	s_cbranch_execz .LBB614_34
; %bb.33:
	ds_read_b32 v2, v1
	s_or_b64 exec, exec, s[4:5]
	s_and_saveexec_b64 s[0:1], vcc
	s_cbranch_execz .LBB614_36
	s_branch .LBB614_35
.LBB614_34:
	s_or_b64 exec, exec, s[4:5]
	s_and_saveexec_b64 s[0:1], vcc
	s_cbranch_execz .LBB614_36
.LBB614_35:
	s_waitcnt lgkmcnt(0)
	ds_bpermute_b32 v1, v3, v2
	s_waitcnt lgkmcnt(0)
	v_add_f32_e32 v1, v2, v1
	ds_bpermute_b32 v2, v4, v1
	s_waitcnt lgkmcnt(0)
	v_add_f32_e32 v1, v1, v2
	;; [unrolled: 3-line block ×4, first 2 shown]
.LBB614_36:
	s_or_b64 exec, exec, s[0:1]
	v_cmp_eq_u32_e32 vcc, 0, v0
                                        ; implicit-def: $vgpr1
                                        ; implicit-def: $sgpr10_sgpr11
	s_and_saveexec_b64 s[0:1], vcc
	s_cbranch_execz .LBB614_43
; %bb.37:
	v_cmp_eq_f32_e64 s[4:5], s3, 0
	s_waitcnt lgkmcnt(0)
	v_mul_f32_e32 v0, s20, v2
	s_and_b64 vcc, exec, s[4:5]
	s_cbranch_vccz .LBB614_46
; %bb.38:
	s_mov_b32 s4, 0x7f800000
	v_and_b32_e32 v1, 0x7f800000, v0
	v_cmp_ne_u32_e32 vcc, s4, v1
                                        ; implicit-def: $vgpr1
	s_and_saveexec_b64 s[4:5], vcc
	s_xor_b64 s[4:5], exec, s[4:5]
; %bb.39:
	v_bfe_u32 v1, v0, 16, 1
	s_movk_i32 s8, 0x7fff
	v_add3_u32 v1, v0, v1, s8
; %bb.40:
	s_andn2_saveexec_b64 s[4:5], s[4:5]
; %bb.41:
	v_mov_b32_e32 v1, 0
	v_or_b32_e32 v2, 0x10000, v0
	v_cmp_eq_u32_sdwa vcc, v0, v1 src0_sel:WORD_0 src1_sel:DWORD
	s_nop 1
	v_cndmask_b32_e32 v1, v2, v0, vcc
; %bb.42:
	s_or_b64 exec, exec, s[4:5]
	s_mul_i32 s10, s2, s21
	s_cbranch_execz .LBB614_47
	s_branch .LBB614_63
.LBB614_43:
	s_or_b64 exec, exec, s[0:1]
	s_and_saveexec_b64 s[0:1], s[6:7]
	s_cbranch_execz .LBB614_45
.LBB614_44:
	s_lshl_b64 s[0:1], s[10:11], 1
	s_add_u32 s0, s18, s0
	s_addc_u32 s1, s19, s1
	v_mov_b32_e32 v0, 0
	global_store_short v0, v1, s[0:1]
.LBB614_45:
	s_endpgm
.LBB614_46:
                                        ; implicit-def: $vgpr1
	s_mul_i32 s10, s2, s21
.LBB614_47:
	s_ashr_i32 s11, s10, 31
	s_lshl_b64 s[4:5], s[10:11], 1
	s_add_u32 s4, s18, s4
	s_addc_u32 s5, s19, s5
	v_mov_b32_e32 v1, 0
	global_load_ushort v1, v1, s[4:5]
	s_mov_b32 s2, 0x7f800000
	s_waitcnt vmcnt(0)
	v_lshlrev_b32_e32 v1, 16, v1
	v_mul_f32_e32 v1, s3, v1
	v_and_b32_e32 v2, 0x7f800000, v1
	v_cmp_eq_u32_e32 vcc, s2, v2
	v_readfirstlane_b32 s4, v1
	s_cbranch_vccnz .LBB614_55
; %bb.48:
	s_bfe_u32 s2, s4, 0x10010
	s_add_i32 s2, s4, s2
	s_add_i32 s5, s2, 0x7fff
	s_mov_b64 s[2:3], 0
	s_branch .LBB614_56
.LBB614_49:
	s_mov_b64 s[4:5], -1
                                        ; implicit-def: $sgpr7
.LBB614_50:
	s_andn2_b64 vcc, exec, s[4:5]
	s_cbranch_vccnz .LBB614_52
; %bb.51:
	s_and_b32 s4, s6, 0xffff
	s_or_b32 s5, s6, 0x10000
	s_cmp_eq_u32 s4, 0
	s_cselect_b32 s7, s6, s5
.LBB614_52:
	s_lshr_b32 s22, s7, 16
.LBB614_53:
	s_mov_b64 s[6:7], exec
	s_or_b64 exec, exec, s[16:17]
	s_and_b64 vcc, exec, s[14:15]
	s_cbranch_vccnz .LBB614_13
.LBB614_54:
	v_mov_b32_e32 v1, s22
	s_and_saveexec_b64 s[0:1], s[6:7]
	s_cbranch_execnz .LBB614_44
	s_branch .LBB614_45
.LBB614_55:
	s_mov_b64 s[2:3], -1
                                        ; implicit-def: $sgpr5
.LBB614_56:
	s_andn2_b64 vcc, exec, s[2:3]
	s_cbranch_vccnz .LBB614_58
; %bb.57:
	s_and_b32 s2, s4, 0xffff
	s_or_b32 s3, s4, 0x10000
	s_cmp_eq_u32 s2, 0
	s_cselect_b32 s5, s4, s3
.LBB614_58:
	s_and_b32 s2, s5, 0xffff0000
	v_add_f32_e32 v0, s2, v0
	s_mov_b32 s2, 0x7f800000
	v_and_b32_e32 v1, 0x7f800000, v0
	v_cmp_ne_u32_e32 vcc, s2, v1
                                        ; implicit-def: $vgpr1
	s_and_saveexec_b64 s[2:3], vcc
	s_xor_b64 s[2:3], exec, s[2:3]
; %bb.59:
	v_bfe_u32 v1, v0, 16, 1
	s_movk_i32 s4, 0x7fff
	v_add3_u32 v1, v0, v1, s4
                                        ; implicit-def: $vgpr0
; %bb.60:
	s_andn2_saveexec_b64 s[2:3], s[2:3]
; %bb.61:
	v_mov_b32_e32 v1, 0
	v_or_b32_e32 v2, 0x10000, v0
	v_cmp_eq_u32_sdwa vcc, v0, v1 src0_sel:WORD_0 src1_sel:DWORD
	s_nop 1
	v_cndmask_b32_e32 v1, v2, v0, vcc
; %bb.62:
	s_or_b64 exec, exec, s[2:3]
.LBB614_63:
	v_lshrrev_b32_e32 v1, 16, v1
	s_ashr_i32 s11, s10, 31
	s_or_b64 s[6:7], s[6:7], exec
	s_or_b64 exec, exec, s[0:1]
	s_and_saveexec_b64 s[0:1], s[6:7]
	s_cbranch_execnz .LBB614_44
	s_branch .LBB614_45
	.section	.rodata,"a",@progbits
	.p2align	6, 0x0
	.amdhsa_kernel _ZL32rocblas_gemvt_warp_reduce_kernelILb0ELi1024EiPK16rocblas_bfloat16fKPS0_EviiT3_lPKT2_lT1_lS8_lS9_lS5_lPT4_lS9_li
		.amdhsa_group_segment_fixed_size 256
		.amdhsa_private_segment_fixed_size 0
		.amdhsa_kernarg_size 140
		.amdhsa_user_sgpr_count 2
		.amdhsa_user_sgpr_dispatch_ptr 0
		.amdhsa_user_sgpr_queue_ptr 0
		.amdhsa_user_sgpr_kernarg_segment_ptr 1
		.amdhsa_user_sgpr_dispatch_id 0
		.amdhsa_user_sgpr_kernarg_preload_length 0
		.amdhsa_user_sgpr_kernarg_preload_offset 0
		.amdhsa_user_sgpr_private_segment_size 0
		.amdhsa_uses_dynamic_stack 0
		.amdhsa_enable_private_segment 0
		.amdhsa_system_sgpr_workgroup_id_x 1
		.amdhsa_system_sgpr_workgroup_id_y 0
		.amdhsa_system_sgpr_workgroup_id_z 1
		.amdhsa_system_sgpr_workgroup_info 0
		.amdhsa_system_vgpr_workitem_id 0
		.amdhsa_next_free_vgpr 14
		.amdhsa_next_free_sgpr 24
		.amdhsa_accum_offset 16
		.amdhsa_reserve_vcc 1
		.amdhsa_float_round_mode_32 0
		.amdhsa_float_round_mode_16_64 0
		.amdhsa_float_denorm_mode_32 3
		.amdhsa_float_denorm_mode_16_64 3
		.amdhsa_dx10_clamp 1
		.amdhsa_ieee_mode 1
		.amdhsa_fp16_overflow 0
		.amdhsa_tg_split 0
		.amdhsa_exception_fp_ieee_invalid_op 0
		.amdhsa_exception_fp_denorm_src 0
		.amdhsa_exception_fp_ieee_div_zero 0
		.amdhsa_exception_fp_ieee_overflow 0
		.amdhsa_exception_fp_ieee_underflow 0
		.amdhsa_exception_fp_ieee_inexact 0
		.amdhsa_exception_int_div_zero 0
	.end_amdhsa_kernel
	.section	.text._ZL32rocblas_gemvt_warp_reduce_kernelILb0ELi1024EiPK16rocblas_bfloat16fKPS0_EviiT3_lPKT2_lT1_lS8_lS9_lS5_lPT4_lS9_li,"axG",@progbits,_ZL32rocblas_gemvt_warp_reduce_kernelILb0ELi1024EiPK16rocblas_bfloat16fKPS0_EviiT3_lPKT2_lT1_lS8_lS9_lS5_lPT4_lS9_li,comdat
.Lfunc_end614:
	.size	_ZL32rocblas_gemvt_warp_reduce_kernelILb0ELi1024EiPK16rocblas_bfloat16fKPS0_EviiT3_lPKT2_lT1_lS8_lS9_lS5_lPT4_lS9_li, .Lfunc_end614-_ZL32rocblas_gemvt_warp_reduce_kernelILb0ELi1024EiPK16rocblas_bfloat16fKPS0_EviiT3_lPKT2_lT1_lS8_lS9_lS5_lPT4_lS9_li
                                        ; -- End function
	.section	.AMDGPU.csdata,"",@progbits
; Kernel info:
; codeLenInByte = 1940
; NumSgprs: 30
; NumVgprs: 14
; NumAgprs: 0
; TotalNumVgprs: 14
; ScratchSize: 0
; MemoryBound: 0
; FloatMode: 240
; IeeeMode: 1
; LDSByteSize: 256 bytes/workgroup (compile time only)
; SGPRBlocks: 3
; VGPRBlocks: 1
; NumSGPRsForWavesPerEU: 30
; NumVGPRsForWavesPerEU: 14
; AccumOffset: 16
; Occupancy: 8
; WaveLimiterHint : 1
; COMPUTE_PGM_RSRC2:SCRATCH_EN: 0
; COMPUTE_PGM_RSRC2:USER_SGPR: 2
; COMPUTE_PGM_RSRC2:TRAP_HANDLER: 0
; COMPUTE_PGM_RSRC2:TGID_X_EN: 1
; COMPUTE_PGM_RSRC2:TGID_Y_EN: 0
; COMPUTE_PGM_RSRC2:TGID_Z_EN: 1
; COMPUTE_PGM_RSRC2:TIDIG_COMP_CNT: 0
; COMPUTE_PGM_RSRC3_GFX90A:ACCUM_OFFSET: 3
; COMPUTE_PGM_RSRC3_GFX90A:TG_SPLIT: 0
	.section	.text._ZL32rocblas_gemvt_warp_reduce_kernelILb0ELi1024ElPK16rocblas_bfloat16fKPS0_EviiT3_lPKT2_lT1_lS8_lS9_lS5_lPT4_lS9_li,"axG",@progbits,_ZL32rocblas_gemvt_warp_reduce_kernelILb0ELi1024ElPK16rocblas_bfloat16fKPS0_EviiT3_lPKT2_lT1_lS8_lS9_lS5_lPT4_lS9_li,comdat
	.globl	_ZL32rocblas_gemvt_warp_reduce_kernelILb0ELi1024ElPK16rocblas_bfloat16fKPS0_EviiT3_lPKT2_lT1_lS8_lS9_lS5_lPT4_lS9_li ; -- Begin function _ZL32rocblas_gemvt_warp_reduce_kernelILb0ELi1024ElPK16rocblas_bfloat16fKPS0_EviiT3_lPKT2_lT1_lS8_lS9_lS5_lPT4_lS9_li
	.p2align	8
	.type	_ZL32rocblas_gemvt_warp_reduce_kernelILb0ELi1024ElPK16rocblas_bfloat16fKPS0_EviiT3_lPKT2_lT1_lS8_lS9_lS5_lPT4_lS9_li,@function
_ZL32rocblas_gemvt_warp_reduce_kernelILb0ELi1024ElPK16rocblas_bfloat16fKPS0_EviiT3_lPKT2_lT1_lS8_lS9_lS5_lPT4_lS9_li: ; @_ZL32rocblas_gemvt_warp_reduce_kernelILb0ELi1024ElPK16rocblas_bfloat16fKPS0_EviiT3_lPKT2_lT1_lS8_lS9_lS5_lPT4_lS9_li
; %bb.0:
	s_mov_b32 s20, s3
	s_load_dword s26, s[0:1], 0x8
	s_load_dword s3, s[0:1], 0x58
	s_waitcnt lgkmcnt(0)
	v_cmp_eq_f32_e64 s[16:17], s26, 0
	v_cmp_eq_f32_e64 s[4:5], s3, 1.0
	s_and_b64 s[4:5], s[16:17], s[4:5]
	s_and_b64 vcc, exec, s[4:5]
	s_cbranch_vccnz .LBB615_45
; %bb.1:
	s_load_dwordx4 s[4:7], s[0:1], 0x18
	s_load_dwordx2 s[14:15], s[0:1], 0x28
	v_cmp_neq_f32_e64 s[12:13], s26, 0
	s_mov_b32 s21, 0
	s_and_b64 vcc, exec, s[12:13]
	s_cbranch_vccnz .LBB615_3
; %bb.2:
	s_mov_b64 s[18:19], 0
	s_cbranch_execz .LBB615_4
	s_branch .LBB615_5
.LBB615_3:
                                        ; implicit-def: $sgpr18_sgpr19
.LBB615_4:
	s_lshl_b64 s[8:9], s[20:21], 3
	s_waitcnt lgkmcnt(0)
	s_add_u32 s4, s4, s8
	s_addc_u32 s5, s5, s9
	s_load_dwordx2 s[4:5], s[4:5], 0x0
	s_lshl_b64 s[6:7], s[6:7], 1
	s_waitcnt lgkmcnt(0)
	s_add_u32 s18, s4, s6
	s_addc_u32 s19, s5, s7
.LBB615_5:
	s_waitcnt lgkmcnt(0)
	s_load_dwordx4 s[4:7], s[0:1], 0x38
	s_load_dwordx2 s[10:11], s[0:1], 0x48
	s_mov_b64 s[8:9], 0
	s_andn2_b64 vcc, exec, s[12:13]
	s_mov_b64 s[12:13], 0
	s_cbranch_vccnz .LBB615_7
; %bb.6:
	s_lshl_b64 s[12:13], s[20:21], 3
	s_waitcnt lgkmcnt(0)
	s_add_u32 s4, s4, s12
	s_addc_u32 s5, s5, s13
	s_load_dwordx2 s[4:5], s[4:5], 0x0
	s_lshl_b64 s[6:7], s[6:7], 1
	s_waitcnt lgkmcnt(0)
	s_add_u32 s12, s4, s6
	s_addc_u32 s13, s5, s7
.LBB615_7:
	s_load_dwordx4 s[28:31], s[0:1], 0x68
	s_waitcnt lgkmcnt(0)
	s_load_dwordx2 s[6:7], s[0:1], 0x78
	s_lshl_b64 s[4:5], s[20:21], 3
	s_add_u32 s4, s28, s4
	s_addc_u32 s5, s29, s5
	s_load_dwordx2 s[4:5], s[4:5], 0x0
	s_lshl_b64 s[20:21], s[30:31], 1
	s_waitcnt lgkmcnt(0)
	s_add_u32 s24, s4, s20
	s_addc_u32 s25, s5, s21
	s_andn2_b64 vcc, exec, s[16:17]
	v_cmp_eq_u32_e64 s[4:5], 0, v0
	s_cbranch_vccnz .LBB615_12
; %bb.8:
	s_mov_b64 s[20:21], 0
                                        ; implicit-def: $sgpr27
                                        ; implicit-def: $sgpr16_sgpr17
	s_and_saveexec_b64 s[22:23], s[4:5]
	s_cbranch_execz .LBB615_20
; %bb.9:
	s_ashr_i32 s8, s2, 31
	s_mul_i32 s9, s2, s7
	s_mul_hi_u32 s16, s2, s6
	v_cmp_eq_f32_e64 s[4:5], s3, 0
	s_add_i32 s9, s16, s9
	s_mul_i32 s8, s8, s6
	s_mov_b32 s27, 0
	s_add_i32 s17, s9, s8
	s_mul_i32 s16, s2, s6
	s_and_b64 vcc, exec, s[4:5]
	s_cbranch_vccnz .LBB615_54
; %bb.10:
	s_lshl_b64 s[4:5], s[16:17], 1
	s_add_u32 s4, s24, s4
	s_addc_u32 s5, s25, s5
	v_mov_b32_e32 v1, 0
	global_load_ushort v1, v1, s[4:5]
	s_mov_b32 s4, 0x7f800000
	s_waitcnt vmcnt(0)
	v_lshlrev_b32_e32 v1, 16, v1
	v_mul_f32_e32 v1, s3, v1
	v_and_b32_e32 v2, 0x7f800000, v1
	v_cmp_eq_u32_e32 vcc, s4, v2
	v_readfirstlane_b32 s8, v1
	s_cbranch_vccnz .LBB615_50
; %bb.11:
	s_bfe_u32 s4, s8, 0x10010
	s_add_i32 s4, s8, s4
	s_add_i32 s9, s4, 0x7fff
	s_mov_b64 s[4:5], 0
	s_branch .LBB615_51
.LBB615_12:
                                        ; implicit-def: $sgpr27
                                        ; implicit-def: $sgpr16_sgpr17
	s_cbranch_execz .LBB615_55
.LBB615_13:
	s_load_dword s1, s[0:1], 0x0
	s_ashr_i32 s22, s2, 31
	s_mul_i32 s0, s2, s15
	s_mul_hi_u32 s4, s2, s14
	s_add_i32 s0, s4, s0
	s_mul_i32 s4, s22, s14
	s_add_i32 s5, s0, s4
	s_mul_i32 s4, s2, s14
	s_lshl_b64 s[4:5], s[4:5], 1
	s_add_u32 s4, s4, s18
	s_addc_u32 s5, s5, s19
	s_waitcnt lgkmcnt(0)
	s_ashr_i32 s0, s1, 31
	v_cmp_gt_i32_e32 vcc, s1, v0
	s_lshr_b32 s0, s0, 22
	s_add_i32 s0, s1, s0
	v_cndmask_b32_e32 v1, 0, v0, vcc
	v_mov_b32_e32 v3, 0
	v_lshlrev_b32_e32 v2, 1, v1
	s_and_b32 s0, s0, 0xfffffc00
	v_lshl_add_u64 v[4:5], s[4:5], 0, v[2:3]
	v_cmp_gt_i32_e32 vcc, s0, v0
	s_and_saveexec_b64 s[4:5], vcc
	s_cbranch_execz .LBB615_22
; %bb.14:
	v_mad_u64_u32 v[2:3], s[14:15], s10, v0, 0
	v_mov_b32_e32 v6, v3
	v_mad_u64_u32 v[6:7], s[14:15], s11, v0, v[6:7]
	v_mov_b32_e32 v3, v6
	v_lshl_add_u64 v[6:7], v[2:3], 1, s[12:13]
	s_lshl_b64 s[16:17], s[10:11], 11
	s_mov_b64 s[14:15], 0
	v_mov_b32_e32 v1, 0
	s_mov_b32 s23, 0x7f800000
	s_movk_i32 s27, 0x7fff
	s_mov_b64 s[18:19], 0x800
	v_mov_b64_e32 v[8:9], v[4:5]
	v_mov_b32_e32 v2, v0
	v_mov_b32_e32 v3, 0
	s_branch .LBB615_16
.LBB615_15:                             ;   in Loop: Header=BB615_16 Depth=1
	s_or_b64 exec, exec, s[20:21]
	v_add_u32_e32 v2, 0x400, v2
	v_and_b32_e32 v10, 0xffff0000, v12
	v_cmp_le_i32_e32 vcc, s0, v2
	v_add_f32_e32 v3, v3, v10
	v_lshl_add_u64 v[8:9], v[8:9], 0, s[18:19]
	s_or_b64 s[14:15], vcc, s[14:15]
	v_lshl_add_u64 v[6:7], v[6:7], 0, s[16:17]
	s_andn2_b64 exec, exec, s[14:15]
	s_cbranch_execz .LBB615_21
.LBB615_16:                             ; =>This Inner Loop Header: Depth=1
	flat_load_ushort v10, v[6:7]
	flat_load_ushort v11, v[8:9]
	s_waitcnt vmcnt(0) lgkmcnt(0)
	v_lshlrev_b32_e32 v10, 16, v10
	v_lshlrev_b32_e32 v12, 16, v11
	v_pk_mul_f32 v[10:11], v[10:11], v[12:13] op_sel_hi:[0,1]
	v_and_b32_e32 v11, 0x7f800000, v10
	v_cmp_ne_u32_e32 vcc, s23, v11
                                        ; implicit-def: $vgpr12
	s_and_saveexec_b64 s[20:21], vcc
	s_xor_b64 s[20:21], exec, s[20:21]
; %bb.17:                               ;   in Loop: Header=BB615_16 Depth=1
	v_bfe_u32 v11, v10, 16, 1
	v_add3_u32 v12, v10, v11, s27
                                        ; implicit-def: $vgpr10_vgpr11
; %bb.18:                               ;   in Loop: Header=BB615_16 Depth=1
	s_andn2_saveexec_b64 s[20:21], s[20:21]
	s_cbranch_execz .LBB615_15
; %bb.19:                               ;   in Loop: Header=BB615_16 Depth=1
	v_or_b32_e32 v11, 0x10000, v10
	v_cmp_eq_u32_sdwa vcc, v10, v1 src0_sel:WORD_0 src1_sel:DWORD
	s_nop 1
	v_cndmask_b32_e32 v12, v11, v10, vcc
	s_branch .LBB615_15
.LBB615_20:
	s_or_b64 exec, exec, s[22:23]
	s_and_b64 vcc, exec, s[20:21]
	s_cbranch_vccnz .LBB615_13
	s_branch .LBB615_55
.LBB615_21:
	s_or_b64 exec, exec, s[14:15]
.LBB615_22:
	s_or_b64 exec, exec, s[4:5]
	v_or_b32_e32 v1, s0, v0
	v_cmp_gt_i32_e32 vcc, s1, v1
	s_and_saveexec_b64 s[4:5], vcc
	s_cbranch_execz .LBB615_28
; %bb.23:
	s_ashr_i32 s1, s0, 31
	v_ashrrev_i32_e32 v2, 31, v1
	v_lshl_add_u64 v[4:5], s[0:1], 1, v[4:5]
	v_mul_lo_u32 v8, v1, s11
	v_mul_lo_u32 v2, v2, s10
	v_mad_u64_u32 v[6:7], s[0:1], v1, s10, 0
	v_add3_u32 v7, v7, v8, v2
	v_lshl_add_u64 v[6:7], v[6:7], 1, s[12:13]
	flat_load_ushort v1, v[4:5]
	flat_load_ushort v8, v[6:7]
	s_mov_b32 s0, 0x7f800000
	s_waitcnt vmcnt(0) lgkmcnt(0)
	v_lshlrev_b32_e32 v2, 16, v1
	v_lshlrev_b32_e32 v4, 16, v8
	v_pk_mul_f32 v[4:5], v[4:5], v[2:3] op_sel_hi:[0,1]
	v_and_b32_e32 v1, 0x7f800000, v4
	v_cmp_ne_u32_e32 vcc, s0, v1
                                        ; implicit-def: $vgpr1
	s_and_saveexec_b64 s[0:1], vcc
	s_xor_b64 s[0:1], exec, s[0:1]
; %bb.24:
	v_bfe_u32 v1, v4, 16, 1
	s_movk_i32 s10, 0x7fff
	v_add3_u32 v1, v4, v1, s10
                                        ; implicit-def: $vgpr4_vgpr5
; %bb.25:
	s_andn2_saveexec_b64 s[0:1], s[0:1]
; %bb.26:
	v_mov_b32_e32 v1, 0
	v_or_b32_e32 v2, 0x10000, v4
	v_cmp_eq_u32_sdwa vcc, v4, v1 src0_sel:WORD_0 src1_sel:DWORD
	s_nop 1
	v_cndmask_b32_e32 v1, v2, v4, vcc
; %bb.27:
	s_or_b64 exec, exec, s[0:1]
	v_and_b32_e32 v1, 0xffff0000, v1
	v_add_f32_e32 v3, v3, v1
.LBB615_28:
	s_or_b64 exec, exec, s[4:5]
	v_and_b32_e32 v2, 63, v0
	v_cmp_gt_u32_e32 vcc, 64, v0
	v_lshlrev_b32_e32 v1, 2, v2
	s_and_saveexec_b64 s[0:1], vcc
	s_cbranch_execz .LBB615_30
; %bb.29:
	v_mov_b32_e32 v4, 0
	ds_write_b32 v1, v4
.LBB615_30:
	s_or_b64 exec, exec, s[0:1]
	v_mbcnt_lo_u32_b32 v4, -1, 0
	v_mbcnt_hi_u32_b32 v6, -1, v4
	v_and_b32_e32 v7, 63, v6
	v_cmp_gt_u32_e64 s[0:1], 32, v7
	s_waitcnt lgkmcnt(0)
	s_barrier
	v_cndmask_b32_e64 v4, 0, 1, s[0:1]
	v_lshlrev_b32_e32 v4, 5, v4
	v_add_lshl_u32 v4, v4, v6, 2
	ds_bpermute_b32 v4, v4, v3
	v_cmp_gt_u32_e64 s[0:1], 48, v7
	s_waitcnt lgkmcnt(0)
	v_add_f32_e32 v3, v3, v4
	v_cndmask_b32_e64 v5, 0, 1, s[0:1]
	v_lshlrev_b32_e32 v5, 4, v5
	v_add_lshl_u32 v4, v5, v6, 2
	ds_bpermute_b32 v4, v4, v3
	v_cmp_gt_u32_e64 s[0:1], 56, v7
	s_waitcnt lgkmcnt(0)
	v_add_f32_e32 v4, v3, v4
	;; [unrolled: 7-line block ×4, first 2 shown]
	v_cndmask_b32_e64 v9, 0, 1, s[0:1]
	v_lshlrev_b32_e32 v9, 1, v9
	v_add_lshl_u32 v5, v9, v6, 2
	ds_bpermute_b32 v9, v5, v8
	v_cmp_ne_u32_e64 s[0:1], 63, v7
	s_waitcnt lgkmcnt(0)
	v_add_f32_e32 v7, v8, v9
	v_addc_co_u32_e64 v6, s[0:1], 0, v6, s[0:1]
	v_lshlrev_b32_e32 v6, 2, v6
	ds_bpermute_b32 v8, v6, v7
	v_cmp_eq_u32_e64 s[0:1], 0, v2
	s_and_saveexec_b64 s[4:5], s[0:1]
	s_cbranch_execz .LBB615_32
; %bb.31:
	v_lshrrev_b32_e32 v2, 4, v0
	v_and_b32_e32 v2, 60, v2
	s_waitcnt lgkmcnt(0)
	v_add_f32_e32 v7, v7, v8
	ds_write_b32 v2, v7
.LBB615_32:
	s_or_b64 exec, exec, s[4:5]
	v_cmp_gt_u32_e64 s[0:1], 16, v0
	v_mov_b32_e32 v2, 0
	s_waitcnt lgkmcnt(0)
	s_barrier
	s_and_saveexec_b64 s[4:5], s[0:1]
	s_cbranch_execz .LBB615_34
; %bb.33:
	ds_read_b32 v2, v1
	s_or_b64 exec, exec, s[4:5]
	s_and_saveexec_b64 s[0:1], vcc
	s_cbranch_execz .LBB615_36
	s_branch .LBB615_35
.LBB615_34:
	s_or_b64 exec, exec, s[4:5]
	s_and_saveexec_b64 s[0:1], vcc
	s_cbranch_execz .LBB615_36
.LBB615_35:
	s_waitcnt lgkmcnt(0)
	ds_bpermute_b32 v1, v3, v2
	s_waitcnt lgkmcnt(0)
	v_add_f32_e32 v1, v2, v1
	ds_bpermute_b32 v2, v4, v1
	s_waitcnt lgkmcnt(0)
	v_add_f32_e32 v1, v1, v2
	;; [unrolled: 3-line block ×4, first 2 shown]
.LBB615_36:
	s_or_b64 exec, exec, s[0:1]
	v_cmp_eq_u32_e32 vcc, 0, v0
                                        ; implicit-def: $vgpr1
                                        ; implicit-def: $sgpr16_sgpr17
	s_and_saveexec_b64 s[0:1], vcc
	s_cbranch_execz .LBB615_43
; %bb.37:
	v_cmp_eq_f32_e64 s[4:5], s3, 0
	s_waitcnt lgkmcnt(0)
	v_mul_f32_e32 v0, s26, v2
	s_and_b64 vcc, exec, s[4:5]
	s_cbranch_vccz .LBB615_46
; %bb.38:
	s_mov_b32 s4, 0x7f800000
	v_and_b32_e32 v1, 0x7f800000, v0
	v_cmp_ne_u32_e32 vcc, s4, v1
                                        ; implicit-def: $vgpr1
	s_and_saveexec_b64 s[4:5], vcc
	s_xor_b64 s[4:5], exec, s[4:5]
; %bb.39:
	v_bfe_u32 v1, v0, 16, 1
	s_movk_i32 s10, 0x7fff
	v_add3_u32 v1, v0, v1, s10
; %bb.40:
	s_andn2_saveexec_b64 s[4:5], s[4:5]
; %bb.41:
	v_mov_b32_e32 v1, 0
	v_or_b32_e32 v2, 0x10000, v0
	v_cmp_eq_u32_sdwa vcc, v0, v1 src0_sel:WORD_0 src1_sel:DWORD
	s_nop 1
	v_cndmask_b32_e32 v1, v2, v0, vcc
; %bb.42:
	s_or_b64 exec, exec, s[4:5]
	s_mov_b64 s[4:5], 0
	s_branch .LBB615_47
.LBB615_43:
	s_or_b64 exec, exec, s[0:1]
	s_and_saveexec_b64 s[0:1], s[8:9]
	s_cbranch_execz .LBB615_45
.LBB615_44:
	s_lshl_b64 s[0:1], s[16:17], 1
	s_add_u32 s0, s24, s0
	s_addc_u32 s1, s25, s1
	v_mov_b32_e32 v0, 0
	global_store_short v0, v1, s[0:1]
.LBB615_45:
	s_endpgm
.LBB615_46:
	s_mov_b64 s[4:5], -1
                                        ; implicit-def: $vgpr1
.LBB615_47:
	s_andn2_b64 vcc, exec, s[4:5]
	s_mul_i32 s4, s2, s7
	s_mul_hi_u32 s5, s2, s6
	s_mul_i32 s7, s22, s6
	s_mul_i32 s16, s2, s6
	s_cbranch_vccnz .LBB615_64
; %bb.48:
	s_add_i32 s2, s5, s4
	s_add_i32 s17, s2, s7
	s_lshl_b64 s[10:11], s[16:17], 1
	s_add_u32 s10, s24, s10
	s_addc_u32 s11, s25, s11
	v_mov_b32_e32 v1, 0
	global_load_ushort v1, v1, s[10:11]
	s_mov_b32 s2, 0x7f800000
	s_waitcnt vmcnt(0)
	v_lshlrev_b32_e32 v1, 16, v1
	v_mul_f32_e32 v1, s3, v1
	v_and_b32_e32 v2, 0x7f800000, v1
	v_cmp_eq_u32_e32 vcc, s2, v2
	v_readfirstlane_b32 s6, v1
	s_cbranch_vccnz .LBB615_56
; %bb.49:
	s_bfe_u32 s2, s6, 0x10010
	s_add_i32 s2, s6, s2
	s_add_i32 s10, s2, 0x7fff
	s_mov_b64 s[2:3], 0
	s_branch .LBB615_57
.LBB615_50:
	s_mov_b64 s[4:5], -1
                                        ; implicit-def: $sgpr9
.LBB615_51:
	s_andn2_b64 vcc, exec, s[4:5]
	s_cbranch_vccnz .LBB615_53
; %bb.52:
	s_and_b32 s4, s8, 0xffff
	s_or_b32 s5, s8, 0x10000
	s_cmp_eq_u32 s4, 0
	s_cselect_b32 s9, s8, s5
.LBB615_53:
	s_lshr_b32 s27, s9, 16
.LBB615_54:
	s_mov_b64 s[8:9], exec
	s_or_b64 exec, exec, s[22:23]
	s_and_b64 vcc, exec, s[20:21]
	s_cbranch_vccnz .LBB615_13
.LBB615_55:
	v_mov_b32_e32 v1, s27
	s_and_saveexec_b64 s[0:1], s[8:9]
	s_cbranch_execnz .LBB615_44
	s_branch .LBB615_45
.LBB615_56:
	s_mov_b64 s[2:3], -1
                                        ; implicit-def: $sgpr10
.LBB615_57:
	s_andn2_b64 vcc, exec, s[2:3]
	s_cbranch_vccnz .LBB615_59
; %bb.58:
	s_and_b32 s2, s6, 0xffff
	s_or_b32 s3, s6, 0x10000
	s_cmp_eq_u32 s2, 0
	s_cselect_b32 s10, s6, s3
.LBB615_59:
	s_and_b32 s2, s10, 0xffff0000
	v_add_f32_e32 v0, s2, v0
	s_mov_b32 s2, 0x7f800000
	v_and_b32_e32 v1, 0x7f800000, v0
	v_cmp_ne_u32_e32 vcc, s2, v1
                                        ; implicit-def: $vgpr1
	s_and_saveexec_b64 s[2:3], vcc
	s_xor_b64 s[2:3], exec, s[2:3]
; %bb.60:
	v_bfe_u32 v1, v0, 16, 1
	s_movk_i32 s6, 0x7fff
	v_add3_u32 v1, v0, v1, s6
                                        ; implicit-def: $vgpr0
; %bb.61:
	s_andn2_saveexec_b64 s[2:3], s[2:3]
; %bb.62:
	v_mov_b32_e32 v1, 0
	v_or_b32_e32 v2, 0x10000, v0
	v_cmp_eq_u32_sdwa vcc, v0, v1 src0_sel:WORD_0 src1_sel:DWORD
	s_nop 1
	v_cndmask_b32_e32 v1, v2, v0, vcc
; %bb.63:
	s_or_b64 exec, exec, s[2:3]
.LBB615_64:
	s_add_i32 s2, s5, s4
	v_lshrrev_b32_e32 v1, 16, v1
	s_add_i32 s17, s2, s7
	s_or_b64 s[8:9], s[8:9], exec
	s_or_b64 exec, exec, s[0:1]
	s_and_saveexec_b64 s[0:1], s[8:9]
	s_cbranch_execnz .LBB615_44
	s_branch .LBB615_45
	.section	.rodata,"a",@progbits
	.p2align	6, 0x0
	.amdhsa_kernel _ZL32rocblas_gemvt_warp_reduce_kernelILb0ELi1024ElPK16rocblas_bfloat16fKPS0_EviiT3_lPKT2_lT1_lS8_lS9_lS5_lPT4_lS9_li
		.amdhsa_group_segment_fixed_size 256
		.amdhsa_private_segment_fixed_size 0
		.amdhsa_kernarg_size 140
		.amdhsa_user_sgpr_count 2
		.amdhsa_user_sgpr_dispatch_ptr 0
		.amdhsa_user_sgpr_queue_ptr 0
		.amdhsa_user_sgpr_kernarg_segment_ptr 1
		.amdhsa_user_sgpr_dispatch_id 0
		.amdhsa_user_sgpr_kernarg_preload_length 0
		.amdhsa_user_sgpr_kernarg_preload_offset 0
		.amdhsa_user_sgpr_private_segment_size 0
		.amdhsa_uses_dynamic_stack 0
		.amdhsa_enable_private_segment 0
		.amdhsa_system_sgpr_workgroup_id_x 1
		.amdhsa_system_sgpr_workgroup_id_y 0
		.amdhsa_system_sgpr_workgroup_id_z 1
		.amdhsa_system_sgpr_workgroup_info 0
		.amdhsa_system_vgpr_workitem_id 0
		.amdhsa_next_free_vgpr 14
		.amdhsa_next_free_sgpr 32
		.amdhsa_accum_offset 16
		.amdhsa_reserve_vcc 1
		.amdhsa_float_round_mode_32 0
		.amdhsa_float_round_mode_16_64 0
		.amdhsa_float_denorm_mode_32 3
		.amdhsa_float_denorm_mode_16_64 3
		.amdhsa_dx10_clamp 1
		.amdhsa_ieee_mode 1
		.amdhsa_fp16_overflow 0
		.amdhsa_tg_split 0
		.amdhsa_exception_fp_ieee_invalid_op 0
		.amdhsa_exception_fp_denorm_src 0
		.amdhsa_exception_fp_ieee_div_zero 0
		.amdhsa_exception_fp_ieee_overflow 0
		.amdhsa_exception_fp_ieee_underflow 0
		.amdhsa_exception_fp_ieee_inexact 0
		.amdhsa_exception_int_div_zero 0
	.end_amdhsa_kernel
	.section	.text._ZL32rocblas_gemvt_warp_reduce_kernelILb0ELi1024ElPK16rocblas_bfloat16fKPS0_EviiT3_lPKT2_lT1_lS8_lS9_lS5_lPT4_lS9_li,"axG",@progbits,_ZL32rocblas_gemvt_warp_reduce_kernelILb0ELi1024ElPK16rocblas_bfloat16fKPS0_EviiT3_lPKT2_lT1_lS8_lS9_lS5_lPT4_lS9_li,comdat
.Lfunc_end615:
	.size	_ZL32rocblas_gemvt_warp_reduce_kernelILb0ELi1024ElPK16rocblas_bfloat16fKPS0_EviiT3_lPKT2_lT1_lS8_lS9_lS5_lPT4_lS9_li, .Lfunc_end615-_ZL32rocblas_gemvt_warp_reduce_kernelILb0ELi1024ElPK16rocblas_bfloat16fKPS0_EviiT3_lPKT2_lT1_lS8_lS9_lS5_lPT4_lS9_li
                                        ; -- End function
	.section	.AMDGPU.csdata,"",@progbits
; Kernel info:
; codeLenInByte = 2052
; NumSgprs: 38
; NumVgprs: 14
; NumAgprs: 0
; TotalNumVgprs: 14
; ScratchSize: 0
; MemoryBound: 0
; FloatMode: 240
; IeeeMode: 1
; LDSByteSize: 256 bytes/workgroup (compile time only)
; SGPRBlocks: 4
; VGPRBlocks: 1
; NumSGPRsForWavesPerEU: 38
; NumVGPRsForWavesPerEU: 14
; AccumOffset: 16
; Occupancy: 8
; WaveLimiterHint : 1
; COMPUTE_PGM_RSRC2:SCRATCH_EN: 0
; COMPUTE_PGM_RSRC2:USER_SGPR: 2
; COMPUTE_PGM_RSRC2:TRAP_HANDLER: 0
; COMPUTE_PGM_RSRC2:TGID_X_EN: 1
; COMPUTE_PGM_RSRC2:TGID_Y_EN: 0
; COMPUTE_PGM_RSRC2:TGID_Z_EN: 1
; COMPUTE_PGM_RSRC2:TIDIG_COMP_CNT: 0
; COMPUTE_PGM_RSRC3_GFX90A:ACCUM_OFFSET: 3
; COMPUTE_PGM_RSRC3_GFX90A:TG_SPLIT: 0
	.section	.text._ZL22rocblas_gemvtsm_kernelILb1ELi256EPK16rocblas_bfloat16PKfKPS0_EviiT2_lPKT1_lilSA_lilS7_lPT3_lil,"axG",@progbits,_ZL22rocblas_gemvtsm_kernelILb1ELi256EPK16rocblas_bfloat16PKfKPS0_EviiT2_lPKT1_lilSA_lilS7_lPT3_lil,comdat
	.globl	_ZL22rocblas_gemvtsm_kernelILb1ELi256EPK16rocblas_bfloat16PKfKPS0_EviiT2_lPKT1_lilSA_lilS7_lPT3_lil ; -- Begin function _ZL22rocblas_gemvtsm_kernelILb1ELi256EPK16rocblas_bfloat16PKfKPS0_EviiT2_lPKT1_lilSA_lilS7_lPT3_lil
	.p2align	8
	.type	_ZL22rocblas_gemvtsm_kernelILb1ELi256EPK16rocblas_bfloat16PKfKPS0_EviiT2_lPKT1_lilSA_lilS7_lPT3_lil,@function
_ZL22rocblas_gemvtsm_kernelILb1ELi256EPK16rocblas_bfloat16PKfKPS0_EviiT2_lPKT1_lilSA_lilS7_lPT3_lil: ; @_ZL22rocblas_gemvtsm_kernelILb1ELi256EPK16rocblas_bfloat16PKfKPS0_EviiT2_lPKT1_lilSA_lilS7_lPT3_lil
; %bb.0:
	s_load_dwordx8 s[12:19], s[0:1], 0x8
	s_load_dwordx8 s[4:11], s[0:1], 0x58
	s_waitcnt lgkmcnt(0)
	s_mul_i32 s3, s2, s15
	s_mul_hi_u32 s15, s2, s14
	s_add_i32 s15, s15, s3
	s_mul_i32 s14, s2, s14
	s_lshl_b64 s[14:15], s[14:15], 2
	s_add_u32 s12, s12, s14
	s_mul_i32 s3, s2, s7
	s_mul_hi_u32 s7, s2, s6
	s_addc_u32 s13, s13, s15
	s_add_i32 s7, s7, s3
	s_mul_i32 s6, s2, s6
	s_lshl_b64 s[6:7], s[6:7], 2
	s_add_u32 s4, s4, s6
	s_addc_u32 s5, s5, s7
	s_load_dword s25, s[12:13], 0x0
	s_load_dword s24, s[4:5], 0x0
	s_waitcnt lgkmcnt(0)
	v_cmp_eq_f32_e64 s[22:23], s25, 0
	v_cmp_eq_f32_e64 s[4:5], s24, 1.0
	s_and_b64 s[4:5], s[22:23], s[4:5]
	s_and_b64 vcc, exec, s[4:5]
	s_cbranch_vccnz .LBB616_74
; %bb.1:
	s_mov_b32 s3, 0
	v_cmp_neq_f32_e64 s[6:7], s25, 0
	s_mov_b64 s[20:21], 0
	s_and_b64 vcc, exec, s[22:23]
	s_mov_b64 s[4:5], 0
	s_cbranch_vccnz .LBB616_3
; %bb.2:
	s_lshl_b64 s[4:5], s[2:3], 3
	s_add_u32 s4, s16, s4
	s_addc_u32 s5, s17, s5
	s_load_dwordx2 s[4:5], s[4:5], 0x0
	s_lshl_b64 s[12:13], s[18:19], 1
	s_waitcnt lgkmcnt(0)
	s_add_u32 s4, s4, s12
	s_addc_u32 s5, s5, s13
.LBB616_3:
	s_andn2_b64 vcc, exec, s[6:7]
	s_cbranch_vccnz .LBB616_5
; %bb.4:
	s_load_dwordx4 s[12:15], s[0:1], 0x38
	s_lshl_b64 s[6:7], s[2:3], 3
	s_waitcnt lgkmcnt(0)
	s_add_u32 s6, s12, s6
	s_addc_u32 s7, s13, s7
	s_load_dwordx2 s[6:7], s[6:7], 0x0
	s_lshl_b64 s[12:13], s[14:15], 1
	s_waitcnt lgkmcnt(0)
	s_add_u32 s20, s6, s12
	s_addc_u32 s21, s7, s13
.LBB616_5:
	s_lshl_b64 s[2:3], s[2:3], 3
	s_add_u32 s2, s8, s2
	s_addc_u32 s3, s9, s3
	s_load_dwordx2 s[12:13], s[0:1], 0x0
	s_load_dword s14, s[0:1], 0x78
	s_load_dwordx2 s[6:7], s[2:3], 0x0
	s_andn2_b64 vcc, exec, s[22:23]
	s_mov_b64 s[2:3], -1
	s_cbranch_vccnz .LBB616_24
; %bb.6:
	s_waitcnt lgkmcnt(0)
	s_cmp_gt_i32 s13, 0
	s_cselect_b64 s[8:9], -1, 0
	v_cmp_neq_f32_e64 s[2:3], s24, 0
	v_cndmask_b32_e64 v1, 0, 1, s[8:9]
	s_and_b64 vcc, exec, s[2:3]
	v_cmp_ne_u32_e64 s[2:3], 1, v1
	s_cbranch_vccnz .LBB616_13
; %bb.7:
	s_and_b64 vcc, exec, s[2:3]
	s_cbranch_vccnz .LBB616_12
; %bb.8:
	v_mad_i64_i32 v[2:3], s[8:9], s14, v0, 0
	s_ashr_i32 s15, s14, 31
	s_lshl_b64 s[8:9], s[10:11], 1
	s_add_u32 s8, s6, s8
	s_addc_u32 s9, s7, s9
	v_lshl_add_u64 v[2:3], v[2:3], 1, s[8:9]
	s_lshl_b64 s[8:9], s[14:15], 9
	s_mov_b32 s15, 0
	v_mov_b32_e32 v1, 0
	s_branch .LBB616_10
.LBB616_9:                              ;   in Loop: Header=BB616_10 Depth=1
	s_or_b64 exec, exec, s[16:17]
	s_addk_i32 s15, 0x100
	s_cmp_ge_i32 s15, s13
	v_lshl_add_u64 v[2:3], v[2:3], 0, s[8:9]
	s_cbranch_scc1 .LBB616_12
.LBB616_10:                             ; =>This Inner Loop Header: Depth=1
	v_add_u32_e32 v4, s15, v0
	v_cmp_gt_i32_e32 vcc, s13, v4
	s_and_saveexec_b64 s[16:17], vcc
	s_cbranch_execz .LBB616_9
; %bb.11:                               ;   in Loop: Header=BB616_10 Depth=1
	global_store_short v[2:3], v1, off
	s_branch .LBB616_9
.LBB616_12:
	s_cbranch_execz .LBB616_14
	s_branch .LBB616_23
.LBB616_13:
.LBB616_14:
	s_and_b64 vcc, exec, s[2:3]
	s_cbranch_vccnz .LBB616_23
; %bb.15:
	v_mad_i64_i32 v[2:3], s[2:3], s14, v0, 0
	s_ashr_i32 s15, s14, 31
	s_lshl_b64 s[2:3], s[10:11], 1
	s_add_u32 s2, s6, s2
	s_addc_u32 s3, s7, s3
	v_lshl_add_u64 v[2:3], v[2:3], 1, s[2:3]
	s_lshl_b64 s[2:3], s[14:15], 9
	s_mov_b32 s15, 0
	s_mov_b32 s18, 0x7f800000
	s_movk_i32 s19, 0x7fff
	v_mov_b32_e32 v1, 0
	s_branch .LBB616_18
.LBB616_16:                             ;   in Loop: Header=BB616_18 Depth=1
	s_or_b64 exec, exec, s[16:17]
	global_store_short_d16_hi v[2:3], v5, off
.LBB616_17:                             ;   in Loop: Header=BB616_18 Depth=1
	s_or_b64 exec, exec, s[8:9]
	s_addk_i32 s15, 0x100
	s_cmp_ge_i32 s15, s13
	v_lshl_add_u64 v[2:3], v[2:3], 0, s[2:3]
	s_cbranch_scc1 .LBB616_23
.LBB616_18:                             ; =>This Inner Loop Header: Depth=1
	v_add_u32_e32 v4, s15, v0
	v_cmp_gt_i32_e32 vcc, s13, v4
	s_and_saveexec_b64 s[8:9], vcc
	s_cbranch_execz .LBB616_17
; %bb.19:                               ;   in Loop: Header=BB616_18 Depth=1
	global_load_ushort v4, v[2:3], off
	s_waitcnt vmcnt(0)
	v_lshlrev_b32_e32 v4, 16, v4
	v_mul_f32_e32 v4, s24, v4
	v_and_b32_e32 v5, 0x7f800000, v4
	v_cmp_ne_u32_e32 vcc, s18, v5
                                        ; implicit-def: $vgpr5
	s_and_saveexec_b64 s[16:17], vcc
	s_xor_b64 s[16:17], exec, s[16:17]
; %bb.20:                               ;   in Loop: Header=BB616_18 Depth=1
	v_bfe_u32 v5, v4, 16, 1
	v_add3_u32 v5, v4, v5, s19
                                        ; implicit-def: $vgpr4
; %bb.21:                               ;   in Loop: Header=BB616_18 Depth=1
	s_andn2_saveexec_b64 s[16:17], s[16:17]
	s_cbranch_execz .LBB616_16
; %bb.22:                               ;   in Loop: Header=BB616_18 Depth=1
	v_or_b32_e32 v5, 0x10000, v4
	v_cmp_eq_u32_sdwa vcc, v4, v1 src0_sel:WORD_0 src1_sel:DWORD
	s_nop 1
	v_cndmask_b32_e32 v5, v5, v4, vcc
	s_branch .LBB616_16
.LBB616_23:
	s_mov_b64 s[2:3], 0
.LBB616_24:
	s_andn2_b64 vcc, exec, s[2:3]
	s_cbranch_vccnz .LBB616_74
; %bb.25:
	s_waitcnt lgkmcnt(0)
	v_cmp_gt_i32_e32 vcc, s12, v0
	s_and_saveexec_b64 s[2:3], vcc
	s_cbranch_execz .LBB616_31
; %bb.26:
	s_load_dword s8, s[0:1], 0x48
	s_waitcnt lgkmcnt(0)
	v_mad_i64_i32 v[2:3], s[8:9], s8, v0, 0
	v_lshl_add_u64 v[2:3], v[2:3], 1, s[20:21]
	flat_load_ushort v1, v[2:3]
	s_mov_b32 s8, 0x7f800000
	s_waitcnt vmcnt(0) lgkmcnt(0)
	v_lshlrev_b32_e32 v1, 16, v1
	v_mul_f32_e32 v1, s25, v1
	v_and_b32_e32 v2, 0x7f800000, v1
	v_cmp_ne_u32_e32 vcc, s8, v2
                                        ; implicit-def: $vgpr2
	s_and_saveexec_b64 s[8:9], vcc
	s_xor_b64 s[8:9], exec, s[8:9]
; %bb.27:
	v_bfe_u32 v2, v1, 16, 1
	s_movk_i32 s15, 0x7fff
	v_add3_u32 v2, v1, v2, s15
                                        ; implicit-def: $vgpr1
; %bb.28:
	s_andn2_saveexec_b64 s[8:9], s[8:9]
; %bb.29:
	v_mov_b32_e32 v2, 0
	v_or_b32_e32 v3, 0x10000, v1
	v_cmp_eq_u32_sdwa vcc, v1, v2 src0_sel:WORD_0 src1_sel:DWORD
	s_nop 1
	v_cndmask_b32_e32 v2, v3, v1, vcc
; %bb.30:
	s_or_b64 exec, exec, s[8:9]
	v_and_b32_e32 v1, 0xffff0000, v2
	v_lshlrev_b32_e32 v2, 2, v0
	ds_write_b32 v2, v1
.LBB616_31:
	s_or_b64 exec, exec, s[2:3]
	s_cmp_lt_i32 s13, 1
	s_waitcnt lgkmcnt(0)
	s_barrier
	s_cbranch_scc1 .LBB616_74
; %bb.32:
	s_load_dword s0, s[0:1], 0x28
	s_lshl_b64 s[2:3], s[10:11], 1
	s_add_u32 s8, s6, s2
	s_addc_u32 s9, s7, s3
	s_ashr_i32 s15, s14, 31
	s_waitcnt lgkmcnt(0)
	s_ashr_i32 s1, s0, 31
	s_cmp_gt_i32 s12, 0
	s_cselect_b64 s[2:3], -1, 0
	s_and_b32 s22, s12, 3
	s_cmp_gt_u32 s12, 3
	s_cselect_b64 s[6:7], -1, 0
	s_and_b32 s12, s12, 0x7ffffffc
	s_cmp_lg_u32 s22, 0
	v_mad_i64_i32 v[2:3], s[16:17], s0, v0, 0
	s_cselect_b64 s[18:19], -1, 0
	s_lshl_b64 s[16:17], s[0:1], 9
	v_cmp_neq_f32_e64 s[0:1], s24, 0
	v_lshl_add_u64 v[2:3], v[2:3], 1, s[4:5]
	s_mov_b32 s11, 0
	v_cndmask_b32_e64 v1, 0, 1, s[0:1]
	v_cmp_ne_u32_e64 s[0:1], 1, v1
	v_cndmask_b32_e64 v1, 0, 1, s[2:3]
	v_cmp_ne_u32_e64 s[2:3], 1, v1
	;; [unrolled: 2-line block ×3, first 2 shown]
	v_cndmask_b32_e64 v1, 0, 1, s[18:19]
	s_mov_b32 s23, 0x7f800000
	s_movk_i32 s25, 0x7fff
	v_cmp_ne_u32_e64 s[6:7], 1, v1
	v_mov_b32_e32 v1, 0
	s_mov_b32 s26, 0
	s_branch .LBB616_35
.LBB616_33:                             ;   in Loop: Header=BB616_35 Depth=1
	s_or_b64 exec, exec, s[20:21]
	global_store_short_d16_hi v[4:5], v6, off
.LBB616_34:                             ;   in Loop: Header=BB616_35 Depth=1
	s_or_b64 exec, exec, s[18:19]
	s_addk_i32 s26, 0x100
	s_cmp_ge_i32 s26, s13
	v_lshl_add_u64 v[2:3], v[2:3], 0, s[16:17]
	s_cbranch_scc1 .LBB616_74
.LBB616_35:                             ; =>This Loop Header: Depth=1
                                        ;     Child Loop BB616_46 Depth 2
                                        ;     Child Loop BB616_66 Depth 2
	v_add_u32_e32 v4, s26, v0
	v_cmp_gt_i32_e32 vcc, s13, v4
	s_and_saveexec_b64 s[18:19], vcc
	s_cbranch_execz .LBB616_34
; %bb.36:                               ;   in Loop: Header=BB616_35 Depth=1
	v_mad_u64_u32 v[6:7], s[20:21], v4, s14, 0
	v_mov_b32_e32 v8, v7
	v_mad_u64_u32 v[4:5], s[20:21], v4, s15, v[8:9]
	v_mov_b32_e32 v7, v4
	s_and_b64 vcc, exec, s[0:1]
	v_lshl_add_u64 v[4:5], v[6:7], 1, s[8:9]
	s_cbranch_vccnz .LBB616_42
; %bb.37:                               ;   in Loop: Header=BB616_35 Depth=1
	global_load_ushort v6, v[4:5], off
	s_waitcnt vmcnt(0)
	v_lshlrev_b32_e32 v6, 16, v6
	v_mul_f32_e32 v6, s24, v6
	v_and_b32_e32 v7, 0x7f800000, v6
	v_cmp_ne_u32_e32 vcc, s23, v7
                                        ; implicit-def: $vgpr7
	s_and_saveexec_b64 s[20:21], vcc
	s_xor_b64 s[20:21], exec, s[20:21]
; %bb.38:                               ;   in Loop: Header=BB616_35 Depth=1
	v_bfe_u32 v7, v6, 16, 1
	v_add3_u32 v7, v6, v7, s25
                                        ; implicit-def: $vgpr6
; %bb.39:                               ;   in Loop: Header=BB616_35 Depth=1
	s_andn2_saveexec_b64 s[20:21], s[20:21]
; %bb.40:                               ;   in Loop: Header=BB616_35 Depth=1
	v_or_b32_e32 v7, 0x10000, v6
	v_cmp_eq_u32_sdwa vcc, v6, v1 src0_sel:WORD_0 src1_sel:DWORD
	s_nop 1
	v_cndmask_b32_e32 v7, v7, v6, vcc
; %bb.41:                               ;   in Loop: Header=BB616_35 Depth=1
	s_or_b64 exec, exec, s[20:21]
	v_and_b32_e32 v6, 0xffff0000, v7
	v_cvt_i32_f32_e32 v6, v6
	v_cvt_f32_i32_e32 v8, v6
	s_and_b64 vcc, exec, s[2:3]
	s_cbranch_vccz .LBB616_43
	s_branch .LBB616_70
.LBB616_42:                             ;   in Loop: Header=BB616_35 Depth=1
	v_mov_b32_e32 v6, 0
	v_cvt_f32_i32_e32 v8, v6
	s_and_b64 vcc, exec, s[2:3]
	s_cbranch_vccnz .LBB616_70
.LBB616_43:                             ;   in Loop: Header=BB616_35 Depth=1
	s_mov_b32 s10, 0
	s_and_b64 vcc, exec, s[4:5]
	s_cbranch_vccnz .LBB616_63
; %bb.44:                               ;   in Loop: Header=BB616_35 Depth=1
	s_mov_b32 s27, 0
	v_mov_b64_e32 v[6:7], v[2:3]
	s_branch .LBB616_46
.LBB616_45:                             ;   in Loop: Header=BB616_46 Depth=2
	s_or_b64 exec, exec, s[20:21]
	v_and_b32_e32 v9, 0xffff0000, v9
	v_add_f32_e32 v8, v8, v9
	v_and_b32_e32 v9, 0xffff0000, v10
	v_add_f32_e32 v8, v8, v9
	;; [unrolled: 2-line block ×3, first 2 shown]
	v_and_b32_e32 v9, 0xffff0000, v12
	s_add_i32 s27, s27, 4
	s_add_i32 s10, s10, 16
	v_add_f32_e32 v8, v8, v9
	s_cmp_eq_u32 s12, s27
	v_lshl_add_u64 v[6:7], v[6:7], 0, 8
	s_cbranch_scc1 .LBB616_62
.LBB616_46:                             ;   Parent Loop BB616_35 Depth=1
                                        ; =>  This Inner Loop Header: Depth=2
	flat_load_ushort v9, v[6:7]
	v_mov_b32_e32 v10, s10
	ds_read_b32 v10, v10
	s_waitcnt vmcnt(0) lgkmcnt(0)
	v_lshlrev_b32_e32 v9, 16, v9
	v_mul_f32_e32 v10, v10, v9
	v_and_b32_e32 v9, 0x7f800000, v10
	v_cmp_ne_u32_e32 vcc, s23, v9
                                        ; implicit-def: $vgpr9
	s_and_saveexec_b64 s[20:21], vcc
	s_xor_b64 s[20:21], exec, s[20:21]
; %bb.47:                               ;   in Loop: Header=BB616_46 Depth=2
	v_bfe_u32 v9, v10, 16, 1
	v_add3_u32 v9, v10, v9, s25
                                        ; implicit-def: $vgpr10
; %bb.48:                               ;   in Loop: Header=BB616_46 Depth=2
	s_andn2_saveexec_b64 s[20:21], s[20:21]
; %bb.49:                               ;   in Loop: Header=BB616_46 Depth=2
	v_or_b32_e32 v9, 0x10000, v10
	v_cmp_eq_u32_sdwa vcc, v10, v1 src0_sel:WORD_0 src1_sel:DWORD
	s_nop 1
	v_cndmask_b32_e32 v9, v9, v10, vcc
; %bb.50:                               ;   in Loop: Header=BB616_46 Depth=2
	s_or_b64 exec, exec, s[20:21]
	flat_load_ushort v10, v[6:7] offset:2
	v_mov_b32_e32 v11, s10
	ds_read_b32 v11, v11 offset:4
	s_waitcnt vmcnt(0) lgkmcnt(0)
	v_lshlrev_b32_e32 v10, 16, v10
	v_mul_f32_e32 v11, v11, v10
	v_and_b32_e32 v10, 0x7f800000, v11
	v_cmp_ne_u32_e32 vcc, s23, v10
                                        ; implicit-def: $vgpr10
	s_and_saveexec_b64 s[20:21], vcc
	s_xor_b64 s[20:21], exec, s[20:21]
; %bb.51:                               ;   in Loop: Header=BB616_46 Depth=2
	v_bfe_u32 v10, v11, 16, 1
	v_add3_u32 v10, v11, v10, s25
                                        ; implicit-def: $vgpr11
; %bb.52:                               ;   in Loop: Header=BB616_46 Depth=2
	s_andn2_saveexec_b64 s[20:21], s[20:21]
; %bb.53:                               ;   in Loop: Header=BB616_46 Depth=2
	v_or_b32_e32 v10, 0x10000, v11
	v_cmp_eq_u32_sdwa vcc, v11, v1 src0_sel:WORD_0 src1_sel:DWORD
	s_nop 1
	v_cndmask_b32_e32 v10, v10, v11, vcc
; %bb.54:                               ;   in Loop: Header=BB616_46 Depth=2
	s_or_b64 exec, exec, s[20:21]
	flat_load_ushort v11, v[6:7] offset:4
	v_mov_b32_e32 v12, s10
	ds_read_b32 v12, v12 offset:8
	s_waitcnt vmcnt(0) lgkmcnt(0)
	v_lshlrev_b32_e32 v11, 16, v11
	v_mul_f32_e32 v12, v12, v11
	v_and_b32_e32 v11, 0x7f800000, v12
	v_cmp_ne_u32_e32 vcc, s23, v11
                                        ; implicit-def: $vgpr11
	s_and_saveexec_b64 s[20:21], vcc
	s_xor_b64 s[20:21], exec, s[20:21]
; %bb.55:                               ;   in Loop: Header=BB616_46 Depth=2
	v_bfe_u32 v11, v12, 16, 1
	v_add3_u32 v11, v12, v11, s25
                                        ; implicit-def: $vgpr12
; %bb.56:                               ;   in Loop: Header=BB616_46 Depth=2
	s_andn2_saveexec_b64 s[20:21], s[20:21]
; %bb.57:                               ;   in Loop: Header=BB616_46 Depth=2
	v_or_b32_e32 v11, 0x10000, v12
	v_cmp_eq_u32_sdwa vcc, v12, v1 src0_sel:WORD_0 src1_sel:DWORD
	s_nop 1
	v_cndmask_b32_e32 v11, v11, v12, vcc
; %bb.58:                               ;   in Loop: Header=BB616_46 Depth=2
	s_or_b64 exec, exec, s[20:21]
	flat_load_ushort v12, v[6:7] offset:6
	v_mov_b32_e32 v13, s10
	ds_read_b32 v13, v13 offset:12
	s_waitcnt vmcnt(0) lgkmcnt(0)
	v_lshlrev_b32_e32 v12, 16, v12
	v_mul_f32_e32 v13, v13, v12
	v_and_b32_e32 v12, 0x7f800000, v13
	v_cmp_ne_u32_e32 vcc, s23, v12
                                        ; implicit-def: $vgpr12
	s_and_saveexec_b64 s[20:21], vcc
	s_xor_b64 s[20:21], exec, s[20:21]
; %bb.59:                               ;   in Loop: Header=BB616_46 Depth=2
	v_bfe_u32 v12, v13, 16, 1
	v_add3_u32 v12, v13, v12, s25
                                        ; implicit-def: $vgpr13
; %bb.60:                               ;   in Loop: Header=BB616_46 Depth=2
	s_andn2_saveexec_b64 s[20:21], s[20:21]
	s_cbranch_execz .LBB616_45
; %bb.61:                               ;   in Loop: Header=BB616_46 Depth=2
	v_or_b32_e32 v12, 0x10000, v13
	v_cmp_eq_u32_sdwa vcc, v13, v1 src0_sel:WORD_0 src1_sel:DWORD
	s_nop 1
	v_cndmask_b32_e32 v12, v12, v13, vcc
	s_branch .LBB616_45
.LBB616_62:                             ;   in Loop: Header=BB616_35 Depth=1
	s_mov_b32 s10, s12
.LBB616_63:                             ;   in Loop: Header=BB616_35 Depth=1
	s_and_b64 vcc, exec, s[6:7]
	s_cbranch_vccnz .LBB616_70
; %bb.64:                               ;   in Loop: Header=BB616_35 Depth=1
	s_lshl_b32 s27, s10, 2
	s_lshl_b32 s10, s10, 1
	v_lshl_add_u64 v[6:7], v[2:3], 0, s[10:11]
	s_mov_b32 s10, s22
	s_branch .LBB616_66
.LBB616_65:                             ;   in Loop: Header=BB616_66 Depth=2
	s_or_b64 exec, exec, s[20:21]
	v_and_b32_e32 v9, 0xffff0000, v10
	s_add_i32 s27, s27, 4
	s_add_i32 s10, s10, -1
	v_add_f32_e32 v8, v8, v9
	s_cmp_lg_u32 s10, 0
	v_lshl_add_u64 v[6:7], v[6:7], 0, 2
	s_cbranch_scc0 .LBB616_70
.LBB616_66:                             ;   Parent Loop BB616_35 Depth=1
                                        ; =>  This Inner Loop Header: Depth=2
	flat_load_ushort v9, v[6:7]
	v_mov_b32_e32 v10, s27
	ds_read_b32 v10, v10
	s_waitcnt vmcnt(0) lgkmcnt(0)
	v_lshlrev_b32_e32 v9, 16, v9
	v_mul_f32_e32 v9, v10, v9
	v_and_b32_e32 v10, 0x7f800000, v9
	v_cmp_ne_u32_e32 vcc, s23, v10
                                        ; implicit-def: $vgpr10
	s_and_saveexec_b64 s[20:21], vcc
	s_xor_b64 s[20:21], exec, s[20:21]
; %bb.67:                               ;   in Loop: Header=BB616_66 Depth=2
	v_bfe_u32 v10, v9, 16, 1
	v_add3_u32 v10, v9, v10, s25
                                        ; implicit-def: $vgpr9
; %bb.68:                               ;   in Loop: Header=BB616_66 Depth=2
	s_andn2_saveexec_b64 s[20:21], s[20:21]
	s_cbranch_execz .LBB616_65
; %bb.69:                               ;   in Loop: Header=BB616_66 Depth=2
	v_or_b32_e32 v10, 0x10000, v9
	v_cmp_eq_u32_sdwa vcc, v9, v1 src0_sel:WORD_0 src1_sel:DWORD
	s_nop 1
	v_cndmask_b32_e32 v10, v10, v9, vcc
	s_branch .LBB616_65
.LBB616_70:                             ;   in Loop: Header=BB616_35 Depth=1
	v_and_b32_e32 v6, 0x7f800000, v8
	v_cmp_ne_u32_e32 vcc, s23, v6
                                        ; implicit-def: $vgpr6
	s_and_saveexec_b64 s[20:21], vcc
	s_xor_b64 s[20:21], exec, s[20:21]
; %bb.71:                               ;   in Loop: Header=BB616_35 Depth=1
	v_bfe_u32 v6, v8, 16, 1
	v_add3_u32 v6, v8, v6, s25
                                        ; implicit-def: $vgpr8
; %bb.72:                               ;   in Loop: Header=BB616_35 Depth=1
	s_andn2_saveexec_b64 s[20:21], s[20:21]
	s_cbranch_execz .LBB616_33
; %bb.73:                               ;   in Loop: Header=BB616_35 Depth=1
	v_or_b32_e32 v6, 0x10000, v8
	v_cmp_eq_u32_sdwa vcc, v8, v1 src0_sel:WORD_0 src1_sel:DWORD
	s_nop 1
	v_cndmask_b32_e32 v6, v6, v8, vcc
	s_branch .LBB616_33
.LBB616_74:
	s_endpgm
	.section	.rodata,"a",@progbits
	.p2align	6, 0x0
	.amdhsa_kernel _ZL22rocblas_gemvtsm_kernelILb1ELi256EPK16rocblas_bfloat16PKfKPS0_EviiT2_lPKT1_lilSA_lilS7_lPT3_lil
		.amdhsa_group_segment_fixed_size 256
		.amdhsa_private_segment_fixed_size 0
		.amdhsa_kernarg_size 136
		.amdhsa_user_sgpr_count 2
		.amdhsa_user_sgpr_dispatch_ptr 0
		.amdhsa_user_sgpr_queue_ptr 0
		.amdhsa_user_sgpr_kernarg_segment_ptr 1
		.amdhsa_user_sgpr_dispatch_id 0
		.amdhsa_user_sgpr_kernarg_preload_length 0
		.amdhsa_user_sgpr_kernarg_preload_offset 0
		.amdhsa_user_sgpr_private_segment_size 0
		.amdhsa_uses_dynamic_stack 0
		.amdhsa_enable_private_segment 0
		.amdhsa_system_sgpr_workgroup_id_x 1
		.amdhsa_system_sgpr_workgroup_id_y 0
		.amdhsa_system_sgpr_workgroup_id_z 0
		.amdhsa_system_sgpr_workgroup_info 0
		.amdhsa_system_vgpr_workitem_id 0
		.amdhsa_next_free_vgpr 14
		.amdhsa_next_free_sgpr 28
		.amdhsa_accum_offset 16
		.amdhsa_reserve_vcc 1
		.amdhsa_float_round_mode_32 0
		.amdhsa_float_round_mode_16_64 0
		.amdhsa_float_denorm_mode_32 3
		.amdhsa_float_denorm_mode_16_64 3
		.amdhsa_dx10_clamp 1
		.amdhsa_ieee_mode 1
		.amdhsa_fp16_overflow 0
		.amdhsa_tg_split 0
		.amdhsa_exception_fp_ieee_invalid_op 0
		.amdhsa_exception_fp_denorm_src 0
		.amdhsa_exception_fp_ieee_div_zero 0
		.amdhsa_exception_fp_ieee_overflow 0
		.amdhsa_exception_fp_ieee_underflow 0
		.amdhsa_exception_fp_ieee_inexact 0
		.amdhsa_exception_int_div_zero 0
	.end_amdhsa_kernel
	.section	.text._ZL22rocblas_gemvtsm_kernelILb1ELi256EPK16rocblas_bfloat16PKfKPS0_EviiT2_lPKT1_lilSA_lilS7_lPT3_lil,"axG",@progbits,_ZL22rocblas_gemvtsm_kernelILb1ELi256EPK16rocblas_bfloat16PKfKPS0_EviiT2_lPKT1_lilSA_lilS7_lPT3_lil,comdat
.Lfunc_end616:
	.size	_ZL22rocblas_gemvtsm_kernelILb1ELi256EPK16rocblas_bfloat16PKfKPS0_EviiT2_lPKT1_lilSA_lilS7_lPT3_lil, .Lfunc_end616-_ZL22rocblas_gemvtsm_kernelILb1ELi256EPK16rocblas_bfloat16PKfKPS0_EviiT2_lPKT1_lilSA_lilS7_lPT3_lil
                                        ; -- End function
	.section	.AMDGPU.csdata,"",@progbits
; Kernel info:
; codeLenInByte = 2036
; NumSgprs: 34
; NumVgprs: 14
; NumAgprs: 0
; TotalNumVgprs: 14
; ScratchSize: 0
; MemoryBound: 0
; FloatMode: 240
; IeeeMode: 1
; LDSByteSize: 256 bytes/workgroup (compile time only)
; SGPRBlocks: 4
; VGPRBlocks: 1
; NumSGPRsForWavesPerEU: 34
; NumVGPRsForWavesPerEU: 14
; AccumOffset: 16
; Occupancy: 8
; WaveLimiterHint : 1
; COMPUTE_PGM_RSRC2:SCRATCH_EN: 0
; COMPUTE_PGM_RSRC2:USER_SGPR: 2
; COMPUTE_PGM_RSRC2:TRAP_HANDLER: 0
; COMPUTE_PGM_RSRC2:TGID_X_EN: 1
; COMPUTE_PGM_RSRC2:TGID_Y_EN: 0
; COMPUTE_PGM_RSRC2:TGID_Z_EN: 0
; COMPUTE_PGM_RSRC2:TIDIG_COMP_CNT: 0
; COMPUTE_PGM_RSRC3_GFX90A:ACCUM_OFFSET: 3
; COMPUTE_PGM_RSRC3_GFX90A:TG_SPLIT: 0
	.section	.text._ZL22rocblas_gemvtsm_kernelILb1ELi256EPK16rocblas_bfloat16fKPS0_EviiT2_lPKT1_lilS8_lilS5_lPT3_lil,"axG",@progbits,_ZL22rocblas_gemvtsm_kernelILb1ELi256EPK16rocblas_bfloat16fKPS0_EviiT2_lPKT1_lilS8_lilS5_lPT3_lil,comdat
	.globl	_ZL22rocblas_gemvtsm_kernelILb1ELi256EPK16rocblas_bfloat16fKPS0_EviiT2_lPKT1_lilS8_lilS5_lPT3_lil ; -- Begin function _ZL22rocblas_gemvtsm_kernelILb1ELi256EPK16rocblas_bfloat16fKPS0_EviiT2_lPKT1_lilS8_lilS5_lPT3_lil
	.p2align	8
	.type	_ZL22rocblas_gemvtsm_kernelILb1ELi256EPK16rocblas_bfloat16fKPS0_EviiT2_lPKT1_lilS8_lilS5_lPT3_lil,@function
_ZL22rocblas_gemvtsm_kernelILb1ELi256EPK16rocblas_bfloat16fKPS0_EviiT2_lPKT1_lilS8_lilS5_lPT3_lil: ; @_ZL22rocblas_gemvtsm_kernelILb1ELi256EPK16rocblas_bfloat16fKPS0_EviiT2_lPKT1_lilS8_lilS5_lPT3_lil
; %bb.0:
	s_load_dwordx4 s[8:11], s[0:1], 0x0
	s_load_dword s22, s[0:1], 0x58
	s_waitcnt lgkmcnt(0)
	v_cmp_eq_f32_e64 s[18:19], s10, 0
	v_cmp_eq_f32_e64 s[4:5], s22, 1.0
	s_and_b64 s[4:5], s[18:19], s[4:5]
	s_and_b64 vcc, exec, s[4:5]
	s_cbranch_vccnz .LBB617_77
; %bb.1:
	v_cmp_neq_f32_e64 s[4:5], s10, 0
	s_mov_b32 s3, 0
	s_and_b64 vcc, exec, s[4:5]
	s_cbranch_vccnz .LBB617_3
; %bb.2:
	s_mov_b64 s[16:17], 0
	s_cbranch_execz .LBB617_4
	s_branch .LBB617_5
.LBB617_3:
                                        ; implicit-def: $sgpr16_sgpr17
.LBB617_4:
	s_load_dwordx4 s[12:15], s[0:1], 0x18
	s_lshl_b64 s[6:7], s[2:3], 3
	s_waitcnt lgkmcnt(0)
	s_add_u32 s6, s12, s6
	s_addc_u32 s7, s13, s7
	s_load_dwordx2 s[6:7], s[6:7], 0x0
	s_lshl_b64 s[12:13], s[14:15], 1
	s_waitcnt lgkmcnt(0)
	s_add_u32 s16, s6, s12
	s_addc_u32 s17, s7, s13
.LBB617_5:
	s_andn2_b64 vcc, exec, s[4:5]
	s_cbranch_vccnz .LBB617_7
; %bb.6:
	s_load_dwordx4 s[4:7], s[0:1], 0x38
	s_lshl_b64 s[12:13], s[2:3], 3
	s_waitcnt lgkmcnt(0)
	s_add_u32 s4, s4, s12
	s_addc_u32 s5, s5, s13
	s_load_dwordx2 s[4:5], s[4:5], 0x0
	s_lshl_b64 s[6:7], s[6:7], 1
	s_waitcnt lgkmcnt(0)
	s_add_u32 s14, s4, s6
	s_addc_u32 s15, s5, s7
	s_branch .LBB617_8
.LBB617_7:
	s_mov_b64 s[14:15], 0
.LBB617_8:
	s_load_dwordx4 s[4:7], s[0:1], 0x68
	s_load_dword s12, s[0:1], 0x78
	s_lshl_b64 s[2:3], s[2:3], 3
	s_waitcnt lgkmcnt(0)
	s_add_u32 s2, s4, s2
	s_addc_u32 s3, s5, s3
	s_load_dwordx2 s[4:5], s[2:3], 0x0
	s_andn2_b64 vcc, exec, s[18:19]
	s_mov_b64 s[2:3], -1
	s_cbranch_vccnz .LBB617_27
; %bb.9:
	s_cmp_gt_i32 s9, 0
	s_cselect_b64 s[18:19], -1, 0
	v_cmp_neq_f32_e64 s[2:3], s22, 0
	v_cndmask_b32_e64 v1, 0, 1, s[18:19]
	s_and_b64 vcc, exec, s[2:3]
	v_cmp_ne_u32_e64 s[2:3], 1, v1
	s_cbranch_vccnz .LBB617_16
; %bb.10:
	s_and_b64 vcc, exec, s[2:3]
	s_cbranch_vccnz .LBB617_15
; %bb.11:
	v_mad_i64_i32 v[2:3], s[18:19], s12, v0, 0
	s_ashr_i32 s13, s12, 31
	s_lshl_b64 s[18:19], s[6:7], 1
	s_waitcnt lgkmcnt(0)
	s_add_u32 s18, s4, s18
	s_addc_u32 s19, s5, s19
	v_lshl_add_u64 v[2:3], v[2:3], 1, s[18:19]
	s_lshl_b64 s[18:19], s[12:13], 9
	s_mov_b32 s11, 0
	v_mov_b32_e32 v1, 0
	s_branch .LBB617_13
.LBB617_12:                             ;   in Loop: Header=BB617_13 Depth=1
	s_or_b64 exec, exec, s[20:21]
	s_addk_i32 s11, 0x100
	s_cmp_ge_i32 s11, s9
	v_lshl_add_u64 v[2:3], v[2:3], 0, s[18:19]
	s_cbranch_scc1 .LBB617_15
.LBB617_13:                             ; =>This Inner Loop Header: Depth=1
	v_add_u32_e32 v4, s11, v0
	v_cmp_gt_i32_e32 vcc, s9, v4
	s_and_saveexec_b64 s[20:21], vcc
	s_cbranch_execz .LBB617_12
; %bb.14:                               ;   in Loop: Header=BB617_13 Depth=1
	global_store_short v[2:3], v1, off
	s_branch .LBB617_12
.LBB617_15:
	s_cbranch_execz .LBB617_17
	s_branch .LBB617_26
.LBB617_16:
.LBB617_17:
	s_and_b64 vcc, exec, s[2:3]
	s_cbranch_vccnz .LBB617_26
; %bb.18:
	v_mad_i64_i32 v[2:3], s[2:3], s12, v0, 0
	s_ashr_i32 s13, s12, 31
	s_lshl_b64 s[2:3], s[6:7], 1
	s_waitcnt lgkmcnt(0)
	s_add_u32 s2, s4, s2
	s_addc_u32 s3, s5, s3
	v_lshl_add_u64 v[2:3], v[2:3], 1, s[2:3]
	s_lshl_b64 s[2:3], s[12:13], 9
	s_mov_b32 s11, 0
	s_mov_b32 s13, 0x7f800000
	s_movk_i32 s23, 0x7fff
	v_mov_b32_e32 v1, 0
	s_branch .LBB617_21
.LBB617_19:                             ;   in Loop: Header=BB617_21 Depth=1
	s_or_b64 exec, exec, s[20:21]
	global_store_short_d16_hi v[2:3], v5, off
.LBB617_20:                             ;   in Loop: Header=BB617_21 Depth=1
	s_or_b64 exec, exec, s[18:19]
	s_addk_i32 s11, 0x100
	s_cmp_ge_i32 s11, s9
	v_lshl_add_u64 v[2:3], v[2:3], 0, s[2:3]
	s_cbranch_scc1 .LBB617_26
.LBB617_21:                             ; =>This Inner Loop Header: Depth=1
	v_add_u32_e32 v4, s11, v0
	v_cmp_gt_i32_e32 vcc, s9, v4
	s_and_saveexec_b64 s[18:19], vcc
	s_cbranch_execz .LBB617_20
; %bb.22:                               ;   in Loop: Header=BB617_21 Depth=1
	global_load_ushort v4, v[2:3], off
	s_waitcnt vmcnt(0)
	v_lshlrev_b32_e32 v4, 16, v4
	v_mul_f32_e32 v4, s22, v4
	v_and_b32_e32 v5, 0x7f800000, v4
	v_cmp_ne_u32_e32 vcc, s13, v5
                                        ; implicit-def: $vgpr5
	s_and_saveexec_b64 s[20:21], vcc
	s_xor_b64 s[20:21], exec, s[20:21]
; %bb.23:                               ;   in Loop: Header=BB617_21 Depth=1
	v_bfe_u32 v5, v4, 16, 1
	v_add3_u32 v5, v4, v5, s23
                                        ; implicit-def: $vgpr4
; %bb.24:                               ;   in Loop: Header=BB617_21 Depth=1
	s_andn2_saveexec_b64 s[20:21], s[20:21]
	s_cbranch_execz .LBB617_19
; %bb.25:                               ;   in Loop: Header=BB617_21 Depth=1
	v_or_b32_e32 v5, 0x10000, v4
	v_cmp_eq_u32_sdwa vcc, v4, v1 src0_sel:WORD_0 src1_sel:DWORD
	s_nop 1
	v_cndmask_b32_e32 v5, v5, v4, vcc
	s_branch .LBB617_19
.LBB617_26:
	s_mov_b64 s[2:3], 0
.LBB617_27:
	s_andn2_b64 vcc, exec, s[2:3]
	s_cbranch_vccnz .LBB617_77
; %bb.28:
	v_cmp_gt_i32_e32 vcc, s8, v0
	s_and_saveexec_b64 s[2:3], vcc
	s_cbranch_execz .LBB617_34
; %bb.29:
	s_load_dword s11, s[0:1], 0x48
	s_waitcnt lgkmcnt(0)
	v_mad_i64_i32 v[2:3], s[18:19], s11, v0, 0
	v_lshl_add_u64 v[2:3], v[2:3], 1, s[14:15]
	flat_load_ushort v1, v[2:3]
	s_waitcnt vmcnt(0) lgkmcnt(0)
	v_lshlrev_b32_e32 v1, 16, v1
	v_mul_f32_e32 v1, s10, v1
	s_mov_b32 s10, 0x7f800000
	v_and_b32_e32 v2, 0x7f800000, v1
	v_cmp_ne_u32_e32 vcc, s10, v2
                                        ; implicit-def: $vgpr2
	s_and_saveexec_b64 s[10:11], vcc
	s_xor_b64 s[10:11], exec, s[10:11]
; %bb.30:
	v_bfe_u32 v2, v1, 16, 1
	s_movk_i32 s13, 0x7fff
	v_add3_u32 v2, v1, v2, s13
                                        ; implicit-def: $vgpr1
; %bb.31:
	s_andn2_saveexec_b64 s[10:11], s[10:11]
; %bb.32:
	v_mov_b32_e32 v2, 0
	v_or_b32_e32 v3, 0x10000, v1
	v_cmp_eq_u32_sdwa vcc, v1, v2 src0_sel:WORD_0 src1_sel:DWORD
	s_nop 1
	v_cndmask_b32_e32 v2, v3, v1, vcc
; %bb.33:
	s_or_b64 exec, exec, s[10:11]
	v_and_b32_e32 v1, 0xffff0000, v2
	v_lshlrev_b32_e32 v2, 2, v0
	ds_write_b32 v2, v1
.LBB617_34:
	s_or_b64 exec, exec, s[2:3]
	s_cmp_lt_i32 s9, 1
	s_waitcnt lgkmcnt(0)
	s_barrier
	s_cbranch_scc1 .LBB617_77
; %bb.35:
	s_load_dword s0, s[0:1], 0x28
	s_lshl_b64 s[2:3], s[6:7], 1
	s_add_u32 s10, s4, s2
	s_addc_u32 s11, s5, s3
	s_ashr_i32 s13, s12, 31
	s_waitcnt lgkmcnt(0)
	s_ashr_i32 s1, s0, 31
	s_cmp_gt_i32 s8, 0
	s_cselect_b64 s[2:3], -1, 0
	s_and_b32 s23, s8, 3
	s_cmp_gt_u32 s8, 3
	s_cselect_b64 s[4:5], -1, 0
	s_and_b32 s8, s8, 0x7ffffffc
	s_cmp_lg_u32 s23, 0
	v_mad_i64_i32 v[2:3], s[18:19], s0, v0, 0
	s_cselect_b64 s[6:7], -1, 0
	v_lshl_add_u64 v[2:3], v[2:3], 1, s[16:17]
	s_lshl_b64 s[16:17], s[0:1], 9
	v_cmp_neq_f32_e64 s[0:1], s22, 0
	s_mov_b32 s15, 0
	s_mov_b32 s24, 0x7f800000
	v_cndmask_b32_e64 v1, 0, 1, s[0:1]
	v_cmp_ne_u32_e64 s[0:1], 1, v1
	v_cndmask_b32_e64 v1, 0, 1, s[2:3]
	v_cmp_ne_u32_e64 s[2:3], 1, v1
	;; [unrolled: 2-line block ×3, first 2 shown]
	v_cndmask_b32_e64 v1, 0, 1, s[6:7]
	s_movk_i32 s25, 0x7fff
	v_cmp_ne_u32_e64 s[6:7], 1, v1
	v_mov_b32_e32 v1, 0
	s_mov_b32 s26, 0
	s_branch .LBB617_38
.LBB617_36:                             ;   in Loop: Header=BB617_38 Depth=1
	s_or_b64 exec, exec, s[20:21]
	global_store_short_d16_hi v[4:5], v6, off
.LBB617_37:                             ;   in Loop: Header=BB617_38 Depth=1
	s_or_b64 exec, exec, s[18:19]
	s_addk_i32 s26, 0x100
	s_cmp_ge_i32 s26, s9
	v_lshl_add_u64 v[2:3], v[2:3], 0, s[16:17]
	s_cbranch_scc1 .LBB617_77
.LBB617_38:                             ; =>This Loop Header: Depth=1
                                        ;     Child Loop BB617_49 Depth 2
                                        ;     Child Loop BB617_69 Depth 2
	v_add_u32_e32 v4, s26, v0
	v_cmp_gt_i32_e32 vcc, s9, v4
	s_and_saveexec_b64 s[18:19], vcc
	s_cbranch_execz .LBB617_37
; %bb.39:                               ;   in Loop: Header=BB617_38 Depth=1
	v_mad_u64_u32 v[6:7], s[20:21], v4, s12, 0
	v_mov_b32_e32 v8, v7
	v_mad_u64_u32 v[4:5], s[20:21], v4, s13, v[8:9]
	v_mov_b32_e32 v7, v4
	s_and_b64 vcc, exec, s[0:1]
	v_lshl_add_u64 v[4:5], v[6:7], 1, s[10:11]
	s_cbranch_vccnz .LBB617_45
; %bb.40:                               ;   in Loop: Header=BB617_38 Depth=1
	global_load_ushort v6, v[4:5], off
	s_waitcnt vmcnt(0)
	v_lshlrev_b32_e32 v6, 16, v6
	v_mul_f32_e32 v6, s22, v6
	v_and_b32_e32 v7, 0x7f800000, v6
	v_cmp_ne_u32_e32 vcc, s24, v7
                                        ; implicit-def: $vgpr7
	s_and_saveexec_b64 s[20:21], vcc
	s_xor_b64 s[20:21], exec, s[20:21]
; %bb.41:                               ;   in Loop: Header=BB617_38 Depth=1
	v_bfe_u32 v7, v6, 16, 1
	v_add3_u32 v7, v6, v7, s25
                                        ; implicit-def: $vgpr6
; %bb.42:                               ;   in Loop: Header=BB617_38 Depth=1
	s_andn2_saveexec_b64 s[20:21], s[20:21]
; %bb.43:                               ;   in Loop: Header=BB617_38 Depth=1
	v_or_b32_e32 v7, 0x10000, v6
	v_cmp_eq_u32_sdwa vcc, v6, v1 src0_sel:WORD_0 src1_sel:DWORD
	s_nop 1
	v_cndmask_b32_e32 v7, v7, v6, vcc
; %bb.44:                               ;   in Loop: Header=BB617_38 Depth=1
	s_or_b64 exec, exec, s[20:21]
	v_and_b32_e32 v6, 0xffff0000, v7
	v_cvt_i32_f32_e32 v6, v6
	v_cvt_f32_i32_e32 v8, v6
	s_and_b64 vcc, exec, s[2:3]
	s_cbranch_vccz .LBB617_46
	s_branch .LBB617_73
.LBB617_45:                             ;   in Loop: Header=BB617_38 Depth=1
	v_mov_b32_e32 v6, 0
	v_cvt_f32_i32_e32 v8, v6
	s_and_b64 vcc, exec, s[2:3]
	s_cbranch_vccnz .LBB617_73
.LBB617_46:                             ;   in Loop: Header=BB617_38 Depth=1
	s_mov_b32 s14, 0
	s_and_b64 vcc, exec, s[4:5]
	s_cbranch_vccnz .LBB617_66
; %bb.47:                               ;   in Loop: Header=BB617_38 Depth=1
	s_mov_b32 s27, 0
	v_mov_b64_e32 v[6:7], v[2:3]
	s_branch .LBB617_49
.LBB617_48:                             ;   in Loop: Header=BB617_49 Depth=2
	s_or_b64 exec, exec, s[20:21]
	v_and_b32_e32 v9, 0xffff0000, v9
	v_add_f32_e32 v8, v8, v9
	v_and_b32_e32 v9, 0xffff0000, v10
	v_add_f32_e32 v8, v8, v9
	;; [unrolled: 2-line block ×3, first 2 shown]
	v_and_b32_e32 v9, 0xffff0000, v12
	s_add_i32 s27, s27, 4
	s_add_i32 s14, s14, 16
	v_add_f32_e32 v8, v8, v9
	s_cmp_eq_u32 s8, s27
	v_lshl_add_u64 v[6:7], v[6:7], 0, 8
	s_cbranch_scc1 .LBB617_65
.LBB617_49:                             ;   Parent Loop BB617_38 Depth=1
                                        ; =>  This Inner Loop Header: Depth=2
	flat_load_ushort v9, v[6:7]
	v_mov_b32_e32 v10, s14
	ds_read_b32 v10, v10
	s_waitcnt vmcnt(0) lgkmcnt(0)
	v_lshlrev_b32_e32 v9, 16, v9
	v_mul_f32_e32 v10, v10, v9
	v_and_b32_e32 v9, 0x7f800000, v10
	v_cmp_ne_u32_e32 vcc, s24, v9
                                        ; implicit-def: $vgpr9
	s_and_saveexec_b64 s[20:21], vcc
	s_xor_b64 s[20:21], exec, s[20:21]
; %bb.50:                               ;   in Loop: Header=BB617_49 Depth=2
	v_bfe_u32 v9, v10, 16, 1
	v_add3_u32 v9, v10, v9, s25
                                        ; implicit-def: $vgpr10
; %bb.51:                               ;   in Loop: Header=BB617_49 Depth=2
	s_andn2_saveexec_b64 s[20:21], s[20:21]
; %bb.52:                               ;   in Loop: Header=BB617_49 Depth=2
	v_or_b32_e32 v9, 0x10000, v10
	v_cmp_eq_u32_sdwa vcc, v10, v1 src0_sel:WORD_0 src1_sel:DWORD
	s_nop 1
	v_cndmask_b32_e32 v9, v9, v10, vcc
; %bb.53:                               ;   in Loop: Header=BB617_49 Depth=2
	s_or_b64 exec, exec, s[20:21]
	flat_load_ushort v10, v[6:7] offset:2
	v_mov_b32_e32 v11, s14
	ds_read_b32 v11, v11 offset:4
	s_waitcnt vmcnt(0) lgkmcnt(0)
	v_lshlrev_b32_e32 v10, 16, v10
	v_mul_f32_e32 v11, v11, v10
	v_and_b32_e32 v10, 0x7f800000, v11
	v_cmp_ne_u32_e32 vcc, s24, v10
                                        ; implicit-def: $vgpr10
	s_and_saveexec_b64 s[20:21], vcc
	s_xor_b64 s[20:21], exec, s[20:21]
; %bb.54:                               ;   in Loop: Header=BB617_49 Depth=2
	v_bfe_u32 v10, v11, 16, 1
	v_add3_u32 v10, v11, v10, s25
                                        ; implicit-def: $vgpr11
; %bb.55:                               ;   in Loop: Header=BB617_49 Depth=2
	s_andn2_saveexec_b64 s[20:21], s[20:21]
; %bb.56:                               ;   in Loop: Header=BB617_49 Depth=2
	v_or_b32_e32 v10, 0x10000, v11
	v_cmp_eq_u32_sdwa vcc, v11, v1 src0_sel:WORD_0 src1_sel:DWORD
	s_nop 1
	v_cndmask_b32_e32 v10, v10, v11, vcc
; %bb.57:                               ;   in Loop: Header=BB617_49 Depth=2
	s_or_b64 exec, exec, s[20:21]
	flat_load_ushort v11, v[6:7] offset:4
	v_mov_b32_e32 v12, s14
	ds_read_b32 v12, v12 offset:8
	s_waitcnt vmcnt(0) lgkmcnt(0)
	v_lshlrev_b32_e32 v11, 16, v11
	v_mul_f32_e32 v12, v12, v11
	v_and_b32_e32 v11, 0x7f800000, v12
	v_cmp_ne_u32_e32 vcc, s24, v11
                                        ; implicit-def: $vgpr11
	s_and_saveexec_b64 s[20:21], vcc
	s_xor_b64 s[20:21], exec, s[20:21]
; %bb.58:                               ;   in Loop: Header=BB617_49 Depth=2
	v_bfe_u32 v11, v12, 16, 1
	v_add3_u32 v11, v12, v11, s25
                                        ; implicit-def: $vgpr12
; %bb.59:                               ;   in Loop: Header=BB617_49 Depth=2
	s_andn2_saveexec_b64 s[20:21], s[20:21]
; %bb.60:                               ;   in Loop: Header=BB617_49 Depth=2
	v_or_b32_e32 v11, 0x10000, v12
	v_cmp_eq_u32_sdwa vcc, v12, v1 src0_sel:WORD_0 src1_sel:DWORD
	s_nop 1
	v_cndmask_b32_e32 v11, v11, v12, vcc
; %bb.61:                               ;   in Loop: Header=BB617_49 Depth=2
	s_or_b64 exec, exec, s[20:21]
	flat_load_ushort v12, v[6:7] offset:6
	v_mov_b32_e32 v13, s14
	ds_read_b32 v13, v13 offset:12
	s_waitcnt vmcnt(0) lgkmcnt(0)
	v_lshlrev_b32_e32 v12, 16, v12
	v_mul_f32_e32 v13, v13, v12
	v_and_b32_e32 v12, 0x7f800000, v13
	v_cmp_ne_u32_e32 vcc, s24, v12
                                        ; implicit-def: $vgpr12
	s_and_saveexec_b64 s[20:21], vcc
	s_xor_b64 s[20:21], exec, s[20:21]
; %bb.62:                               ;   in Loop: Header=BB617_49 Depth=2
	v_bfe_u32 v12, v13, 16, 1
	v_add3_u32 v12, v13, v12, s25
                                        ; implicit-def: $vgpr13
; %bb.63:                               ;   in Loop: Header=BB617_49 Depth=2
	s_andn2_saveexec_b64 s[20:21], s[20:21]
	s_cbranch_execz .LBB617_48
; %bb.64:                               ;   in Loop: Header=BB617_49 Depth=2
	v_or_b32_e32 v12, 0x10000, v13
	v_cmp_eq_u32_sdwa vcc, v13, v1 src0_sel:WORD_0 src1_sel:DWORD
	s_nop 1
	v_cndmask_b32_e32 v12, v12, v13, vcc
	s_branch .LBB617_48
.LBB617_65:                             ;   in Loop: Header=BB617_38 Depth=1
	s_mov_b32 s14, s8
.LBB617_66:                             ;   in Loop: Header=BB617_38 Depth=1
	s_and_b64 vcc, exec, s[6:7]
	s_cbranch_vccnz .LBB617_73
; %bb.67:                               ;   in Loop: Header=BB617_38 Depth=1
	s_lshl_b32 s27, s14, 2
	s_lshl_b32 s14, s14, 1
	v_lshl_add_u64 v[6:7], v[2:3], 0, s[14:15]
	s_mov_b32 s14, s23
	s_branch .LBB617_69
.LBB617_68:                             ;   in Loop: Header=BB617_69 Depth=2
	s_or_b64 exec, exec, s[20:21]
	v_and_b32_e32 v9, 0xffff0000, v10
	s_add_i32 s27, s27, 4
	s_add_i32 s14, s14, -1
	v_add_f32_e32 v8, v8, v9
	s_cmp_lg_u32 s14, 0
	v_lshl_add_u64 v[6:7], v[6:7], 0, 2
	s_cbranch_scc0 .LBB617_73
.LBB617_69:                             ;   Parent Loop BB617_38 Depth=1
                                        ; =>  This Inner Loop Header: Depth=2
	flat_load_ushort v9, v[6:7]
	v_mov_b32_e32 v10, s27
	ds_read_b32 v10, v10
	s_waitcnt vmcnt(0) lgkmcnt(0)
	v_lshlrev_b32_e32 v9, 16, v9
	v_mul_f32_e32 v9, v10, v9
	v_and_b32_e32 v10, 0x7f800000, v9
	v_cmp_ne_u32_e32 vcc, s24, v10
                                        ; implicit-def: $vgpr10
	s_and_saveexec_b64 s[20:21], vcc
	s_xor_b64 s[20:21], exec, s[20:21]
; %bb.70:                               ;   in Loop: Header=BB617_69 Depth=2
	v_bfe_u32 v10, v9, 16, 1
	v_add3_u32 v10, v9, v10, s25
                                        ; implicit-def: $vgpr9
; %bb.71:                               ;   in Loop: Header=BB617_69 Depth=2
	s_andn2_saveexec_b64 s[20:21], s[20:21]
	s_cbranch_execz .LBB617_68
; %bb.72:                               ;   in Loop: Header=BB617_69 Depth=2
	v_or_b32_e32 v10, 0x10000, v9
	v_cmp_eq_u32_sdwa vcc, v9, v1 src0_sel:WORD_0 src1_sel:DWORD
	s_nop 1
	v_cndmask_b32_e32 v10, v10, v9, vcc
	s_branch .LBB617_68
.LBB617_73:                             ;   in Loop: Header=BB617_38 Depth=1
	v_and_b32_e32 v6, 0x7f800000, v8
	v_cmp_ne_u32_e32 vcc, s24, v6
                                        ; implicit-def: $vgpr6
	s_and_saveexec_b64 s[20:21], vcc
	s_xor_b64 s[20:21], exec, s[20:21]
; %bb.74:                               ;   in Loop: Header=BB617_38 Depth=1
	v_bfe_u32 v6, v8, 16, 1
	v_add3_u32 v6, v8, v6, s25
                                        ; implicit-def: $vgpr8
; %bb.75:                               ;   in Loop: Header=BB617_38 Depth=1
	s_andn2_saveexec_b64 s[20:21], s[20:21]
	s_cbranch_execz .LBB617_36
; %bb.76:                               ;   in Loop: Header=BB617_38 Depth=1
	v_or_b32_e32 v6, 0x10000, v8
	v_cmp_eq_u32_sdwa vcc, v8, v1 src0_sel:WORD_0 src1_sel:DWORD
	s_nop 1
	v_cndmask_b32_e32 v6, v6, v8, vcc
	s_branch .LBB617_36
.LBB617_77:
	s_endpgm
	.section	.rodata,"a",@progbits
	.p2align	6, 0x0
	.amdhsa_kernel _ZL22rocblas_gemvtsm_kernelILb1ELi256EPK16rocblas_bfloat16fKPS0_EviiT2_lPKT1_lilS8_lilS5_lPT3_lil
		.amdhsa_group_segment_fixed_size 256
		.amdhsa_private_segment_fixed_size 0
		.amdhsa_kernarg_size 136
		.amdhsa_user_sgpr_count 2
		.amdhsa_user_sgpr_dispatch_ptr 0
		.amdhsa_user_sgpr_queue_ptr 0
		.amdhsa_user_sgpr_kernarg_segment_ptr 1
		.amdhsa_user_sgpr_dispatch_id 0
		.amdhsa_user_sgpr_kernarg_preload_length 0
		.amdhsa_user_sgpr_kernarg_preload_offset 0
		.amdhsa_user_sgpr_private_segment_size 0
		.amdhsa_uses_dynamic_stack 0
		.amdhsa_enable_private_segment 0
		.amdhsa_system_sgpr_workgroup_id_x 1
		.amdhsa_system_sgpr_workgroup_id_y 0
		.amdhsa_system_sgpr_workgroup_id_z 0
		.amdhsa_system_sgpr_workgroup_info 0
		.amdhsa_system_vgpr_workitem_id 0
		.amdhsa_next_free_vgpr 14
		.amdhsa_next_free_sgpr 28
		.amdhsa_accum_offset 16
		.amdhsa_reserve_vcc 1
		.amdhsa_float_round_mode_32 0
		.amdhsa_float_round_mode_16_64 0
		.amdhsa_float_denorm_mode_32 3
		.amdhsa_float_denorm_mode_16_64 3
		.amdhsa_dx10_clamp 1
		.amdhsa_ieee_mode 1
		.amdhsa_fp16_overflow 0
		.amdhsa_tg_split 0
		.amdhsa_exception_fp_ieee_invalid_op 0
		.amdhsa_exception_fp_denorm_src 0
		.amdhsa_exception_fp_ieee_div_zero 0
		.amdhsa_exception_fp_ieee_overflow 0
		.amdhsa_exception_fp_ieee_underflow 0
		.amdhsa_exception_fp_ieee_inexact 0
		.amdhsa_exception_int_div_zero 0
	.end_amdhsa_kernel
	.section	.text._ZL22rocblas_gemvtsm_kernelILb1ELi256EPK16rocblas_bfloat16fKPS0_EviiT2_lPKT1_lilS8_lilS5_lPT3_lil,"axG",@progbits,_ZL22rocblas_gemvtsm_kernelILb1ELi256EPK16rocblas_bfloat16fKPS0_EviiT2_lPKT1_lilS8_lilS5_lPT3_lil,comdat
.Lfunc_end617:
	.size	_ZL22rocblas_gemvtsm_kernelILb1ELi256EPK16rocblas_bfloat16fKPS0_EviiT2_lPKT1_lilS8_lilS5_lPT3_lil, .Lfunc_end617-_ZL22rocblas_gemvtsm_kernelILb1ELi256EPK16rocblas_bfloat16fKPS0_EviiT2_lPKT1_lilS8_lilS5_lPT3_lil
                                        ; -- End function
	.section	.AMDGPU.csdata,"",@progbits
; Kernel info:
; codeLenInByte = 1988
; NumSgprs: 34
; NumVgprs: 14
; NumAgprs: 0
; TotalNumVgprs: 14
; ScratchSize: 0
; MemoryBound: 0
; FloatMode: 240
; IeeeMode: 1
; LDSByteSize: 256 bytes/workgroup (compile time only)
; SGPRBlocks: 4
; VGPRBlocks: 1
; NumSGPRsForWavesPerEU: 34
; NumVGPRsForWavesPerEU: 14
; AccumOffset: 16
; Occupancy: 8
; WaveLimiterHint : 1
; COMPUTE_PGM_RSRC2:SCRATCH_EN: 0
; COMPUTE_PGM_RSRC2:USER_SGPR: 2
; COMPUTE_PGM_RSRC2:TRAP_HANDLER: 0
; COMPUTE_PGM_RSRC2:TGID_X_EN: 1
; COMPUTE_PGM_RSRC2:TGID_Y_EN: 0
; COMPUTE_PGM_RSRC2:TGID_Z_EN: 0
; COMPUTE_PGM_RSRC2:TIDIG_COMP_CNT: 0
; COMPUTE_PGM_RSRC3_GFX90A:ACCUM_OFFSET: 3
; COMPUTE_PGM_RSRC3_GFX90A:TG_SPLIT: 0
	.section	.text._ZL23rocblas_gemvt_sn_kernelILb1ELi256ELi4EiPK16rocblas_bfloat16PKffEviiT4_lPKT3_lilS8_lilPT5_i,"axG",@progbits,_ZL23rocblas_gemvt_sn_kernelILb1ELi256ELi4EiPK16rocblas_bfloat16PKffEviiT4_lPKT3_lilS8_lilPT5_i,comdat
	.globl	_ZL23rocblas_gemvt_sn_kernelILb1ELi256ELi4EiPK16rocblas_bfloat16PKffEviiT4_lPKT3_lilS8_lilPT5_i ; -- Begin function _ZL23rocblas_gemvt_sn_kernelILb1ELi256ELi4EiPK16rocblas_bfloat16PKffEviiT4_lPKT3_lilS8_lilPT5_i
	.p2align	8
	.type	_ZL23rocblas_gemvt_sn_kernelILb1ELi256ELi4EiPK16rocblas_bfloat16PKffEviiT4_lPKT3_lilS8_lilPT5_i,@function
_ZL23rocblas_gemvt_sn_kernelILb1ELi256ELi4EiPK16rocblas_bfloat16PKffEviiT4_lPKT3_lilS8_lilPT5_i: ; @_ZL23rocblas_gemvt_sn_kernelILb1ELi256ELi4EiPK16rocblas_bfloat16PKffEviiT4_lPKT3_lilS8_lilPT5_i
; %bb.0:
	s_load_dwordx8 s[4:11], s[0:1], 0x8
	s_mov_b32 s12, s3
	s_mov_b32 s13, 0
	s_mov_b64 s[16:17], 0
	s_waitcnt lgkmcnt(0)
	s_mul_i32 s3, s3, s7
	s_mul_hi_u32 s7, s12, s6
	s_add_i32 s7, s7, s3
	s_mul_i32 s6, s12, s6
	s_lshl_b64 s[6:7], s[6:7], 2
	s_add_u32 s4, s4, s6
	s_addc_u32 s5, s5, s7
	s_load_dword s33, s[4:5], 0x0
	s_mov_b64 s[4:5], 0
	s_waitcnt lgkmcnt(0)
	v_cmp_eq_f32_e64 s[14:15], s33, 0
	v_cmp_neq_f32_e64 s[6:7], s33, 0
	s_and_b64 vcc, exec, s[14:15]
	s_cbranch_vccnz .LBB618_2
; %bb.1:
	s_lshl_b64 s[4:5], s[12:13], 3
	s_add_u32 s4, s8, s4
	s_addc_u32 s5, s9, s5
	s_load_dwordx2 s[4:5], s[4:5], 0x0
	s_lshl_b64 s[8:9], s[10:11], 1
	s_waitcnt lgkmcnt(0)
	s_add_u32 s4, s4, s8
	s_addc_u32 s5, s5, s9
.LBB618_2:
	s_andn2_b64 vcc, exec, s[6:7]
	s_cbranch_vccnz .LBB618_4
; %bb.3:
	s_load_dwordx4 s[8:11], s[0:1], 0x38
	s_lshl_b64 s[6:7], s[12:13], 3
	s_waitcnt lgkmcnt(0)
	s_add_u32 s6, s8, s6
	s_addc_u32 s7, s9, s7
	s_load_dwordx2 s[6:7], s[6:7], 0x0
	s_lshl_b64 s[8:9], s[10:11], 1
	s_waitcnt lgkmcnt(0)
	s_add_u32 s16, s6, s8
	s_addc_u32 s17, s7, s9
.LBB618_4:
	s_load_dwordx2 s[18:19], s[0:1], 0x0
	s_load_dwordx2 s[6:7], s[0:1], 0x58
	s_load_dword s20, s[0:1], 0x68
	s_mov_b32 s21, 0
	s_waitcnt lgkmcnt(0)
	s_ashr_i32 s23, s19, 31
	s_mul_hi_u32 s3, s19, s12
	s_mul_i32 s8, s23, s12
	s_add_i32 s11, s3, s8
	s_mul_i32 s10, s19, s12
	s_mul_i32 s3, s11, s20
	s_mul_hi_u32 s8, s10, s20
	s_add_i32 s9, s8, s3
	s_mul_i32 s8, s10, s20
	s_lshl_b64 s[8:9], s[8:9], 2
	s_add_u32 s43, s6, s8
	s_addc_u32 s44, s7, s9
	s_andn2_b64 vcc, exec, s[14:15]
	s_mov_b64 s[8:9], -1
	s_cbranch_vccnz .LBB618_14
; %bb.5:
	s_cmp_gt_i32 s19, 0
	v_cmp_eq_u32_e32 vcc, 0, v0
	s_cselect_b64 s[8:9], -1, 0
	s_and_b64 s[12:13], vcc, s[8:9]
	s_and_saveexec_b64 s[8:9], s[12:13]
	s_cbranch_execz .LBB618_13
; %bb.6:
	s_cmp_gt_u32 s19, 1
	s_cselect_b64 s[12:13], -1, 0
	s_cmp_eq_u32 s20, 1
	s_cselect_b64 s[24:25], -1, 0
	s_mov_b32 s3, 0
	s_and_b64 s[12:13], s[12:13], s[24:25]
	s_mov_b64 s[14:15], -1
	s_andn2_b64 vcc, exec, s[12:13]
	s_mov_b32 s12, s3
	s_cbranch_vccnz .LBB618_10
; %bb.7:
	s_lshl_b64 s[12:13], s[2:3], 2
	s_add_u32 s14, s43, s12
	s_addc_u32 s15, s44, s13
	s_and_b32 s12, s19, 0x7ffffffe
	v_mov_b32_e32 v2, 0
	v_mov_b32_e32 v3, v2
	s_mov_b32 s13, s12
.LBB618_8:                              ; =>This Inner Loop Header: Depth=1
	global_store_dwordx2 v2, v[2:3], s[14:15]
	s_add_u32 s14, s14, 8
	s_addc_u32 s15, s15, 0
	s_add_i32 s13, s13, -2
	s_cmp_lg_u32 s13, 0
	s_cbranch_scc1 .LBB618_8
; %bb.9:
	s_cmp_lg_u32 s12, s19
	s_cselect_b64 s[14:15], -1, 0
.LBB618_10:
	s_and_b64 vcc, exec, s[14:15]
	s_cbranch_vccz .LBB618_13
; %bb.11:
	s_mov_b32 s13, 0
	s_sub_i32 s14, s19, s12
	s_lshl_b64 s[10:11], s[10:11], 2
	s_lshl_b64 s[12:13], s[12:13], 2
	s_add_u32 s10, s10, s12
	s_addc_u32 s11, s11, s13
	s_mul_i32 s11, s11, s20
	s_mul_hi_u32 s12, s10, s20
	s_add_i32 s12, s12, s11
	s_mul_i32 s13, s10, s20
	s_lshl_b64 s[10:11], s[2:3], 2
	s_add_u32 s3, s13, s10
	s_addc_u32 s10, s12, s11
	s_add_u32 s6, s6, s3
	s_addc_u32 s7, s7, s10
	s_lshl_b64 s[10:11], s[20:21], 2
	v_mov_b32_e32 v1, 0
.LBB618_12:                             ; =>This Inner Loop Header: Depth=1
	s_add_i32 s14, s14, -1
	global_store_dword v1, v1, s[6:7]
	s_add_u32 s6, s6, s10
	s_addc_u32 s7, s7, s11
	s_cmp_eq_u32 s14, 0
	s_cbranch_scc0 .LBB618_12
.LBB618_13:
	s_or_b64 exec, exec, s[8:9]
	s_mov_b64 s[8:9], 0
.LBB618_14:
	s_andn2_b64 vcc, exec, s[8:9]
	s_cbranch_vccnz .LBB618_88
; %bb.15:
	s_load_dword s22, s[0:1], 0x28
	s_load_dword s21, s[0:1], 0x48
	s_lshl_b32 s0, s2, 10
	v_lshl_or_b32 v2, v0, 2, s0
	s_lshr_b32 s0, s23, 30
	s_add_i32 s0, s19, s0
	s_and_b32 s3, s0, -4
	s_ashr_i32 s0, s18, 31
	s_lshr_b32 s0, s0, 30
	s_add_i32 s0, s18, s0
	s_and_b32 s0, s0, -4
	v_ashrrev_i32_e32 v3, 31, v2
	s_sub_i32 s42, s18, s0
	v_lshl_add_u64 v[6:7], v[2:3], 1, s[4:5]
	s_cmp_lt_i32 s3, 1
	v_add_u32_e32 v27, 4, v2
	v_add_u32_e32 v28, s42, v2
	v_and_b32_e32 v1, 63, v0
	v_cmp_gt_u32_e64 s[0:1], 64, v0
	v_mbcnt_lo_u32_b32 v26, -1, 0
	v_cmp_gt_u32_e64 s[4:5], 4, v0
	v_lshrrev_b32_e32 v9, 4, v0
	v_cmp_eq_u32_e64 s[6:7], 0, v0
	s_waitcnt lgkmcnt(0)
	v_mul_lo_u32 v8, v2, s21
	s_cbranch_scc1 .LBB618_63
; %bb.16:
	v_mbcnt_hi_u32_b32 v3, -1, v26
	v_and_b32_e32 v4, 63, v3
	v_cmp_gt_u32_e32 vcc, 32, v4
	v_mul_lo_u32 v10, v2, s21
	v_add_u32_e32 v2, s21, v10
	v_cndmask_b32_e64 v5, 0, 1, vcc
	v_lshlrev_b32_e32 v5, 5, v5
	v_cmp_gt_u32_e32 vcc, 48, v4
	v_add_lshl_u32 v29, v5, v3, 2
	s_mov_b32 s25, 0
	v_cndmask_b32_e64 v5, 0, 1, vcc
	v_lshlrev_b32_e32 v5, 4, v5
	v_cmp_gt_u32_e32 vcc, 56, v4
	v_add_lshl_u32 v30, v5, v3, 2
	s_cmp_gt_i32 s42, 0
	v_cndmask_b32_e64 v5, 0, 1, vcc
	v_lshlrev_b32_e32 v5, 3, v5
	v_cmp_gt_u32_e32 vcc, 60, v4
	v_add_lshl_u32 v31, v5, v3, 2
	s_cselect_b64 s[26:27], -1, 0
	v_cndmask_b32_e64 v5, 0, 1, vcc
	v_lshlrev_b32_e32 v5, 2, v5
	v_cmp_gt_u32_e32 vcc, 62, v4
	v_add_lshl_u32 v32, v5, v3, 2
	v_ashrrev_i32_e32 v11, 31, v10
	v_cndmask_b32_e64 v5, 0, 1, vcc
	v_lshlrev_b32_e32 v5, 1, v5
	v_cmp_ne_u32_e32 vcc, 63, v4
	v_add_lshl_u32 v33, v5, v3, 2
	s_mov_b32 s23, s25
	v_addc_co_u32_e32 v3, vcc, 0, v3, vcc
	v_lshlrev_b32_e32 v34, 2, v3
	v_ashrrev_i32_e32 v3, 31, v2
	v_lshl_add_u64 v[14:15], v[2:3], 1, s[16:17]
	v_add_u32_e32 v2, s21, v2
	v_ashrrev_i32_e32 v3, 31, v2
	v_lshl_add_u64 v[16:17], v[2:3], 1, s[16:17]
	v_add_u32_e32 v2, s21, v2
	v_ashrrev_i32_e32 v3, 31, v2
	s_lshl_b32 s24, s22, 1
	v_cmp_ge_i32_e64 s[8:9], s18, v27
	v_cmp_ge_i32_e64 s[10:11], s18, v28
	v_cmp_eq_u32_e64 s[12:13], 0, v1
	v_lshlrev_b32_e32 v35, 2, v1
	v_and_b32_e32 v36, 12, v9
	v_lshl_add_u64 v[12:13], v[10:11], 1, s[16:17]
	v_lshl_add_u64 v[18:19], v[2:3], 1, s[16:17]
	s_lshl_b32 s45, s22, 2
	s_mul_i32 s46, s22, 3
	s_mov_b32 s47, s25
	v_mov_b32_e32 v11, 0
	s_mov_b32 s28, s25
	s_mov_b64 s[30:31], s[24:25]
	s_mov_b64 s[34:35], s[22:23]
	s_mov_b32 s23, 0
                                        ; implicit-def: $vgpr2_vgpr3_vgpr4_vgpr5
	s_branch .LBB618_18
.LBB618_17:                             ;   in Loop: Header=BB618_18 Depth=1
	s_or_b64 exec, exec, s[14:15]
	s_add_i32 s23, s23, 4
	s_add_u32 s34, s34, s45
	s_addc_u32 s35, s35, 0
	s_add_u32 s30, s30, s45
	s_addc_u32 s31, s31, 0
	s_add_u32 s46, s46, s45
	s_addc_u32 s47, s47, 0
	s_add_i32 s28, s28, s45
	s_cmp_ge_i32 s23, s3
	s_cbranch_scc1 .LBB618_64
.LBB618_18:                             ; =>This Loop Header: Depth=1
                                        ;     Child Loop BB618_49 Depth 2
                                        ;     Child Loop BB618_52 Depth 2
                                        ; implicit-def: $vgpr21
                                        ; implicit-def: $vgpr23
	s_and_saveexec_b64 s[14:15], s[8:9]
	s_xor_b64 s[14:15], exec, s[14:15]
	s_cbranch_execnz .LBB618_45
; %bb.19:                               ;   in Loop: Header=BB618_18 Depth=1
	s_andn2_saveexec_b64 s[36:37], s[14:15]
	s_cbranch_execnz .LBB618_46
.LBB618_20:                             ;   in Loop: Header=BB618_18 Depth=1
	s_or_b64 exec, exec, s[36:37]
	s_and_saveexec_b64 s[14:15], s[0:1]
	s_cbranch_execz .LBB618_22
.LBB618_21:                             ;   in Loop: Header=BB618_18 Depth=1
	ds_write_b32 v35, v11
.LBB618_22:                             ;   in Loop: Header=BB618_18 Depth=1
	s_or_b64 exec, exec, s[14:15]
	ds_bpermute_b32 v24, v29, v22
	s_waitcnt lgkmcnt(0)
	s_barrier
	v_add_f32_e32 v22, v22, v24
	ds_bpermute_b32 v24, v30, v22
	s_waitcnt lgkmcnt(0)
	v_add_f32_e32 v22, v22, v24
	ds_bpermute_b32 v24, v31, v22
	s_waitcnt lgkmcnt(0)
	;; [unrolled: 3-line block ×4, first 2 shown]
	v_add_f32_e32 v22, v22, v24
	ds_bpermute_b32 v24, v34, v22
	s_and_saveexec_b64 s[14:15], s[12:13]
	s_cbranch_execz .LBB618_24
; %bb.23:                               ;   in Loop: Header=BB618_18 Depth=1
	s_waitcnt lgkmcnt(0)
	v_add_f32_e32 v22, v22, v24
	ds_write_b32 v36, v22
.LBB618_24:                             ;   in Loop: Header=BB618_18 Depth=1
	s_or_b64 exec, exec, s[14:15]
	v_mov_b32_e32 v22, 0
	s_waitcnt lgkmcnt(0)
	s_barrier
	s_and_saveexec_b64 s[14:15], s[4:5]
	s_cbranch_execnz .LBB618_54
; %bb.25:                               ;   in Loop: Header=BB618_18 Depth=1
	s_or_b64 exec, exec, s[14:15]
	s_and_saveexec_b64 s[14:15], s[0:1]
	s_cbranch_execnz .LBB618_55
.LBB618_26:                             ;   in Loop: Header=BB618_18 Depth=1
	s_or_b64 exec, exec, s[14:15]
	s_and_saveexec_b64 s[14:15], s[0:1]
	s_cbranch_execz .LBB618_28
.LBB618_27:                             ;   in Loop: Header=BB618_18 Depth=1
	ds_write_b32 v35, v11
.LBB618_28:                             ;   in Loop: Header=BB618_18 Depth=1
	s_or_b64 exec, exec, s[14:15]
	ds_bpermute_b32 v24, v29, v23
	s_waitcnt lgkmcnt(0)
	s_barrier
	v_add_f32_e32 v23, v23, v24
	ds_bpermute_b32 v24, v30, v23
	s_waitcnt lgkmcnt(0)
	v_add_f32_e32 v23, v23, v24
	ds_bpermute_b32 v24, v31, v23
	s_waitcnt lgkmcnt(0)
	;; [unrolled: 3-line block ×4, first 2 shown]
	v_add_f32_e32 v23, v23, v24
	ds_bpermute_b32 v24, v34, v23
	s_and_saveexec_b64 s[14:15], s[12:13]
	s_cbranch_execz .LBB618_30
; %bb.29:                               ;   in Loop: Header=BB618_18 Depth=1
	s_waitcnt lgkmcnt(0)
	v_add_f32_e32 v23, v23, v24
	ds_write_b32 v36, v23
.LBB618_30:                             ;   in Loop: Header=BB618_18 Depth=1
	s_or_b64 exec, exec, s[14:15]
	v_mov_b32_e32 v23, 0
	s_waitcnt lgkmcnt(0)
	s_barrier
	s_and_saveexec_b64 s[14:15], s[4:5]
	s_cbranch_execnz .LBB618_56
; %bb.31:                               ;   in Loop: Header=BB618_18 Depth=1
	s_or_b64 exec, exec, s[14:15]
	s_and_saveexec_b64 s[14:15], s[0:1]
	s_cbranch_execnz .LBB618_57
.LBB618_32:                             ;   in Loop: Header=BB618_18 Depth=1
	s_or_b64 exec, exec, s[14:15]
	s_and_saveexec_b64 s[14:15], s[0:1]
	s_cbranch_execz .LBB618_34
.LBB618_33:                             ;   in Loop: Header=BB618_18 Depth=1
	ds_write_b32 v35, v11
.LBB618_34:                             ;   in Loop: Header=BB618_18 Depth=1
	s_or_b64 exec, exec, s[14:15]
	ds_bpermute_b32 v24, v29, v20
	s_waitcnt lgkmcnt(0)
	s_barrier
	v_add_f32_e32 v20, v20, v24
	ds_bpermute_b32 v24, v30, v20
	s_waitcnt lgkmcnt(0)
	v_add_f32_e32 v20, v20, v24
	ds_bpermute_b32 v24, v31, v20
	s_waitcnt lgkmcnt(0)
	;; [unrolled: 3-line block ×4, first 2 shown]
	v_add_f32_e32 v20, v20, v24
	ds_bpermute_b32 v24, v34, v20
	s_and_saveexec_b64 s[14:15], s[12:13]
	s_cbranch_execz .LBB618_36
; %bb.35:                               ;   in Loop: Header=BB618_18 Depth=1
	s_waitcnt lgkmcnt(0)
	v_add_f32_e32 v20, v20, v24
	ds_write_b32 v36, v20
.LBB618_36:                             ;   in Loop: Header=BB618_18 Depth=1
	s_or_b64 exec, exec, s[14:15]
	v_mov_b32_e32 v20, 0
	s_waitcnt lgkmcnt(0)
	s_barrier
	s_and_saveexec_b64 s[14:15], s[4:5]
	s_cbranch_execnz .LBB618_58
; %bb.37:                               ;   in Loop: Header=BB618_18 Depth=1
	s_or_b64 exec, exec, s[14:15]
	s_and_saveexec_b64 s[14:15], s[0:1]
	s_cbranch_execnz .LBB618_59
.LBB618_38:                             ;   in Loop: Header=BB618_18 Depth=1
	s_or_b64 exec, exec, s[14:15]
	s_and_saveexec_b64 s[14:15], s[0:1]
	s_cbranch_execz .LBB618_40
.LBB618_39:                             ;   in Loop: Header=BB618_18 Depth=1
	ds_write_b32 v35, v11
.LBB618_40:                             ;   in Loop: Header=BB618_18 Depth=1
	s_or_b64 exec, exec, s[14:15]
	ds_bpermute_b32 v24, v29, v21
	s_waitcnt lgkmcnt(0)
	s_barrier
	v_add_f32_e32 v21, v21, v24
	ds_bpermute_b32 v24, v30, v21
	s_waitcnt lgkmcnt(0)
	v_add_f32_e32 v21, v21, v24
	ds_bpermute_b32 v24, v31, v21
	s_waitcnt lgkmcnt(0)
	;; [unrolled: 3-line block ×4, first 2 shown]
	v_add_f32_e32 v21, v21, v24
	ds_bpermute_b32 v24, v34, v21
	s_and_saveexec_b64 s[14:15], s[12:13]
	s_cbranch_execz .LBB618_42
; %bb.41:                               ;   in Loop: Header=BB618_18 Depth=1
	s_waitcnt lgkmcnt(0)
	v_add_f32_e32 v21, v21, v24
	ds_write_b32 v36, v21
.LBB618_42:                             ;   in Loop: Header=BB618_18 Depth=1
	s_or_b64 exec, exec, s[14:15]
	v_mov_b32_e32 v21, 0
	s_waitcnt lgkmcnt(0)
	s_barrier
	s_and_saveexec_b64 s[14:15], s[4:5]
	s_cbranch_execnz .LBB618_60
; %bb.43:                               ;   in Loop: Header=BB618_18 Depth=1
	s_or_b64 exec, exec, s[14:15]
	s_and_saveexec_b64 s[14:15], s[0:1]
	s_cbranch_execnz .LBB618_61
.LBB618_44:                             ;   in Loop: Header=BB618_18 Depth=1
	s_or_b64 exec, exec, s[14:15]
	s_and_saveexec_b64 s[14:15], s[6:7]
	s_cbranch_execz .LBB618_17
	s_branch .LBB618_62
.LBB618_45:                             ;   in Loop: Header=BB618_18 Depth=1
	s_mul_i32 s36, s23, s22
	s_ashr_i32 s37, s36, 31
	v_lshl_add_u64 v[2:3], s[36:37], 1, v[6:7]
	s_add_i32 s36, s36, s22
	s_ashr_i32 s37, s36, 31
	flat_load_ushort v4, v[12:13]
	flat_load_ushort v5, v[14:15]
	;; [unrolled: 1-line block ×4, first 2 shown]
	s_waitcnt lgkmcnt(0)
	flat_load_dwordx2 v[20:21], v[2:3]
	v_lshl_add_u64 v[2:3], s[36:37], 1, v[6:7]
	s_add_i32 s36, s36, s22
	s_ashr_i32 s37, s36, 31
	flat_load_dwordx2 v[22:23], v[2:3]
	v_lshl_add_u64 v[2:3], s[36:37], 1, v[6:7]
	s_add_i32 s36, s36, s22
	s_ashr_i32 s37, s36, 31
	flat_load_dwordx2 v[24:25], v[2:3]
	v_lshl_add_u64 v[2:3], s[36:37], 1, v[6:7]
	flat_load_dwordx2 v[38:39], v[2:3]
	s_waitcnt vmcnt(0) lgkmcnt(0)
	v_lshlrev_b32_e32 v2, 16, v4
	v_lshlrev_b32_e32 v41, 16, v5
	v_lshlrev_b32_e32 v42, 16, v37
	v_lshlrev_b32_e32 v45, 16, v40
	v_lshlrev_b32_e32 v52, 16, v21
	v_and_b32_e32 v54, 0xffff0000, v21
	v_mov_b32_e32 v46, v41
	v_lshlrev_b32_e32 v50, 16, v20
	v_lshlrev_b32_e32 v51, 16, v22
	v_and_b32_e32 v21, 0xffff0000, v22
	v_lshlrev_b32_e32 v53, 16, v23
	v_and_b32_e32 v55, 0xffff0000, v23
	;; [unrolled: 2-line block ×3, first 2 shown]
	v_and_b32_e32 v3, 0xffff0000, v38
	v_lshlrev_b32_e32 v40, 16, v38
	v_and_b32_e32 v43, 0xffff0000, v39
	v_lshlrev_b32_e32 v44, 16, v39
	v_pk_mul_f32 v[58:59], v[40:41], v[2:3]
	v_lshlrev_b32_e32 v37, 16, v25
	v_and_b32_e32 v25, 0xffff0000, v25
	v_mul_f32_e32 v22, v2, v22
	v_mul_f32_e32 v24, v41, v23
	v_mov_b32_e32 v3, v41
	v_pk_mul_f32 v[40:41], v[44:45], v[42:43]
	v_mov_b32_e32 v23, v58
	v_and_b32_e32 v20, 0xffff0000, v20
	v_mul_f32_e32 v56, v45, v25
	v_mov_b32_e32 v25, v59
	v_mov_b32_e32 v39, v40
	;; [unrolled: 1-line block ×3, first 2 shown]
	v_pk_fma_f32 v[40:41], v[2:3], v[50:51], 0 op_sel_hi:[0,1,0]
	v_pk_add_f32 v[22:23], v[22:23], 0 op_sel_hi:[1,0]
	v_mul_f32_e32 v38, v42, v37
	v_pk_fma_f32 v[20:21], v[46:47], v[20:21], v[40:41] op_sel_hi:[0,1,1]
	v_pk_add_f32 v[22:23], v[22:23], v[24:25]
	v_mov_b32_e32 v48, v45
	v_pk_fma_f32 v[24:25], v[42:43], v[52:53], v[20:21] op_sel_hi:[0,1,1]
	v_pk_add_f32 v[20:21], v[22:23], v[38:39]
	v_mov_b32_e32 v4, v42
	v_mov_b32_e32 v5, v45
	v_pk_add_f32 v[20:21], v[20:21], v[56:57]
	v_pk_fma_f32 v[22:23], v[48:49], v[54:55], v[24:25] op_sel_hi:[0,1,1]
	s_andn2_saveexec_b64 s[36:37], s[14:15]
	s_cbranch_execz .LBB618_20
.LBB618_46:                             ;   in Loop: Header=BB618_18 Depth=1
	s_waitcnt lgkmcnt(0)
	v_mov_b32_e32 v21, 0
	v_mov_b32_e32 v20, 0
	;; [unrolled: 1-line block ×4, first 2 shown]
	s_and_saveexec_b64 s[38:39], s[10:11]
	s_cbranch_execz .LBB618_53
; %bb.47:                               ;   in Loop: Header=BB618_18 Depth=1
	v_cndmask_b32_e64 v20, 0, 1, s[26:27]
	v_cmp_ne_u32_e64 s[14:15], 1, v20
	s_andn2_b64 vcc, exec, s[26:27]
	s_cbranch_vccnz .LBB618_50
; %bb.48:                               ;   in Loop: Header=BB618_18 Depth=1
	s_mov_b64 s[40:41], 0
	v_mov_b32_e32 v20, v10
.LBB618_49:                             ;   Parent Loop BB618_18 Depth=1
                                        ; =>  This Inner Loop Header: Depth=2
	v_ashrrev_i32_e32 v21, 31, v20
	v_lshl_add_u64 v[22:23], v[20:21], 1, s[16:17]
	flat_load_ushort v21, v[22:23]
	s_cmp_eq_u32 s40, 3
	s_cselect_b64 vcc, -1, 0
	s_cmp_eq_u32 s40, 2
	v_add_u32_e32 v20, s21, v20
	s_waitcnt vmcnt(0) lgkmcnt(0)
	v_lshlrev_b32_e32 v21, 16, v21
	v_cndmask_b32_e32 v5, v5, v21, vcc
	s_cselect_b64 vcc, -1, 0
	s_cmp_eq_u32 s40, 1
	v_cndmask_b32_e32 v4, v4, v21, vcc
	s_cselect_b64 vcc, -1, 0
	s_cmp_eq_u32 s40, 0
	v_cndmask_b32_e32 v3, v3, v21, vcc
	s_cselect_b64 vcc, -1, 0
	s_add_u32 s40, s40, 1
	s_addc_u32 s41, s41, 0
	s_cmp_eq_u32 s42, s40
	v_cndmask_b32_e32 v2, v2, v21, vcc
	s_cbranch_scc0 .LBB618_49
.LBB618_50:                             ;   in Loop: Header=BB618_18 Depth=1
	v_mov_b32_e32 v21, 0
	s_and_b64 vcc, exec, s[14:15]
	v_mov_b32_e32 v20, v21
	v_mov_b32_e32 v23, v21
	v_mov_b32_e32 v22, v21
	s_cbranch_vccnz .LBB618_53
; %bb.51:                               ;   in Loop: Header=BB618_18 Depth=1
	s_ashr_i32 s29, s28, 31
	v_mov_b32_e32 v22, 0
	v_lshl_add_u64 v[24:25], s[28:29], 1, v[6:7]
	s_mov_b64 s[14:15], 0
	v_mov_b32_e32 v23, v22
	v_mov_b32_e32 v20, v22
	;; [unrolled: 1-line block ×3, first 2 shown]
.LBB618_52:                             ;   Parent Loop BB618_18 Depth=1
                                        ; =>  This Inner Loop Header: Depth=2
	s_cmp_eq_u32 s14, 1
	s_cselect_b64 vcc, -1, 0
	s_cmp_eq_u32 s14, 2
	v_cndmask_b32_e32 v38, v2, v3, vcc
	s_cselect_b64 vcc, -1, 0
	s_cmp_eq_u32 s14, 3
	v_cndmask_b32_e32 v44, v38, v4, vcc
	s_cselect_b64 vcc, -1, 0
	s_add_i32 s40, s34, s14
	s_add_i32 s48, s30, s14
	;; [unrolled: 1-line block ×3, first 2 shown]
	s_ashr_i32 s41, s40, 31
	s_ashr_i32 s49, s48, 31
	;; [unrolled: 1-line block ×3, first 2 shown]
	v_lshl_add_u64 v[38:39], s[40:41], 1, v[6:7]
	flat_load_ushort v37, v[24:25]
	v_lshl_add_u64 v[40:41], s[48:49], 1, v[6:7]
	v_lshl_add_u64 v[42:43], s[50:51], 1, v[6:7]
	flat_load_ushort v39, v[38:39]
	s_nop 0
	flat_load_ushort v45, v[42:43]
	flat_load_ushort v46, v[40:41]
	s_add_u32 s14, s14, 1
	v_cndmask_b32_e32 v38, v44, v5, vcc
	s_addc_u32 s15, s15, 0
	v_lshl_add_u64 v[24:25], v[24:25], 0, 2
	s_cmp_lg_u32 s42, s14
	s_waitcnt vmcnt(0) lgkmcnt(0)
	v_lshlrev_b32_e32 v40, 16, v37
	v_lshlrev_b32_e32 v41, 16, v39
	;; [unrolled: 1-line block ×4, first 2 shown]
	v_pk_fma_f32 v[22:23], v[38:39], v[40:41], v[22:23] op_sel_hi:[0,1,1]
	v_pk_fma_f32 v[20:21], v[38:39], v[42:43], v[20:21] op_sel_hi:[0,1,1]
	s_cbranch_scc1 .LBB618_52
.LBB618_53:                             ;   in Loop: Header=BB618_18 Depth=1
	s_or_b64 exec, exec, s[38:39]
	s_or_b64 exec, exec, s[36:37]
	s_and_saveexec_b64 s[14:15], s[0:1]
	s_cbranch_execnz .LBB618_21
	s_branch .LBB618_22
.LBB618_54:                             ;   in Loop: Header=BB618_18 Depth=1
	ds_read_b32 v22, v35
	s_or_b64 exec, exec, s[14:15]
	s_and_saveexec_b64 s[14:15], s[0:1]
	s_cbranch_execz .LBB618_26
.LBB618_55:                             ;   in Loop: Header=BB618_18 Depth=1
	s_waitcnt lgkmcnt(0)
	ds_bpermute_b32 v24, v33, v22
	s_waitcnt lgkmcnt(0)
	v_add_f32_e32 v22, v22, v24
	ds_bpermute_b32 v24, v34, v22
	s_waitcnt lgkmcnt(0)
	v_add_f32_e32 v22, v22, v24
	s_or_b64 exec, exec, s[14:15]
	s_and_saveexec_b64 s[14:15], s[0:1]
	s_cbranch_execnz .LBB618_27
	s_branch .LBB618_28
.LBB618_56:                             ;   in Loop: Header=BB618_18 Depth=1
	ds_read_b32 v23, v35
	s_or_b64 exec, exec, s[14:15]
	s_and_saveexec_b64 s[14:15], s[0:1]
	s_cbranch_execz .LBB618_32
.LBB618_57:                             ;   in Loop: Header=BB618_18 Depth=1
	s_waitcnt lgkmcnt(0)
	ds_bpermute_b32 v24, v33, v23
	s_waitcnt lgkmcnt(0)
	v_add_f32_e32 v23, v23, v24
	ds_bpermute_b32 v24, v34, v23
	s_waitcnt lgkmcnt(0)
	v_add_f32_e32 v23, v23, v24
	s_or_b64 exec, exec, s[14:15]
	s_and_saveexec_b64 s[14:15], s[0:1]
	s_cbranch_execnz .LBB618_33
	s_branch .LBB618_34
.LBB618_58:                             ;   in Loop: Header=BB618_18 Depth=1
	ds_read_b32 v20, v35
	s_or_b64 exec, exec, s[14:15]
	s_and_saveexec_b64 s[14:15], s[0:1]
	s_cbranch_execz .LBB618_38
.LBB618_59:                             ;   in Loop: Header=BB618_18 Depth=1
	s_waitcnt lgkmcnt(0)
	ds_bpermute_b32 v24, v33, v20
	s_waitcnt lgkmcnt(0)
	v_add_f32_e32 v20, v20, v24
	ds_bpermute_b32 v24, v34, v20
	s_waitcnt lgkmcnt(0)
	v_add_f32_e32 v20, v20, v24
	s_or_b64 exec, exec, s[14:15]
	s_and_saveexec_b64 s[14:15], s[0:1]
	s_cbranch_execnz .LBB618_39
	s_branch .LBB618_40
.LBB618_60:                             ;   in Loop: Header=BB618_18 Depth=1
	ds_read_b32 v21, v35
	s_or_b64 exec, exec, s[14:15]
	s_and_saveexec_b64 s[14:15], s[0:1]
	s_cbranch_execz .LBB618_44
.LBB618_61:                             ;   in Loop: Header=BB618_18 Depth=1
	s_waitcnt lgkmcnt(0)
	ds_bpermute_b32 v24, v33, v21
	s_waitcnt lgkmcnt(0)
	v_add_f32_e32 v21, v21, v24
	ds_bpermute_b32 v24, v34, v21
	s_waitcnt lgkmcnt(0)
	v_add_f32_e32 v21, v21, v24
	s_or_b64 exec, exec, s[14:15]
	s_and_saveexec_b64 s[14:15], s[6:7]
	s_cbranch_execz .LBB618_17
.LBB618_62:                             ;   in Loop: Header=BB618_18 Depth=1
	s_mul_i32 s24, s23, s20
	s_add_i32 s24, s24, s2
	s_lshl_b64 s[36:37], s[24:25], 2
	s_add_u32 s36, s43, s36
	v_mul_f32_e32 v22, s33, v22
	s_addc_u32 s37, s44, s37
	s_add_i32 s24, s24, s20
	global_store_dword v11, v22, s[36:37]
	s_lshl_b64 s[36:37], s[24:25], 2
	s_add_u32 s36, s43, s36
	v_mul_f32_e32 v22, s33, v23
	s_addc_u32 s37, s44, s37
	s_add_i32 s24, s24, s20
	global_store_dword v11, v22, s[36:37]
	;; [unrolled: 6-line block ×3, first 2 shown]
	s_lshl_b64 s[36:37], s[24:25], 2
	s_add_u32 s36, s43, s36
	s_waitcnt lgkmcnt(0)
	v_mul_f32_e32 v20, s33, v21
	s_addc_u32 s37, s44, s37
	global_store_dword v11, v20, s[36:37]
	s_branch .LBB618_17
.LBB618_63:
	s_mov_b32 s23, 0
                                        ; implicit-def: $vgpr2_vgpr3_vgpr4_vgpr5
.LBB618_64:
	s_cmp_ge_i32 s23, s19
	s_cbranch_scc1 .LBB618_88
; %bb.65:
	v_mbcnt_hi_u32_b32 v10, -1, v26
	v_and_b32_e32 v11, 63, v10
	v_cmp_gt_u32_e32 vcc, 32, v11
	v_add_u32_e32 v14, s21, v8
	v_add_u32_e32 v16, s21, v14
	v_cndmask_b32_e64 v12, 0, 1, vcc
	v_lshlrev_b32_e32 v12, 5, v12
	v_cmp_gt_u32_e32 vcc, 48, v11
	s_waitcnt lgkmcnt(0)
	v_add_lshl_u32 v21, v12, v10, 2
	s_mov_b32 s3, 0
	v_cndmask_b32_e64 v12, 0, 1, vcc
	v_lshlrev_b32_e32 v12, 4, v12
	v_cmp_gt_u32_e32 vcc, 56, v11
	v_add_lshl_u32 v22, v12, v10, 2
	s_cmp_gt_i32 s42, 0
	v_cndmask_b32_e64 v12, 0, 1, vcc
	v_lshlrev_b32_e32 v12, 3, v12
	v_cmp_gt_u32_e32 vcc, 60, v11
	v_add_lshl_u32 v23, v12, v10, 2
	v_ashrrev_i32_e32 v15, 31, v14
	v_cndmask_b32_e64 v12, 0, 1, vcc
	v_lshlrev_b32_e32 v12, 2, v12
	v_cmp_gt_u32_e32 vcc, 62, v11
	v_add_lshl_u32 v24, v12, v10, 2
	v_ashrrev_i32_e32 v17, 31, v16
	v_cndmask_b32_e64 v12, 0, 1, vcc
	v_lshlrev_b32_e32 v12, 1, v12
	s_cselect_b64 s[24:25], -1, 0
	v_add_lshl_u32 v25, v12, v10, 2
	v_cmp_ne_u32_e32 vcc, 63, v11
	s_lshl_b64 s[14:15], s[2:3], 2
	v_lshl_add_u64 v[12:13], v[14:15], 1, s[16:17]
	v_lshl_add_u64 v[14:15], v[16:17], 1, s[16:17]
	v_add_u32_e32 v16, s21, v16
	v_lshlrev_b32_e32 v20, 2, v1
	v_addc_co_u32_e32 v10, vcc, 0, v10, vcc
	v_cmp_eq_u32_e64 s[8:9], 0, v1
	v_and_b32_e32 v1, 12, v9
	s_add_u32 s2, s43, s14
	v_ashrrev_i32_e32 v9, 31, v8
	v_ashrrev_i32_e32 v17, 31, v16
	v_cmp_ge_i32_e64 s[0:1], s18, v27
	v_cmp_ge_i32_e64 s[4:5], s18, v28
	v_cmp_gt_u32_e64 s[6:7], 64, v0
	v_lshlrev_b32_e32 v26, 2, v10
	v_cmp_gt_u32_e64 s[10:11], 4, v0
	v_cmp_eq_u32_e64 s[12:13], 0, v0
	s_addc_u32 s18, s44, s15
	v_lshl_add_u64 v[10:11], v[8:9], 1, s[16:17]
	v_lshl_add_u64 v[16:17], v[16:17], 1, s[16:17]
	s_mul_i32 s26, s23, s22
	v_mov_b32_e32 v9, 0
	s_branch .LBB618_67
.LBB618_66:                             ;   in Loop: Header=BB618_67 Depth=1
	s_or_b64 exec, exec, s[14:15]
	s_add_i32 s23, s23, 1
	s_add_i32 s26, s26, s22
	s_cmp_ge_i32 s23, s19
	s_cbranch_scc1 .LBB618_88
.LBB618_67:                             ; =>This Loop Header: Depth=1
                                        ;     Child Loop BB618_80 Depth 2
                                        ;     Child Loop BB618_83 Depth 2
	s_waitcnt lgkmcnt(0)
	v_mov_b32_e32 v0, s3
	s_and_saveexec_b64 s[14:15], s[0:1]
	s_xor_b64 s[14:15], exec, s[14:15]
	s_cbranch_execnz .LBB618_76
; %bb.68:                               ;   in Loop: Header=BB618_67 Depth=1
	s_andn2_saveexec_b64 s[28:29], s[14:15]
	s_cbranch_execnz .LBB618_77
.LBB618_69:                             ;   in Loop: Header=BB618_67 Depth=1
	s_or_b64 exec, exec, s[28:29]
	s_and_saveexec_b64 s[14:15], s[6:7]
	s_cbranch_execz .LBB618_71
.LBB618_70:                             ;   in Loop: Header=BB618_67 Depth=1
	ds_write_b32 v20, v9
.LBB618_71:                             ;   in Loop: Header=BB618_67 Depth=1
	s_or_b64 exec, exec, s[14:15]
	ds_bpermute_b32 v18, v21, v0
	s_waitcnt lgkmcnt(0)
	s_barrier
	v_add_f32_e32 v0, v0, v18
	ds_bpermute_b32 v18, v22, v0
	s_waitcnt lgkmcnt(0)
	v_add_f32_e32 v0, v0, v18
	ds_bpermute_b32 v18, v23, v0
	s_waitcnt lgkmcnt(0)
	;; [unrolled: 3-line block ×4, first 2 shown]
	v_add_f32_e32 v0, v0, v18
	ds_bpermute_b32 v18, v26, v0
	s_and_saveexec_b64 s[14:15], s[8:9]
	s_cbranch_execz .LBB618_73
; %bb.72:                               ;   in Loop: Header=BB618_67 Depth=1
	s_waitcnt lgkmcnt(0)
	v_add_f32_e32 v0, v0, v18
	ds_write_b32 v1, v0
.LBB618_73:                             ;   in Loop: Header=BB618_67 Depth=1
	s_or_b64 exec, exec, s[14:15]
	v_mov_b32_e32 v0, 0
	s_waitcnt lgkmcnt(0)
	s_barrier
	s_and_saveexec_b64 s[14:15], s[10:11]
	s_cbranch_execnz .LBB618_85
; %bb.74:                               ;   in Loop: Header=BB618_67 Depth=1
	s_or_b64 exec, exec, s[14:15]
	s_and_saveexec_b64 s[14:15], s[6:7]
	s_cbranch_execnz .LBB618_86
.LBB618_75:                             ;   in Loop: Header=BB618_67 Depth=1
	s_or_b64 exec, exec, s[14:15]
	s_and_saveexec_b64 s[14:15], s[12:13]
	s_cbranch_execz .LBB618_66
	s_branch .LBB618_87
.LBB618_76:                             ;   in Loop: Header=BB618_67 Depth=1
	s_mul_i32 s28, s23, s22
	s_ashr_i32 s29, s28, 31
	v_lshl_add_u64 v[2:3], s[28:29], 1, v[6:7]
	flat_load_ushort v0, v[10:11]
	flat_load_ushort v4, v[12:13]
	;; [unrolled: 1-line block ×4, first 2 shown]
	flat_load_dwordx2 v[18:19], v[2:3]
	s_waitcnt vmcnt(0) lgkmcnt(0)
	v_lshlrev_b32_e32 v2, 16, v0
	v_lshlrev_b32_e32 v3, 16, v4
	;; [unrolled: 1-line block ×4, first 2 shown]
	v_and_b32_e32 v29, 0xffff0000, v18
	v_lshlrev_b32_e32 v28, 16, v18
	v_and_b32_e32 v31, 0xffff0000, v19
	v_lshlrev_b32_e32 v30, 16, v19
	v_pk_mul_f32 v[18:19], v[2:3], v[28:29]
	s_nop 0
	v_add_f32_e32 v0, 0, v18
	v_add_f32_e32 v0, v0, v19
	v_pk_mul_f32 v[18:19], v[4:5], v[30:31]
	s_nop 0
	v_add_f32_e32 v0, v0, v18
	v_add_f32_e32 v0, v0, v19
	s_andn2_saveexec_b64 s[28:29], s[14:15]
	s_cbranch_execz .LBB618_69
.LBB618_77:                             ;   in Loop: Header=BB618_67 Depth=1
	s_and_saveexec_b64 s[30:31], s[4:5]
	s_cbranch_execz .LBB618_84
; %bb.78:                               ;   in Loop: Header=BB618_67 Depth=1
	v_cndmask_b32_e64 v18, 0, 1, s[24:25]
	v_cmp_ne_u32_e64 s[14:15], 1, v18
	s_andn2_b64 vcc, exec, s[24:25]
	s_cbranch_vccnz .LBB618_81
; %bb.79:                               ;   in Loop: Header=BB618_67 Depth=1
	s_mov_b64 s[34:35], 0
	v_mov_b32_e32 v18, v8
.LBB618_80:                             ;   Parent Loop BB618_67 Depth=1
                                        ; =>  This Inner Loop Header: Depth=2
	v_ashrrev_i32_e32 v19, 31, v18
	v_lshl_add_u64 v[28:29], v[18:19], 1, s[16:17]
	flat_load_ushort v19, v[28:29]
	s_cmp_eq_u32 s34, 3
	s_cselect_b64 vcc, -1, 0
	s_cmp_eq_u32 s34, 2
	v_add_u32_e32 v18, s21, v18
	s_waitcnt vmcnt(0) lgkmcnt(0)
	v_lshlrev_b32_e32 v19, 16, v19
	v_cndmask_b32_e32 v5, v5, v19, vcc
	s_cselect_b64 vcc, -1, 0
	s_cmp_eq_u32 s34, 1
	v_cndmask_b32_e32 v4, v4, v19, vcc
	s_cselect_b64 vcc, -1, 0
	s_cmp_eq_u32 s34, 0
	v_cndmask_b32_e32 v3, v3, v19, vcc
	s_cselect_b64 vcc, -1, 0
	s_add_u32 s34, s34, 1
	s_addc_u32 s35, s35, 0
	s_cmp_eq_u32 s42, s34
	v_cndmask_b32_e32 v2, v2, v19, vcc
	s_cbranch_scc0 .LBB618_80
.LBB618_81:                             ;   in Loop: Header=BB618_67 Depth=1
	s_and_b64 vcc, exec, s[14:15]
	s_cbranch_vccnz .LBB618_84
; %bb.82:                               ;   in Loop: Header=BB618_67 Depth=1
	s_ashr_i32 s27, s26, 31
	v_lshl_add_u64 v[18:19], s[26:27], 1, v[6:7]
	s_mov_b64 s[14:15], 0
.LBB618_83:                             ;   Parent Loop BB618_67 Depth=1
                                        ; =>  This Inner Loop Header: Depth=2
	flat_load_ushort v27, v[18:19]
	s_cmp_eq_u32 s14, 1
	s_cselect_b64 vcc, -1, 0
	s_cmp_eq_u32 s14, 2
	v_cndmask_b32_e32 v28, v2, v3, vcc
	s_cselect_b64 vcc, -1, 0
	s_cmp_eq_u32 s14, 3
	v_cndmask_b32_e32 v28, v28, v4, vcc
	s_cselect_b64 vcc, -1, 0
	s_add_u32 s14, s14, 1
	v_cndmask_b32_e32 v28, v28, v5, vcc
	s_addc_u32 s15, s15, 0
	v_lshl_add_u64 v[18:19], v[18:19], 0, 2
	s_cmp_lg_u32 s42, s14
	s_waitcnt vmcnt(0) lgkmcnt(0)
	v_lshlrev_b32_e32 v27, 16, v27
	v_fmac_f32_e32 v0, v28, v27
	s_cbranch_scc1 .LBB618_83
.LBB618_84:                             ;   in Loop: Header=BB618_67 Depth=1
	s_or_b64 exec, exec, s[30:31]
	s_or_b64 exec, exec, s[28:29]
	s_and_saveexec_b64 s[14:15], s[6:7]
	s_cbranch_execnz .LBB618_70
	s_branch .LBB618_71
.LBB618_85:                             ;   in Loop: Header=BB618_67 Depth=1
	ds_read_b32 v0, v20
	s_or_b64 exec, exec, s[14:15]
	s_and_saveexec_b64 s[14:15], s[6:7]
	s_cbranch_execz .LBB618_75
.LBB618_86:                             ;   in Loop: Header=BB618_67 Depth=1
	s_waitcnt lgkmcnt(0)
	ds_bpermute_b32 v18, v25, v0
	s_waitcnt lgkmcnt(0)
	v_add_f32_e32 v0, v0, v18
	ds_bpermute_b32 v18, v26, v0
	s_waitcnt lgkmcnt(0)
	v_add_f32_e32 v0, v0, v18
	s_or_b64 exec, exec, s[14:15]
	s_and_saveexec_b64 s[14:15], s[12:13]
	s_cbranch_execz .LBB618_66
.LBB618_87:                             ;   in Loop: Header=BB618_67 Depth=1
	s_mul_hi_u32 s29, s23, s20
	s_mul_i32 s28, s23, s20
	s_lshl_b64 s[28:29], s[28:29], 2
	s_add_u32 s28, s2, s28
	s_waitcnt lgkmcnt(0)
	v_mul_f32_e32 v0, s33, v0
	s_addc_u32 s29, s18, s29
	global_store_dword v9, v0, s[28:29]
	s_branch .LBB618_66
.LBB618_88:
	s_endpgm
	.section	.rodata,"a",@progbits
	.p2align	6, 0x0
	.amdhsa_kernel _ZL23rocblas_gemvt_sn_kernelILb1ELi256ELi4EiPK16rocblas_bfloat16PKffEviiT4_lPKT3_lilS8_lilPT5_i
		.amdhsa_group_segment_fixed_size 256
		.amdhsa_private_segment_fixed_size 0
		.amdhsa_kernarg_size 360
		.amdhsa_user_sgpr_count 2
		.amdhsa_user_sgpr_dispatch_ptr 0
		.amdhsa_user_sgpr_queue_ptr 0
		.amdhsa_user_sgpr_kernarg_segment_ptr 1
		.amdhsa_user_sgpr_dispatch_id 0
		.amdhsa_user_sgpr_kernarg_preload_length 0
		.amdhsa_user_sgpr_kernarg_preload_offset 0
		.amdhsa_user_sgpr_private_segment_size 0
		.amdhsa_uses_dynamic_stack 0
		.amdhsa_enable_private_segment 0
		.amdhsa_system_sgpr_workgroup_id_x 1
		.amdhsa_system_sgpr_workgroup_id_y 0
		.amdhsa_system_sgpr_workgroup_id_z 1
		.amdhsa_system_sgpr_workgroup_info 0
		.amdhsa_system_vgpr_workitem_id 0
		.amdhsa_next_free_vgpr 60
		.amdhsa_next_free_sgpr 52
		.amdhsa_accum_offset 60
		.amdhsa_reserve_vcc 1
		.amdhsa_float_round_mode_32 0
		.amdhsa_float_round_mode_16_64 0
		.amdhsa_float_denorm_mode_32 3
		.amdhsa_float_denorm_mode_16_64 3
		.amdhsa_dx10_clamp 1
		.amdhsa_ieee_mode 1
		.amdhsa_fp16_overflow 0
		.amdhsa_tg_split 0
		.amdhsa_exception_fp_ieee_invalid_op 0
		.amdhsa_exception_fp_denorm_src 0
		.amdhsa_exception_fp_ieee_div_zero 0
		.amdhsa_exception_fp_ieee_overflow 0
		.amdhsa_exception_fp_ieee_underflow 0
		.amdhsa_exception_fp_ieee_inexact 0
		.amdhsa_exception_int_div_zero 0
	.end_amdhsa_kernel
	.section	.text._ZL23rocblas_gemvt_sn_kernelILb1ELi256ELi4EiPK16rocblas_bfloat16PKffEviiT4_lPKT3_lilS8_lilPT5_i,"axG",@progbits,_ZL23rocblas_gemvt_sn_kernelILb1ELi256ELi4EiPK16rocblas_bfloat16PKffEviiT4_lPKT3_lilS8_lilPT5_i,comdat
.Lfunc_end618:
	.size	_ZL23rocblas_gemvt_sn_kernelILb1ELi256ELi4EiPK16rocblas_bfloat16PKffEviiT4_lPKT3_lilS8_lilPT5_i, .Lfunc_end618-_ZL23rocblas_gemvt_sn_kernelILb1ELi256ELi4EiPK16rocblas_bfloat16PKffEviiT4_lPKT3_lilS8_lilPT5_i
                                        ; -- End function
	.section	.AMDGPU.csdata,"",@progbits
; Kernel info:
; codeLenInByte = 4032
; NumSgprs: 58
; NumVgprs: 60
; NumAgprs: 0
; TotalNumVgprs: 60
; ScratchSize: 0
; MemoryBound: 0
; FloatMode: 240
; IeeeMode: 1
; LDSByteSize: 256 bytes/workgroup (compile time only)
; SGPRBlocks: 7
; VGPRBlocks: 7
; NumSGPRsForWavesPerEU: 58
; NumVGPRsForWavesPerEU: 60
; AccumOffset: 60
; Occupancy: 8
; WaveLimiterHint : 0
; COMPUTE_PGM_RSRC2:SCRATCH_EN: 0
; COMPUTE_PGM_RSRC2:USER_SGPR: 2
; COMPUTE_PGM_RSRC2:TRAP_HANDLER: 0
; COMPUTE_PGM_RSRC2:TGID_X_EN: 1
; COMPUTE_PGM_RSRC2:TGID_Y_EN: 0
; COMPUTE_PGM_RSRC2:TGID_Z_EN: 1
; COMPUTE_PGM_RSRC2:TIDIG_COMP_CNT: 0
; COMPUTE_PGM_RSRC3_GFX90A:ACCUM_OFFSET: 14
; COMPUTE_PGM_RSRC3_GFX90A:TG_SPLIT: 0
	.section	.text._ZL23rocblas_gemvt_sn_kernelILb1ELi256ELi4ElPK16rocblas_bfloat16PKffEviiT4_lPKT3_lilS8_lilPT5_i,"axG",@progbits,_ZL23rocblas_gemvt_sn_kernelILb1ELi256ELi4ElPK16rocblas_bfloat16PKffEviiT4_lPKT3_lilS8_lilPT5_i,comdat
	.globl	_ZL23rocblas_gemvt_sn_kernelILb1ELi256ELi4ElPK16rocblas_bfloat16PKffEviiT4_lPKT3_lilS8_lilPT5_i ; -- Begin function _ZL23rocblas_gemvt_sn_kernelILb1ELi256ELi4ElPK16rocblas_bfloat16PKffEviiT4_lPKT3_lilS8_lilPT5_i
	.p2align	8
	.type	_ZL23rocblas_gemvt_sn_kernelILb1ELi256ELi4ElPK16rocblas_bfloat16PKffEviiT4_lPKT3_lilS8_lilPT5_i,@function
_ZL23rocblas_gemvt_sn_kernelILb1ELi256ELi4ElPK16rocblas_bfloat16PKffEviiT4_lPKT3_lilS8_lilPT5_i: ; @_ZL23rocblas_gemvt_sn_kernelILb1ELi256ELi4ElPK16rocblas_bfloat16PKffEviiT4_lPKT3_lilS8_lilPT5_i
; %bb.0:
	s_load_dwordx8 s[4:11], s[0:1], 0x8
	s_mov_b32 s12, s3
	s_mov_b32 s13, 0
	s_mov_b64 s[24:25], 0
	s_mov_b64 s[22:23], 0
	s_waitcnt lgkmcnt(0)
	s_mul_i32 s3, s3, s7
	s_mul_hi_u32 s7, s12, s6
	s_add_i32 s7, s7, s3
	s_mul_i32 s6, s12, s6
	s_lshl_b64 s[6:7], s[6:7], 2
	s_add_u32 s4, s4, s6
	s_addc_u32 s5, s5, s7
	s_load_dword s33, s[4:5], 0x0
	s_waitcnt lgkmcnt(0)
	v_cmp_eq_f32_e64 s[6:7], s33, 0
	v_cmp_neq_f32_e64 s[4:5], s33, 0
	s_and_b64 vcc, exec, s[6:7]
	s_cbranch_vccnz .LBB619_2
; %bb.1:
	s_lshl_b64 s[14:15], s[12:13], 3
	s_add_u32 s8, s8, s14
	s_addc_u32 s9, s9, s15
	s_load_dwordx2 s[8:9], s[8:9], 0x0
	s_lshl_b64 s[10:11], s[10:11], 1
	s_waitcnt lgkmcnt(0)
	s_add_u32 s22, s8, s10
	s_addc_u32 s23, s9, s11
.LBB619_2:
	s_andn2_b64 vcc, exec, s[4:5]
	s_cbranch_vccnz .LBB619_4
; %bb.3:
	s_load_dwordx4 s[8:11], s[0:1], 0x38
	s_lshl_b64 s[4:5], s[12:13], 3
	s_waitcnt lgkmcnt(0)
	s_add_u32 s4, s8, s4
	s_addc_u32 s5, s9, s5
	s_load_dwordx2 s[4:5], s[4:5], 0x0
	s_lshl_b64 s[8:9], s[10:11], 1
	s_waitcnt lgkmcnt(0)
	s_add_u32 s24, s4, s8
	s_addc_u32 s25, s5, s9
.LBB619_4:
	s_load_dwordx2 s[16:17], s[0:1], 0x0
	s_load_dwordx2 s[4:5], s[0:1], 0x58
	s_load_dword s18, s[0:1], 0x68
	s_mov_b32 s19, 0
	s_waitcnt lgkmcnt(0)
	s_ashr_i32 s14, s17, 31
	s_mul_hi_u32 s3, s17, s12
	s_mul_i32 s8, s14, s12
	s_add_i32 s9, s3, s8
	s_mul_i32 s8, s17, s12
	s_mul_i32 s3, s9, s18
	s_mul_hi_u32 s10, s8, s18
	s_add_i32 s11, s10, s3
	s_mul_i32 s10, s8, s18
	s_lshl_b64 s[10:11], s[10:11], 2
	s_add_u32 s48, s4, s10
	s_addc_u32 s49, s5, s11
	s_andn2_b64 vcc, exec, s[6:7]
	s_mov_b64 s[6:7], -1
	s_cbranch_vccnz .LBB619_14
; %bb.5:
	s_cmp_gt_i32 s17, 0
	v_cmp_eq_u32_e32 vcc, 0, v0
	s_cselect_b64 s[6:7], -1, 0
	s_and_b64 s[10:11], vcc, s[6:7]
	s_and_saveexec_b64 s[6:7], s[10:11]
	s_cbranch_execz .LBB619_13
; %bb.6:
	s_cmp_gt_u32 s17, 1
	s_cselect_b64 s[10:11], -1, 0
	s_cmp_eq_u32 s18, 1
	s_cselect_b64 s[20:21], -1, 0
	s_mov_b32 s3, 0
	s_and_b64 s[10:11], s[10:11], s[20:21]
	s_mov_b64 s[12:13], -1
	s_andn2_b64 vcc, exec, s[10:11]
	s_mov_b32 s10, s3
	s_cbranch_vccnz .LBB619_10
; %bb.7:
	s_lshl_b64 s[10:11], s[2:3], 2
	s_add_u32 s12, s48, s10
	s_addc_u32 s13, s49, s11
	s_and_b32 s10, s17, 0x7ffffffe
	v_mov_b32_e32 v2, 0
	v_mov_b32_e32 v3, v2
	s_mov_b32 s11, s10
.LBB619_8:                              ; =>This Inner Loop Header: Depth=1
	global_store_dwordx2 v2, v[2:3], s[12:13]
	s_add_u32 s12, s12, 8
	s_addc_u32 s13, s13, 0
	s_add_i32 s11, s11, -2
	s_cmp_lg_u32 s11, 0
	s_cbranch_scc1 .LBB619_8
; %bb.9:
	s_cmp_lg_u32 s10, s17
	s_cselect_b64 s[12:13], -1, 0
.LBB619_10:
	s_and_b64 vcc, exec, s[12:13]
	s_cbranch_vccz .LBB619_13
; %bb.11:
	s_mov_b32 s11, 0
	s_sub_i32 s12, s17, s10
	s_lshl_b64 s[8:9], s[8:9], 2
	s_lshl_b64 s[10:11], s[10:11], 2
	s_add_u32 s8, s8, s10
	s_addc_u32 s9, s9, s11
	s_mul_i32 s9, s9, s18
	s_mul_hi_u32 s10, s8, s18
	s_add_i32 s10, s10, s9
	s_mul_i32 s11, s8, s18
	s_lshl_b64 s[8:9], s[2:3], 2
	s_add_u32 s3, s11, s8
	s_addc_u32 s8, s10, s9
	s_add_u32 s4, s4, s3
	s_addc_u32 s5, s5, s8
	s_lshl_b64 s[8:9], s[18:19], 2
	v_mov_b32_e32 v1, 0
.LBB619_12:                             ; =>This Inner Loop Header: Depth=1
	s_add_i32 s12, s12, -1
	global_store_dword v1, v1, s[4:5]
	s_add_u32 s4, s4, s8
	s_addc_u32 s5, s5, s9
	s_cmp_eq_u32 s12, 0
	s_cbranch_scc0 .LBB619_12
.LBB619_13:
	s_or_b64 exec, exec, s[6:7]
	s_mov_b64 s[6:7], 0
.LBB619_14:
	s_andn2_b64 vcc, exec, s[6:7]
	s_cbranch_vccnz .LBB619_88
; %bb.15:
	s_load_dword s20, s[0:1], 0x28
	s_load_dword s26, s[0:1], 0x48
	s_lshl_b32 s0, s2, 10
	v_lshl_or_b32 v8, v0, 2, s0
	s_lshr_b32 s0, s14, 30
	s_add_i32 s0, s17, s0
	s_and_b32 s50, s0, -4
	s_ashr_i32 s0, s16, 31
	s_lshr_b32 s0, s0, 30
	s_add_i32 s0, s16, s0
	s_and_b32 s0, s0, -4
	s_waitcnt lgkmcnt(0)
	s_ashr_i32 s21, s20, 31
	s_ashr_i32 s27, s26, 31
	v_ashrrev_i32_e32 v9, 31, v8
	s_sub_i32 s19, s16, s0
	v_lshl_add_u64 v[6:7], v[8:9], 1, s[22:23]
	s_cmp_lt_i32 s50, 1
	v_add_u32_e32 v31, 4, v8
	v_add_u32_e32 v32, s19, v8
	v_and_b32_e32 v28, 63, v0
	v_cmp_gt_u32_e64 s[0:1], 64, v0
	v_mbcnt_lo_u32_b32 v30, -1, 0
	v_cmp_gt_u32_e64 s[4:5], 4, v0
	v_lshrrev_b32_e32 v29, 4, v0
	v_cmp_eq_u32_e64 s[6:7], 0, v0
	v_or_b32_e32 v27, 1, v8
	v_or_b32_e32 v26, 2, v8
	;; [unrolled: 1-line block ×3, first 2 shown]
	s_cbranch_scc1 .LBB619_63
; %bb.16:
	v_mbcnt_hi_u32_b32 v2, -1, v30
	v_and_b32_e32 v3, 63, v2
	v_cmp_gt_u32_e32 vcc, 32, v3
	s_mov_b32 s3, 0
	s_cmp_gt_i32 s19, 0
	v_cndmask_b32_e64 v4, 0, 1, vcc
	v_lshlrev_b32_e32 v4, 5, v4
	v_cmp_gt_u32_e32 vcc, 48, v3
	v_add_lshl_u32 v33, v4, v2, 2
	s_cselect_b64 s[28:29], -1, 0
	v_cndmask_b32_e64 v4, 0, 1, vcc
	v_lshlrev_b32_e32 v4, 4, v4
	v_cmp_gt_u32_e32 vcc, 56, v3
	v_add_lshl_u32 v34, v4, v2, 2
	s_lshl_b64 s[14:15], s[2:3], 2
	v_cndmask_b32_e64 v4, 0, 1, vcc
	v_lshlrev_b32_e32 v4, 3, v4
	v_cmp_gt_u32_e32 vcc, 60, v3
	v_add_lshl_u32 v35, v4, v2, 2
	s_add_u32 s51, s48, s14
	v_cndmask_b32_e64 v4, 0, 1, vcc
	v_lshlrev_b32_e32 v4, 2, v4
	v_cmp_gt_u32_e32 vcc, 62, v3
	v_add_lshl_u32 v36, v4, v2, 2
	s_addc_u32 s52, s49, s15
	v_cndmask_b32_e64 v4, 0, 1, vcc
	v_lshlrev_b32_e32 v4, 1, v4
	v_cmp_ne_u32_e32 vcc, 63, v3
	v_add_lshl_u32 v37, v4, v2, 2
	v_cmp_ge_i32_e64 s[8:9], s16, v31
	v_addc_co_u32_e32 v2, vcc, 0, v2, vcc
	v_lshlrev_b32_e32 v38, 2, v2
	v_mad_i64_i32 v[2:3], s[14:15], s26, v8, 0
	v_lshl_add_u64 v[10:11], v[2:3], 1, s[24:25]
	v_mad_i64_i32 v[2:3], s[14:15], s26, v27, 0
	v_lshl_add_u64 v[12:13], v[2:3], 1, s[24:25]
	;; [unrolled: 2-line block ×3, first 2 shown]
	v_mad_i64_i32 v[2:3], s[14:15], s26, v1, 0
	v_cmp_ge_i32_e64 s[10:11], s16, v32
	v_cmp_eq_u32_e64 s[12:13], 0, v28
	v_lshlrev_b32_e32 v39, 2, v28
	v_and_b32_e32 v40, 12, v29
	v_lshl_add_u64 v[16:17], v[2:3], 1, s[24:25]
	s_lshl_b64 s[30:31], s[26:27], 1
	s_mul_hi_i32 s35, s20, 6
	s_mul_i32 s34, s20, 6
	s_lshl_b64 s[36:37], s[20:21], 3
	s_lshl_b64 s[38:39], s[20:21], 2
	;; [unrolled: 1-line block ×3, first 2 shown]
	v_mov_b32_e32 v41, 0
	v_mov_b64_e32 v[18:19], v[6:7]
                                        ; implicit-def: $vgpr2_vgpr3_vgpr4_vgpr5
	s_branch .LBB619_18
.LBB619_17:                             ;   in Loop: Header=BB619_18 Depth=1
	s_or_b64 exec, exec, s[14:15]
	s_add_i32 s3, s3, 4
	s_cmp_ge_i32 s3, s50
	v_lshl_add_u64 v[18:19], v[18:19], 0, s[36:37]
	s_cbranch_scc1 .LBB619_64
.LBB619_18:                             ; =>This Loop Header: Depth=1
                                        ;     Child Loop BB619_49 Depth 2
                                        ;     Child Loop BB619_52 Depth 2
                                        ; implicit-def: $vgpr21
                                        ; implicit-def: $vgpr23
	s_and_saveexec_b64 s[14:15], s[8:9]
	s_xor_b64 s[14:15], exec, s[14:15]
	s_cbranch_execnz .LBB619_45
; %bb.19:                               ;   in Loop: Header=BB619_18 Depth=1
	s_andn2_saveexec_b64 s[42:43], s[14:15]
	s_cbranch_execnz .LBB619_46
.LBB619_20:                             ;   in Loop: Header=BB619_18 Depth=1
	s_or_b64 exec, exec, s[42:43]
	s_and_saveexec_b64 s[14:15], s[0:1]
	s_cbranch_execz .LBB619_22
.LBB619_21:                             ;   in Loop: Header=BB619_18 Depth=1
	ds_write_b32 v39, v41
.LBB619_22:                             ;   in Loop: Header=BB619_18 Depth=1
	s_or_b64 exec, exec, s[14:15]
	ds_bpermute_b32 v24, v33, v22
	s_waitcnt lgkmcnt(0)
	s_barrier
	v_add_f32_e32 v22, v22, v24
	ds_bpermute_b32 v24, v34, v22
	s_waitcnt lgkmcnt(0)
	v_add_f32_e32 v22, v22, v24
	ds_bpermute_b32 v24, v35, v22
	s_waitcnt lgkmcnt(0)
	;; [unrolled: 3-line block ×4, first 2 shown]
	v_add_f32_e32 v22, v22, v24
	ds_bpermute_b32 v24, v38, v22
	s_and_saveexec_b64 s[14:15], s[12:13]
	s_cbranch_execz .LBB619_24
; %bb.23:                               ;   in Loop: Header=BB619_18 Depth=1
	s_waitcnt lgkmcnt(0)
	v_add_f32_e32 v22, v22, v24
	ds_write_b32 v40, v22
.LBB619_24:                             ;   in Loop: Header=BB619_18 Depth=1
	s_or_b64 exec, exec, s[14:15]
	v_mov_b32_e32 v22, 0
	s_waitcnt lgkmcnt(0)
	s_barrier
	s_and_saveexec_b64 s[14:15], s[4:5]
	s_cbranch_execnz .LBB619_54
; %bb.25:                               ;   in Loop: Header=BB619_18 Depth=1
	s_or_b64 exec, exec, s[14:15]
	s_and_saveexec_b64 s[14:15], s[0:1]
	s_cbranch_execnz .LBB619_55
.LBB619_26:                             ;   in Loop: Header=BB619_18 Depth=1
	s_or_b64 exec, exec, s[14:15]
	s_and_saveexec_b64 s[14:15], s[0:1]
	s_cbranch_execz .LBB619_28
.LBB619_27:                             ;   in Loop: Header=BB619_18 Depth=1
	ds_write_b32 v39, v41
.LBB619_28:                             ;   in Loop: Header=BB619_18 Depth=1
	s_or_b64 exec, exec, s[14:15]
	ds_bpermute_b32 v24, v33, v23
	s_waitcnt lgkmcnt(0)
	s_barrier
	v_add_f32_e32 v23, v23, v24
	ds_bpermute_b32 v24, v34, v23
	s_waitcnt lgkmcnt(0)
	v_add_f32_e32 v23, v23, v24
	ds_bpermute_b32 v24, v35, v23
	s_waitcnt lgkmcnt(0)
	;; [unrolled: 3-line block ×4, first 2 shown]
	v_add_f32_e32 v23, v23, v24
	ds_bpermute_b32 v24, v38, v23
	s_and_saveexec_b64 s[14:15], s[12:13]
	s_cbranch_execz .LBB619_30
; %bb.29:                               ;   in Loop: Header=BB619_18 Depth=1
	s_waitcnt lgkmcnt(0)
	v_add_f32_e32 v23, v23, v24
	ds_write_b32 v40, v23
.LBB619_30:                             ;   in Loop: Header=BB619_18 Depth=1
	s_or_b64 exec, exec, s[14:15]
	v_mov_b32_e32 v23, 0
	s_waitcnt lgkmcnt(0)
	s_barrier
	s_and_saveexec_b64 s[14:15], s[4:5]
	s_cbranch_execnz .LBB619_56
; %bb.31:                               ;   in Loop: Header=BB619_18 Depth=1
	s_or_b64 exec, exec, s[14:15]
	s_and_saveexec_b64 s[14:15], s[0:1]
	s_cbranch_execnz .LBB619_57
.LBB619_32:                             ;   in Loop: Header=BB619_18 Depth=1
	s_or_b64 exec, exec, s[14:15]
	s_and_saveexec_b64 s[14:15], s[0:1]
	s_cbranch_execz .LBB619_34
.LBB619_33:                             ;   in Loop: Header=BB619_18 Depth=1
	ds_write_b32 v39, v41
.LBB619_34:                             ;   in Loop: Header=BB619_18 Depth=1
	s_or_b64 exec, exec, s[14:15]
	ds_bpermute_b32 v24, v33, v20
	s_waitcnt lgkmcnt(0)
	s_barrier
	v_add_f32_e32 v20, v20, v24
	ds_bpermute_b32 v24, v34, v20
	s_waitcnt lgkmcnt(0)
	v_add_f32_e32 v20, v20, v24
	ds_bpermute_b32 v24, v35, v20
	s_waitcnt lgkmcnt(0)
	;; [unrolled: 3-line block ×4, first 2 shown]
	v_add_f32_e32 v20, v20, v24
	ds_bpermute_b32 v24, v38, v20
	s_and_saveexec_b64 s[14:15], s[12:13]
	s_cbranch_execz .LBB619_36
; %bb.35:                               ;   in Loop: Header=BB619_18 Depth=1
	s_waitcnt lgkmcnt(0)
	v_add_f32_e32 v20, v20, v24
	ds_write_b32 v40, v20
.LBB619_36:                             ;   in Loop: Header=BB619_18 Depth=1
	s_or_b64 exec, exec, s[14:15]
	v_mov_b32_e32 v20, 0
	s_waitcnt lgkmcnt(0)
	s_barrier
	s_and_saveexec_b64 s[14:15], s[4:5]
	s_cbranch_execnz .LBB619_58
; %bb.37:                               ;   in Loop: Header=BB619_18 Depth=1
	s_or_b64 exec, exec, s[14:15]
	s_and_saveexec_b64 s[14:15], s[0:1]
	s_cbranch_execnz .LBB619_59
.LBB619_38:                             ;   in Loop: Header=BB619_18 Depth=1
	s_or_b64 exec, exec, s[14:15]
	s_and_saveexec_b64 s[14:15], s[0:1]
	s_cbranch_execz .LBB619_40
.LBB619_39:                             ;   in Loop: Header=BB619_18 Depth=1
	ds_write_b32 v39, v41
.LBB619_40:                             ;   in Loop: Header=BB619_18 Depth=1
	s_or_b64 exec, exec, s[14:15]
	ds_bpermute_b32 v24, v33, v21
	s_waitcnt lgkmcnt(0)
	s_barrier
	v_add_f32_e32 v21, v21, v24
	ds_bpermute_b32 v24, v34, v21
	s_waitcnt lgkmcnt(0)
	v_add_f32_e32 v21, v21, v24
	ds_bpermute_b32 v24, v35, v21
	s_waitcnt lgkmcnt(0)
	v_add_f32_e32 v21, v21, v24
	ds_bpermute_b32 v24, v36, v21
	s_waitcnt lgkmcnt(0)
	v_add_f32_e32 v21, v21, v24
	ds_bpermute_b32 v24, v37, v21
	s_waitcnt lgkmcnt(0)
	v_add_f32_e32 v21, v21, v24
	ds_bpermute_b32 v24, v38, v21
	s_and_saveexec_b64 s[14:15], s[12:13]
	s_cbranch_execz .LBB619_42
; %bb.41:                               ;   in Loop: Header=BB619_18 Depth=1
	s_waitcnt lgkmcnt(0)
	v_add_f32_e32 v21, v21, v24
	ds_write_b32 v40, v21
.LBB619_42:                             ;   in Loop: Header=BB619_18 Depth=1
	s_or_b64 exec, exec, s[14:15]
	v_mov_b32_e32 v21, 0
	s_waitcnt lgkmcnt(0)
	s_barrier
	s_and_saveexec_b64 s[14:15], s[4:5]
	s_cbranch_execnz .LBB619_60
; %bb.43:                               ;   in Loop: Header=BB619_18 Depth=1
	s_or_b64 exec, exec, s[14:15]
	s_and_saveexec_b64 s[14:15], s[0:1]
	s_cbranch_execnz .LBB619_61
.LBB619_44:                             ;   in Loop: Header=BB619_18 Depth=1
	s_or_b64 exec, exec, s[14:15]
	s_and_saveexec_b64 s[14:15], s[6:7]
	s_cbranch_execz .LBB619_17
	s_branch .LBB619_62
.LBB619_45:                             ;   in Loop: Header=BB619_18 Depth=1
	s_mul_i32 s42, s3, s21
	s_mul_hi_u32 s43, s3, s20
	s_add_i32 s43, s43, s42
	s_mul_i32 s42, s3, s20
	v_lshl_add_u64 v[2:3], s[42:43], 1, v[6:7]
	s_or_b32 s42, s3, 2
	s_mul_i32 s43, s42, s21
	s_mul_hi_u32 s45, s42, s20
	s_add_i32 s43, s45, s43
	s_mul_i32 s42, s42, s20
	s_waitcnt lgkmcnt(0)
	flat_load_dwordx2 v[20:21], v[2:3]
	v_lshl_add_u64 v[2:3], s[42:43], 1, v[6:7]
	s_or_b32 s42, s3, 3
	s_mul_i32 s43, s42, s21
	s_mul_hi_u32 s45, s42, s20
	s_or_b32 s44, s3, 1
	s_add_i32 s43, s45, s43
	s_mul_i32 s42, s42, s20
	flat_load_ushort v4, v[10:11]
	flat_load_ushort v5, v[12:13]
	;; [unrolled: 1-line block ×4, first 2 shown]
	flat_load_dwordx2 v[22:23], v[2:3]
	v_lshl_add_u64 v[2:3], s[42:43], 1, v[6:7]
	s_mul_i32 s42, s44, s21
	s_mul_hi_u32 s43, s44, s20
	flat_load_dwordx2 v[24:25], v[2:3]
	s_add_i32 s43, s43, s42
	s_mul_i32 s42, s44, s20
	v_lshl_add_u64 v[2:3], s[42:43], 1, v[6:7]
	flat_load_dwordx2 v[42:43], v[2:3]
	s_waitcnt vmcnt(0) lgkmcnt(0)
	v_lshlrev_b32_e32 v54, 16, v20
	v_and_b32_e32 v20, 0xffff0000, v20
	v_lshlrev_b32_e32 v56, 16, v21
	v_and_b32_e32 v58, 0xffff0000, v21
	v_lshlrev_b32_e32 v2, 16, v4
	v_lshlrev_b32_e32 v45, 16, v5
	;; [unrolled: 1-line block ×6, first 2 shown]
	v_and_b32_e32 v23, 0xffff0000, v23
	v_and_b32_e32 v53, 0xffff0000, v22
	;; [unrolled: 1-line block ×3, first 2 shown]
	v_lshlrev_b32_e32 v44, 16, v24
	v_and_b32_e32 v47, 0xffff0000, v25
	v_lshlrev_b32_e32 v48, 16, v25
	v_pk_mul_f32 v[24:25], v[44:45], v[2:3]
	v_lshlrev_b32_e32 v55, 16, v42
	v_mul_f32_e32 v22, v2, v51
	v_mov_b32_e32 v3, v45
	v_mul_f32_e32 v44, v46, v60
	v_pk_mul_f32 v[60:61], v[48:49], v[46:47]
	v_mul_f32_e32 v48, v49, v23
	v_mov_b32_e32 v23, v24
	v_mov_b32_e32 v50, v45
	v_and_b32_e32 v21, 0xffff0000, v42
	v_lshlrev_b32_e32 v57, 16, v43
	v_and_b32_e32 v59, 0xffff0000, v43
	v_mul_f32_e32 v42, v45, v53
	v_mov_b32_e32 v43, v25
	v_pk_fma_f32 v[24:25], v[2:3], v[54:55], 0 op_sel_hi:[0,1,0]
	v_pk_add_f32 v[22:23], v[22:23], 0 op_sel_hi:[1,0]
	v_mov_b32_e32 v45, v60
	v_pk_fma_f32 v[20:21], v[50:51], v[20:21], v[24:25] op_sel_hi:[0,1,1]
	v_pk_add_f32 v[22:23], v[22:23], v[42:43]
	v_mov_b32_e32 v5, v49
	v_mov_b32_e32 v52, v49
	v_mov_b32_e32 v49, v61
	v_pk_fma_f32 v[24:25], v[46:47], v[56:57], v[20:21] op_sel_hi:[0,1,1]
	v_pk_add_f32 v[20:21], v[22:23], v[44:45]
	v_mov_b32_e32 v4, v46
	v_pk_add_f32 v[20:21], v[20:21], v[48:49]
	v_pk_fma_f32 v[22:23], v[52:53], v[58:59], v[24:25] op_sel_hi:[0,1,1]
	s_andn2_saveexec_b64 s[42:43], s[14:15]
	s_cbranch_execz .LBB619_20
.LBB619_46:                             ;   in Loop: Header=BB619_18 Depth=1
	s_waitcnt lgkmcnt(0)
	v_mov_b32_e32 v21, 0
	v_mov_b32_e32 v20, 0
	;; [unrolled: 1-line block ×4, first 2 shown]
	s_and_saveexec_b64 s[44:45], s[10:11]
	s_cbranch_execz .LBB619_53
; %bb.47:                               ;   in Loop: Header=BB619_18 Depth=1
	v_cndmask_b32_e64 v20, 0, 1, s[28:29]
	v_cmp_ne_u32_e64 s[14:15], 1, v20
	s_andn2_b64 vcc, exec, s[28:29]
	s_cbranch_vccnz .LBB619_50
; %bb.48:                               ;   in Loop: Header=BB619_18 Depth=1
	s_mov_b64 s[46:47], 0
	v_mov_b64_e32 v[20:21], v[10:11]
.LBB619_49:                             ;   Parent Loop BB619_18 Depth=1
                                        ; =>  This Inner Loop Header: Depth=2
	flat_load_ushort v22, v[20:21]
	s_cmp_eq_u32 s46, 3
	s_cselect_b64 vcc, -1, 0
	s_cmp_eq_u32 s46, 2
	v_lshl_add_u64 v[20:21], v[20:21], 0, s[30:31]
	s_waitcnt vmcnt(0) lgkmcnt(0)
	v_lshlrev_b32_e32 v22, 16, v22
	v_cndmask_b32_e32 v5, v5, v22, vcc
	s_cselect_b64 vcc, -1, 0
	s_cmp_eq_u32 s46, 1
	v_cndmask_b32_e32 v4, v4, v22, vcc
	s_cselect_b64 vcc, -1, 0
	s_cmp_eq_u32 s46, 0
	v_cndmask_b32_e32 v3, v3, v22, vcc
	s_cselect_b64 vcc, -1, 0
	s_add_u32 s46, s46, 1
	s_addc_u32 s47, s47, 0
	s_cmp_eq_u32 s19, s46
	v_cndmask_b32_e32 v2, v2, v22, vcc
	s_cbranch_scc0 .LBB619_49
.LBB619_50:                             ;   in Loop: Header=BB619_18 Depth=1
	v_mov_b32_e32 v21, 0
	s_and_b64 vcc, exec, s[14:15]
	v_mov_b32_e32 v20, v21
	v_mov_b32_e32 v23, v21
	v_mov_b32_e32 v22, v21
	s_cbranch_vccnz .LBB619_53
; %bb.51:                               ;   in Loop: Header=BB619_18 Depth=1
	v_mov_b32_e32 v22, 0
	s_mov_b64 s[14:15], 0
	v_mov_b64_e32 v[24:25], v[18:19]
	v_mov_b32_e32 v23, v22
	v_mov_b32_e32 v20, v22
	;; [unrolled: 1-line block ×3, first 2 shown]
.LBB619_52:                             ;   Parent Loop BB619_18 Depth=1
                                        ; =>  This Inner Loop Header: Depth=2
	v_lshl_add_u64 v[42:43], v[24:25], 0, s[40:41]
	v_lshl_add_u64 v[46:47], v[24:25], 0, s[34:35]
	;; [unrolled: 1-line block ×3, first 2 shown]
	flat_load_ushort v48, v[24:25]
	s_nop 0
	flat_load_ushort v43, v[42:43]
	s_nop 0
	;; [unrolled: 2-line block ×3, first 2 shown]
	flat_load_ushort v49, v[44:45]
	s_cmp_eq_u32 s14, 1
	s_cselect_b64 vcc, -1, 0
	s_cmp_eq_u32 s14, 2
	v_cndmask_b32_e32 v42, v2, v3, vcc
	s_cselect_b64 vcc, -1, 0
	s_cmp_eq_u32 s14, 3
	v_cndmask_b32_e32 v42, v42, v4, vcc
	s_cselect_b64 vcc, -1, 0
	s_add_u32 s14, s14, 1
	v_cndmask_b32_e32 v42, v42, v5, vcc
	s_addc_u32 s15, s15, 0
	v_lshl_add_u64 v[24:25], v[24:25], 0, 2
	s_cmp_lg_u32 s19, s14
	s_waitcnt vmcnt(0) lgkmcnt(0)
	v_lshlrev_b32_e32 v44, 16, v48
	v_lshlrev_b32_e32 v45, 16, v43
	;; [unrolled: 1-line block ×4, first 2 shown]
	v_pk_fma_f32 v[22:23], v[42:43], v[44:45], v[22:23] op_sel_hi:[0,1,1]
	v_pk_fma_f32 v[20:21], v[42:43], v[46:47], v[20:21] op_sel_hi:[0,1,1]
	s_cbranch_scc1 .LBB619_52
.LBB619_53:                             ;   in Loop: Header=BB619_18 Depth=1
	s_or_b64 exec, exec, s[44:45]
	s_or_b64 exec, exec, s[42:43]
	s_and_saveexec_b64 s[14:15], s[0:1]
	s_cbranch_execnz .LBB619_21
	s_branch .LBB619_22
.LBB619_54:                             ;   in Loop: Header=BB619_18 Depth=1
	ds_read_b32 v22, v39
	s_or_b64 exec, exec, s[14:15]
	s_and_saveexec_b64 s[14:15], s[0:1]
	s_cbranch_execz .LBB619_26
.LBB619_55:                             ;   in Loop: Header=BB619_18 Depth=1
	s_waitcnt lgkmcnt(0)
	ds_bpermute_b32 v24, v37, v22
	s_waitcnt lgkmcnt(0)
	v_add_f32_e32 v22, v22, v24
	ds_bpermute_b32 v24, v38, v22
	s_waitcnt lgkmcnt(0)
	v_add_f32_e32 v22, v22, v24
	s_or_b64 exec, exec, s[14:15]
	s_and_saveexec_b64 s[14:15], s[0:1]
	s_cbranch_execnz .LBB619_27
	s_branch .LBB619_28
.LBB619_56:                             ;   in Loop: Header=BB619_18 Depth=1
	ds_read_b32 v23, v39
	s_or_b64 exec, exec, s[14:15]
	s_and_saveexec_b64 s[14:15], s[0:1]
	s_cbranch_execz .LBB619_32
.LBB619_57:                             ;   in Loop: Header=BB619_18 Depth=1
	s_waitcnt lgkmcnt(0)
	ds_bpermute_b32 v24, v37, v23
	s_waitcnt lgkmcnt(0)
	v_add_f32_e32 v23, v23, v24
	ds_bpermute_b32 v24, v38, v23
	s_waitcnt lgkmcnt(0)
	v_add_f32_e32 v23, v23, v24
	s_or_b64 exec, exec, s[14:15]
	s_and_saveexec_b64 s[14:15], s[0:1]
	s_cbranch_execnz .LBB619_33
	s_branch .LBB619_34
.LBB619_58:                             ;   in Loop: Header=BB619_18 Depth=1
	ds_read_b32 v20, v39
	s_or_b64 exec, exec, s[14:15]
	s_and_saveexec_b64 s[14:15], s[0:1]
	s_cbranch_execz .LBB619_38
.LBB619_59:                             ;   in Loop: Header=BB619_18 Depth=1
	s_waitcnt lgkmcnt(0)
	ds_bpermute_b32 v24, v37, v20
	s_waitcnt lgkmcnt(0)
	v_add_f32_e32 v20, v20, v24
	ds_bpermute_b32 v24, v38, v20
	s_waitcnt lgkmcnt(0)
	v_add_f32_e32 v20, v20, v24
	s_or_b64 exec, exec, s[14:15]
	s_and_saveexec_b64 s[14:15], s[0:1]
	s_cbranch_execnz .LBB619_39
	s_branch .LBB619_40
.LBB619_60:                             ;   in Loop: Header=BB619_18 Depth=1
	ds_read_b32 v21, v39
	s_or_b64 exec, exec, s[14:15]
	s_and_saveexec_b64 s[14:15], s[0:1]
	s_cbranch_execz .LBB619_44
.LBB619_61:                             ;   in Loop: Header=BB619_18 Depth=1
	s_waitcnt lgkmcnt(0)
	ds_bpermute_b32 v24, v37, v21
	s_waitcnt lgkmcnt(0)
	v_add_f32_e32 v21, v21, v24
	ds_bpermute_b32 v24, v38, v21
	s_waitcnt lgkmcnt(0)
	v_add_f32_e32 v21, v21, v24
	s_or_b64 exec, exec, s[14:15]
	s_and_saveexec_b64 s[14:15], s[6:7]
	s_cbranch_execz .LBB619_17
.LBB619_62:                             ;   in Loop: Header=BB619_18 Depth=1
	s_mul_hi_u32 s43, s3, s18
	s_mul_i32 s42, s3, s18
	s_lshl_b64 s[42:43], s[42:43], 2
	s_add_u32 s42, s51, s42
	v_mul_f32_e32 v22, s33, v22
	s_addc_u32 s43, s52, s43
	global_store_dword v41, v22, s[42:43]
	s_or_b32 s42, s3, 1
	s_mul_hi_u32 s43, s42, s18
	s_mul_i32 s42, s42, s18
	s_lshl_b64 s[42:43], s[42:43], 2
	s_add_u32 s42, s51, s42
	v_mul_f32_e32 v22, s33, v23
	s_addc_u32 s43, s52, s43
	global_store_dword v41, v22, s[42:43]
	s_or_b32 s42, s3, 2
	;; [unrolled: 8-line block ×3, first 2 shown]
	s_mul_hi_u32 s43, s42, s18
	s_mul_i32 s42, s42, s18
	s_lshl_b64 s[42:43], s[42:43], 2
	s_add_u32 s42, s51, s42
	s_waitcnt lgkmcnt(0)
	v_mul_f32_e32 v20, s33, v21
	s_addc_u32 s43, s52, s43
	global_store_dword v41, v20, s[42:43]
	s_branch .LBB619_17
.LBB619_63:
	s_mov_b32 s3, 0
                                        ; implicit-def: $vgpr2_vgpr3_vgpr4_vgpr5
.LBB619_64:
	s_cmp_ge_i32 s3, s17
	s_cbranch_scc1 .LBB619_88
; %bb.65:
	v_mbcnt_hi_u32_b32 v10, -1, v30
	v_and_b32_e32 v11, 63, v10
	v_cmp_gt_u32_e32 vcc, 32, v11
	s_mov_b32 s29, 0
	s_cmp_gt_i32 s19, 0
	v_cndmask_b32_e64 v12, 0, 1, vcc
	v_lshlrev_b32_e32 v12, 5, v12
	v_cmp_gt_u32_e32 vcc, 48, v11
	s_waitcnt lgkmcnt(0)
	v_add_lshl_u32 v21, v12, v10, 2
	s_mov_b32 s28, s2
	v_cndmask_b32_e64 v12, 0, 1, vcc
	v_lshlrev_b32_e32 v12, 4, v12
	v_cmp_gt_u32_e32 vcc, 56, v11
	v_add_lshl_u32 v22, v12, v10, 2
	s_cselect_b64 s[30:31], -1, 0
	v_cndmask_b32_e64 v12, 0, 1, vcc
	v_lshlrev_b32_e32 v12, 3, v12
	v_cmp_gt_u32_e32 vcc, 60, v11
	v_add_lshl_u32 v23, v12, v10, 2
	s_lshl_b64 s[14:15], s[28:29], 2
	v_cndmask_b32_e64 v12, 0, 1, vcc
	v_lshlrev_b32_e32 v12, 2, v12
	v_cmp_gt_u32_e32 vcc, 62, v11
	v_add_lshl_u32 v24, v12, v10, 2
	s_add_u32 s2, s48, s14
	v_cndmask_b32_e64 v12, 0, 1, vcc
	v_lshlrev_b32_e32 v12, 1, v12
	v_cmp_ne_u32_e32 vcc, 63, v11
	v_add_lshl_u32 v25, v12, v10, 2
	v_cmp_ge_i32_e64 s[0:1], s16, v31
	v_addc_co_u32_e32 v10, vcc, 0, v10, vcc
	v_cmp_ge_i32_e64 s[4:5], s16, v32
	v_cmp_gt_u32_e64 s[6:7], 64, v0
	v_lshlrev_b32_e32 v30, 2, v10
	v_cmp_gt_u32_e64 s[10:11], 4, v0
	v_cmp_eq_u32_e64 s[12:13], 0, v0
	s_addc_u32 s16, s49, s15
	v_mad_i64_i32 v[10:11], s[14:15], s26, v8, 0
	v_mad_i64_i32 v[12:13], s[14:15], s26, v27, 0
	;; [unrolled: 1-line block ×4, first 2 shown]
	s_mul_i32 s14, s21, s3
	s_mul_hi_u32 s15, s20, s3
	s_add_i32 s15, s15, s14
	s_mul_i32 s14, s20, s3
	v_lshl_add_u64 v[10:11], v[10:11], 1, s[24:25]
	v_lshl_add_u64 v[12:13], v[12:13], 1, s[24:25]
	;; [unrolled: 1-line block ×4, first 2 shown]
	s_lshl_b64 s[24:25], s[26:27], 1
	s_lshl_b64 s[14:15], s[14:15], 1
	s_add_u32 s14, s22, s14
	s_addc_u32 s15, s23, s15
	v_lshlrev_b32_e32 v20, 2, v28
	v_cmp_eq_u32_e64 s[8:9], 0, v28
	v_and_b32_e32 v28, 12, v29
	v_lshl_add_u64 v[8:9], v[8:9], 1, s[14:15]
	s_lshl_b64 s[22:23], s[20:21], 1
	v_mov_b32_e32 v1, 0
	s_branch .LBB619_67
.LBB619_66:                             ;   in Loop: Header=BB619_67 Depth=1
	s_or_b64 exec, exec, s[14:15]
	s_add_i32 s3, s3, 1
	s_cmp_ge_i32 s3, s17
	v_lshl_add_u64 v[8:9], v[8:9], 0, s[22:23]
	s_cbranch_scc1 .LBB619_88
.LBB619_67:                             ; =>This Loop Header: Depth=1
                                        ;     Child Loop BB619_80 Depth 2
                                        ;     Child Loop BB619_83 Depth 2
	s_waitcnt lgkmcnt(0)
	v_mov_b32_e32 v0, s29
	s_and_saveexec_b64 s[14:15], s[0:1]
	s_xor_b64 s[14:15], exec, s[14:15]
	s_cbranch_execnz .LBB619_76
; %bb.68:                               ;   in Loop: Header=BB619_67 Depth=1
	s_andn2_saveexec_b64 s[26:27], s[14:15]
	s_cbranch_execnz .LBB619_77
.LBB619_69:                             ;   in Loop: Header=BB619_67 Depth=1
	s_or_b64 exec, exec, s[26:27]
	s_and_saveexec_b64 s[14:15], s[6:7]
	s_cbranch_execz .LBB619_71
.LBB619_70:                             ;   in Loop: Header=BB619_67 Depth=1
	ds_write_b32 v20, v1
.LBB619_71:                             ;   in Loop: Header=BB619_67 Depth=1
	s_or_b64 exec, exec, s[14:15]
	ds_bpermute_b32 v18, v21, v0
	s_waitcnt lgkmcnt(0)
	s_barrier
	v_add_f32_e32 v0, v0, v18
	ds_bpermute_b32 v18, v22, v0
	s_waitcnt lgkmcnt(0)
	v_add_f32_e32 v0, v0, v18
	ds_bpermute_b32 v18, v23, v0
	s_waitcnt lgkmcnt(0)
	v_add_f32_e32 v0, v0, v18
	ds_bpermute_b32 v18, v24, v0
	s_waitcnt lgkmcnt(0)
	v_add_f32_e32 v0, v0, v18
	ds_bpermute_b32 v18, v25, v0
	s_waitcnt lgkmcnt(0)
	v_add_f32_e32 v0, v0, v18
	ds_bpermute_b32 v18, v30, v0
	s_and_saveexec_b64 s[14:15], s[8:9]
	s_cbranch_execz .LBB619_73
; %bb.72:                               ;   in Loop: Header=BB619_67 Depth=1
	s_waitcnt lgkmcnt(0)
	v_add_f32_e32 v0, v0, v18
	ds_write_b32 v28, v0
.LBB619_73:                             ;   in Loop: Header=BB619_67 Depth=1
	s_or_b64 exec, exec, s[14:15]
	v_mov_b32_e32 v0, 0
	s_waitcnt lgkmcnt(0)
	s_barrier
	s_and_saveexec_b64 s[14:15], s[10:11]
	s_cbranch_execnz .LBB619_85
; %bb.74:                               ;   in Loop: Header=BB619_67 Depth=1
	s_or_b64 exec, exec, s[14:15]
	s_and_saveexec_b64 s[14:15], s[6:7]
	s_cbranch_execnz .LBB619_86
.LBB619_75:                             ;   in Loop: Header=BB619_67 Depth=1
	s_or_b64 exec, exec, s[14:15]
	s_and_saveexec_b64 s[14:15], s[12:13]
	s_cbranch_execz .LBB619_66
	s_branch .LBB619_87
.LBB619_76:                             ;   in Loop: Header=BB619_67 Depth=1
	s_mul_i32 s26, s3, s21
	s_mul_hi_u32 s27, s3, s20
	s_add_i32 s27, s27, s26
	s_mul_i32 s26, s3, s20
	v_lshl_add_u64 v[2:3], s[26:27], 1, v[6:7]
	flat_load_ushort v0, v[12:13]
	flat_load_ushort v4, v[14:15]
	flat_load_ushort v5, v[10:11]
	flat_load_ushort v26, v[16:17]
	flat_load_dwordx2 v[18:19], v[2:3]
	s_waitcnt vmcnt(0) lgkmcnt(0)
	v_lshlrev_b32_e32 v3, 16, v0
	v_lshlrev_b32_e32 v4, 16, v4
	;; [unrolled: 1-line block ×4, first 2 shown]
	v_and_b32_e32 v27, 0xffff0000, v18
	v_lshlrev_b32_e32 v26, 16, v18
	v_and_b32_e32 v33, 0xffff0000, v19
	v_lshlrev_b32_e32 v32, 16, v19
	v_pk_mul_f32 v[18:19], v[2:3], v[26:27]
	s_nop 0
	v_add_f32_e32 v0, 0, v18
	v_add_f32_e32 v0, v0, v19
	v_pk_mul_f32 v[18:19], v[4:5], v[32:33]
	s_nop 0
	v_add_f32_e32 v0, v0, v18
	v_add_f32_e32 v0, v0, v19
	s_andn2_saveexec_b64 s[26:27], s[14:15]
	s_cbranch_execz .LBB619_69
.LBB619_77:                             ;   in Loop: Header=BB619_67 Depth=1
	s_and_saveexec_b64 s[34:35], s[4:5]
	s_cbranch_execz .LBB619_84
; %bb.78:                               ;   in Loop: Header=BB619_67 Depth=1
	v_cndmask_b32_e64 v18, 0, 1, s[30:31]
	v_cmp_ne_u32_e64 s[14:15], 1, v18
	s_andn2_b64 vcc, exec, s[30:31]
	s_cbranch_vccnz .LBB619_81
; %bb.79:                               ;   in Loop: Header=BB619_67 Depth=1
	s_mov_b64 s[36:37], 0
	v_mov_b64_e32 v[18:19], v[10:11]
.LBB619_80:                             ;   Parent Loop BB619_67 Depth=1
                                        ; =>  This Inner Loop Header: Depth=2
	flat_load_ushort v26, v[18:19]
	s_cmp_eq_u32 s36, 3
	s_cselect_b64 vcc, -1, 0
	s_cmp_eq_u32 s36, 2
	v_lshl_add_u64 v[18:19], v[18:19], 0, s[24:25]
	s_waitcnt vmcnt(0) lgkmcnt(0)
	v_lshlrev_b32_e32 v26, 16, v26
	v_cndmask_b32_e32 v5, v5, v26, vcc
	s_cselect_b64 vcc, -1, 0
	s_cmp_eq_u32 s36, 1
	v_cndmask_b32_e32 v4, v4, v26, vcc
	s_cselect_b64 vcc, -1, 0
	s_cmp_eq_u32 s36, 0
	v_cndmask_b32_e32 v3, v3, v26, vcc
	s_cselect_b64 vcc, -1, 0
	s_add_u32 s36, s36, 1
	s_addc_u32 s37, s37, 0
	s_cmp_eq_u32 s19, s36
	v_cndmask_b32_e32 v2, v2, v26, vcc
	s_cbranch_scc0 .LBB619_80
.LBB619_81:                             ;   in Loop: Header=BB619_67 Depth=1
	s_and_b64 vcc, exec, s[14:15]
	s_cbranch_vccnz .LBB619_84
; %bb.82:                               ;   in Loop: Header=BB619_67 Depth=1
	s_mov_b64 s[14:15], 0
	v_mov_b64_e32 v[18:19], v[8:9]
.LBB619_83:                             ;   Parent Loop BB619_67 Depth=1
                                        ; =>  This Inner Loop Header: Depth=2
	flat_load_ushort v26, v[18:19]
	s_cmp_eq_u32 s14, 1
	s_cselect_b64 vcc, -1, 0
	s_cmp_eq_u32 s14, 2
	v_cndmask_b32_e32 v27, v2, v3, vcc
	s_cselect_b64 vcc, -1, 0
	s_cmp_eq_u32 s14, 3
	v_cndmask_b32_e32 v27, v27, v4, vcc
	s_cselect_b64 vcc, -1, 0
	s_add_u32 s14, s14, 1
	v_cndmask_b32_e32 v27, v27, v5, vcc
	s_addc_u32 s15, s15, 0
	v_lshl_add_u64 v[18:19], v[18:19], 0, 2
	s_cmp_lg_u32 s19, s14
	s_waitcnt vmcnt(0) lgkmcnt(0)
	v_lshlrev_b32_e32 v26, 16, v26
	v_fmac_f32_e32 v0, v27, v26
	s_cbranch_scc1 .LBB619_83
.LBB619_84:                             ;   in Loop: Header=BB619_67 Depth=1
	s_or_b64 exec, exec, s[34:35]
	s_or_b64 exec, exec, s[26:27]
	s_and_saveexec_b64 s[14:15], s[6:7]
	s_cbranch_execnz .LBB619_70
	s_branch .LBB619_71
.LBB619_85:                             ;   in Loop: Header=BB619_67 Depth=1
	ds_read_b32 v0, v20
	s_or_b64 exec, exec, s[14:15]
	s_and_saveexec_b64 s[14:15], s[6:7]
	s_cbranch_execz .LBB619_75
.LBB619_86:                             ;   in Loop: Header=BB619_67 Depth=1
	s_waitcnt lgkmcnt(0)
	ds_bpermute_b32 v18, v25, v0
	s_waitcnt lgkmcnt(0)
	v_add_f32_e32 v0, v0, v18
	ds_bpermute_b32 v18, v30, v0
	s_waitcnt lgkmcnt(0)
	v_add_f32_e32 v0, v0, v18
	s_or_b64 exec, exec, s[14:15]
	s_and_saveexec_b64 s[14:15], s[12:13]
	s_cbranch_execz .LBB619_66
.LBB619_87:                             ;   in Loop: Header=BB619_67 Depth=1
	s_mul_hi_u32 s27, s3, s18
	s_mul_i32 s26, s3, s18
	s_lshl_b64 s[26:27], s[26:27], 2
	s_add_u32 s26, s2, s26
	s_waitcnt lgkmcnt(0)
	v_mul_f32_e32 v0, s33, v0
	s_addc_u32 s27, s16, s27
	global_store_dword v1, v0, s[26:27]
	s_branch .LBB619_66
.LBB619_88:
	s_endpgm
	.section	.rodata,"a",@progbits
	.p2align	6, 0x0
	.amdhsa_kernel _ZL23rocblas_gemvt_sn_kernelILb1ELi256ELi4ElPK16rocblas_bfloat16PKffEviiT4_lPKT3_lilS8_lilPT5_i
		.amdhsa_group_segment_fixed_size 256
		.amdhsa_private_segment_fixed_size 0
		.amdhsa_kernarg_size 360
		.amdhsa_user_sgpr_count 2
		.amdhsa_user_sgpr_dispatch_ptr 0
		.amdhsa_user_sgpr_queue_ptr 0
		.amdhsa_user_sgpr_kernarg_segment_ptr 1
		.amdhsa_user_sgpr_dispatch_id 0
		.amdhsa_user_sgpr_kernarg_preload_length 0
		.amdhsa_user_sgpr_kernarg_preload_offset 0
		.amdhsa_user_sgpr_private_segment_size 0
		.amdhsa_uses_dynamic_stack 0
		.amdhsa_enable_private_segment 0
		.amdhsa_system_sgpr_workgroup_id_x 1
		.amdhsa_system_sgpr_workgroup_id_y 0
		.amdhsa_system_sgpr_workgroup_id_z 1
		.amdhsa_system_sgpr_workgroup_info 0
		.amdhsa_system_vgpr_workitem_id 0
		.amdhsa_next_free_vgpr 62
		.amdhsa_next_free_sgpr 53
		.amdhsa_accum_offset 64
		.amdhsa_reserve_vcc 1
		.amdhsa_float_round_mode_32 0
		.amdhsa_float_round_mode_16_64 0
		.amdhsa_float_denorm_mode_32 3
		.amdhsa_float_denorm_mode_16_64 3
		.amdhsa_dx10_clamp 1
		.amdhsa_ieee_mode 1
		.amdhsa_fp16_overflow 0
		.amdhsa_tg_split 0
		.amdhsa_exception_fp_ieee_invalid_op 0
		.amdhsa_exception_fp_denorm_src 0
		.amdhsa_exception_fp_ieee_div_zero 0
		.amdhsa_exception_fp_ieee_overflow 0
		.amdhsa_exception_fp_ieee_underflow 0
		.amdhsa_exception_fp_ieee_inexact 0
		.amdhsa_exception_int_div_zero 0
	.end_amdhsa_kernel
	.section	.text._ZL23rocblas_gemvt_sn_kernelILb1ELi256ELi4ElPK16rocblas_bfloat16PKffEviiT4_lPKT3_lilS8_lilPT5_i,"axG",@progbits,_ZL23rocblas_gemvt_sn_kernelILb1ELi256ELi4ElPK16rocblas_bfloat16PKffEviiT4_lPKT3_lilS8_lilPT5_i,comdat
.Lfunc_end619:
	.size	_ZL23rocblas_gemvt_sn_kernelILb1ELi256ELi4ElPK16rocblas_bfloat16PKffEviiT4_lPKT3_lilS8_lilPT5_i, .Lfunc_end619-_ZL23rocblas_gemvt_sn_kernelILb1ELi256ELi4ElPK16rocblas_bfloat16PKffEviiT4_lPKT3_lilS8_lilPT5_i
                                        ; -- End function
	.section	.AMDGPU.csdata,"",@progbits
; Kernel info:
; codeLenInByte = 4104
; NumSgprs: 59
; NumVgprs: 62
; NumAgprs: 0
; TotalNumVgprs: 62
; ScratchSize: 0
; MemoryBound: 0
; FloatMode: 240
; IeeeMode: 1
; LDSByteSize: 256 bytes/workgroup (compile time only)
; SGPRBlocks: 7
; VGPRBlocks: 7
; NumSGPRsForWavesPerEU: 59
; NumVGPRsForWavesPerEU: 62
; AccumOffset: 64
; Occupancy: 8
; WaveLimiterHint : 0
; COMPUTE_PGM_RSRC2:SCRATCH_EN: 0
; COMPUTE_PGM_RSRC2:USER_SGPR: 2
; COMPUTE_PGM_RSRC2:TRAP_HANDLER: 0
; COMPUTE_PGM_RSRC2:TGID_X_EN: 1
; COMPUTE_PGM_RSRC2:TGID_Y_EN: 0
; COMPUTE_PGM_RSRC2:TGID_Z_EN: 1
; COMPUTE_PGM_RSRC2:TIDIG_COMP_CNT: 0
; COMPUTE_PGM_RSRC3_GFX90A:ACCUM_OFFSET: 15
; COMPUTE_PGM_RSRC3_GFX90A:TG_SPLIT: 0
	.section	.text._ZL23rocblas_gemvt_sn_kernelILb1ELi256ELi4EiPK16rocblas_bfloat16ffEviiT4_lPKT3_lilS6_lilPT5_i,"axG",@progbits,_ZL23rocblas_gemvt_sn_kernelILb1ELi256ELi4EiPK16rocblas_bfloat16ffEviiT4_lPKT3_lilS6_lilPT5_i,comdat
	.globl	_ZL23rocblas_gemvt_sn_kernelILb1ELi256ELi4EiPK16rocblas_bfloat16ffEviiT4_lPKT3_lilS6_lilPT5_i ; -- Begin function _ZL23rocblas_gemvt_sn_kernelILb1ELi256ELi4EiPK16rocblas_bfloat16ffEviiT4_lPKT3_lilS6_lilPT5_i
	.p2align	8
	.type	_ZL23rocblas_gemvt_sn_kernelILb1ELi256ELi4EiPK16rocblas_bfloat16ffEviiT4_lPKT3_lilS6_lilPT5_i,@function
_ZL23rocblas_gemvt_sn_kernelILb1ELi256ELi4EiPK16rocblas_bfloat16ffEviiT4_lPKT3_lilS6_lilPT5_i: ; @_ZL23rocblas_gemvt_sn_kernelILb1ELi256ELi4EiPK16rocblas_bfloat16ffEviiT4_lPKT3_lilS6_lilPT5_i
; %bb.0:
	s_load_dwordx4 s[16:19], s[0:1], 0x0
	s_mov_b32 s10, s3
	s_mov_b32 s11, 0
	s_waitcnt lgkmcnt(0)
	v_cmp_neq_f32_e64 s[6:7], s18, 0
	v_cmp_eq_f32_e64 s[8:9], s18, 0
	s_and_b64 vcc, exec, s[6:7]
	s_cbranch_vccnz .LBB620_2
; %bb.1:
	s_mov_b64 s[4:5], 0
	s_cbranch_execz .LBB620_3
	s_branch .LBB620_4
.LBB620_2:
                                        ; implicit-def: $sgpr4_sgpr5
.LBB620_3:
	s_load_dwordx4 s[12:15], s[0:1], 0x18
	s_lshl_b64 s[4:5], s[10:11], 3
	s_waitcnt lgkmcnt(0)
	s_add_u32 s4, s12, s4
	s_addc_u32 s5, s13, s5
	s_load_dwordx2 s[4:5], s[4:5], 0x0
	s_lshl_b64 s[12:13], s[14:15], 1
	s_waitcnt lgkmcnt(0)
	s_add_u32 s4, s4, s12
	s_addc_u32 s5, s5, s13
.LBB620_4:
	s_andn2_b64 vcc, exec, s[6:7]
	s_cbranch_vccnz .LBB620_6
; %bb.5:
	s_load_dwordx4 s[12:15], s[0:1], 0x38
	s_lshl_b64 s[6:7], s[10:11], 3
	s_waitcnt lgkmcnt(0)
	s_add_u32 s6, s12, s6
	s_addc_u32 s7, s13, s7
	s_load_dwordx2 s[6:7], s[6:7], 0x0
	s_lshl_b64 s[12:13], s[14:15], 1
	s_waitcnt lgkmcnt(0)
	s_add_u32 s20, s6, s12
	s_addc_u32 s21, s7, s13
	s_branch .LBB620_7
.LBB620_6:
	s_mov_b64 s[20:21], 0
.LBB620_7:
	s_load_dwordx2 s[6:7], s[0:1], 0x58
	s_load_dword s22, s[0:1], 0x68
	s_ashr_i32 s25, s17, 31
	s_mul_hi_u32 s3, s10, s17
	s_mul_i32 s12, s10, s25
	s_add_i32 s3, s3, s12
	s_mul_i32 s11, s11, s17
	s_add_i32 s11, s3, s11
	s_mul_i32 s10, s10, s17
	s_waitcnt lgkmcnt(0)
	s_mul_i32 s3, s11, s22
	s_mul_hi_u32 s12, s10, s22
	s_add_i32 s13, s12, s3
	s_mul_i32 s12, s10, s22
	s_lshl_b64 s[12:13], s[12:13], 2
	s_add_u32 s33, s6, s12
	s_mov_b32 s23, 0
	s_addc_u32 s44, s7, s13
	s_andn2_b64 vcc, exec, s[8:9]
	s_mov_b64 s[8:9], -1
	s_cbranch_vccnz .LBB620_17
; %bb.8:
	s_cmp_gt_i32 s17, 0
	v_cmp_eq_u32_e32 vcc, 0, v0
	s_cselect_b64 s[8:9], -1, 0
	s_and_b64 s[12:13], vcc, s[8:9]
	s_and_saveexec_b64 s[8:9], s[12:13]
	s_cbranch_execz .LBB620_16
; %bb.9:
	s_cmp_gt_u32 s17, 1
	s_cselect_b64 s[12:13], -1, 0
	s_cmp_eq_u32 s22, 1
	s_cselect_b64 s[26:27], -1, 0
	s_mov_b32 s3, 0
	s_and_b64 s[12:13], s[12:13], s[26:27]
	s_mov_b64 s[14:15], -1
	s_andn2_b64 vcc, exec, s[12:13]
	s_mov_b32 s12, s3
	s_cbranch_vccnz .LBB620_13
; %bb.10:
	s_lshl_b64 s[12:13], s[2:3], 2
	s_add_u32 s14, s33, s12
	s_addc_u32 s15, s44, s13
	s_and_b32 s12, s17, 0x7ffffffe
	v_mov_b32_e32 v2, 0
	v_mov_b32_e32 v3, v2
	s_mov_b32 s13, s12
.LBB620_11:                             ; =>This Inner Loop Header: Depth=1
	global_store_dwordx2 v2, v[2:3], s[14:15]
	s_add_u32 s14, s14, 8
	s_addc_u32 s15, s15, 0
	s_add_i32 s13, s13, -2
	s_cmp_lg_u32 s13, 0
	s_cbranch_scc1 .LBB620_11
; %bb.12:
	s_cmp_lg_u32 s12, s17
	s_cselect_b64 s[14:15], -1, 0
.LBB620_13:
	s_and_b64 vcc, exec, s[14:15]
	s_cbranch_vccz .LBB620_16
; %bb.14:
	s_mov_b32 s13, 0
	s_sub_i32 s14, s17, s12
	s_lshl_b64 s[10:11], s[10:11], 2
	s_lshl_b64 s[12:13], s[12:13], 2
	s_add_u32 s10, s10, s12
	s_addc_u32 s11, s11, s13
	s_mul_i32 s11, s11, s22
	s_mul_hi_u32 s12, s10, s22
	s_add_i32 s12, s12, s11
	s_mul_i32 s13, s10, s22
	s_lshl_b64 s[10:11], s[2:3], 2
	s_add_u32 s3, s13, s10
	s_addc_u32 s10, s12, s11
	s_add_u32 s6, s6, s3
	s_addc_u32 s7, s7, s10
	s_lshl_b64 s[10:11], s[22:23], 2
	v_mov_b32_e32 v1, 0
.LBB620_15:                             ; =>This Inner Loop Header: Depth=1
	s_add_i32 s14, s14, -1
	global_store_dword v1, v1, s[6:7]
	s_add_u32 s6, s6, s10
	s_addc_u32 s7, s7, s11
	s_cmp_eq_u32 s14, 0
	s_cbranch_scc0 .LBB620_15
.LBB620_16:
	s_or_b64 exec, exec, s[8:9]
	s_mov_b64 s[8:9], 0
.LBB620_17:
	s_andn2_b64 vcc, exec, s[8:9]
	s_cbranch_vccnz .LBB620_91
; %bb.18:
	s_load_dword s24, s[0:1], 0x28
	s_load_dword s19, s[0:1], 0x48
	s_lshl_b32 s0, s2, 10
	v_lshl_or_b32 v2, v0, 2, s0
	s_lshr_b32 s0, s25, 30
	s_add_i32 s0, s17, s0
	s_and_b32 s3, s0, -4
	s_ashr_i32 s0, s16, 31
	s_lshr_b32 s0, s0, 30
	s_add_i32 s0, s16, s0
	s_and_b32 s0, s0, -4
	v_ashrrev_i32_e32 v3, 31, v2
	s_sub_i32 s23, s16, s0
	v_lshl_add_u64 v[6:7], v[2:3], 1, s[4:5]
	s_cmp_lt_i32 s3, 1
	v_add_u32_e32 v27, 4, v2
	v_add_u32_e32 v28, s23, v2
	v_and_b32_e32 v1, 63, v0
	v_cmp_gt_u32_e64 s[0:1], 64, v0
	v_mbcnt_lo_u32_b32 v26, -1, 0
	v_cmp_gt_u32_e64 s[4:5], 4, v0
	v_lshrrev_b32_e32 v9, 4, v0
	v_cmp_eq_u32_e64 s[6:7], 0, v0
	s_waitcnt lgkmcnt(0)
	v_mul_lo_u32 v8, v2, s19
	s_cbranch_scc1 .LBB620_66
; %bb.19:
	v_mbcnt_hi_u32_b32 v3, -1, v26
	v_and_b32_e32 v4, 63, v3
	v_cmp_gt_u32_e32 vcc, 32, v4
	v_mul_lo_u32 v10, v2, s19
	v_add_u32_e32 v2, s19, v10
	v_cndmask_b32_e64 v5, 0, 1, vcc
	v_lshlrev_b32_e32 v5, 5, v5
	v_cmp_gt_u32_e32 vcc, 48, v4
	v_add_lshl_u32 v29, v5, v3, 2
	s_mov_b32 s27, 0
	v_cndmask_b32_e64 v5, 0, 1, vcc
	v_lshlrev_b32_e32 v5, 4, v5
	v_cmp_gt_u32_e32 vcc, 56, v4
	v_add_lshl_u32 v30, v5, v3, 2
	s_cmp_gt_i32 s23, 0
	v_cndmask_b32_e64 v5, 0, 1, vcc
	v_lshlrev_b32_e32 v5, 3, v5
	v_cmp_gt_u32_e32 vcc, 60, v4
	v_add_lshl_u32 v31, v5, v3, 2
	s_cselect_b64 s[28:29], -1, 0
	v_cndmask_b32_e64 v5, 0, 1, vcc
	v_lshlrev_b32_e32 v5, 2, v5
	v_cmp_gt_u32_e32 vcc, 62, v4
	v_add_lshl_u32 v32, v5, v3, 2
	v_ashrrev_i32_e32 v11, 31, v10
	v_cndmask_b32_e64 v5, 0, 1, vcc
	v_lshlrev_b32_e32 v5, 1, v5
	v_cmp_ne_u32_e32 vcc, 63, v4
	v_add_lshl_u32 v33, v5, v3, 2
	s_mov_b32 s25, s27
	v_addc_co_u32_e32 v3, vcc, 0, v3, vcc
	v_lshlrev_b32_e32 v34, 2, v3
	v_ashrrev_i32_e32 v3, 31, v2
	v_lshl_add_u64 v[14:15], v[2:3], 1, s[20:21]
	v_add_u32_e32 v2, s19, v2
	v_ashrrev_i32_e32 v3, 31, v2
	v_lshl_add_u64 v[16:17], v[2:3], 1, s[20:21]
	v_add_u32_e32 v2, s19, v2
	v_ashrrev_i32_e32 v3, 31, v2
	s_lshl_b32 s26, s24, 1
	v_cmp_ge_i32_e64 s[8:9], s16, v27
	v_cmp_ge_i32_e64 s[10:11], s16, v28
	v_cmp_eq_u32_e64 s[12:13], 0, v1
	v_lshlrev_b32_e32 v35, 2, v1
	v_and_b32_e32 v36, 12, v9
	v_lshl_add_u64 v[12:13], v[10:11], 1, s[20:21]
	v_lshl_add_u64 v[18:19], v[2:3], 1, s[20:21]
	s_lshl_b32 s45, s24, 2
	s_mul_i32 s46, s24, 3
	s_mov_b32 s47, s27
	v_mov_b32_e32 v11, 0
	s_mov_b32 s30, s27
	s_mov_b64 s[34:35], s[26:27]
	s_mov_b64 s[36:37], s[24:25]
	s_mov_b32 s25, 0
                                        ; implicit-def: $vgpr2_vgpr3_vgpr4_vgpr5
	s_branch .LBB620_21
.LBB620_20:                             ;   in Loop: Header=BB620_21 Depth=1
	s_or_b64 exec, exec, s[14:15]
	s_add_i32 s25, s25, 4
	s_add_u32 s36, s36, s45
	s_addc_u32 s37, s37, 0
	s_add_u32 s34, s34, s45
	s_addc_u32 s35, s35, 0
	;; [unrolled: 2-line block ×3, first 2 shown]
	s_add_i32 s30, s30, s45
	s_cmp_ge_i32 s25, s3
	s_cbranch_scc1 .LBB620_67
.LBB620_21:                             ; =>This Loop Header: Depth=1
                                        ;     Child Loop BB620_52 Depth 2
                                        ;     Child Loop BB620_55 Depth 2
                                        ; implicit-def: $vgpr21
                                        ; implicit-def: $vgpr23
	s_and_saveexec_b64 s[14:15], s[8:9]
	s_xor_b64 s[14:15], exec, s[14:15]
	s_cbranch_execnz .LBB620_48
; %bb.22:                               ;   in Loop: Header=BB620_21 Depth=1
	s_andn2_saveexec_b64 s[38:39], s[14:15]
	s_cbranch_execnz .LBB620_49
.LBB620_23:                             ;   in Loop: Header=BB620_21 Depth=1
	s_or_b64 exec, exec, s[38:39]
	s_and_saveexec_b64 s[14:15], s[0:1]
	s_cbranch_execz .LBB620_25
.LBB620_24:                             ;   in Loop: Header=BB620_21 Depth=1
	ds_write_b32 v35, v11
.LBB620_25:                             ;   in Loop: Header=BB620_21 Depth=1
	s_or_b64 exec, exec, s[14:15]
	ds_bpermute_b32 v24, v29, v22
	s_waitcnt lgkmcnt(0)
	s_barrier
	v_add_f32_e32 v22, v22, v24
	ds_bpermute_b32 v24, v30, v22
	s_waitcnt lgkmcnt(0)
	v_add_f32_e32 v22, v22, v24
	ds_bpermute_b32 v24, v31, v22
	s_waitcnt lgkmcnt(0)
	;; [unrolled: 3-line block ×4, first 2 shown]
	v_add_f32_e32 v22, v22, v24
	ds_bpermute_b32 v24, v34, v22
	s_and_saveexec_b64 s[14:15], s[12:13]
	s_cbranch_execz .LBB620_27
; %bb.26:                               ;   in Loop: Header=BB620_21 Depth=1
	s_waitcnt lgkmcnt(0)
	v_add_f32_e32 v22, v22, v24
	ds_write_b32 v36, v22
.LBB620_27:                             ;   in Loop: Header=BB620_21 Depth=1
	s_or_b64 exec, exec, s[14:15]
	v_mov_b32_e32 v22, 0
	s_waitcnt lgkmcnt(0)
	s_barrier
	s_and_saveexec_b64 s[14:15], s[4:5]
	s_cbranch_execnz .LBB620_57
; %bb.28:                               ;   in Loop: Header=BB620_21 Depth=1
	s_or_b64 exec, exec, s[14:15]
	s_and_saveexec_b64 s[14:15], s[0:1]
	s_cbranch_execnz .LBB620_58
.LBB620_29:                             ;   in Loop: Header=BB620_21 Depth=1
	s_or_b64 exec, exec, s[14:15]
	s_and_saveexec_b64 s[14:15], s[0:1]
	s_cbranch_execz .LBB620_31
.LBB620_30:                             ;   in Loop: Header=BB620_21 Depth=1
	ds_write_b32 v35, v11
.LBB620_31:                             ;   in Loop: Header=BB620_21 Depth=1
	s_or_b64 exec, exec, s[14:15]
	ds_bpermute_b32 v24, v29, v23
	s_waitcnt lgkmcnt(0)
	s_barrier
	v_add_f32_e32 v23, v23, v24
	ds_bpermute_b32 v24, v30, v23
	s_waitcnt lgkmcnt(0)
	v_add_f32_e32 v23, v23, v24
	ds_bpermute_b32 v24, v31, v23
	s_waitcnt lgkmcnt(0)
	v_add_f32_e32 v23, v23, v24
	ds_bpermute_b32 v24, v32, v23
	s_waitcnt lgkmcnt(0)
	v_add_f32_e32 v23, v23, v24
	ds_bpermute_b32 v24, v33, v23
	s_waitcnt lgkmcnt(0)
	v_add_f32_e32 v23, v23, v24
	ds_bpermute_b32 v24, v34, v23
	s_and_saveexec_b64 s[14:15], s[12:13]
	s_cbranch_execz .LBB620_33
; %bb.32:                               ;   in Loop: Header=BB620_21 Depth=1
	s_waitcnt lgkmcnt(0)
	v_add_f32_e32 v23, v23, v24
	ds_write_b32 v36, v23
.LBB620_33:                             ;   in Loop: Header=BB620_21 Depth=1
	s_or_b64 exec, exec, s[14:15]
	v_mov_b32_e32 v23, 0
	s_waitcnt lgkmcnt(0)
	s_barrier
	s_and_saveexec_b64 s[14:15], s[4:5]
	s_cbranch_execnz .LBB620_59
; %bb.34:                               ;   in Loop: Header=BB620_21 Depth=1
	s_or_b64 exec, exec, s[14:15]
	s_and_saveexec_b64 s[14:15], s[0:1]
	s_cbranch_execnz .LBB620_60
.LBB620_35:                             ;   in Loop: Header=BB620_21 Depth=1
	s_or_b64 exec, exec, s[14:15]
	s_and_saveexec_b64 s[14:15], s[0:1]
	s_cbranch_execz .LBB620_37
.LBB620_36:                             ;   in Loop: Header=BB620_21 Depth=1
	ds_write_b32 v35, v11
.LBB620_37:                             ;   in Loop: Header=BB620_21 Depth=1
	s_or_b64 exec, exec, s[14:15]
	ds_bpermute_b32 v24, v29, v20
	s_waitcnt lgkmcnt(0)
	s_barrier
	v_add_f32_e32 v20, v20, v24
	ds_bpermute_b32 v24, v30, v20
	s_waitcnt lgkmcnt(0)
	v_add_f32_e32 v20, v20, v24
	ds_bpermute_b32 v24, v31, v20
	s_waitcnt lgkmcnt(0)
	;; [unrolled: 3-line block ×4, first 2 shown]
	v_add_f32_e32 v20, v20, v24
	ds_bpermute_b32 v24, v34, v20
	s_and_saveexec_b64 s[14:15], s[12:13]
	s_cbranch_execz .LBB620_39
; %bb.38:                               ;   in Loop: Header=BB620_21 Depth=1
	s_waitcnt lgkmcnt(0)
	v_add_f32_e32 v20, v20, v24
	ds_write_b32 v36, v20
.LBB620_39:                             ;   in Loop: Header=BB620_21 Depth=1
	s_or_b64 exec, exec, s[14:15]
	v_mov_b32_e32 v20, 0
	s_waitcnt lgkmcnt(0)
	s_barrier
	s_and_saveexec_b64 s[14:15], s[4:5]
	s_cbranch_execnz .LBB620_61
; %bb.40:                               ;   in Loop: Header=BB620_21 Depth=1
	s_or_b64 exec, exec, s[14:15]
	s_and_saveexec_b64 s[14:15], s[0:1]
	s_cbranch_execnz .LBB620_62
.LBB620_41:                             ;   in Loop: Header=BB620_21 Depth=1
	s_or_b64 exec, exec, s[14:15]
	s_and_saveexec_b64 s[14:15], s[0:1]
	s_cbranch_execz .LBB620_43
.LBB620_42:                             ;   in Loop: Header=BB620_21 Depth=1
	ds_write_b32 v35, v11
.LBB620_43:                             ;   in Loop: Header=BB620_21 Depth=1
	s_or_b64 exec, exec, s[14:15]
	ds_bpermute_b32 v24, v29, v21
	s_waitcnt lgkmcnt(0)
	s_barrier
	v_add_f32_e32 v21, v21, v24
	ds_bpermute_b32 v24, v30, v21
	s_waitcnt lgkmcnt(0)
	v_add_f32_e32 v21, v21, v24
	ds_bpermute_b32 v24, v31, v21
	s_waitcnt lgkmcnt(0)
	;; [unrolled: 3-line block ×4, first 2 shown]
	v_add_f32_e32 v21, v21, v24
	ds_bpermute_b32 v24, v34, v21
	s_and_saveexec_b64 s[14:15], s[12:13]
	s_cbranch_execz .LBB620_45
; %bb.44:                               ;   in Loop: Header=BB620_21 Depth=1
	s_waitcnt lgkmcnt(0)
	v_add_f32_e32 v21, v21, v24
	ds_write_b32 v36, v21
.LBB620_45:                             ;   in Loop: Header=BB620_21 Depth=1
	s_or_b64 exec, exec, s[14:15]
	v_mov_b32_e32 v21, 0
	s_waitcnt lgkmcnt(0)
	s_barrier
	s_and_saveexec_b64 s[14:15], s[4:5]
	s_cbranch_execnz .LBB620_63
; %bb.46:                               ;   in Loop: Header=BB620_21 Depth=1
	s_or_b64 exec, exec, s[14:15]
	s_and_saveexec_b64 s[14:15], s[0:1]
	s_cbranch_execnz .LBB620_64
.LBB620_47:                             ;   in Loop: Header=BB620_21 Depth=1
	s_or_b64 exec, exec, s[14:15]
	s_and_saveexec_b64 s[14:15], s[6:7]
	s_cbranch_execz .LBB620_20
	s_branch .LBB620_65
.LBB620_48:                             ;   in Loop: Header=BB620_21 Depth=1
	s_mul_i32 s38, s25, s24
	s_ashr_i32 s39, s38, 31
	v_lshl_add_u64 v[2:3], s[38:39], 1, v[6:7]
	s_add_i32 s38, s38, s24
	s_ashr_i32 s39, s38, 31
	flat_load_ushort v4, v[12:13]
	flat_load_ushort v5, v[14:15]
	;; [unrolled: 1-line block ×4, first 2 shown]
	s_waitcnt lgkmcnt(0)
	flat_load_dwordx2 v[20:21], v[2:3]
	v_lshl_add_u64 v[2:3], s[38:39], 1, v[6:7]
	s_add_i32 s38, s38, s24
	s_ashr_i32 s39, s38, 31
	flat_load_dwordx2 v[22:23], v[2:3]
	v_lshl_add_u64 v[2:3], s[38:39], 1, v[6:7]
	s_add_i32 s38, s38, s24
	s_ashr_i32 s39, s38, 31
	flat_load_dwordx2 v[24:25], v[2:3]
	v_lshl_add_u64 v[2:3], s[38:39], 1, v[6:7]
	flat_load_dwordx2 v[38:39], v[2:3]
	s_waitcnt vmcnt(0) lgkmcnt(0)
	v_lshlrev_b32_e32 v2, 16, v4
	v_lshlrev_b32_e32 v41, 16, v5
	;; [unrolled: 1-line block ×5, first 2 shown]
	v_and_b32_e32 v54, 0xffff0000, v21
	v_mov_b32_e32 v46, v41
	v_lshlrev_b32_e32 v50, 16, v20
	v_lshlrev_b32_e32 v51, 16, v22
	v_and_b32_e32 v21, 0xffff0000, v22
	v_lshlrev_b32_e32 v53, 16, v23
	v_and_b32_e32 v55, 0xffff0000, v23
	;; [unrolled: 2-line block ×3, first 2 shown]
	v_and_b32_e32 v3, 0xffff0000, v38
	v_lshlrev_b32_e32 v40, 16, v38
	v_and_b32_e32 v43, 0xffff0000, v39
	v_lshlrev_b32_e32 v44, 16, v39
	v_pk_mul_f32 v[58:59], v[40:41], v[2:3]
	v_lshlrev_b32_e32 v37, 16, v25
	v_and_b32_e32 v25, 0xffff0000, v25
	v_mul_f32_e32 v22, v2, v22
	v_mul_f32_e32 v24, v41, v23
	v_mov_b32_e32 v3, v41
	v_pk_mul_f32 v[40:41], v[44:45], v[42:43]
	v_mov_b32_e32 v23, v58
	v_and_b32_e32 v20, 0xffff0000, v20
	v_mul_f32_e32 v56, v45, v25
	v_mov_b32_e32 v25, v59
	v_mov_b32_e32 v39, v40
	;; [unrolled: 1-line block ×3, first 2 shown]
	v_pk_fma_f32 v[40:41], v[2:3], v[50:51], 0 op_sel_hi:[0,1,0]
	v_pk_add_f32 v[22:23], v[22:23], 0 op_sel_hi:[1,0]
	v_mul_f32_e32 v38, v42, v37
	v_pk_fma_f32 v[20:21], v[46:47], v[20:21], v[40:41] op_sel_hi:[0,1,1]
	v_pk_add_f32 v[22:23], v[22:23], v[24:25]
	v_mov_b32_e32 v48, v45
	v_pk_fma_f32 v[24:25], v[42:43], v[52:53], v[20:21] op_sel_hi:[0,1,1]
	v_pk_add_f32 v[20:21], v[22:23], v[38:39]
	v_mov_b32_e32 v4, v42
	v_mov_b32_e32 v5, v45
	v_pk_add_f32 v[20:21], v[20:21], v[56:57]
	v_pk_fma_f32 v[22:23], v[48:49], v[54:55], v[24:25] op_sel_hi:[0,1,1]
	s_andn2_saveexec_b64 s[38:39], s[14:15]
	s_cbranch_execz .LBB620_23
.LBB620_49:                             ;   in Loop: Header=BB620_21 Depth=1
	s_waitcnt lgkmcnt(0)
	v_mov_b32_e32 v21, 0
	v_mov_b32_e32 v20, 0
	;; [unrolled: 1-line block ×4, first 2 shown]
	s_and_saveexec_b64 s[40:41], s[10:11]
	s_cbranch_execz .LBB620_56
; %bb.50:                               ;   in Loop: Header=BB620_21 Depth=1
	v_cndmask_b32_e64 v20, 0, 1, s[28:29]
	v_cmp_ne_u32_e64 s[14:15], 1, v20
	s_andn2_b64 vcc, exec, s[28:29]
	s_cbranch_vccnz .LBB620_53
; %bb.51:                               ;   in Loop: Header=BB620_21 Depth=1
	s_mov_b64 s[42:43], 0
	v_mov_b32_e32 v20, v10
.LBB620_52:                             ;   Parent Loop BB620_21 Depth=1
                                        ; =>  This Inner Loop Header: Depth=2
	v_ashrrev_i32_e32 v21, 31, v20
	v_lshl_add_u64 v[22:23], v[20:21], 1, s[20:21]
	flat_load_ushort v21, v[22:23]
	s_cmp_eq_u32 s42, 3
	s_cselect_b64 vcc, -1, 0
	s_cmp_eq_u32 s42, 2
	v_add_u32_e32 v20, s19, v20
	s_waitcnt vmcnt(0) lgkmcnt(0)
	v_lshlrev_b32_e32 v21, 16, v21
	v_cndmask_b32_e32 v5, v5, v21, vcc
	s_cselect_b64 vcc, -1, 0
	s_cmp_eq_u32 s42, 1
	v_cndmask_b32_e32 v4, v4, v21, vcc
	s_cselect_b64 vcc, -1, 0
	s_cmp_eq_u32 s42, 0
	v_cndmask_b32_e32 v3, v3, v21, vcc
	s_cselect_b64 vcc, -1, 0
	s_add_u32 s42, s42, 1
	s_addc_u32 s43, s43, 0
	s_cmp_eq_u32 s23, s42
	v_cndmask_b32_e32 v2, v2, v21, vcc
	s_cbranch_scc0 .LBB620_52
.LBB620_53:                             ;   in Loop: Header=BB620_21 Depth=1
	v_mov_b32_e32 v21, 0
	s_and_b64 vcc, exec, s[14:15]
	v_mov_b32_e32 v20, v21
	v_mov_b32_e32 v23, v21
	;; [unrolled: 1-line block ×3, first 2 shown]
	s_cbranch_vccnz .LBB620_56
; %bb.54:                               ;   in Loop: Header=BB620_21 Depth=1
	s_ashr_i32 s31, s30, 31
	v_mov_b32_e32 v22, 0
	v_lshl_add_u64 v[24:25], s[30:31], 1, v[6:7]
	s_mov_b64 s[14:15], 0
	v_mov_b32_e32 v23, v22
	v_mov_b32_e32 v20, v22
	;; [unrolled: 1-line block ×3, first 2 shown]
.LBB620_55:                             ;   Parent Loop BB620_21 Depth=1
                                        ; =>  This Inner Loop Header: Depth=2
	s_cmp_eq_u32 s14, 1
	s_cselect_b64 vcc, -1, 0
	s_cmp_eq_u32 s14, 2
	v_cndmask_b32_e32 v38, v2, v3, vcc
	s_cselect_b64 vcc, -1, 0
	s_cmp_eq_u32 s14, 3
	v_cndmask_b32_e32 v44, v38, v4, vcc
	s_cselect_b64 vcc, -1, 0
	s_add_i32 s42, s36, s14
	s_add_i32 s48, s34, s14
	;; [unrolled: 1-line block ×3, first 2 shown]
	s_ashr_i32 s43, s42, 31
	s_ashr_i32 s49, s48, 31
	;; [unrolled: 1-line block ×3, first 2 shown]
	v_lshl_add_u64 v[38:39], s[42:43], 1, v[6:7]
	flat_load_ushort v37, v[24:25]
	v_lshl_add_u64 v[40:41], s[48:49], 1, v[6:7]
	v_lshl_add_u64 v[42:43], s[50:51], 1, v[6:7]
	flat_load_ushort v39, v[38:39]
	s_nop 0
	flat_load_ushort v45, v[42:43]
	flat_load_ushort v46, v[40:41]
	s_add_u32 s14, s14, 1
	v_cndmask_b32_e32 v38, v44, v5, vcc
	s_addc_u32 s15, s15, 0
	v_lshl_add_u64 v[24:25], v[24:25], 0, 2
	s_cmp_lg_u32 s23, s14
	s_waitcnt vmcnt(0) lgkmcnt(0)
	v_lshlrev_b32_e32 v40, 16, v37
	v_lshlrev_b32_e32 v41, 16, v39
	;; [unrolled: 1-line block ×4, first 2 shown]
	v_pk_fma_f32 v[22:23], v[38:39], v[40:41], v[22:23] op_sel_hi:[0,1,1]
	v_pk_fma_f32 v[20:21], v[38:39], v[42:43], v[20:21] op_sel_hi:[0,1,1]
	s_cbranch_scc1 .LBB620_55
.LBB620_56:                             ;   in Loop: Header=BB620_21 Depth=1
	s_or_b64 exec, exec, s[40:41]
	s_or_b64 exec, exec, s[38:39]
	s_and_saveexec_b64 s[14:15], s[0:1]
	s_cbranch_execnz .LBB620_24
	s_branch .LBB620_25
.LBB620_57:                             ;   in Loop: Header=BB620_21 Depth=1
	ds_read_b32 v22, v35
	s_or_b64 exec, exec, s[14:15]
	s_and_saveexec_b64 s[14:15], s[0:1]
	s_cbranch_execz .LBB620_29
.LBB620_58:                             ;   in Loop: Header=BB620_21 Depth=1
	s_waitcnt lgkmcnt(0)
	ds_bpermute_b32 v24, v33, v22
	s_waitcnt lgkmcnt(0)
	v_add_f32_e32 v22, v22, v24
	ds_bpermute_b32 v24, v34, v22
	s_waitcnt lgkmcnt(0)
	v_add_f32_e32 v22, v22, v24
	s_or_b64 exec, exec, s[14:15]
	s_and_saveexec_b64 s[14:15], s[0:1]
	s_cbranch_execnz .LBB620_30
	s_branch .LBB620_31
.LBB620_59:                             ;   in Loop: Header=BB620_21 Depth=1
	ds_read_b32 v23, v35
	s_or_b64 exec, exec, s[14:15]
	s_and_saveexec_b64 s[14:15], s[0:1]
	s_cbranch_execz .LBB620_35
.LBB620_60:                             ;   in Loop: Header=BB620_21 Depth=1
	s_waitcnt lgkmcnt(0)
	ds_bpermute_b32 v24, v33, v23
	s_waitcnt lgkmcnt(0)
	v_add_f32_e32 v23, v23, v24
	ds_bpermute_b32 v24, v34, v23
	s_waitcnt lgkmcnt(0)
	v_add_f32_e32 v23, v23, v24
	s_or_b64 exec, exec, s[14:15]
	s_and_saveexec_b64 s[14:15], s[0:1]
	s_cbranch_execnz .LBB620_36
	s_branch .LBB620_37
.LBB620_61:                             ;   in Loop: Header=BB620_21 Depth=1
	ds_read_b32 v20, v35
	s_or_b64 exec, exec, s[14:15]
	s_and_saveexec_b64 s[14:15], s[0:1]
	s_cbranch_execz .LBB620_41
.LBB620_62:                             ;   in Loop: Header=BB620_21 Depth=1
	s_waitcnt lgkmcnt(0)
	ds_bpermute_b32 v24, v33, v20
	s_waitcnt lgkmcnt(0)
	v_add_f32_e32 v20, v20, v24
	ds_bpermute_b32 v24, v34, v20
	s_waitcnt lgkmcnt(0)
	v_add_f32_e32 v20, v20, v24
	s_or_b64 exec, exec, s[14:15]
	s_and_saveexec_b64 s[14:15], s[0:1]
	s_cbranch_execnz .LBB620_42
	s_branch .LBB620_43
.LBB620_63:                             ;   in Loop: Header=BB620_21 Depth=1
	ds_read_b32 v21, v35
	s_or_b64 exec, exec, s[14:15]
	s_and_saveexec_b64 s[14:15], s[0:1]
	s_cbranch_execz .LBB620_47
.LBB620_64:                             ;   in Loop: Header=BB620_21 Depth=1
	s_waitcnt lgkmcnt(0)
	ds_bpermute_b32 v24, v33, v21
	s_waitcnt lgkmcnt(0)
	v_add_f32_e32 v21, v21, v24
	ds_bpermute_b32 v24, v34, v21
	s_waitcnt lgkmcnt(0)
	v_add_f32_e32 v21, v21, v24
	s_or_b64 exec, exec, s[14:15]
	s_and_saveexec_b64 s[14:15], s[6:7]
	s_cbranch_execz .LBB620_20
.LBB620_65:                             ;   in Loop: Header=BB620_21 Depth=1
	s_mul_i32 s26, s25, s22
	s_add_i32 s26, s26, s2
	s_lshl_b64 s[38:39], s[26:27], 2
	s_add_u32 s38, s33, s38
	v_mul_f32_e32 v22, s18, v22
	s_addc_u32 s39, s44, s39
	s_add_i32 s26, s26, s22
	global_store_dword v11, v22, s[38:39]
	s_lshl_b64 s[38:39], s[26:27], 2
	s_add_u32 s38, s33, s38
	v_mul_f32_e32 v22, s18, v23
	s_addc_u32 s39, s44, s39
	s_add_i32 s26, s26, s22
	global_store_dword v11, v22, s[38:39]
	s_lshl_b64 s[38:39], s[26:27], 2
	s_add_u32 s38, s33, s38
	v_mul_f32_e32 v20, s18, v20
	s_addc_u32 s39, s44, s39
	s_add_i32 s26, s26, s22
	global_store_dword v11, v20, s[38:39]
	s_lshl_b64 s[38:39], s[26:27], 2
	s_add_u32 s38, s33, s38
	s_waitcnt lgkmcnt(0)
	v_mul_f32_e32 v20, s18, v21
	s_addc_u32 s39, s44, s39
	global_store_dword v11, v20, s[38:39]
	s_branch .LBB620_20
.LBB620_66:
	s_mov_b32 s25, 0
                                        ; implicit-def: $vgpr2_vgpr3_vgpr4_vgpr5
.LBB620_67:
	s_cmp_ge_i32 s25, s17
	s_cbranch_scc1 .LBB620_91
; %bb.68:
	v_mbcnt_hi_u32_b32 v10, -1, v26
	v_and_b32_e32 v11, 63, v10
	v_cmp_gt_u32_e32 vcc, 32, v11
	v_add_u32_e32 v14, s19, v8
	v_add_u32_e32 v16, s19, v14
	v_cndmask_b32_e64 v12, 0, 1, vcc
	v_lshlrev_b32_e32 v12, 5, v12
	v_cmp_gt_u32_e32 vcc, 48, v11
	s_waitcnt lgkmcnt(0)
	v_add_lshl_u32 v21, v12, v10, 2
	s_mov_b32 s3, 0
	v_cndmask_b32_e64 v12, 0, 1, vcc
	v_lshlrev_b32_e32 v12, 4, v12
	v_cmp_gt_u32_e32 vcc, 56, v11
	v_add_lshl_u32 v22, v12, v10, 2
	s_cmp_gt_i32 s23, 0
	v_cndmask_b32_e64 v12, 0, 1, vcc
	v_lshlrev_b32_e32 v12, 3, v12
	v_cmp_gt_u32_e32 vcc, 60, v11
	v_add_lshl_u32 v23, v12, v10, 2
	v_ashrrev_i32_e32 v15, 31, v14
	v_cndmask_b32_e64 v12, 0, 1, vcc
	v_lshlrev_b32_e32 v12, 2, v12
	v_cmp_gt_u32_e32 vcc, 62, v11
	v_add_lshl_u32 v24, v12, v10, 2
	v_ashrrev_i32_e32 v17, 31, v16
	v_cndmask_b32_e64 v12, 0, 1, vcc
	v_lshlrev_b32_e32 v12, 1, v12
	s_cselect_b64 s[26:27], -1, 0
	v_add_lshl_u32 v25, v12, v10, 2
	v_cmp_ne_u32_e32 vcc, 63, v11
	s_lshl_b64 s[14:15], s[2:3], 2
	v_lshl_add_u64 v[12:13], v[14:15], 1, s[20:21]
	v_lshl_add_u64 v[14:15], v[16:17], 1, s[20:21]
	v_add_u32_e32 v16, s19, v16
	v_lshlrev_b32_e32 v20, 2, v1
	v_addc_co_u32_e32 v10, vcc, 0, v10, vcc
	v_cmp_eq_u32_e64 s[8:9], 0, v1
	v_and_b32_e32 v1, 12, v9
	s_add_u32 s2, s33, s14
	v_ashrrev_i32_e32 v9, 31, v8
	v_ashrrev_i32_e32 v17, 31, v16
	v_cmp_ge_i32_e64 s[0:1], s16, v27
	v_cmp_ge_i32_e64 s[4:5], s16, v28
	v_cmp_gt_u32_e64 s[6:7], 64, v0
	v_lshlrev_b32_e32 v26, 2, v10
	v_cmp_gt_u32_e64 s[10:11], 4, v0
	v_cmp_eq_u32_e64 s[12:13], 0, v0
	s_addc_u32 s16, s44, s15
	v_lshl_add_u64 v[10:11], v[8:9], 1, s[20:21]
	v_lshl_add_u64 v[16:17], v[16:17], 1, s[20:21]
	s_mul_i32 s28, s25, s24
	v_mov_b32_e32 v9, 0
	s_branch .LBB620_70
.LBB620_69:                             ;   in Loop: Header=BB620_70 Depth=1
	s_or_b64 exec, exec, s[14:15]
	s_add_i32 s25, s25, 1
	s_add_i32 s28, s28, s24
	s_cmp_ge_i32 s25, s17
	s_cbranch_scc1 .LBB620_91
.LBB620_70:                             ; =>This Loop Header: Depth=1
                                        ;     Child Loop BB620_83 Depth 2
                                        ;     Child Loop BB620_86 Depth 2
	s_waitcnt lgkmcnt(0)
	v_mov_b32_e32 v0, s3
	s_and_saveexec_b64 s[14:15], s[0:1]
	s_xor_b64 s[14:15], exec, s[14:15]
	s_cbranch_execnz .LBB620_79
; %bb.71:                               ;   in Loop: Header=BB620_70 Depth=1
	s_andn2_saveexec_b64 s[30:31], s[14:15]
	s_cbranch_execnz .LBB620_80
.LBB620_72:                             ;   in Loop: Header=BB620_70 Depth=1
	s_or_b64 exec, exec, s[30:31]
	s_and_saveexec_b64 s[14:15], s[6:7]
	s_cbranch_execz .LBB620_74
.LBB620_73:                             ;   in Loop: Header=BB620_70 Depth=1
	ds_write_b32 v20, v9
.LBB620_74:                             ;   in Loop: Header=BB620_70 Depth=1
	s_or_b64 exec, exec, s[14:15]
	ds_bpermute_b32 v18, v21, v0
	s_waitcnt lgkmcnt(0)
	s_barrier
	v_add_f32_e32 v0, v0, v18
	ds_bpermute_b32 v18, v22, v0
	s_waitcnt lgkmcnt(0)
	v_add_f32_e32 v0, v0, v18
	ds_bpermute_b32 v18, v23, v0
	s_waitcnt lgkmcnt(0)
	;; [unrolled: 3-line block ×4, first 2 shown]
	v_add_f32_e32 v0, v0, v18
	ds_bpermute_b32 v18, v26, v0
	s_and_saveexec_b64 s[14:15], s[8:9]
	s_cbranch_execz .LBB620_76
; %bb.75:                               ;   in Loop: Header=BB620_70 Depth=1
	s_waitcnt lgkmcnt(0)
	v_add_f32_e32 v0, v0, v18
	ds_write_b32 v1, v0
.LBB620_76:                             ;   in Loop: Header=BB620_70 Depth=1
	s_or_b64 exec, exec, s[14:15]
	v_mov_b32_e32 v0, 0
	s_waitcnt lgkmcnt(0)
	s_barrier
	s_and_saveexec_b64 s[14:15], s[10:11]
	s_cbranch_execnz .LBB620_88
; %bb.77:                               ;   in Loop: Header=BB620_70 Depth=1
	s_or_b64 exec, exec, s[14:15]
	s_and_saveexec_b64 s[14:15], s[6:7]
	s_cbranch_execnz .LBB620_89
.LBB620_78:                             ;   in Loop: Header=BB620_70 Depth=1
	s_or_b64 exec, exec, s[14:15]
	s_and_saveexec_b64 s[14:15], s[12:13]
	s_cbranch_execz .LBB620_69
	s_branch .LBB620_90
.LBB620_79:                             ;   in Loop: Header=BB620_70 Depth=1
	s_mul_i32 s30, s25, s24
	s_ashr_i32 s31, s30, 31
	v_lshl_add_u64 v[2:3], s[30:31], 1, v[6:7]
	flat_load_ushort v0, v[10:11]
	flat_load_ushort v4, v[12:13]
	flat_load_ushort v27, v[14:15]
	flat_load_ushort v5, v[16:17]
	flat_load_dwordx2 v[18:19], v[2:3]
	s_waitcnt vmcnt(0) lgkmcnt(0)
	v_lshlrev_b32_e32 v2, 16, v0
	v_lshlrev_b32_e32 v3, 16, v4
	;; [unrolled: 1-line block ×4, first 2 shown]
	v_and_b32_e32 v29, 0xffff0000, v18
	v_lshlrev_b32_e32 v28, 16, v18
	v_and_b32_e32 v31, 0xffff0000, v19
	v_lshlrev_b32_e32 v30, 16, v19
	v_pk_mul_f32 v[18:19], v[2:3], v[28:29]
	s_nop 0
	v_add_f32_e32 v0, 0, v18
	v_add_f32_e32 v0, v0, v19
	v_pk_mul_f32 v[18:19], v[4:5], v[30:31]
	s_nop 0
	v_add_f32_e32 v0, v0, v18
	v_add_f32_e32 v0, v0, v19
	s_andn2_saveexec_b64 s[30:31], s[14:15]
	s_cbranch_execz .LBB620_72
.LBB620_80:                             ;   in Loop: Header=BB620_70 Depth=1
	s_and_saveexec_b64 s[34:35], s[4:5]
	s_cbranch_execz .LBB620_87
; %bb.81:                               ;   in Loop: Header=BB620_70 Depth=1
	v_cndmask_b32_e64 v18, 0, 1, s[26:27]
	v_cmp_ne_u32_e64 s[14:15], 1, v18
	s_andn2_b64 vcc, exec, s[26:27]
	s_cbranch_vccnz .LBB620_84
; %bb.82:                               ;   in Loop: Header=BB620_70 Depth=1
	s_mov_b64 s[36:37], 0
	v_mov_b32_e32 v18, v8
.LBB620_83:                             ;   Parent Loop BB620_70 Depth=1
                                        ; =>  This Inner Loop Header: Depth=2
	v_ashrrev_i32_e32 v19, 31, v18
	v_lshl_add_u64 v[28:29], v[18:19], 1, s[20:21]
	flat_load_ushort v19, v[28:29]
	s_cmp_eq_u32 s36, 3
	s_cselect_b64 vcc, -1, 0
	s_cmp_eq_u32 s36, 2
	v_add_u32_e32 v18, s19, v18
	s_waitcnt vmcnt(0) lgkmcnt(0)
	v_lshlrev_b32_e32 v19, 16, v19
	v_cndmask_b32_e32 v5, v5, v19, vcc
	s_cselect_b64 vcc, -1, 0
	s_cmp_eq_u32 s36, 1
	v_cndmask_b32_e32 v4, v4, v19, vcc
	s_cselect_b64 vcc, -1, 0
	s_cmp_eq_u32 s36, 0
	v_cndmask_b32_e32 v3, v3, v19, vcc
	s_cselect_b64 vcc, -1, 0
	s_add_u32 s36, s36, 1
	s_addc_u32 s37, s37, 0
	s_cmp_eq_u32 s23, s36
	v_cndmask_b32_e32 v2, v2, v19, vcc
	s_cbranch_scc0 .LBB620_83
.LBB620_84:                             ;   in Loop: Header=BB620_70 Depth=1
	s_and_b64 vcc, exec, s[14:15]
	s_cbranch_vccnz .LBB620_87
; %bb.85:                               ;   in Loop: Header=BB620_70 Depth=1
	s_ashr_i32 s29, s28, 31
	v_lshl_add_u64 v[18:19], s[28:29], 1, v[6:7]
	s_mov_b64 s[14:15], 0
.LBB620_86:                             ;   Parent Loop BB620_70 Depth=1
                                        ; =>  This Inner Loop Header: Depth=2
	flat_load_ushort v27, v[18:19]
	s_cmp_eq_u32 s14, 1
	s_cselect_b64 vcc, -1, 0
	s_cmp_eq_u32 s14, 2
	v_cndmask_b32_e32 v28, v2, v3, vcc
	s_cselect_b64 vcc, -1, 0
	s_cmp_eq_u32 s14, 3
	v_cndmask_b32_e32 v28, v28, v4, vcc
	s_cselect_b64 vcc, -1, 0
	s_add_u32 s14, s14, 1
	v_cndmask_b32_e32 v28, v28, v5, vcc
	s_addc_u32 s15, s15, 0
	v_lshl_add_u64 v[18:19], v[18:19], 0, 2
	s_cmp_lg_u32 s23, s14
	s_waitcnt vmcnt(0) lgkmcnt(0)
	v_lshlrev_b32_e32 v27, 16, v27
	v_fmac_f32_e32 v0, v28, v27
	s_cbranch_scc1 .LBB620_86
.LBB620_87:                             ;   in Loop: Header=BB620_70 Depth=1
	s_or_b64 exec, exec, s[34:35]
	s_or_b64 exec, exec, s[30:31]
	s_and_saveexec_b64 s[14:15], s[6:7]
	s_cbranch_execnz .LBB620_73
	s_branch .LBB620_74
.LBB620_88:                             ;   in Loop: Header=BB620_70 Depth=1
	ds_read_b32 v0, v20
	s_or_b64 exec, exec, s[14:15]
	s_and_saveexec_b64 s[14:15], s[6:7]
	s_cbranch_execz .LBB620_78
.LBB620_89:                             ;   in Loop: Header=BB620_70 Depth=1
	s_waitcnt lgkmcnt(0)
	ds_bpermute_b32 v18, v25, v0
	s_waitcnt lgkmcnt(0)
	v_add_f32_e32 v0, v0, v18
	ds_bpermute_b32 v18, v26, v0
	s_waitcnt lgkmcnt(0)
	v_add_f32_e32 v0, v0, v18
	s_or_b64 exec, exec, s[14:15]
	s_and_saveexec_b64 s[14:15], s[12:13]
	s_cbranch_execz .LBB620_69
.LBB620_90:                             ;   in Loop: Header=BB620_70 Depth=1
	s_mul_hi_u32 s31, s25, s22
	s_mul_i32 s30, s25, s22
	s_lshl_b64 s[30:31], s[30:31], 2
	s_add_u32 s30, s2, s30
	s_waitcnt lgkmcnt(0)
	v_mul_f32_e32 v0, s18, v0
	s_addc_u32 s31, s16, s31
	global_store_dword v9, v0, s[30:31]
	s_branch .LBB620_69
.LBB620_91:
	s_endpgm
	.section	.rodata,"a",@progbits
	.p2align	6, 0x0
	.amdhsa_kernel _ZL23rocblas_gemvt_sn_kernelILb1ELi256ELi4EiPK16rocblas_bfloat16ffEviiT4_lPKT3_lilS6_lilPT5_i
		.amdhsa_group_segment_fixed_size 256
		.amdhsa_private_segment_fixed_size 0
		.amdhsa_kernarg_size 360
		.amdhsa_user_sgpr_count 2
		.amdhsa_user_sgpr_dispatch_ptr 0
		.amdhsa_user_sgpr_queue_ptr 0
		.amdhsa_user_sgpr_kernarg_segment_ptr 1
		.amdhsa_user_sgpr_dispatch_id 0
		.amdhsa_user_sgpr_kernarg_preload_length 0
		.amdhsa_user_sgpr_kernarg_preload_offset 0
		.amdhsa_user_sgpr_private_segment_size 0
		.amdhsa_uses_dynamic_stack 0
		.amdhsa_enable_private_segment 0
		.amdhsa_system_sgpr_workgroup_id_x 1
		.amdhsa_system_sgpr_workgroup_id_y 0
		.amdhsa_system_sgpr_workgroup_id_z 1
		.amdhsa_system_sgpr_workgroup_info 0
		.amdhsa_system_vgpr_workitem_id 0
		.amdhsa_next_free_vgpr 60
		.amdhsa_next_free_sgpr 52
		.amdhsa_accum_offset 60
		.amdhsa_reserve_vcc 1
		.amdhsa_float_round_mode_32 0
		.amdhsa_float_round_mode_16_64 0
		.amdhsa_float_denorm_mode_32 3
		.amdhsa_float_denorm_mode_16_64 3
		.amdhsa_dx10_clamp 1
		.amdhsa_ieee_mode 1
		.amdhsa_fp16_overflow 0
		.amdhsa_tg_split 0
		.amdhsa_exception_fp_ieee_invalid_op 0
		.amdhsa_exception_fp_denorm_src 0
		.amdhsa_exception_fp_ieee_div_zero 0
		.amdhsa_exception_fp_ieee_overflow 0
		.amdhsa_exception_fp_ieee_underflow 0
		.amdhsa_exception_fp_ieee_inexact 0
		.amdhsa_exception_int_div_zero 0
	.end_amdhsa_kernel
	.section	.text._ZL23rocblas_gemvt_sn_kernelILb1ELi256ELi4EiPK16rocblas_bfloat16ffEviiT4_lPKT3_lilS6_lilPT5_i,"axG",@progbits,_ZL23rocblas_gemvt_sn_kernelILb1ELi256ELi4EiPK16rocblas_bfloat16ffEviiT4_lPKT3_lilS6_lilPT5_i,comdat
.Lfunc_end620:
	.size	_ZL23rocblas_gemvt_sn_kernelILb1ELi256ELi4EiPK16rocblas_bfloat16ffEviiT4_lPKT3_lilS6_lilPT5_i, .Lfunc_end620-_ZL23rocblas_gemvt_sn_kernelILb1ELi256ELi4EiPK16rocblas_bfloat16ffEviiT4_lPKT3_lilS6_lilPT5_i
                                        ; -- End function
	.section	.AMDGPU.csdata,"",@progbits
; Kernel info:
; codeLenInByte = 4016
; NumSgprs: 58
; NumVgprs: 60
; NumAgprs: 0
; TotalNumVgprs: 60
; ScratchSize: 0
; MemoryBound: 0
; FloatMode: 240
; IeeeMode: 1
; LDSByteSize: 256 bytes/workgroup (compile time only)
; SGPRBlocks: 7
; VGPRBlocks: 7
; NumSGPRsForWavesPerEU: 58
; NumVGPRsForWavesPerEU: 60
; AccumOffset: 60
; Occupancy: 8
; WaveLimiterHint : 0
; COMPUTE_PGM_RSRC2:SCRATCH_EN: 0
; COMPUTE_PGM_RSRC2:USER_SGPR: 2
; COMPUTE_PGM_RSRC2:TRAP_HANDLER: 0
; COMPUTE_PGM_RSRC2:TGID_X_EN: 1
; COMPUTE_PGM_RSRC2:TGID_Y_EN: 0
; COMPUTE_PGM_RSRC2:TGID_Z_EN: 1
; COMPUTE_PGM_RSRC2:TIDIG_COMP_CNT: 0
; COMPUTE_PGM_RSRC3_GFX90A:ACCUM_OFFSET: 14
; COMPUTE_PGM_RSRC3_GFX90A:TG_SPLIT: 0
	.section	.text._ZL23rocblas_gemvt_sn_kernelILb1ELi256ELi4ElPK16rocblas_bfloat16ffEviiT4_lPKT3_lilS6_lilPT5_i,"axG",@progbits,_ZL23rocblas_gemvt_sn_kernelILb1ELi256ELi4ElPK16rocblas_bfloat16ffEviiT4_lPKT3_lilS6_lilPT5_i,comdat
	.globl	_ZL23rocblas_gemvt_sn_kernelILb1ELi256ELi4ElPK16rocblas_bfloat16ffEviiT4_lPKT3_lilS6_lilPT5_i ; -- Begin function _ZL23rocblas_gemvt_sn_kernelILb1ELi256ELi4ElPK16rocblas_bfloat16ffEviiT4_lPKT3_lilS6_lilPT5_i
	.p2align	8
	.type	_ZL23rocblas_gemvt_sn_kernelILb1ELi256ELi4ElPK16rocblas_bfloat16ffEviiT4_lPKT3_lilS6_lilPT5_i,@function
_ZL23rocblas_gemvt_sn_kernelILb1ELi256ELi4ElPK16rocblas_bfloat16ffEviiT4_lPKT3_lilS6_lilPT5_i: ; @_ZL23rocblas_gemvt_sn_kernelILb1ELi256ELi4ElPK16rocblas_bfloat16ffEviiT4_lPKT3_lilS6_lilPT5_i
; %bb.0:
	s_load_dwordx4 s[16:19], s[0:1], 0x0
	s_mov_b32 s8, s3
	s_mov_b32 s9, 0
	s_waitcnt lgkmcnt(0)
	v_cmp_neq_f32_e64 s[4:5], s18, 0
	v_cmp_eq_f32_e64 s[6:7], s18, 0
	s_and_b64 vcc, exec, s[4:5]
	s_cbranch_vccnz .LBB621_2
; %bb.1:
	s_mov_b64 s[24:25], 0
	s_cbranch_execz .LBB621_3
	s_branch .LBB621_4
.LBB621_2:
                                        ; implicit-def: $sgpr24_sgpr25
.LBB621_3:
	s_load_dwordx4 s[12:15], s[0:1], 0x18
	s_lshl_b64 s[10:11], s[8:9], 3
	s_waitcnt lgkmcnt(0)
	s_add_u32 s10, s12, s10
	s_addc_u32 s11, s13, s11
	s_load_dwordx2 s[10:11], s[10:11], 0x0
	s_lshl_b64 s[12:13], s[14:15], 1
	s_waitcnt lgkmcnt(0)
	s_add_u32 s24, s10, s12
	s_addc_u32 s25, s11, s13
.LBB621_4:
	s_andn2_b64 vcc, exec, s[4:5]
	s_cbranch_vccnz .LBB621_6
; %bb.5:
	s_load_dwordx4 s[12:15], s[0:1], 0x38
	s_lshl_b64 s[4:5], s[8:9], 3
	s_waitcnt lgkmcnt(0)
	s_add_u32 s4, s12, s4
	s_addc_u32 s5, s13, s5
	s_load_dwordx2 s[4:5], s[4:5], 0x0
	s_lshl_b64 s[10:11], s[14:15], 1
	s_waitcnt lgkmcnt(0)
	s_add_u32 s26, s4, s10
	s_addc_u32 s27, s5, s11
	s_branch .LBB621_7
.LBB621_6:
	s_mov_b64 s[26:27], 0
.LBB621_7:
	s_load_dwordx2 s[4:5], s[0:1], 0x58
	s_load_dword s20, s[0:1], 0x68
	s_ashr_i32 s14, s17, 31
	s_mul_hi_u32 s3, s8, s17
	s_mul_i32 s10, s8, s14
	s_add_i32 s3, s3, s10
	s_mul_i32 s9, s9, s17
	s_add_i32 s9, s3, s9
	s_mul_i32 s8, s8, s17
	s_waitcnt lgkmcnt(0)
	s_mul_i32 s3, s9, s20
	s_mul_hi_u32 s10, s8, s20
	s_add_i32 s11, s10, s3
	s_mul_i32 s10, s8, s20
	s_lshl_b64 s[10:11], s[10:11], 2
	s_add_u32 s33, s4, s10
	s_mov_b32 s21, 0
	s_addc_u32 s50, s5, s11
	s_andn2_b64 vcc, exec, s[6:7]
	s_mov_b64 s[6:7], -1
	s_cbranch_vccnz .LBB621_17
; %bb.8:
	s_cmp_gt_i32 s17, 0
	v_cmp_eq_u32_e32 vcc, 0, v0
	s_cselect_b64 s[6:7], -1, 0
	s_and_b64 s[10:11], vcc, s[6:7]
	s_and_saveexec_b64 s[6:7], s[10:11]
	s_cbranch_execz .LBB621_16
; %bb.9:
	s_cmp_gt_u32 s17, 1
	s_cselect_b64 s[10:11], -1, 0
	s_cmp_eq_u32 s20, 1
	s_cselect_b64 s[22:23], -1, 0
	s_mov_b32 s3, 0
	s_and_b64 s[10:11], s[10:11], s[22:23]
	s_mov_b64 s[12:13], -1
	s_andn2_b64 vcc, exec, s[10:11]
	s_mov_b32 s10, s3
	s_cbranch_vccnz .LBB621_13
; %bb.10:
	s_lshl_b64 s[10:11], s[2:3], 2
	s_add_u32 s12, s33, s10
	s_addc_u32 s13, s50, s11
	s_and_b32 s10, s17, 0x7ffffffe
	v_mov_b32_e32 v2, 0
	v_mov_b32_e32 v3, v2
	s_mov_b32 s11, s10
.LBB621_11:                             ; =>This Inner Loop Header: Depth=1
	global_store_dwordx2 v2, v[2:3], s[12:13]
	s_add_u32 s12, s12, 8
	s_addc_u32 s13, s13, 0
	s_add_i32 s11, s11, -2
	s_cmp_lg_u32 s11, 0
	s_cbranch_scc1 .LBB621_11
; %bb.12:
	s_cmp_lg_u32 s10, s17
	s_cselect_b64 s[12:13], -1, 0
.LBB621_13:
	s_and_b64 vcc, exec, s[12:13]
	s_cbranch_vccz .LBB621_16
; %bb.14:
	s_mov_b32 s11, 0
	s_sub_i32 s12, s17, s10
	s_lshl_b64 s[8:9], s[8:9], 2
	s_lshl_b64 s[10:11], s[10:11], 2
	s_add_u32 s8, s8, s10
	s_addc_u32 s9, s9, s11
	s_mul_i32 s9, s9, s20
	s_mul_hi_u32 s10, s8, s20
	s_add_i32 s10, s10, s9
	s_mul_i32 s11, s8, s20
	s_lshl_b64 s[8:9], s[2:3], 2
	s_add_u32 s3, s11, s8
	s_addc_u32 s8, s10, s9
	s_add_u32 s4, s4, s3
	s_addc_u32 s5, s5, s8
	s_lshl_b64 s[8:9], s[20:21], 2
	v_mov_b32_e32 v1, 0
.LBB621_15:                             ; =>This Inner Loop Header: Depth=1
	s_add_i32 s12, s12, -1
	global_store_dword v1, v1, s[4:5]
	s_add_u32 s4, s4, s8
	s_addc_u32 s5, s5, s9
	s_cmp_eq_u32 s12, 0
	s_cbranch_scc0 .LBB621_15
.LBB621_16:
	s_or_b64 exec, exec, s[6:7]
	s_mov_b64 s[6:7], 0
.LBB621_17:
	s_andn2_b64 vcc, exec, s[6:7]
	s_cbranch_vccnz .LBB621_91
; %bb.18:
	s_load_dword s22, s[0:1], 0x28
	s_load_dword s28, s[0:1], 0x48
	s_lshl_b32 s0, s2, 10
	v_lshl_or_b32 v8, v0, 2, s0
	s_lshr_b32 s0, s14, 30
	s_add_i32 s0, s17, s0
	s_and_b32 s21, s0, -4
	s_ashr_i32 s0, s16, 31
	s_lshr_b32 s0, s0, 30
	s_add_i32 s0, s16, s0
	s_and_b32 s0, s0, -4
	s_waitcnt lgkmcnt(0)
	s_ashr_i32 s23, s22, 31
	s_ashr_i32 s29, s28, 31
	v_ashrrev_i32_e32 v9, 31, v8
	s_sub_i32 s19, s16, s0
	v_lshl_add_u64 v[6:7], v[8:9], 1, s[24:25]
	s_cmp_lt_i32 s21, 1
	v_add_u32_e32 v31, 4, v8
	v_add_u32_e32 v32, s19, v8
	v_and_b32_e32 v28, 63, v0
	v_cmp_gt_u32_e64 s[0:1], 64, v0
	v_mbcnt_lo_u32_b32 v30, -1, 0
	v_cmp_gt_u32_e64 s[4:5], 4, v0
	v_lshrrev_b32_e32 v29, 4, v0
	v_cmp_eq_u32_e64 s[6:7], 0, v0
	v_or_b32_e32 v27, 1, v8
	v_or_b32_e32 v26, 2, v8
	;; [unrolled: 1-line block ×3, first 2 shown]
	s_cbranch_scc1 .LBB621_66
; %bb.19:
	v_mbcnt_hi_u32_b32 v2, -1, v30
	v_and_b32_e32 v3, 63, v2
	v_cmp_gt_u32_e32 vcc, 32, v3
	s_mov_b32 s3, 0
	s_cmp_gt_i32 s19, 0
	v_cndmask_b32_e64 v4, 0, 1, vcc
	v_lshlrev_b32_e32 v4, 5, v4
	v_cmp_gt_u32_e32 vcc, 48, v3
	v_add_lshl_u32 v33, v4, v2, 2
	s_cselect_b64 s[30:31], -1, 0
	v_cndmask_b32_e64 v4, 0, 1, vcc
	v_lshlrev_b32_e32 v4, 4, v4
	v_cmp_gt_u32_e32 vcc, 56, v3
	v_add_lshl_u32 v34, v4, v2, 2
	s_lshl_b64 s[14:15], s[2:3], 2
	v_cndmask_b32_e64 v4, 0, 1, vcc
	v_lshlrev_b32_e32 v4, 3, v4
	v_cmp_gt_u32_e32 vcc, 60, v3
	v_add_lshl_u32 v35, v4, v2, 2
	s_add_u32 s51, s33, s14
	v_cndmask_b32_e64 v4, 0, 1, vcc
	v_lshlrev_b32_e32 v4, 2, v4
	v_cmp_gt_u32_e32 vcc, 62, v3
	v_add_lshl_u32 v36, v4, v2, 2
	s_addc_u32 s52, s50, s15
	v_cndmask_b32_e64 v4, 0, 1, vcc
	v_lshlrev_b32_e32 v4, 1, v4
	v_cmp_ne_u32_e32 vcc, 63, v3
	v_add_lshl_u32 v37, v4, v2, 2
	v_cmp_ge_i32_e64 s[8:9], s16, v31
	v_addc_co_u32_e32 v2, vcc, 0, v2, vcc
	v_lshlrev_b32_e32 v38, 2, v2
	v_mad_i64_i32 v[2:3], s[14:15], s28, v8, 0
	v_lshl_add_u64 v[10:11], v[2:3], 1, s[26:27]
	v_mad_i64_i32 v[2:3], s[14:15], s28, v27, 0
	v_lshl_add_u64 v[12:13], v[2:3], 1, s[26:27]
	;; [unrolled: 2-line block ×3, first 2 shown]
	v_mad_i64_i32 v[2:3], s[14:15], s28, v1, 0
	v_cmp_ge_i32_e64 s[10:11], s16, v32
	v_cmp_eq_u32_e64 s[12:13], 0, v28
	v_lshlrev_b32_e32 v39, 2, v28
	v_and_b32_e32 v40, 12, v29
	v_lshl_add_u64 v[16:17], v[2:3], 1, s[26:27]
	s_lshl_b64 s[34:35], s[28:29], 1
	s_mul_hi_i32 s37, s22, 6
	s_mul_i32 s36, s22, 6
	s_lshl_b64 s[38:39], s[22:23], 3
	s_lshl_b64 s[40:41], s[22:23], 2
	;; [unrolled: 1-line block ×3, first 2 shown]
	v_mov_b32_e32 v41, 0
	v_mov_b64_e32 v[18:19], v[6:7]
                                        ; implicit-def: $vgpr2_vgpr3_vgpr4_vgpr5
	s_branch .LBB621_21
.LBB621_20:                             ;   in Loop: Header=BB621_21 Depth=1
	s_or_b64 exec, exec, s[14:15]
	s_add_i32 s3, s3, 4
	s_cmp_ge_i32 s3, s21
	v_lshl_add_u64 v[18:19], v[18:19], 0, s[38:39]
	s_cbranch_scc1 .LBB621_67
.LBB621_21:                             ; =>This Loop Header: Depth=1
                                        ;     Child Loop BB621_52 Depth 2
                                        ;     Child Loop BB621_55 Depth 2
                                        ; implicit-def: $vgpr21
                                        ; implicit-def: $vgpr23
	s_and_saveexec_b64 s[14:15], s[8:9]
	s_xor_b64 s[14:15], exec, s[14:15]
	s_cbranch_execnz .LBB621_48
; %bb.22:                               ;   in Loop: Header=BB621_21 Depth=1
	s_andn2_saveexec_b64 s[44:45], s[14:15]
	s_cbranch_execnz .LBB621_49
.LBB621_23:                             ;   in Loop: Header=BB621_21 Depth=1
	s_or_b64 exec, exec, s[44:45]
	s_and_saveexec_b64 s[14:15], s[0:1]
	s_cbranch_execz .LBB621_25
.LBB621_24:                             ;   in Loop: Header=BB621_21 Depth=1
	ds_write_b32 v39, v41
.LBB621_25:                             ;   in Loop: Header=BB621_21 Depth=1
	s_or_b64 exec, exec, s[14:15]
	ds_bpermute_b32 v24, v33, v22
	s_waitcnt lgkmcnt(0)
	s_barrier
	v_add_f32_e32 v22, v22, v24
	ds_bpermute_b32 v24, v34, v22
	s_waitcnt lgkmcnt(0)
	v_add_f32_e32 v22, v22, v24
	ds_bpermute_b32 v24, v35, v22
	s_waitcnt lgkmcnt(0)
	;; [unrolled: 3-line block ×4, first 2 shown]
	v_add_f32_e32 v22, v22, v24
	ds_bpermute_b32 v24, v38, v22
	s_and_saveexec_b64 s[14:15], s[12:13]
	s_cbranch_execz .LBB621_27
; %bb.26:                               ;   in Loop: Header=BB621_21 Depth=1
	s_waitcnt lgkmcnt(0)
	v_add_f32_e32 v22, v22, v24
	ds_write_b32 v40, v22
.LBB621_27:                             ;   in Loop: Header=BB621_21 Depth=1
	s_or_b64 exec, exec, s[14:15]
	v_mov_b32_e32 v22, 0
	s_waitcnt lgkmcnt(0)
	s_barrier
	s_and_saveexec_b64 s[14:15], s[4:5]
	s_cbranch_execnz .LBB621_57
; %bb.28:                               ;   in Loop: Header=BB621_21 Depth=1
	s_or_b64 exec, exec, s[14:15]
	s_and_saveexec_b64 s[14:15], s[0:1]
	s_cbranch_execnz .LBB621_58
.LBB621_29:                             ;   in Loop: Header=BB621_21 Depth=1
	s_or_b64 exec, exec, s[14:15]
	s_and_saveexec_b64 s[14:15], s[0:1]
	s_cbranch_execz .LBB621_31
.LBB621_30:                             ;   in Loop: Header=BB621_21 Depth=1
	ds_write_b32 v39, v41
.LBB621_31:                             ;   in Loop: Header=BB621_21 Depth=1
	s_or_b64 exec, exec, s[14:15]
	ds_bpermute_b32 v24, v33, v23
	s_waitcnt lgkmcnt(0)
	s_barrier
	v_add_f32_e32 v23, v23, v24
	ds_bpermute_b32 v24, v34, v23
	s_waitcnt lgkmcnt(0)
	v_add_f32_e32 v23, v23, v24
	ds_bpermute_b32 v24, v35, v23
	s_waitcnt lgkmcnt(0)
	;; [unrolled: 3-line block ×4, first 2 shown]
	v_add_f32_e32 v23, v23, v24
	ds_bpermute_b32 v24, v38, v23
	s_and_saveexec_b64 s[14:15], s[12:13]
	s_cbranch_execz .LBB621_33
; %bb.32:                               ;   in Loop: Header=BB621_21 Depth=1
	s_waitcnt lgkmcnt(0)
	v_add_f32_e32 v23, v23, v24
	ds_write_b32 v40, v23
.LBB621_33:                             ;   in Loop: Header=BB621_21 Depth=1
	s_or_b64 exec, exec, s[14:15]
	v_mov_b32_e32 v23, 0
	s_waitcnt lgkmcnt(0)
	s_barrier
	s_and_saveexec_b64 s[14:15], s[4:5]
	s_cbranch_execnz .LBB621_59
; %bb.34:                               ;   in Loop: Header=BB621_21 Depth=1
	s_or_b64 exec, exec, s[14:15]
	s_and_saveexec_b64 s[14:15], s[0:1]
	s_cbranch_execnz .LBB621_60
.LBB621_35:                             ;   in Loop: Header=BB621_21 Depth=1
	s_or_b64 exec, exec, s[14:15]
	s_and_saveexec_b64 s[14:15], s[0:1]
	s_cbranch_execz .LBB621_37
.LBB621_36:                             ;   in Loop: Header=BB621_21 Depth=1
	ds_write_b32 v39, v41
.LBB621_37:                             ;   in Loop: Header=BB621_21 Depth=1
	s_or_b64 exec, exec, s[14:15]
	ds_bpermute_b32 v24, v33, v20
	s_waitcnt lgkmcnt(0)
	s_barrier
	v_add_f32_e32 v20, v20, v24
	ds_bpermute_b32 v24, v34, v20
	s_waitcnt lgkmcnt(0)
	v_add_f32_e32 v20, v20, v24
	ds_bpermute_b32 v24, v35, v20
	s_waitcnt lgkmcnt(0)
	v_add_f32_e32 v20, v20, v24
	ds_bpermute_b32 v24, v36, v20
	s_waitcnt lgkmcnt(0)
	v_add_f32_e32 v20, v20, v24
	ds_bpermute_b32 v24, v37, v20
	s_waitcnt lgkmcnt(0)
	v_add_f32_e32 v20, v20, v24
	ds_bpermute_b32 v24, v38, v20
	s_and_saveexec_b64 s[14:15], s[12:13]
	s_cbranch_execz .LBB621_39
; %bb.38:                               ;   in Loop: Header=BB621_21 Depth=1
	s_waitcnt lgkmcnt(0)
	v_add_f32_e32 v20, v20, v24
	ds_write_b32 v40, v20
.LBB621_39:                             ;   in Loop: Header=BB621_21 Depth=1
	s_or_b64 exec, exec, s[14:15]
	v_mov_b32_e32 v20, 0
	s_waitcnt lgkmcnt(0)
	s_barrier
	s_and_saveexec_b64 s[14:15], s[4:5]
	s_cbranch_execnz .LBB621_61
; %bb.40:                               ;   in Loop: Header=BB621_21 Depth=1
	s_or_b64 exec, exec, s[14:15]
	s_and_saveexec_b64 s[14:15], s[0:1]
	s_cbranch_execnz .LBB621_62
.LBB621_41:                             ;   in Loop: Header=BB621_21 Depth=1
	s_or_b64 exec, exec, s[14:15]
	s_and_saveexec_b64 s[14:15], s[0:1]
	s_cbranch_execz .LBB621_43
.LBB621_42:                             ;   in Loop: Header=BB621_21 Depth=1
	ds_write_b32 v39, v41
.LBB621_43:                             ;   in Loop: Header=BB621_21 Depth=1
	s_or_b64 exec, exec, s[14:15]
	ds_bpermute_b32 v24, v33, v21
	s_waitcnt lgkmcnt(0)
	s_barrier
	v_add_f32_e32 v21, v21, v24
	ds_bpermute_b32 v24, v34, v21
	s_waitcnt lgkmcnt(0)
	v_add_f32_e32 v21, v21, v24
	ds_bpermute_b32 v24, v35, v21
	s_waitcnt lgkmcnt(0)
	;; [unrolled: 3-line block ×4, first 2 shown]
	v_add_f32_e32 v21, v21, v24
	ds_bpermute_b32 v24, v38, v21
	s_and_saveexec_b64 s[14:15], s[12:13]
	s_cbranch_execz .LBB621_45
; %bb.44:                               ;   in Loop: Header=BB621_21 Depth=1
	s_waitcnt lgkmcnt(0)
	v_add_f32_e32 v21, v21, v24
	ds_write_b32 v40, v21
.LBB621_45:                             ;   in Loop: Header=BB621_21 Depth=1
	s_or_b64 exec, exec, s[14:15]
	v_mov_b32_e32 v21, 0
	s_waitcnt lgkmcnt(0)
	s_barrier
	s_and_saveexec_b64 s[14:15], s[4:5]
	s_cbranch_execnz .LBB621_63
; %bb.46:                               ;   in Loop: Header=BB621_21 Depth=1
	s_or_b64 exec, exec, s[14:15]
	s_and_saveexec_b64 s[14:15], s[0:1]
	s_cbranch_execnz .LBB621_64
.LBB621_47:                             ;   in Loop: Header=BB621_21 Depth=1
	s_or_b64 exec, exec, s[14:15]
	s_and_saveexec_b64 s[14:15], s[6:7]
	s_cbranch_execz .LBB621_20
	s_branch .LBB621_65
.LBB621_48:                             ;   in Loop: Header=BB621_21 Depth=1
	s_mul_i32 s44, s3, s23
	s_mul_hi_u32 s45, s3, s22
	s_add_i32 s45, s45, s44
	s_mul_i32 s44, s3, s22
	v_lshl_add_u64 v[2:3], s[44:45], 1, v[6:7]
	s_or_b32 s44, s3, 2
	s_mul_i32 s45, s44, s23
	s_mul_hi_u32 s47, s44, s22
	s_add_i32 s45, s47, s45
	s_mul_i32 s44, s44, s22
	s_waitcnt lgkmcnt(0)
	flat_load_dwordx2 v[20:21], v[2:3]
	v_lshl_add_u64 v[2:3], s[44:45], 1, v[6:7]
	s_or_b32 s44, s3, 3
	s_mul_i32 s45, s44, s23
	s_mul_hi_u32 s47, s44, s22
	s_or_b32 s46, s3, 1
	s_add_i32 s45, s47, s45
	s_mul_i32 s44, s44, s22
	flat_load_ushort v4, v[10:11]
	flat_load_ushort v5, v[12:13]
	;; [unrolled: 1-line block ×4, first 2 shown]
	flat_load_dwordx2 v[22:23], v[2:3]
	v_lshl_add_u64 v[2:3], s[44:45], 1, v[6:7]
	s_mul_i32 s44, s46, s23
	s_mul_hi_u32 s45, s46, s22
	flat_load_dwordx2 v[24:25], v[2:3]
	s_add_i32 s45, s45, s44
	s_mul_i32 s44, s46, s22
	v_lshl_add_u64 v[2:3], s[44:45], 1, v[6:7]
	flat_load_dwordx2 v[42:43], v[2:3]
	s_waitcnt vmcnt(0) lgkmcnt(0)
	v_lshlrev_b32_e32 v54, 16, v20
	v_and_b32_e32 v20, 0xffff0000, v20
	v_lshlrev_b32_e32 v56, 16, v21
	v_and_b32_e32 v58, 0xffff0000, v21
	v_lshlrev_b32_e32 v2, 16, v4
	v_lshlrev_b32_e32 v45, 16, v5
	;; [unrolled: 1-line block ×6, first 2 shown]
	v_and_b32_e32 v23, 0xffff0000, v23
	v_and_b32_e32 v53, 0xffff0000, v22
	;; [unrolled: 1-line block ×3, first 2 shown]
	v_lshlrev_b32_e32 v44, 16, v24
	v_and_b32_e32 v47, 0xffff0000, v25
	v_lshlrev_b32_e32 v48, 16, v25
	v_pk_mul_f32 v[24:25], v[44:45], v[2:3]
	v_lshlrev_b32_e32 v55, 16, v42
	v_mul_f32_e32 v22, v2, v51
	v_mov_b32_e32 v3, v45
	v_mul_f32_e32 v44, v46, v60
	v_pk_mul_f32 v[60:61], v[48:49], v[46:47]
	v_mul_f32_e32 v48, v49, v23
	v_mov_b32_e32 v23, v24
	v_mov_b32_e32 v50, v45
	v_and_b32_e32 v21, 0xffff0000, v42
	v_lshlrev_b32_e32 v57, 16, v43
	v_and_b32_e32 v59, 0xffff0000, v43
	v_mul_f32_e32 v42, v45, v53
	v_mov_b32_e32 v43, v25
	v_pk_fma_f32 v[24:25], v[2:3], v[54:55], 0 op_sel_hi:[0,1,0]
	v_pk_add_f32 v[22:23], v[22:23], 0 op_sel_hi:[1,0]
	v_mov_b32_e32 v45, v60
	v_pk_fma_f32 v[20:21], v[50:51], v[20:21], v[24:25] op_sel_hi:[0,1,1]
	v_pk_add_f32 v[22:23], v[22:23], v[42:43]
	v_mov_b32_e32 v5, v49
	v_mov_b32_e32 v52, v49
	;; [unrolled: 1-line block ×3, first 2 shown]
	v_pk_fma_f32 v[24:25], v[46:47], v[56:57], v[20:21] op_sel_hi:[0,1,1]
	v_pk_add_f32 v[20:21], v[22:23], v[44:45]
	v_mov_b32_e32 v4, v46
	v_pk_add_f32 v[20:21], v[20:21], v[48:49]
	v_pk_fma_f32 v[22:23], v[52:53], v[58:59], v[24:25] op_sel_hi:[0,1,1]
	s_andn2_saveexec_b64 s[44:45], s[14:15]
	s_cbranch_execz .LBB621_23
.LBB621_49:                             ;   in Loop: Header=BB621_21 Depth=1
	s_waitcnt lgkmcnt(0)
	v_mov_b32_e32 v21, 0
	v_mov_b32_e32 v20, 0
	;; [unrolled: 1-line block ×4, first 2 shown]
	s_and_saveexec_b64 s[46:47], s[10:11]
	s_cbranch_execz .LBB621_56
; %bb.50:                               ;   in Loop: Header=BB621_21 Depth=1
	v_cndmask_b32_e64 v20, 0, 1, s[30:31]
	v_cmp_ne_u32_e64 s[14:15], 1, v20
	s_andn2_b64 vcc, exec, s[30:31]
	s_cbranch_vccnz .LBB621_53
; %bb.51:                               ;   in Loop: Header=BB621_21 Depth=1
	s_mov_b64 s[48:49], 0
	v_mov_b64_e32 v[20:21], v[10:11]
.LBB621_52:                             ;   Parent Loop BB621_21 Depth=1
                                        ; =>  This Inner Loop Header: Depth=2
	flat_load_ushort v22, v[20:21]
	s_cmp_eq_u32 s48, 3
	s_cselect_b64 vcc, -1, 0
	s_cmp_eq_u32 s48, 2
	v_lshl_add_u64 v[20:21], v[20:21], 0, s[34:35]
	s_waitcnt vmcnt(0) lgkmcnt(0)
	v_lshlrev_b32_e32 v22, 16, v22
	v_cndmask_b32_e32 v5, v5, v22, vcc
	s_cselect_b64 vcc, -1, 0
	s_cmp_eq_u32 s48, 1
	v_cndmask_b32_e32 v4, v4, v22, vcc
	s_cselect_b64 vcc, -1, 0
	s_cmp_eq_u32 s48, 0
	v_cndmask_b32_e32 v3, v3, v22, vcc
	s_cselect_b64 vcc, -1, 0
	s_add_u32 s48, s48, 1
	s_addc_u32 s49, s49, 0
	s_cmp_eq_u32 s19, s48
	v_cndmask_b32_e32 v2, v2, v22, vcc
	s_cbranch_scc0 .LBB621_52
.LBB621_53:                             ;   in Loop: Header=BB621_21 Depth=1
	v_mov_b32_e32 v21, 0
	s_and_b64 vcc, exec, s[14:15]
	v_mov_b32_e32 v20, v21
	v_mov_b32_e32 v23, v21
	v_mov_b32_e32 v22, v21
	s_cbranch_vccnz .LBB621_56
; %bb.54:                               ;   in Loop: Header=BB621_21 Depth=1
	v_mov_b32_e32 v22, 0
	s_mov_b64 s[14:15], 0
	v_mov_b64_e32 v[24:25], v[18:19]
	v_mov_b32_e32 v23, v22
	v_mov_b32_e32 v20, v22
	;; [unrolled: 1-line block ×3, first 2 shown]
.LBB621_55:                             ;   Parent Loop BB621_21 Depth=1
                                        ; =>  This Inner Loop Header: Depth=2
	v_lshl_add_u64 v[42:43], v[24:25], 0, s[42:43]
	v_lshl_add_u64 v[46:47], v[24:25], 0, s[36:37]
	;; [unrolled: 1-line block ×3, first 2 shown]
	flat_load_ushort v48, v[24:25]
	s_nop 0
	flat_load_ushort v43, v[42:43]
	s_nop 0
	;; [unrolled: 2-line block ×3, first 2 shown]
	flat_load_ushort v49, v[44:45]
	s_cmp_eq_u32 s14, 1
	s_cselect_b64 vcc, -1, 0
	s_cmp_eq_u32 s14, 2
	v_cndmask_b32_e32 v42, v2, v3, vcc
	s_cselect_b64 vcc, -1, 0
	s_cmp_eq_u32 s14, 3
	v_cndmask_b32_e32 v42, v42, v4, vcc
	s_cselect_b64 vcc, -1, 0
	s_add_u32 s14, s14, 1
	v_cndmask_b32_e32 v42, v42, v5, vcc
	s_addc_u32 s15, s15, 0
	v_lshl_add_u64 v[24:25], v[24:25], 0, 2
	s_cmp_lg_u32 s19, s14
	s_waitcnt vmcnt(0) lgkmcnt(0)
	v_lshlrev_b32_e32 v44, 16, v48
	v_lshlrev_b32_e32 v45, 16, v43
	;; [unrolled: 1-line block ×4, first 2 shown]
	v_pk_fma_f32 v[22:23], v[42:43], v[44:45], v[22:23] op_sel_hi:[0,1,1]
	v_pk_fma_f32 v[20:21], v[42:43], v[46:47], v[20:21] op_sel_hi:[0,1,1]
	s_cbranch_scc1 .LBB621_55
.LBB621_56:                             ;   in Loop: Header=BB621_21 Depth=1
	s_or_b64 exec, exec, s[46:47]
	s_or_b64 exec, exec, s[44:45]
	s_and_saveexec_b64 s[14:15], s[0:1]
	s_cbranch_execnz .LBB621_24
	s_branch .LBB621_25
.LBB621_57:                             ;   in Loop: Header=BB621_21 Depth=1
	ds_read_b32 v22, v39
	s_or_b64 exec, exec, s[14:15]
	s_and_saveexec_b64 s[14:15], s[0:1]
	s_cbranch_execz .LBB621_29
.LBB621_58:                             ;   in Loop: Header=BB621_21 Depth=1
	s_waitcnt lgkmcnt(0)
	ds_bpermute_b32 v24, v37, v22
	s_waitcnt lgkmcnt(0)
	v_add_f32_e32 v22, v22, v24
	ds_bpermute_b32 v24, v38, v22
	s_waitcnt lgkmcnt(0)
	v_add_f32_e32 v22, v22, v24
	s_or_b64 exec, exec, s[14:15]
	s_and_saveexec_b64 s[14:15], s[0:1]
	s_cbranch_execnz .LBB621_30
	s_branch .LBB621_31
.LBB621_59:                             ;   in Loop: Header=BB621_21 Depth=1
	ds_read_b32 v23, v39
	s_or_b64 exec, exec, s[14:15]
	s_and_saveexec_b64 s[14:15], s[0:1]
	s_cbranch_execz .LBB621_35
.LBB621_60:                             ;   in Loop: Header=BB621_21 Depth=1
	s_waitcnt lgkmcnt(0)
	ds_bpermute_b32 v24, v37, v23
	s_waitcnt lgkmcnt(0)
	v_add_f32_e32 v23, v23, v24
	ds_bpermute_b32 v24, v38, v23
	s_waitcnt lgkmcnt(0)
	v_add_f32_e32 v23, v23, v24
	s_or_b64 exec, exec, s[14:15]
	s_and_saveexec_b64 s[14:15], s[0:1]
	s_cbranch_execnz .LBB621_36
	s_branch .LBB621_37
.LBB621_61:                             ;   in Loop: Header=BB621_21 Depth=1
	ds_read_b32 v20, v39
	s_or_b64 exec, exec, s[14:15]
	s_and_saveexec_b64 s[14:15], s[0:1]
	s_cbranch_execz .LBB621_41
.LBB621_62:                             ;   in Loop: Header=BB621_21 Depth=1
	s_waitcnt lgkmcnt(0)
	ds_bpermute_b32 v24, v37, v20
	s_waitcnt lgkmcnt(0)
	v_add_f32_e32 v20, v20, v24
	ds_bpermute_b32 v24, v38, v20
	s_waitcnt lgkmcnt(0)
	v_add_f32_e32 v20, v20, v24
	s_or_b64 exec, exec, s[14:15]
	s_and_saveexec_b64 s[14:15], s[0:1]
	s_cbranch_execnz .LBB621_42
	s_branch .LBB621_43
.LBB621_63:                             ;   in Loop: Header=BB621_21 Depth=1
	ds_read_b32 v21, v39
	s_or_b64 exec, exec, s[14:15]
	s_and_saveexec_b64 s[14:15], s[0:1]
	s_cbranch_execz .LBB621_47
.LBB621_64:                             ;   in Loop: Header=BB621_21 Depth=1
	s_waitcnt lgkmcnt(0)
	ds_bpermute_b32 v24, v37, v21
	s_waitcnt lgkmcnt(0)
	v_add_f32_e32 v21, v21, v24
	ds_bpermute_b32 v24, v38, v21
	s_waitcnt lgkmcnt(0)
	v_add_f32_e32 v21, v21, v24
	s_or_b64 exec, exec, s[14:15]
	s_and_saveexec_b64 s[14:15], s[6:7]
	s_cbranch_execz .LBB621_20
.LBB621_65:                             ;   in Loop: Header=BB621_21 Depth=1
	s_mul_hi_u32 s45, s3, s20
	s_mul_i32 s44, s3, s20
	s_lshl_b64 s[44:45], s[44:45], 2
	s_add_u32 s44, s51, s44
	v_mul_f32_e32 v22, s18, v22
	s_addc_u32 s45, s52, s45
	global_store_dword v41, v22, s[44:45]
	s_or_b32 s44, s3, 1
	s_mul_hi_u32 s45, s44, s20
	s_mul_i32 s44, s44, s20
	s_lshl_b64 s[44:45], s[44:45], 2
	s_add_u32 s44, s51, s44
	v_mul_f32_e32 v22, s18, v23
	s_addc_u32 s45, s52, s45
	global_store_dword v41, v22, s[44:45]
	s_or_b32 s44, s3, 2
	s_mul_hi_u32 s45, s44, s20
	s_mul_i32 s44, s44, s20
	s_lshl_b64 s[44:45], s[44:45], 2
	s_add_u32 s44, s51, s44
	v_mul_f32_e32 v20, s18, v20
	s_addc_u32 s45, s52, s45
	global_store_dword v41, v20, s[44:45]
	s_or_b32 s44, s3, 3
	s_mul_hi_u32 s45, s44, s20
	s_mul_i32 s44, s44, s20
	s_lshl_b64 s[44:45], s[44:45], 2
	s_add_u32 s44, s51, s44
	s_waitcnt lgkmcnt(0)
	v_mul_f32_e32 v20, s18, v21
	s_addc_u32 s45, s52, s45
	global_store_dword v41, v20, s[44:45]
	s_branch .LBB621_20
.LBB621_66:
	s_mov_b32 s3, 0
                                        ; implicit-def: $vgpr2_vgpr3_vgpr4_vgpr5
.LBB621_67:
	s_cmp_ge_i32 s3, s17
	s_cbranch_scc1 .LBB621_91
; %bb.68:
	v_mbcnt_hi_u32_b32 v10, -1, v30
	v_and_b32_e32 v11, 63, v10
	v_cmp_gt_u32_e32 vcc, 32, v11
	s_mov_b32 s31, 0
	s_cmp_gt_i32 s19, 0
	v_cndmask_b32_e64 v12, 0, 1, vcc
	v_lshlrev_b32_e32 v12, 5, v12
	v_cmp_gt_u32_e32 vcc, 48, v11
	s_waitcnt lgkmcnt(0)
	v_add_lshl_u32 v21, v12, v10, 2
	s_mov_b32 s30, s2
	v_cndmask_b32_e64 v12, 0, 1, vcc
	v_lshlrev_b32_e32 v12, 4, v12
	v_cmp_gt_u32_e32 vcc, 56, v11
	v_add_lshl_u32 v22, v12, v10, 2
	s_cselect_b64 s[34:35], -1, 0
	v_cndmask_b32_e64 v12, 0, 1, vcc
	v_lshlrev_b32_e32 v12, 3, v12
	v_cmp_gt_u32_e32 vcc, 60, v11
	v_add_lshl_u32 v23, v12, v10, 2
	s_lshl_b64 s[14:15], s[30:31], 2
	v_cndmask_b32_e64 v12, 0, 1, vcc
	v_lshlrev_b32_e32 v12, 2, v12
	v_cmp_gt_u32_e32 vcc, 62, v11
	v_add_lshl_u32 v24, v12, v10, 2
	s_add_u32 s2, s33, s14
	v_cndmask_b32_e64 v12, 0, 1, vcc
	v_lshlrev_b32_e32 v12, 1, v12
	v_cmp_ne_u32_e32 vcc, 63, v11
	v_add_lshl_u32 v25, v12, v10, 2
	v_cmp_ge_i32_e64 s[0:1], s16, v31
	v_addc_co_u32_e32 v10, vcc, 0, v10, vcc
	v_cmp_ge_i32_e64 s[4:5], s16, v32
	v_cmp_gt_u32_e64 s[6:7], 64, v0
	v_lshlrev_b32_e32 v30, 2, v10
	v_cmp_gt_u32_e64 s[10:11], 4, v0
	v_cmp_eq_u32_e64 s[12:13], 0, v0
	s_addc_u32 s16, s50, s15
	v_mad_i64_i32 v[10:11], s[14:15], s28, v8, 0
	v_mad_i64_i32 v[12:13], s[14:15], s28, v27, 0
	;; [unrolled: 1-line block ×4, first 2 shown]
	s_mul_i32 s14, s23, s3
	s_mul_hi_u32 s15, s22, s3
	s_add_i32 s15, s15, s14
	s_mul_i32 s14, s22, s3
	v_lshl_add_u64 v[10:11], v[10:11], 1, s[26:27]
	v_lshl_add_u64 v[12:13], v[12:13], 1, s[26:27]
	;; [unrolled: 1-line block ×4, first 2 shown]
	s_lshl_b64 s[26:27], s[28:29], 1
	s_lshl_b64 s[14:15], s[14:15], 1
	s_add_u32 s14, s24, s14
	s_addc_u32 s15, s25, s15
	v_lshlrev_b32_e32 v20, 2, v28
	v_cmp_eq_u32_e64 s[8:9], 0, v28
	v_and_b32_e32 v28, 12, v29
	v_lshl_add_u64 v[8:9], v[8:9], 1, s[14:15]
	s_lshl_b64 s[24:25], s[22:23], 1
	v_mov_b32_e32 v1, 0
	s_branch .LBB621_70
.LBB621_69:                             ;   in Loop: Header=BB621_70 Depth=1
	s_or_b64 exec, exec, s[14:15]
	s_add_i32 s3, s3, 1
	s_cmp_ge_i32 s3, s17
	v_lshl_add_u64 v[8:9], v[8:9], 0, s[24:25]
	s_cbranch_scc1 .LBB621_91
.LBB621_70:                             ; =>This Loop Header: Depth=1
                                        ;     Child Loop BB621_83 Depth 2
                                        ;     Child Loop BB621_86 Depth 2
	s_waitcnt lgkmcnt(0)
	v_mov_b32_e32 v0, s31
	s_and_saveexec_b64 s[14:15], s[0:1]
	s_xor_b64 s[14:15], exec, s[14:15]
	s_cbranch_execnz .LBB621_79
; %bb.71:                               ;   in Loop: Header=BB621_70 Depth=1
	s_andn2_saveexec_b64 s[28:29], s[14:15]
	s_cbranch_execnz .LBB621_80
.LBB621_72:                             ;   in Loop: Header=BB621_70 Depth=1
	s_or_b64 exec, exec, s[28:29]
	s_and_saveexec_b64 s[14:15], s[6:7]
	s_cbranch_execz .LBB621_74
.LBB621_73:                             ;   in Loop: Header=BB621_70 Depth=1
	ds_write_b32 v20, v1
.LBB621_74:                             ;   in Loop: Header=BB621_70 Depth=1
	s_or_b64 exec, exec, s[14:15]
	ds_bpermute_b32 v18, v21, v0
	s_waitcnt lgkmcnt(0)
	s_barrier
	v_add_f32_e32 v0, v0, v18
	ds_bpermute_b32 v18, v22, v0
	s_waitcnt lgkmcnt(0)
	v_add_f32_e32 v0, v0, v18
	ds_bpermute_b32 v18, v23, v0
	s_waitcnt lgkmcnt(0)
	;; [unrolled: 3-line block ×4, first 2 shown]
	v_add_f32_e32 v0, v0, v18
	ds_bpermute_b32 v18, v30, v0
	s_and_saveexec_b64 s[14:15], s[8:9]
	s_cbranch_execz .LBB621_76
; %bb.75:                               ;   in Loop: Header=BB621_70 Depth=1
	s_waitcnt lgkmcnt(0)
	v_add_f32_e32 v0, v0, v18
	ds_write_b32 v28, v0
.LBB621_76:                             ;   in Loop: Header=BB621_70 Depth=1
	s_or_b64 exec, exec, s[14:15]
	v_mov_b32_e32 v0, 0
	s_waitcnt lgkmcnt(0)
	s_barrier
	s_and_saveexec_b64 s[14:15], s[10:11]
	s_cbranch_execnz .LBB621_88
; %bb.77:                               ;   in Loop: Header=BB621_70 Depth=1
	s_or_b64 exec, exec, s[14:15]
	s_and_saveexec_b64 s[14:15], s[6:7]
	s_cbranch_execnz .LBB621_89
.LBB621_78:                             ;   in Loop: Header=BB621_70 Depth=1
	s_or_b64 exec, exec, s[14:15]
	s_and_saveexec_b64 s[14:15], s[12:13]
	s_cbranch_execz .LBB621_69
	s_branch .LBB621_90
.LBB621_79:                             ;   in Loop: Header=BB621_70 Depth=1
	s_mul_i32 s21, s3, s23
	s_mul_hi_u32 s28, s3, s22
	s_add_i32 s29, s28, s21
	s_mul_i32 s28, s3, s22
	v_lshl_add_u64 v[2:3], s[28:29], 1, v[6:7]
	flat_load_ushort v0, v[12:13]
	flat_load_ushort v4, v[14:15]
	;; [unrolled: 1-line block ×4, first 2 shown]
	flat_load_dwordx2 v[18:19], v[2:3]
	s_waitcnt vmcnt(0) lgkmcnt(0)
	v_lshlrev_b32_e32 v3, 16, v0
	v_lshlrev_b32_e32 v4, 16, v4
	;; [unrolled: 1-line block ×4, first 2 shown]
	v_and_b32_e32 v27, 0xffff0000, v18
	v_lshlrev_b32_e32 v26, 16, v18
	v_and_b32_e32 v33, 0xffff0000, v19
	v_lshlrev_b32_e32 v32, 16, v19
	v_pk_mul_f32 v[18:19], v[2:3], v[26:27]
	s_nop 0
	v_add_f32_e32 v0, 0, v18
	v_add_f32_e32 v0, v0, v19
	v_pk_mul_f32 v[18:19], v[4:5], v[32:33]
	s_nop 0
	v_add_f32_e32 v0, v0, v18
	v_add_f32_e32 v0, v0, v19
	s_andn2_saveexec_b64 s[28:29], s[14:15]
	s_cbranch_execz .LBB621_72
.LBB621_80:                             ;   in Loop: Header=BB621_70 Depth=1
	s_and_saveexec_b64 s[36:37], s[4:5]
	s_cbranch_execz .LBB621_87
; %bb.81:                               ;   in Loop: Header=BB621_70 Depth=1
	v_cndmask_b32_e64 v18, 0, 1, s[34:35]
	v_cmp_ne_u32_e64 s[14:15], 1, v18
	s_andn2_b64 vcc, exec, s[34:35]
	s_cbranch_vccnz .LBB621_84
; %bb.82:                               ;   in Loop: Header=BB621_70 Depth=1
	s_mov_b64 s[38:39], 0
	v_mov_b64_e32 v[18:19], v[10:11]
.LBB621_83:                             ;   Parent Loop BB621_70 Depth=1
                                        ; =>  This Inner Loop Header: Depth=2
	flat_load_ushort v26, v[18:19]
	s_cmp_eq_u32 s38, 3
	s_cselect_b64 vcc, -1, 0
	s_cmp_eq_u32 s38, 2
	v_lshl_add_u64 v[18:19], v[18:19], 0, s[26:27]
	s_waitcnt vmcnt(0) lgkmcnt(0)
	v_lshlrev_b32_e32 v26, 16, v26
	v_cndmask_b32_e32 v5, v5, v26, vcc
	s_cselect_b64 vcc, -1, 0
	s_cmp_eq_u32 s38, 1
	v_cndmask_b32_e32 v4, v4, v26, vcc
	s_cselect_b64 vcc, -1, 0
	s_cmp_eq_u32 s38, 0
	v_cndmask_b32_e32 v3, v3, v26, vcc
	s_cselect_b64 vcc, -1, 0
	s_add_u32 s38, s38, 1
	s_addc_u32 s39, s39, 0
	s_cmp_eq_u32 s19, s38
	v_cndmask_b32_e32 v2, v2, v26, vcc
	s_cbranch_scc0 .LBB621_83
.LBB621_84:                             ;   in Loop: Header=BB621_70 Depth=1
	s_and_b64 vcc, exec, s[14:15]
	s_cbranch_vccnz .LBB621_87
; %bb.85:                               ;   in Loop: Header=BB621_70 Depth=1
	s_mov_b64 s[14:15], 0
	v_mov_b64_e32 v[18:19], v[8:9]
.LBB621_86:                             ;   Parent Loop BB621_70 Depth=1
                                        ; =>  This Inner Loop Header: Depth=2
	flat_load_ushort v26, v[18:19]
	s_cmp_eq_u32 s14, 1
	s_cselect_b64 vcc, -1, 0
	s_cmp_eq_u32 s14, 2
	v_cndmask_b32_e32 v27, v2, v3, vcc
	s_cselect_b64 vcc, -1, 0
	s_cmp_eq_u32 s14, 3
	v_cndmask_b32_e32 v27, v27, v4, vcc
	s_cselect_b64 vcc, -1, 0
	s_add_u32 s14, s14, 1
	v_cndmask_b32_e32 v27, v27, v5, vcc
	s_addc_u32 s15, s15, 0
	v_lshl_add_u64 v[18:19], v[18:19], 0, 2
	s_cmp_lg_u32 s19, s14
	s_waitcnt vmcnt(0) lgkmcnt(0)
	v_lshlrev_b32_e32 v26, 16, v26
	v_fmac_f32_e32 v0, v27, v26
	s_cbranch_scc1 .LBB621_86
.LBB621_87:                             ;   in Loop: Header=BB621_70 Depth=1
	s_or_b64 exec, exec, s[36:37]
	s_or_b64 exec, exec, s[28:29]
	s_and_saveexec_b64 s[14:15], s[6:7]
	s_cbranch_execnz .LBB621_73
	s_branch .LBB621_74
.LBB621_88:                             ;   in Loop: Header=BB621_70 Depth=1
	ds_read_b32 v0, v20
	s_or_b64 exec, exec, s[14:15]
	s_and_saveexec_b64 s[14:15], s[6:7]
	s_cbranch_execz .LBB621_78
.LBB621_89:                             ;   in Loop: Header=BB621_70 Depth=1
	s_waitcnt lgkmcnt(0)
	ds_bpermute_b32 v18, v25, v0
	s_waitcnt lgkmcnt(0)
	v_add_f32_e32 v0, v0, v18
	ds_bpermute_b32 v18, v30, v0
	s_waitcnt lgkmcnt(0)
	v_add_f32_e32 v0, v0, v18
	s_or_b64 exec, exec, s[14:15]
	s_and_saveexec_b64 s[14:15], s[12:13]
	s_cbranch_execz .LBB621_69
.LBB621_90:                             ;   in Loop: Header=BB621_70 Depth=1
	s_mul_hi_u32 s29, s3, s20
	s_mul_i32 s28, s3, s20
	s_lshl_b64 s[28:29], s[28:29], 2
	s_add_u32 s28, s2, s28
	s_waitcnt lgkmcnt(0)
	v_mul_f32_e32 v0, s18, v0
	s_addc_u32 s29, s16, s29
	global_store_dword v1, v0, s[28:29]
	s_branch .LBB621_69
.LBB621_91:
	s_endpgm
	.section	.rodata,"a",@progbits
	.p2align	6, 0x0
	.amdhsa_kernel _ZL23rocblas_gemvt_sn_kernelILb1ELi256ELi4ElPK16rocblas_bfloat16ffEviiT4_lPKT3_lilS6_lilPT5_i
		.amdhsa_group_segment_fixed_size 256
		.amdhsa_private_segment_fixed_size 0
		.amdhsa_kernarg_size 360
		.amdhsa_user_sgpr_count 2
		.amdhsa_user_sgpr_dispatch_ptr 0
		.amdhsa_user_sgpr_queue_ptr 0
		.amdhsa_user_sgpr_kernarg_segment_ptr 1
		.amdhsa_user_sgpr_dispatch_id 0
		.amdhsa_user_sgpr_kernarg_preload_length 0
		.amdhsa_user_sgpr_kernarg_preload_offset 0
		.amdhsa_user_sgpr_private_segment_size 0
		.amdhsa_uses_dynamic_stack 0
		.amdhsa_enable_private_segment 0
		.amdhsa_system_sgpr_workgroup_id_x 1
		.amdhsa_system_sgpr_workgroup_id_y 0
		.amdhsa_system_sgpr_workgroup_id_z 1
		.amdhsa_system_sgpr_workgroup_info 0
		.amdhsa_system_vgpr_workitem_id 0
		.amdhsa_next_free_vgpr 62
		.amdhsa_next_free_sgpr 53
		.amdhsa_accum_offset 64
		.amdhsa_reserve_vcc 1
		.amdhsa_float_round_mode_32 0
		.amdhsa_float_round_mode_16_64 0
		.amdhsa_float_denorm_mode_32 3
		.amdhsa_float_denorm_mode_16_64 3
		.amdhsa_dx10_clamp 1
		.amdhsa_ieee_mode 1
		.amdhsa_fp16_overflow 0
		.amdhsa_tg_split 0
		.amdhsa_exception_fp_ieee_invalid_op 0
		.amdhsa_exception_fp_denorm_src 0
		.amdhsa_exception_fp_ieee_div_zero 0
		.amdhsa_exception_fp_ieee_overflow 0
		.amdhsa_exception_fp_ieee_underflow 0
		.amdhsa_exception_fp_ieee_inexact 0
		.amdhsa_exception_int_div_zero 0
	.end_amdhsa_kernel
	.section	.text._ZL23rocblas_gemvt_sn_kernelILb1ELi256ELi4ElPK16rocblas_bfloat16ffEviiT4_lPKT3_lilS6_lilPT5_i,"axG",@progbits,_ZL23rocblas_gemvt_sn_kernelILb1ELi256ELi4ElPK16rocblas_bfloat16ffEviiT4_lPKT3_lilS6_lilPT5_i,comdat
.Lfunc_end621:
	.size	_ZL23rocblas_gemvt_sn_kernelILb1ELi256ELi4ElPK16rocblas_bfloat16ffEviiT4_lPKT3_lilS6_lilPT5_i, .Lfunc_end621-_ZL23rocblas_gemvt_sn_kernelILb1ELi256ELi4ElPK16rocblas_bfloat16ffEviiT4_lPKT3_lilS6_lilPT5_i
                                        ; -- End function
	.section	.AMDGPU.csdata,"",@progbits
; Kernel info:
; codeLenInByte = 4088
; NumSgprs: 59
; NumVgprs: 62
; NumAgprs: 0
; TotalNumVgprs: 62
; ScratchSize: 0
; MemoryBound: 0
; FloatMode: 240
; IeeeMode: 1
; LDSByteSize: 256 bytes/workgroup (compile time only)
; SGPRBlocks: 7
; VGPRBlocks: 7
; NumSGPRsForWavesPerEU: 59
; NumVGPRsForWavesPerEU: 62
; AccumOffset: 64
; Occupancy: 8
; WaveLimiterHint : 0
; COMPUTE_PGM_RSRC2:SCRATCH_EN: 0
; COMPUTE_PGM_RSRC2:USER_SGPR: 2
; COMPUTE_PGM_RSRC2:TRAP_HANDLER: 0
; COMPUTE_PGM_RSRC2:TGID_X_EN: 1
; COMPUTE_PGM_RSRC2:TGID_Y_EN: 0
; COMPUTE_PGM_RSRC2:TGID_Z_EN: 1
; COMPUTE_PGM_RSRC2:TIDIG_COMP_CNT: 0
; COMPUTE_PGM_RSRC3_GFX90A:ACCUM_OFFSET: 15
; COMPUTE_PGM_RSRC3_GFX90A:TG_SPLIT: 0
	.section	.text._ZL20rocblas_gemvt_kernelILb1ELi256EPK16rocblas_bfloat16PKfKPS0_EviiT2_lPKT1_lilSA_lilS7_lPT3_lili,"axG",@progbits,_ZL20rocblas_gemvt_kernelILb1ELi256EPK16rocblas_bfloat16PKfKPS0_EviiT2_lPKT1_lilSA_lilS7_lPT3_lili,comdat
	.globl	_ZL20rocblas_gemvt_kernelILb1ELi256EPK16rocblas_bfloat16PKfKPS0_EviiT2_lPKT1_lilSA_lilS7_lPT3_lili ; -- Begin function _ZL20rocblas_gemvt_kernelILb1ELi256EPK16rocblas_bfloat16PKfKPS0_EviiT2_lPKT1_lilSA_lilS7_lPT3_lili
	.p2align	8
	.type	_ZL20rocblas_gemvt_kernelILb1ELi256EPK16rocblas_bfloat16PKfKPS0_EviiT2_lPKT1_lilSA_lilS7_lPT3_lili,@function
_ZL20rocblas_gemvt_kernelILb1ELi256EPK16rocblas_bfloat16PKfKPS0_EviiT2_lPKT1_lilSA_lilS7_lPT3_lili: ; @_ZL20rocblas_gemvt_kernelILb1ELi256EPK16rocblas_bfloat16PKfKPS0_EviiT2_lPKT1_lilSA_lilS7_lPT3_lili
; %bb.0:
	s_load_dwordx8 s[12:19], s[0:1], 0x8
	s_load_dwordx8 s[4:11], s[0:1], 0x58
	s_mov_b32 s20, s3
	s_waitcnt lgkmcnt(0)
	s_mul_i32 s3, s3, s15
	s_mul_hi_u32 s15, s20, s14
	s_add_i32 s15, s15, s3
	s_mul_i32 s14, s20, s14
	s_lshl_b64 s[14:15], s[14:15], 2
	s_add_u32 s12, s12, s14
	s_mul_i32 s3, s20, s7
	s_mul_hi_u32 s7, s20, s6
	s_addc_u32 s13, s13, s15
	s_add_i32 s7, s7, s3
	s_mul_i32 s6, s20, s6
	s_lshl_b64 s[6:7], s[6:7], 2
	s_add_u32 s4, s4, s6
	s_addc_u32 s5, s5, s7
	s_load_dword s22, s[12:13], 0x0
	s_load_dword s3, s[4:5], 0x0
	s_waitcnt lgkmcnt(0)
	v_cmp_eq_f32_e64 s[4:5], s22, 0
	v_cmp_eq_f32_e64 s[6:7], s3, 1.0
	s_and_b64 s[6:7], s[4:5], s[6:7]
	s_and_b64 vcc, exec, s[6:7]
	s_cbranch_vccnz .LBB622_69
; %bb.1:
	s_mov_b32 s21, 0
	v_cmp_neq_f32_e64 s[6:7], s22, 0
	s_mov_b64 s[12:13], 0
	s_and_b64 vcc, exec, s[4:5]
	s_mov_b64 s[14:15], 0
	s_cbranch_vccnz .LBB622_3
; %bb.2:
	s_lshl_b64 s[14:15], s[20:21], 3
	s_add_u32 s14, s16, s14
	s_addc_u32 s15, s17, s15
	s_load_dwordx2 s[14:15], s[14:15], 0x0
	s_lshl_b64 s[16:17], s[18:19], 1
	s_waitcnt lgkmcnt(0)
	s_add_u32 s14, s14, s16
	s_addc_u32 s15, s15, s17
.LBB622_3:
	s_andn2_b64 vcc, exec, s[6:7]
	s_cbranch_vccnz .LBB622_5
; %bb.4:
	s_load_dwordx4 s[16:19], s[0:1], 0x38
	s_lshl_b64 s[6:7], s[20:21], 3
	s_waitcnt lgkmcnt(0)
	s_add_u32 s6, s16, s6
	s_addc_u32 s7, s17, s7
	s_load_dwordx2 s[6:7], s[6:7], 0x0
	s_lshl_b64 s[12:13], s[18:19], 1
	s_waitcnt lgkmcnt(0)
	s_add_u32 s12, s6, s12
	s_addc_u32 s13, s7, s13
.LBB622_5:
	s_lshl_b64 s[6:7], s[20:21], 3
	s_add_u32 s6, s8, s6
	s_addc_u32 s7, s9, s7
	s_load_dwordx2 s[8:9], s[6:7], 0x0
	s_load_dword s20, s[0:1], 0x78
	s_lshl_b64 s[6:7], s[10:11], 1
	s_waitcnt lgkmcnt(0)
	s_add_u32 s18, s8, s6
	s_addc_u32 s19, s9, s7
	s_andn2_b64 vcc, exec, s[4:5]
	v_cmp_eq_u32_e64 s[4:5], 0, v0
	s_cbranch_vccnz .LBB622_10
; %bb.6:
	s_mov_b64 s[10:11], 0
	s_mov_b64 s[6:7], 0
                                        ; implicit-def: $sgpr21
                                        ; implicit-def: $sgpr8_sgpr9
	s_and_saveexec_b64 s[16:17], s[4:5]
	s_cbranch_execz .LBB622_11
; %bb.7:
	v_cmp_eq_f32_e64 s[4:5], s3, 0
	s_mov_b32 s21, 0
	s_mul_hi_i32 s9, s20, s2
	s_mul_i32 s8, s20, s2
	s_and_b64 vcc, exec, s[4:5]
	s_cbranch_vccnz .LBB622_16
; %bb.8:
	s_lshl_b64 s[4:5], s[8:9], 1
	s_add_u32 s4, s18, s4
	s_addc_u32 s5, s19, s5
	v_mov_b32_e32 v1, 0
	global_load_ushort v1, v1, s[4:5]
	s_mov_b32 s4, 0x7f800000
	s_waitcnt vmcnt(0)
	v_lshlrev_b32_e32 v1, 16, v1
	v_mul_f32_e32 v1, s3, v1
	v_and_b32_e32 v2, 0x7f800000, v1
	v_cmp_eq_u32_e32 vcc, s4, v2
	v_readfirstlane_b32 s6, v1
	s_cbranch_vccnz .LBB622_12
; %bb.9:
	s_bfe_u32 s4, s6, 0x10010
	s_add_i32 s4, s6, s4
	s_add_i32 s7, s4, 0x7fff
	s_mov_b64 s[4:5], 0
	s_branch .LBB622_13
.LBB622_10:
	s_mov_b64 s[6:7], 0
                                        ; implicit-def: $sgpr21
                                        ; implicit-def: $sgpr8_sgpr9
	s_cbranch_execnz .LBB622_17
	s_branch .LBB622_67
.LBB622_11:
	s_or_b64 exec, exec, s[16:17]
	s_and_b64 vcc, exec, s[10:11]
	s_cbranch_vccnz .LBB622_17
	s_branch .LBB622_67
.LBB622_12:
	s_mov_b64 s[4:5], -1
                                        ; implicit-def: $sgpr7
.LBB622_13:
	s_andn2_b64 vcc, exec, s[4:5]
	s_cbranch_vccnz .LBB622_15
; %bb.14:
	s_and_b32 s4, s6, 0xffff
	s_or_b32 s5, s6, 0x10000
	s_cmp_eq_u32 s4, 0
	s_cselect_b32 s7, s6, s5
.LBB622_15:
	s_lshr_b32 s21, s7, 16
.LBB622_16:
	s_mov_b64 s[6:7], exec
	s_or_b64 exec, exec, s[16:17]
	s_and_b64 vcc, exec, s[10:11]
	s_cbranch_vccz .LBB622_67
.LBB622_17:
	s_load_dword s16, s[0:1], 0x0
	s_load_dword s5, s[0:1], 0x28
	;; [unrolled: 1-line block ×3, first 2 shown]
	v_mov_b32_e32 v3, 0
	s_mov_b32 s1, 0
	s_waitcnt lgkmcnt(0)
	v_cmp_gt_i32_e32 vcc, s16, v0
	s_mul_hi_i32 s9, s5, s2
	s_mul_i32 s8, s5, s2
	s_lshl_b64 s[8:9], s[8:9], 1
	s_add_u32 s8, s8, s14
	s_addc_u32 s9, s9, s15
	s_ashr_i32 s0, s16, 31
	s_lshr_b32 s0, s0, 24
	v_cndmask_b32_e32 v1, 0, v0, vcc
	s_add_i32 s0, s16, s0
	v_lshlrev_b32_e32 v2, 1, v1
	s_and_b32 s0, s0, 0xffffff00
	s_cmpk_lt_i32 s16, 0x100
	v_lshl_add_u64 v[4:5], s[8:9], 0, v[2:3]
	s_cbranch_scc1 .LBB622_24
; %bb.18:
	s_ashr_i32 s5, s4, 31
	v_mad_i64_i32 v[2:3], s[8:9], s4, v0, 0
	v_lshl_add_u64 v[6:7], v[2:3], 1, s[12:13]
	s_lshl_b64 s[8:9], s[4:5], 9
	v_mov_b32_e32 v1, 0
	s_mov_b32 s5, 0x7f800000
	s_movk_i32 s17, 0x7fff
	s_mov_b64 s[10:11], 0x200
	v_mov_b64_e32 v[8:9], v[4:5]
	v_mov_b32_e32 v3, 0
	s_branch .LBB622_20
.LBB622_19:                             ;   in Loop: Header=BB622_20 Depth=1
	s_or_b64 exec, exec, s[14:15]
	v_and_b32_e32 v2, 0xffff0000, v2
	s_addk_i32 s1, 0x100
	v_add_f32_e32 v3, v3, v2
	v_lshl_add_u64 v[6:7], v[6:7], 0, s[8:9]
	s_cmp_ge_i32 s1, s0
	v_lshl_add_u64 v[8:9], v[8:9], 0, s[10:11]
	s_cbranch_scc1 .LBB622_24
.LBB622_20:                             ; =>This Inner Loop Header: Depth=1
	flat_load_ushort v2, v[6:7]
	flat_load_ushort v10, v[8:9]
	s_waitcnt vmcnt(0) lgkmcnt(0)
	v_lshlrev_b32_e32 v2, 16, v2
	v_lshlrev_b32_e32 v10, 16, v10
	v_pk_mul_f32 v[10:11], v[2:3], v[10:11] op_sel_hi:[0,1]
	v_and_b32_e32 v2, 0x7f800000, v10
	v_cmp_ne_u32_e32 vcc, s5, v2
                                        ; implicit-def: $vgpr2
	s_and_saveexec_b64 s[14:15], vcc
	s_xor_b64 s[14:15], exec, s[14:15]
; %bb.21:                               ;   in Loop: Header=BB622_20 Depth=1
	v_bfe_u32 v2, v10, 16, 1
	v_add3_u32 v2, v10, v2, s17
                                        ; implicit-def: $vgpr10_vgpr11
; %bb.22:                               ;   in Loop: Header=BB622_20 Depth=1
	s_andn2_saveexec_b64 s[14:15], s[14:15]
	s_cbranch_execz .LBB622_19
; %bb.23:                               ;   in Loop: Header=BB622_20 Depth=1
	v_or_b32_e32 v2, 0x10000, v10
	v_cmp_eq_u32_sdwa vcc, v10, v1 src0_sel:WORD_0 src1_sel:DWORD
	s_nop 1
	v_cndmask_b32_e32 v2, v2, v10, vcc
	s_branch .LBB622_19
.LBB622_24:
	v_add_u32_e32 v1, s0, v0
	v_cmp_gt_i32_e32 vcc, s16, v1
	s_and_saveexec_b64 s[8:9], vcc
	s_cbranch_execz .LBB622_30
; %bb.25:
	s_ashr_i32 s1, s0, 31
	v_lshl_add_u64 v[4:5], s[0:1], 1, v[4:5]
	v_mad_i64_i32 v[6:7], s[0:1], s4, v1, 0
	v_lshl_add_u64 v[6:7], v[6:7], 1, s[12:13]
	flat_load_ushort v1, v[6:7]
	flat_load_ushort v8, v[4:5]
	s_mov_b32 s0, 0x7f800000
	s_waitcnt vmcnt(0) lgkmcnt(0)
	v_lshlrev_b32_e32 v2, 16, v1
	v_lshlrev_b32_e32 v4, 16, v8
	v_pk_mul_f32 v[4:5], v[2:3], v[4:5] op_sel_hi:[0,1]
	v_and_b32_e32 v1, 0x7f800000, v4
	v_cmp_ne_u32_e32 vcc, s0, v1
                                        ; implicit-def: $vgpr1
	s_and_saveexec_b64 s[0:1], vcc
	s_xor_b64 s[0:1], exec, s[0:1]
; %bb.26:
	v_bfe_u32 v1, v4, 16, 1
	s_movk_i32 s4, 0x7fff
	v_add3_u32 v1, v4, v1, s4
                                        ; implicit-def: $vgpr4_vgpr5
; %bb.27:
	s_andn2_saveexec_b64 s[0:1], s[0:1]
; %bb.28:
	v_mov_b32_e32 v1, 0
	v_or_b32_e32 v2, 0x10000, v4
	v_cmp_eq_u32_sdwa vcc, v4, v1 src0_sel:WORD_0 src1_sel:DWORD
	s_nop 1
	v_cndmask_b32_e32 v1, v2, v4, vcc
; %bb.29:
	s_or_b64 exec, exec, s[0:1]
	v_and_b32_e32 v1, 0xffff0000, v1
	v_add_f32_e32 v3, v3, v1
.LBB622_30:
	s_or_b64 exec, exec, s[8:9]
	s_movk_i32 s0, 0x80
	v_lshlrev_b32_e32 v1, 2, v0
	v_cmp_gt_u32_e32 vcc, s0, v0
	ds_write_b32 v1, v3
	s_waitcnt lgkmcnt(0)
	s_barrier
	s_and_saveexec_b64 s[0:1], vcc
	s_cbranch_execz .LBB622_32
; %bb.31:
	ds_read2st64_b32 v[2:3], v1 offset1:2
	s_waitcnt lgkmcnt(0)
	v_add_f32_e32 v2, v3, v2
	ds_write_b32 v1, v2
.LBB622_32:
	s_or_b64 exec, exec, s[0:1]
	v_cmp_gt_u32_e32 vcc, 64, v0
	s_waitcnt lgkmcnt(0)
	s_barrier
	s_and_saveexec_b64 s[0:1], vcc
	s_cbranch_execz .LBB622_34
; %bb.33:
	ds_read2st64_b32 v[2:3], v1 offset1:1
	s_waitcnt lgkmcnt(0)
	v_add_f32_e32 v2, v3, v2
	ds_write_b32 v1, v2
.LBB622_34:
	s_or_b64 exec, exec, s[0:1]
	v_cmp_gt_u32_e32 vcc, 32, v0
	s_waitcnt lgkmcnt(0)
	s_barrier
	s_and_saveexec_b64 s[0:1], vcc
	s_cbranch_execz .LBB622_36
; %bb.35:
	ds_read2_b32 v[2:3], v1 offset1:32
	s_waitcnt lgkmcnt(0)
	v_add_f32_e32 v2, v3, v2
	ds_write_b32 v1, v2
.LBB622_36:
	s_or_b64 exec, exec, s[0:1]
	v_cmp_gt_u32_e32 vcc, 16, v0
	s_waitcnt lgkmcnt(0)
	s_barrier
	s_and_saveexec_b64 s[0:1], vcc
	s_cbranch_execz .LBB622_38
; %bb.37:
	ds_read2_b32 v[2:3], v1 offset1:16
	s_waitcnt lgkmcnt(0)
	v_add_f32_e32 v2, v3, v2
	ds_write_b32 v1, v2
.LBB622_38:
	;; [unrolled: 12-line block ×5, first 2 shown]
	s_or_b64 exec, exec, s[0:1]
	v_cmp_eq_u32_e32 vcc, 0, v0
	s_waitcnt lgkmcnt(0)
	s_barrier
	s_and_saveexec_b64 s[0:1], vcc
	s_cbranch_execz .LBB622_46
; %bb.45:
	v_mov_b32_e32 v2, 0
	ds_read_b64 v[0:1], v2
	s_waitcnt lgkmcnt(0)
	v_add_f32_e32 v0, v1, v0
	ds_write_b32 v2, v0
.LBB622_46:
	s_or_b64 exec, exec, s[0:1]
	s_waitcnt lgkmcnt(0)
	s_barrier
	s_waitcnt lgkmcnt(0)
                                        ; implicit-def: $sgpr21
                                        ; implicit-def: $sgpr8_sgpr9
	s_and_saveexec_b64 s[0:1], vcc
	s_cbranch_execz .LBB622_66
; %bb.47:
	v_mov_b32_e32 v0, 0
	ds_read_b32 v0, v0
	v_cmp_eq_f32_e64 s[4:5], s3, 0
	s_and_b64 vcc, exec, s[4:5]
	s_waitcnt lgkmcnt(0)
	v_mul_f32_e32 v0, s22, v0
	s_nop 0
	v_readfirstlane_b32 s10, v0
	s_cbranch_vccz .LBB622_50
; %bb.48:
	s_and_b32 s4, s10, 0x7f800000
	s_cmp_eq_u32 s4, 0x7f800000
	s_cbranch_scc1 .LBB622_51
; %bb.49:
	s_bfe_u32 s4, s10, 0x10010
	s_add_i32 s4, s10, s4
	s_add_i32 s11, s4, 0x7fff
	s_mov_b64 s[4:5], 0
	s_branch .LBB622_52
.LBB622_50:
                                        ; implicit-def: $sgpr11
	s_mul_hi_i32 s9, s20, s2
	s_mul_i32 s8, s20, s2
	s_branch .LBB622_55
.LBB622_51:
	s_mov_b64 s[4:5], -1
                                        ; implicit-def: $sgpr11
.LBB622_52:
	s_andn2_b64 vcc, exec, s[4:5]
	s_cbranch_vccnz .LBB622_54
; %bb.53:
	s_and_b32 s4, s10, 0xffff
	s_or_b32 s5, s10, 0x10000
	s_cmp_eq_u32 s4, 0
	s_cselect_b32 s11, s10, s5
.LBB622_54:
	s_mul_hi_i32 s9, s20, s2
	s_mul_i32 s8, s20, s2
	s_cbranch_execnz .LBB622_65
.LBB622_55:
	s_lshl_b64 s[4:5], s[8:9], 1
	s_add_u32 s4, s18, s4
	s_addc_u32 s5, s19, s5
	v_mov_b32_e32 v0, 0
	global_load_ushort v0, v0, s[4:5]
	s_mov_b32 s2, 0x7f800000
	s_waitcnt vmcnt(0)
	v_lshlrev_b32_e32 v0, 16, v0
	v_mul_f32_e32 v0, s3, v0
	v_and_b32_e32 v1, 0x7f800000, v0
	v_cmp_eq_u32_e32 vcc, s2, v1
	v_readfirstlane_b32 s4, v0
	s_cbranch_vccnz .LBB622_57
; %bb.56:
	s_bfe_u32 s2, s4, 0x10010
	s_add_i32 s2, s4, s2
	s_add_i32 s5, s2, 0x7fff
	s_mov_b64 s[2:3], 0
	s_branch .LBB622_58
.LBB622_57:
	s_mov_b64 s[2:3], -1
                                        ; implicit-def: $sgpr5
.LBB622_58:
	s_andn2_b64 vcc, exec, s[2:3]
	s_cbranch_vccnz .LBB622_60
; %bb.59:
	s_and_b32 s2, s4, 0xffff
	s_or_b32 s3, s4, 0x10000
	s_cmp_eq_u32 s2, 0
	s_cselect_b32 s5, s4, s3
.LBB622_60:
	s_and_b32 s2, s5, 0xffff0000
	v_mov_b32_e32 v0, s2
	v_add_f32_e32 v0, s10, v0
	s_mov_b32 s2, 0x7f800000
	v_and_b32_e32 v1, 0x7f800000, v0
	v_cmp_eq_u32_e32 vcc, s2, v1
	v_readfirstlane_b32 s4, v0
	s_cbranch_vccnz .LBB622_62
; %bb.61:
	s_bfe_u32 s2, s4, 0x10010
	s_add_i32 s2, s4, s2
	s_add_i32 s11, s2, 0x7fff
	s_mov_b64 s[2:3], 0
	s_branch .LBB622_63
.LBB622_62:
	s_mov_b64 s[2:3], -1
                                        ; implicit-def: $sgpr11
.LBB622_63:
	s_andn2_b64 vcc, exec, s[2:3]
	s_cbranch_vccnz .LBB622_65
; %bb.64:
	s_and_b32 s2, s4, 0xffff
	s_or_b32 s3, s4, 0x10000
	s_cmp_eq_u32 s2, 0
	s_cselect_b32 s11, s4, s3
.LBB622_65:
	s_lshr_b32 s21, s11, 16
	s_or_b64 s[6:7], s[6:7], exec
.LBB622_66:
	s_or_b64 exec, exec, s[0:1]
.LBB622_67:
	s_and_saveexec_b64 s[0:1], s[6:7]
	s_cbranch_execz .LBB622_69
; %bb.68:
	s_lshl_b64 s[0:1], s[8:9], 1
	s_add_u32 s0, s18, s0
	s_addc_u32 s1, s19, s1
	v_mov_b32_e32 v0, 0
	v_mov_b32_e32 v1, s21
	global_store_short v0, v1, s[0:1]
.LBB622_69:
	s_endpgm
	.section	.rodata,"a",@progbits
	.p2align	6, 0x0
	.amdhsa_kernel _ZL20rocblas_gemvt_kernelILb1ELi256EPK16rocblas_bfloat16PKfKPS0_EviiT2_lPKT1_lilSA_lilS7_lPT3_lili
		.amdhsa_group_segment_fixed_size 1024
		.amdhsa_private_segment_fixed_size 0
		.amdhsa_kernarg_size 140
		.amdhsa_user_sgpr_count 2
		.amdhsa_user_sgpr_dispatch_ptr 0
		.amdhsa_user_sgpr_queue_ptr 0
		.amdhsa_user_sgpr_kernarg_segment_ptr 1
		.amdhsa_user_sgpr_dispatch_id 0
		.amdhsa_user_sgpr_kernarg_preload_length 0
		.amdhsa_user_sgpr_kernarg_preload_offset 0
		.amdhsa_user_sgpr_private_segment_size 0
		.amdhsa_uses_dynamic_stack 0
		.amdhsa_enable_private_segment 0
		.amdhsa_system_sgpr_workgroup_id_x 1
		.amdhsa_system_sgpr_workgroup_id_y 0
		.amdhsa_system_sgpr_workgroup_id_z 1
		.amdhsa_system_sgpr_workgroup_info 0
		.amdhsa_system_vgpr_workitem_id 0
		.amdhsa_next_free_vgpr 12
		.amdhsa_next_free_sgpr 23
		.amdhsa_accum_offset 12
		.amdhsa_reserve_vcc 1
		.amdhsa_float_round_mode_32 0
		.amdhsa_float_round_mode_16_64 0
		.amdhsa_float_denorm_mode_32 3
		.amdhsa_float_denorm_mode_16_64 3
		.amdhsa_dx10_clamp 1
		.amdhsa_ieee_mode 1
		.amdhsa_fp16_overflow 0
		.amdhsa_tg_split 0
		.amdhsa_exception_fp_ieee_invalid_op 0
		.amdhsa_exception_fp_denorm_src 0
		.amdhsa_exception_fp_ieee_div_zero 0
		.amdhsa_exception_fp_ieee_overflow 0
		.amdhsa_exception_fp_ieee_underflow 0
		.amdhsa_exception_fp_ieee_inexact 0
		.amdhsa_exception_int_div_zero 0
	.end_amdhsa_kernel
	.section	.text._ZL20rocblas_gemvt_kernelILb1ELi256EPK16rocblas_bfloat16PKfKPS0_EviiT2_lPKT1_lilSA_lilS7_lPT3_lili,"axG",@progbits,_ZL20rocblas_gemvt_kernelILb1ELi256EPK16rocblas_bfloat16PKfKPS0_EviiT2_lPKT1_lilSA_lilS7_lPT3_lili,comdat
.Lfunc_end622:
	.size	_ZL20rocblas_gemvt_kernelILb1ELi256EPK16rocblas_bfloat16PKfKPS0_EviiT2_lPKT1_lilSA_lilS7_lPT3_lili, .Lfunc_end622-_ZL20rocblas_gemvt_kernelILb1ELi256EPK16rocblas_bfloat16PKfKPS0_EviiT2_lPKT1_lilSA_lilS7_lPT3_lili
                                        ; -- End function
	.section	.AMDGPU.csdata,"",@progbits
; Kernel info:
; codeLenInByte = 1888
; NumSgprs: 29
; NumVgprs: 12
; NumAgprs: 0
; TotalNumVgprs: 12
; ScratchSize: 0
; MemoryBound: 0
; FloatMode: 240
; IeeeMode: 1
; LDSByteSize: 1024 bytes/workgroup (compile time only)
; SGPRBlocks: 3
; VGPRBlocks: 1
; NumSGPRsForWavesPerEU: 29
; NumVGPRsForWavesPerEU: 12
; AccumOffset: 12
; Occupancy: 8
; WaveLimiterHint : 1
; COMPUTE_PGM_RSRC2:SCRATCH_EN: 0
; COMPUTE_PGM_RSRC2:USER_SGPR: 2
; COMPUTE_PGM_RSRC2:TRAP_HANDLER: 0
; COMPUTE_PGM_RSRC2:TGID_X_EN: 1
; COMPUTE_PGM_RSRC2:TGID_Y_EN: 0
; COMPUTE_PGM_RSRC2:TGID_Z_EN: 1
; COMPUTE_PGM_RSRC2:TIDIG_COMP_CNT: 0
; COMPUTE_PGM_RSRC3_GFX90A:ACCUM_OFFSET: 2
; COMPUTE_PGM_RSRC3_GFX90A:TG_SPLIT: 0
	.section	.text._ZL20rocblas_gemvt_kernelILb1ELi256EPK16rocblas_bfloat16fKPS0_EviiT2_lPKT1_lilS8_lilS5_lPT3_lili,"axG",@progbits,_ZL20rocblas_gemvt_kernelILb1ELi256EPK16rocblas_bfloat16fKPS0_EviiT2_lPKT1_lilS8_lilS5_lPT3_lili,comdat
	.globl	_ZL20rocblas_gemvt_kernelILb1ELi256EPK16rocblas_bfloat16fKPS0_EviiT2_lPKT1_lilS8_lilS5_lPT3_lili ; -- Begin function _ZL20rocblas_gemvt_kernelILb1ELi256EPK16rocblas_bfloat16fKPS0_EviiT2_lPKT1_lilS8_lilS5_lPT3_lili
	.p2align	8
	.type	_ZL20rocblas_gemvt_kernelILb1ELi256EPK16rocblas_bfloat16fKPS0_EviiT2_lPKT1_lilS8_lilS5_lPT3_lili,@function
_ZL20rocblas_gemvt_kernelILb1ELi256EPK16rocblas_bfloat16fKPS0_EviiT2_lPKT1_lilS8_lilS5_lPT3_lili: ; @_ZL20rocblas_gemvt_kernelILb1ELi256EPK16rocblas_bfloat16fKPS0_EviiT2_lPKT1_lilS8_lilS5_lPT3_lili
; %bb.0:
	s_mov_b32 s10, s3
	s_load_dword s20, s[0:1], 0x8
	s_load_dword s3, s[0:1], 0x58
	s_waitcnt lgkmcnt(0)
	v_cmp_eq_f32_e64 s[4:5], s20, 0
	v_cmp_eq_f32_e64 s[6:7], s3, 1.0
	s_and_b64 s[6:7], s[4:5], s[6:7]
	s_and_b64 vcc, exec, s[6:7]
	s_cbranch_vccnz .LBB623_71
; %bb.1:
	v_cmp_neq_f32_e64 s[8:9], s20, 0
	s_mov_b32 s11, 0
	s_and_b64 vcc, exec, s[8:9]
	s_cbranch_vccnz .LBB623_3
; %bb.2:
	s_mov_b64 s[12:13], 0
	s_cbranch_execz .LBB623_4
	s_branch .LBB623_5
.LBB623_3:
                                        ; implicit-def: $sgpr12_sgpr13
.LBB623_4:
	s_load_dwordx4 s[12:15], s[0:1], 0x18
	s_lshl_b64 s[6:7], s[10:11], 3
	s_waitcnt lgkmcnt(0)
	s_add_u32 s6, s12, s6
	s_addc_u32 s7, s13, s7
	s_load_dwordx2 s[6:7], s[6:7], 0x0
	s_lshl_b64 s[12:13], s[14:15], 1
	s_waitcnt lgkmcnt(0)
	s_add_u32 s12, s6, s12
	s_addc_u32 s13, s7, s13
.LBB623_5:
	s_mov_b64 s[6:7], 0
	s_andn2_b64 vcc, exec, s[8:9]
	s_mov_b64 s[8:9], 0
	s_cbranch_vccnz .LBB623_7
; %bb.6:
	s_load_dwordx4 s[16:19], s[0:1], 0x38
	s_lshl_b64 s[8:9], s[10:11], 3
	s_waitcnt lgkmcnt(0)
	s_add_u32 s8, s16, s8
	s_addc_u32 s9, s17, s9
	s_load_dwordx2 s[8:9], s[8:9], 0x0
	s_lshl_b64 s[14:15], s[18:19], 1
	s_waitcnt lgkmcnt(0)
	s_add_u32 s8, s8, s14
	s_addc_u32 s9, s9, s15
.LBB623_7:
	s_load_dwordx4 s[16:19], s[0:1], 0x68
	s_load_dword s21, s[0:1], 0x78
	s_lshl_b64 s[10:11], s[10:11], 3
	s_waitcnt lgkmcnt(0)
	s_add_u32 s10, s16, s10
	s_addc_u32 s11, s17, s11
	s_load_dwordx2 s[10:11], s[10:11], 0x0
	s_lshl_b64 s[14:15], s[18:19], 1
	s_waitcnt lgkmcnt(0)
	s_add_u32 s18, s10, s14
	s_addc_u32 s19, s11, s15
	s_andn2_b64 vcc, exec, s[4:5]
	v_cmp_eq_u32_e64 s[4:5], 0, v0
	s_cbranch_vccnz .LBB623_12
; %bb.8:
	s_mov_b64 s[14:15], 0
                                        ; implicit-def: $sgpr22
                                        ; implicit-def: $sgpr10_sgpr11
	s_and_saveexec_b64 s[16:17], s[4:5]
	s_cbranch_execz .LBB623_13
; %bb.9:
	v_cmp_eq_f32_e64 s[4:5], s3, 0
	s_mov_b32 s22, 0
	s_mul_hi_i32 s11, s21, s2
	s_mul_i32 s10, s21, s2
	s_and_b64 vcc, exec, s[4:5]
	s_cbranch_vccnz .LBB623_18
; %bb.10:
	s_lshl_b64 s[4:5], s[10:11], 1
	s_add_u32 s4, s18, s4
	s_addc_u32 s5, s19, s5
	v_mov_b32_e32 v1, 0
	global_load_ushort v1, v1, s[4:5]
	s_mov_b32 s4, 0x7f800000
	s_waitcnt vmcnt(0)
	v_lshlrev_b32_e32 v1, 16, v1
	v_mul_f32_e32 v1, s3, v1
	v_and_b32_e32 v2, 0x7f800000, v1
	v_cmp_eq_u32_e32 vcc, s4, v2
	v_readfirstlane_b32 s6, v1
	s_cbranch_vccnz .LBB623_14
; %bb.11:
	s_bfe_u32 s4, s6, 0x10010
	s_add_i32 s4, s6, s4
	s_add_i32 s7, s4, 0x7fff
	s_mov_b64 s[4:5], 0
	s_branch .LBB623_15
.LBB623_12:
                                        ; implicit-def: $sgpr22
                                        ; implicit-def: $sgpr10_sgpr11
	s_cbranch_execnz .LBB623_19
	s_branch .LBB623_69
.LBB623_13:
	s_or_b64 exec, exec, s[16:17]
	s_and_b64 vcc, exec, s[14:15]
	s_cbranch_vccnz .LBB623_19
	s_branch .LBB623_69
.LBB623_14:
	s_mov_b64 s[4:5], -1
                                        ; implicit-def: $sgpr7
.LBB623_15:
	s_andn2_b64 vcc, exec, s[4:5]
	s_cbranch_vccnz .LBB623_17
; %bb.16:
	s_and_b32 s4, s6, 0xffff
	s_or_b32 s5, s6, 0x10000
	s_cmp_eq_u32 s4, 0
	s_cselect_b32 s7, s6, s5
.LBB623_17:
	s_lshr_b32 s22, s7, 16
.LBB623_18:
	s_mov_b64 s[6:7], exec
	s_or_b64 exec, exec, s[16:17]
	s_and_b64 vcc, exec, s[14:15]
	s_cbranch_vccz .LBB623_69
.LBB623_19:
	s_load_dword s16, s[0:1], 0x0
	s_load_dword s5, s[0:1], 0x28
	;; [unrolled: 1-line block ×3, first 2 shown]
	v_mov_b32_e32 v3, 0
	s_mov_b32 s1, 0
	s_waitcnt lgkmcnt(0)
	v_cmp_gt_i32_e32 vcc, s16, v0
	s_mul_hi_i32 s11, s5, s2
	s_mul_i32 s10, s5, s2
	s_lshl_b64 s[10:11], s[10:11], 1
	s_add_u32 s10, s10, s12
	s_addc_u32 s11, s11, s13
	s_ashr_i32 s0, s16, 31
	s_lshr_b32 s0, s0, 24
	v_cndmask_b32_e32 v1, 0, v0, vcc
	s_add_i32 s0, s16, s0
	v_lshlrev_b32_e32 v2, 1, v1
	s_and_b32 s0, s0, 0xffffff00
	s_cmpk_lt_i32 s16, 0x100
	v_lshl_add_u64 v[4:5], s[10:11], 0, v[2:3]
	s_cbranch_scc1 .LBB623_26
; %bb.20:
	s_ashr_i32 s5, s4, 31
	v_mad_i64_i32 v[2:3], s[10:11], s4, v0, 0
	v_lshl_add_u64 v[6:7], v[2:3], 1, s[8:9]
	s_lshl_b64 s[10:11], s[4:5], 9
	v_mov_b32_e32 v1, 0
	s_mov_b32 s5, 0x7f800000
	s_movk_i32 s17, 0x7fff
	s_mov_b64 s[12:13], 0x200
	v_mov_b64_e32 v[8:9], v[4:5]
	v_mov_b32_e32 v3, 0
	s_branch .LBB623_22
.LBB623_21:                             ;   in Loop: Header=BB623_22 Depth=1
	s_or_b64 exec, exec, s[14:15]
	v_and_b32_e32 v2, 0xffff0000, v2
	s_addk_i32 s1, 0x100
	v_add_f32_e32 v3, v3, v2
	v_lshl_add_u64 v[6:7], v[6:7], 0, s[10:11]
	s_cmp_ge_i32 s1, s0
	v_lshl_add_u64 v[8:9], v[8:9], 0, s[12:13]
	s_cbranch_scc1 .LBB623_26
.LBB623_22:                             ; =>This Inner Loop Header: Depth=1
	flat_load_ushort v2, v[6:7]
	flat_load_ushort v10, v[8:9]
	s_waitcnt vmcnt(0) lgkmcnt(0)
	v_lshlrev_b32_e32 v2, 16, v2
	v_lshlrev_b32_e32 v10, 16, v10
	v_pk_mul_f32 v[10:11], v[2:3], v[10:11] op_sel_hi:[0,1]
	v_and_b32_e32 v2, 0x7f800000, v10
	v_cmp_ne_u32_e32 vcc, s5, v2
                                        ; implicit-def: $vgpr2
	s_and_saveexec_b64 s[14:15], vcc
	s_xor_b64 s[14:15], exec, s[14:15]
; %bb.23:                               ;   in Loop: Header=BB623_22 Depth=1
	v_bfe_u32 v2, v10, 16, 1
	v_add3_u32 v2, v10, v2, s17
                                        ; implicit-def: $vgpr10_vgpr11
; %bb.24:                               ;   in Loop: Header=BB623_22 Depth=1
	s_andn2_saveexec_b64 s[14:15], s[14:15]
	s_cbranch_execz .LBB623_21
; %bb.25:                               ;   in Loop: Header=BB623_22 Depth=1
	v_or_b32_e32 v2, 0x10000, v10
	v_cmp_eq_u32_sdwa vcc, v10, v1 src0_sel:WORD_0 src1_sel:DWORD
	s_nop 1
	v_cndmask_b32_e32 v2, v2, v10, vcc
	s_branch .LBB623_21
.LBB623_26:
	v_add_u32_e32 v1, s0, v0
	v_cmp_gt_i32_e32 vcc, s16, v1
	s_and_saveexec_b64 s[10:11], vcc
	s_cbranch_execz .LBB623_32
; %bb.27:
	s_ashr_i32 s1, s0, 31
	v_lshl_add_u64 v[4:5], s[0:1], 1, v[4:5]
	v_mad_i64_i32 v[6:7], s[0:1], s4, v1, 0
	v_lshl_add_u64 v[6:7], v[6:7], 1, s[8:9]
	flat_load_ushort v1, v[6:7]
	flat_load_ushort v8, v[4:5]
	s_mov_b32 s0, 0x7f800000
	s_waitcnt vmcnt(0) lgkmcnt(0)
	v_lshlrev_b32_e32 v2, 16, v1
	v_lshlrev_b32_e32 v4, 16, v8
	v_pk_mul_f32 v[4:5], v[2:3], v[4:5] op_sel_hi:[0,1]
	v_and_b32_e32 v1, 0x7f800000, v4
	v_cmp_ne_u32_e32 vcc, s0, v1
                                        ; implicit-def: $vgpr1
	s_and_saveexec_b64 s[0:1], vcc
	s_xor_b64 s[0:1], exec, s[0:1]
; %bb.28:
	v_bfe_u32 v1, v4, 16, 1
	s_movk_i32 s4, 0x7fff
	v_add3_u32 v1, v4, v1, s4
                                        ; implicit-def: $vgpr4_vgpr5
; %bb.29:
	s_andn2_saveexec_b64 s[0:1], s[0:1]
; %bb.30:
	v_mov_b32_e32 v1, 0
	v_or_b32_e32 v2, 0x10000, v4
	v_cmp_eq_u32_sdwa vcc, v4, v1 src0_sel:WORD_0 src1_sel:DWORD
	s_nop 1
	v_cndmask_b32_e32 v1, v2, v4, vcc
; %bb.31:
	s_or_b64 exec, exec, s[0:1]
	v_and_b32_e32 v1, 0xffff0000, v1
	v_add_f32_e32 v3, v3, v1
.LBB623_32:
	s_or_b64 exec, exec, s[10:11]
	s_movk_i32 s0, 0x80
	v_lshlrev_b32_e32 v1, 2, v0
	v_cmp_gt_u32_e32 vcc, s0, v0
	ds_write_b32 v1, v3
	s_waitcnt lgkmcnt(0)
	s_barrier
	s_and_saveexec_b64 s[0:1], vcc
	s_cbranch_execz .LBB623_34
; %bb.33:
	ds_read2st64_b32 v[2:3], v1 offset1:2
	s_waitcnt lgkmcnt(0)
	v_add_f32_e32 v2, v3, v2
	ds_write_b32 v1, v2
.LBB623_34:
	s_or_b64 exec, exec, s[0:1]
	v_cmp_gt_u32_e32 vcc, 64, v0
	s_waitcnt lgkmcnt(0)
	s_barrier
	s_and_saveexec_b64 s[0:1], vcc
	s_cbranch_execz .LBB623_36
; %bb.35:
	ds_read2st64_b32 v[2:3], v1 offset1:1
	s_waitcnt lgkmcnt(0)
	v_add_f32_e32 v2, v3, v2
	ds_write_b32 v1, v2
.LBB623_36:
	s_or_b64 exec, exec, s[0:1]
	v_cmp_gt_u32_e32 vcc, 32, v0
	s_waitcnt lgkmcnt(0)
	s_barrier
	s_and_saveexec_b64 s[0:1], vcc
	s_cbranch_execz .LBB623_38
; %bb.37:
	ds_read2_b32 v[2:3], v1 offset1:32
	s_waitcnt lgkmcnt(0)
	v_add_f32_e32 v2, v3, v2
	ds_write_b32 v1, v2
.LBB623_38:
	s_or_b64 exec, exec, s[0:1]
	v_cmp_gt_u32_e32 vcc, 16, v0
	s_waitcnt lgkmcnt(0)
	s_barrier
	s_and_saveexec_b64 s[0:1], vcc
	s_cbranch_execz .LBB623_40
; %bb.39:
	ds_read2_b32 v[2:3], v1 offset1:16
	s_waitcnt lgkmcnt(0)
	v_add_f32_e32 v2, v3, v2
	ds_write_b32 v1, v2
.LBB623_40:
	;; [unrolled: 12-line block ×5, first 2 shown]
	s_or_b64 exec, exec, s[0:1]
	v_cmp_eq_u32_e32 vcc, 0, v0
	s_waitcnt lgkmcnt(0)
	s_barrier
	s_and_saveexec_b64 s[0:1], vcc
	s_cbranch_execz .LBB623_48
; %bb.47:
	v_mov_b32_e32 v2, 0
	ds_read_b64 v[0:1], v2
	s_waitcnt lgkmcnt(0)
	v_add_f32_e32 v0, v1, v0
	ds_write_b32 v2, v0
.LBB623_48:
	s_or_b64 exec, exec, s[0:1]
	s_waitcnt lgkmcnt(0)
	s_barrier
	s_waitcnt lgkmcnt(0)
                                        ; implicit-def: $sgpr22
                                        ; implicit-def: $sgpr10_sgpr11
	s_and_saveexec_b64 s[0:1], vcc
	s_cbranch_execz .LBB623_68
; %bb.49:
	v_mov_b32_e32 v0, 0
	ds_read_b32 v0, v0
	v_cmp_eq_f32_e64 s[4:5], s3, 0
	s_and_b64 vcc, exec, s[4:5]
	s_waitcnt lgkmcnt(0)
	v_mul_f32_e32 v0, s20, v0
	s_nop 0
	v_readfirstlane_b32 s8, v0
	s_cbranch_vccz .LBB623_52
; %bb.50:
	s_and_b32 s4, s8, 0x7f800000
	s_cmp_eq_u32 s4, 0x7f800000
	s_cbranch_scc1 .LBB623_53
; %bb.51:
	s_bfe_u32 s4, s8, 0x10010
	s_add_i32 s4, s8, s4
	s_add_i32 s9, s4, 0x7fff
	s_mov_b64 s[4:5], 0
	s_branch .LBB623_54
.LBB623_52:
                                        ; implicit-def: $sgpr9
	s_mul_hi_i32 s11, s21, s2
	s_mul_i32 s10, s21, s2
	s_branch .LBB623_57
.LBB623_53:
	s_mov_b64 s[4:5], -1
                                        ; implicit-def: $sgpr9
.LBB623_54:
	s_andn2_b64 vcc, exec, s[4:5]
	s_cbranch_vccnz .LBB623_56
; %bb.55:
	s_and_b32 s4, s8, 0xffff
	s_or_b32 s5, s8, 0x10000
	s_cmp_eq_u32 s4, 0
	s_cselect_b32 s9, s8, s5
.LBB623_56:
	s_mul_hi_i32 s11, s21, s2
	s_mul_i32 s10, s21, s2
	s_cbranch_execnz .LBB623_67
.LBB623_57:
	s_lshl_b64 s[4:5], s[10:11], 1
	s_add_u32 s4, s18, s4
	s_addc_u32 s5, s19, s5
	v_mov_b32_e32 v0, 0
	global_load_ushort v0, v0, s[4:5]
	s_mov_b32 s2, 0x7f800000
	s_waitcnt vmcnt(0)
	v_lshlrev_b32_e32 v0, 16, v0
	v_mul_f32_e32 v0, s3, v0
	v_and_b32_e32 v1, 0x7f800000, v0
	v_cmp_eq_u32_e32 vcc, s2, v1
	v_readfirstlane_b32 s4, v0
	s_cbranch_vccnz .LBB623_59
; %bb.58:
	s_bfe_u32 s2, s4, 0x10010
	s_add_i32 s2, s4, s2
	s_add_i32 s5, s2, 0x7fff
	s_mov_b64 s[2:3], 0
	s_branch .LBB623_60
.LBB623_59:
	s_mov_b64 s[2:3], -1
                                        ; implicit-def: $sgpr5
.LBB623_60:
	s_andn2_b64 vcc, exec, s[2:3]
	s_cbranch_vccnz .LBB623_62
; %bb.61:
	s_and_b32 s2, s4, 0xffff
	s_or_b32 s3, s4, 0x10000
	s_cmp_eq_u32 s2, 0
	s_cselect_b32 s5, s4, s3
.LBB623_62:
	s_and_b32 s2, s5, 0xffff0000
	v_mov_b32_e32 v0, s2
	v_add_f32_e32 v0, s8, v0
	s_mov_b32 s2, 0x7f800000
	v_and_b32_e32 v1, 0x7f800000, v0
	v_cmp_eq_u32_e32 vcc, s2, v1
	v_readfirstlane_b32 s4, v0
	s_cbranch_vccnz .LBB623_64
; %bb.63:
	s_bfe_u32 s2, s4, 0x10010
	s_add_i32 s2, s4, s2
	s_add_i32 s9, s2, 0x7fff
	s_mov_b64 s[2:3], 0
	s_branch .LBB623_65
.LBB623_64:
	s_mov_b64 s[2:3], -1
                                        ; implicit-def: $sgpr9
.LBB623_65:
	s_andn2_b64 vcc, exec, s[2:3]
	s_cbranch_vccnz .LBB623_67
; %bb.66:
	s_and_b32 s2, s4, 0xffff
	s_or_b32 s3, s4, 0x10000
	s_cmp_eq_u32 s2, 0
	s_cselect_b32 s9, s4, s3
.LBB623_67:
	s_lshr_b32 s22, s9, 16
	s_or_b64 s[6:7], s[6:7], exec
.LBB623_68:
	s_or_b64 exec, exec, s[0:1]
.LBB623_69:
	s_and_saveexec_b64 s[0:1], s[6:7]
	s_cbranch_execz .LBB623_71
; %bb.70:
	s_lshl_b64 s[0:1], s[10:11], 1
	s_add_u32 s0, s18, s0
	s_addc_u32 s1, s19, s1
	v_mov_b32_e32 v0, 0
	v_mov_b32_e32 v1, s22
	global_store_short v0, v1, s[0:1]
.LBB623_71:
	s_endpgm
	.section	.rodata,"a",@progbits
	.p2align	6, 0x0
	.amdhsa_kernel _ZL20rocblas_gemvt_kernelILb1ELi256EPK16rocblas_bfloat16fKPS0_EviiT2_lPKT1_lilS8_lilS5_lPT3_lili
		.amdhsa_group_segment_fixed_size 1024
		.amdhsa_private_segment_fixed_size 0
		.amdhsa_kernarg_size 140
		.amdhsa_user_sgpr_count 2
		.amdhsa_user_sgpr_dispatch_ptr 0
		.amdhsa_user_sgpr_queue_ptr 0
		.amdhsa_user_sgpr_kernarg_segment_ptr 1
		.amdhsa_user_sgpr_dispatch_id 0
		.amdhsa_user_sgpr_kernarg_preload_length 0
		.amdhsa_user_sgpr_kernarg_preload_offset 0
		.amdhsa_user_sgpr_private_segment_size 0
		.amdhsa_uses_dynamic_stack 0
		.amdhsa_enable_private_segment 0
		.amdhsa_system_sgpr_workgroup_id_x 1
		.amdhsa_system_sgpr_workgroup_id_y 0
		.amdhsa_system_sgpr_workgroup_id_z 1
		.amdhsa_system_sgpr_workgroup_info 0
		.amdhsa_system_vgpr_workitem_id 0
		.amdhsa_next_free_vgpr 12
		.amdhsa_next_free_sgpr 23
		.amdhsa_accum_offset 12
		.amdhsa_reserve_vcc 1
		.amdhsa_float_round_mode_32 0
		.amdhsa_float_round_mode_16_64 0
		.amdhsa_float_denorm_mode_32 3
		.amdhsa_float_denorm_mode_16_64 3
		.amdhsa_dx10_clamp 1
		.amdhsa_ieee_mode 1
		.amdhsa_fp16_overflow 0
		.amdhsa_tg_split 0
		.amdhsa_exception_fp_ieee_invalid_op 0
		.amdhsa_exception_fp_denorm_src 0
		.amdhsa_exception_fp_ieee_div_zero 0
		.amdhsa_exception_fp_ieee_overflow 0
		.amdhsa_exception_fp_ieee_underflow 0
		.amdhsa_exception_fp_ieee_inexact 0
		.amdhsa_exception_int_div_zero 0
	.end_amdhsa_kernel
	.section	.text._ZL20rocblas_gemvt_kernelILb1ELi256EPK16rocblas_bfloat16fKPS0_EviiT2_lPKT1_lilS8_lilS5_lPT3_lili,"axG",@progbits,_ZL20rocblas_gemvt_kernelILb1ELi256EPK16rocblas_bfloat16fKPS0_EviiT2_lPKT1_lilS8_lilS5_lPT3_lili,comdat
.Lfunc_end623:
	.size	_ZL20rocblas_gemvt_kernelILb1ELi256EPK16rocblas_bfloat16fKPS0_EviiT2_lPKT1_lilS8_lilS5_lPT3_lili, .Lfunc_end623-_ZL20rocblas_gemvt_kernelILb1ELi256EPK16rocblas_bfloat16fKPS0_EviiT2_lPKT1_lilS8_lilS5_lPT3_lili
                                        ; -- End function
	.section	.AMDGPU.csdata,"",@progbits
; Kernel info:
; codeLenInByte = 1840
; NumSgprs: 29
; NumVgprs: 12
; NumAgprs: 0
; TotalNumVgprs: 12
; ScratchSize: 0
; MemoryBound: 0
; FloatMode: 240
; IeeeMode: 1
; LDSByteSize: 1024 bytes/workgroup (compile time only)
; SGPRBlocks: 3
; VGPRBlocks: 1
; NumSGPRsForWavesPerEU: 29
; NumVGPRsForWavesPerEU: 12
; AccumOffset: 12
; Occupancy: 8
; WaveLimiterHint : 1
; COMPUTE_PGM_RSRC2:SCRATCH_EN: 0
; COMPUTE_PGM_RSRC2:USER_SGPR: 2
; COMPUTE_PGM_RSRC2:TRAP_HANDLER: 0
; COMPUTE_PGM_RSRC2:TGID_X_EN: 1
; COMPUTE_PGM_RSRC2:TGID_Y_EN: 0
; COMPUTE_PGM_RSRC2:TGID_Z_EN: 1
; COMPUTE_PGM_RSRC2:TIDIG_COMP_CNT: 0
; COMPUTE_PGM_RSRC3_GFX90A:ACCUM_OFFSET: 2
; COMPUTE_PGM_RSRC3_GFX90A:TG_SPLIT: 0
	.section	.text._ZL32rocblas_gemvt_warp_reduce_kernelILb1ELi1024EiPK16rocblas_bfloat16PKfKPS0_EviiT3_lPKT2_lT1_lSA_lSB_lS7_lPT4_lSB_li,"axG",@progbits,_ZL32rocblas_gemvt_warp_reduce_kernelILb1ELi1024EiPK16rocblas_bfloat16PKfKPS0_EviiT3_lPKT2_lT1_lSA_lSB_lS7_lPT4_lSB_li,comdat
	.globl	_ZL32rocblas_gemvt_warp_reduce_kernelILb1ELi1024EiPK16rocblas_bfloat16PKfKPS0_EviiT3_lPKT2_lT1_lSA_lSB_lS7_lPT4_lSB_li ; -- Begin function _ZL32rocblas_gemvt_warp_reduce_kernelILb1ELi1024EiPK16rocblas_bfloat16PKfKPS0_EviiT3_lPKT2_lT1_lSA_lSB_lS7_lPT4_lSB_li
	.p2align	8
	.type	_ZL32rocblas_gemvt_warp_reduce_kernelILb1ELi1024EiPK16rocblas_bfloat16PKfKPS0_EviiT3_lPKT2_lT1_lSA_lSB_lS7_lPT4_lSB_li,@function
_ZL32rocblas_gemvt_warp_reduce_kernelILb1ELi1024EiPK16rocblas_bfloat16PKfKPS0_EviiT3_lPKT2_lT1_lSA_lSB_lS7_lPT4_lSB_li: ; @_ZL32rocblas_gemvt_warp_reduce_kernelILb1ELi1024EiPK16rocblas_bfloat16PKfKPS0_EviiT3_lPKT2_lT1_lSA_lSB_lS7_lPT4_lSB_li
; %bb.0:
	s_load_dwordx8 s[12:19], s[0:1], 0x8
	s_load_dwordx8 s[4:11], s[0:1], 0x58
	s_mov_b32 s20, s3
	s_waitcnt lgkmcnt(0)
	s_mul_i32 s3, s3, s15
	s_mul_hi_u32 s15, s20, s14
	s_add_i32 s15, s15, s3
	s_mul_i32 s14, s20, s14
	s_lshl_b64 s[14:15], s[14:15], 2
	s_add_u32 s12, s12, s14
	s_mul_i32 s3, s20, s7
	s_mul_hi_u32 s7, s20, s6
	s_addc_u32 s13, s13, s15
	s_add_i32 s7, s7, s3
	s_mul_i32 s6, s20, s6
	s_lshl_b64 s[6:7], s[6:7], 2
	s_add_u32 s4, s4, s6
	s_addc_u32 s5, s5, s7
	s_load_dword s22, s[12:13], 0x0
	s_load_dword s3, s[4:5], 0x0
	s_waitcnt lgkmcnt(0)
	v_cmp_eq_f32_e64 s[4:5], s22, 0
	v_cmp_eq_f32_e64 s[6:7], s3, 1.0
	s_and_b64 s[6:7], s[4:5], s[6:7]
	s_and_b64 vcc, exec, s[6:7]
	s_cbranch_vccnz .LBB624_43
; %bb.1:
	s_mov_b32 s21, 0
	v_cmp_neq_f32_e64 s[6:7], s22, 0
	s_mov_b64 s[12:13], 0
	s_and_b64 vcc, exec, s[4:5]
	s_mov_b64 s[14:15], 0
	s_cbranch_vccnz .LBB624_3
; %bb.2:
	s_lshl_b64 s[14:15], s[20:21], 3
	s_add_u32 s14, s16, s14
	s_addc_u32 s15, s17, s15
	s_load_dwordx2 s[14:15], s[14:15], 0x0
	s_lshl_b64 s[16:17], s[18:19], 1
	s_waitcnt lgkmcnt(0)
	s_add_u32 s14, s14, s16
	s_addc_u32 s15, s15, s17
.LBB624_3:
	s_andn2_b64 vcc, exec, s[6:7]
	s_cbranch_vccnz .LBB624_5
; %bb.4:
	s_load_dwordx4 s[16:19], s[0:1], 0x38
	s_lshl_b64 s[6:7], s[20:21], 3
	s_waitcnt lgkmcnt(0)
	s_add_u32 s6, s16, s6
	s_addc_u32 s7, s17, s7
	s_load_dwordx2 s[6:7], s[6:7], 0x0
	s_lshl_b64 s[12:13], s[18:19], 1
	s_waitcnt lgkmcnt(0)
	s_add_u32 s12, s6, s12
	s_addc_u32 s13, s7, s13
.LBB624_5:
	s_lshl_b64 s[6:7], s[20:21], 3
	s_add_u32 s6, s8, s6
	s_addc_u32 s7, s9, s7
	s_load_dwordx2 s[8:9], s[6:7], 0x0
	s_load_dword s20, s[0:1], 0x78
	s_lshl_b64 s[6:7], s[10:11], 1
	s_waitcnt lgkmcnt(0)
	s_add_u32 s18, s8, s6
	s_addc_u32 s19, s9, s7
	s_andn2_b64 vcc, exec, s[4:5]
	v_cmp_eq_u32_e64 s[4:5], 0, v0
	s_cbranch_vccnz .LBB624_10
; %bb.6:
	s_mov_b64 s[10:11], 0
	s_mov_b64 s[6:7], 0
                                        ; implicit-def: $sgpr21
                                        ; implicit-def: $sgpr8_sgpr9
	s_and_saveexec_b64 s[16:17], s[4:5]
	s_cbranch_execz .LBB624_18
; %bb.7:
	v_cmp_eq_f32_e64 s[4:5], s3, 0
	s_mul_i32 s8, s2, s20
	s_mov_b32 s21, 0
	s_ashr_i32 s9, s8, 31
	s_and_b64 vcc, exec, s[4:5]
	s_cbranch_vccnz .LBB624_51
; %bb.8:
	s_lshl_b64 s[4:5], s[8:9], 1
	s_add_u32 s4, s18, s4
	s_addc_u32 s5, s19, s5
	v_mov_b32_e32 v1, 0
	global_load_ushort v1, v1, s[4:5]
	s_mov_b32 s4, 0x7f800000
	s_waitcnt vmcnt(0)
	v_lshlrev_b32_e32 v1, 16, v1
	v_mul_f32_e32 v1, s3, v1
	v_and_b32_e32 v2, 0x7f800000, v1
	v_cmp_eq_u32_e32 vcc, s4, v2
	v_readfirstlane_b32 s6, v1
	s_cbranch_vccnz .LBB624_47
; %bb.9:
	s_bfe_u32 s4, s6, 0x10010
	s_add_i32 s4, s6, s4
	s_add_i32 s7, s4, 0x7fff
	s_mov_b64 s[4:5], 0
	s_branch .LBB624_48
.LBB624_10:
	s_mov_b64 s[6:7], 0
                                        ; implicit-def: $sgpr21
                                        ; implicit-def: $sgpr8_sgpr9
	s_cbranch_execz .LBB624_52
.LBB624_11:
	s_load_dword s17, s[0:1], 0x0
	s_load_dword s4, s[0:1], 0x28
	;; [unrolled: 1-line block ×3, first 2 shown]
	v_mov_b32_e32 v3, 0
	s_waitcnt lgkmcnt(0)
	v_cmp_gt_i32_e32 vcc, s17, v0
	s_mul_i32 s0, s2, s4
	s_ashr_i32 s1, s0, 31
	s_lshl_b64 s[0:1], s[0:1], 1
	v_cndmask_b32_e32 v1, 0, v0, vcc
	s_add_u32 s0, s0, s14
	v_lshlrev_b32_e32 v2, 1, v1
	s_addc_u32 s1, s1, s15
	v_lshl_add_u64 v[4:5], s[0:1], 0, v[2:3]
	s_ashr_i32 s0, s17, 31
	s_lshr_b32 s0, s0, 22
	s_add_i32 s0, s17, s0
	s_and_b32 s0, s0, 0xfffffc00
	v_cmp_gt_i32_e32 vcc, s0, v0
	s_and_saveexec_b64 s[4:5], vcc
	s_cbranch_execz .LBB624_20
; %bb.12:
	v_mul_lo_u32 v6, v0, s16
	s_lshl_b32 s1, s16, 10
	s_mov_b64 s[8:9], 0
	v_mov_b32_e32 v1, 0
	s_mov_b32 s21, 0x7f800000
	s_movk_i32 s23, 0x7fff
	s_mov_b64 s[10:11], 0x800
	v_mov_b64_e32 v[8:9], v[4:5]
	v_mov_b32_e32 v2, v0
	v_mov_b32_e32 v3, 0
	s_branch .LBB624_14
.LBB624_13:                             ;   in Loop: Header=BB624_14 Depth=1
	s_or_b64 exec, exec, s[14:15]
	v_add_u32_e32 v2, 0x400, v2
	v_and_b32_e32 v7, 0xffff0000, v7
	v_cmp_le_i32_e32 vcc, s0, v2
	v_add_f32_e32 v3, v3, v7
	v_add_u32_e32 v6, s1, v6
	s_or_b64 s[8:9], vcc, s[8:9]
	v_lshl_add_u64 v[8:9], v[8:9], 0, s[10:11]
	s_andn2_b64 exec, exec, s[8:9]
	s_cbranch_execz .LBB624_19
.LBB624_14:                             ; =>This Inner Loop Header: Depth=1
	v_ashrrev_i32_e32 v7, 31, v6
	v_lshl_add_u64 v[10:11], v[6:7], 1, s[12:13]
	flat_load_ushort v7, v[10:11]
	flat_load_ushort v12, v[8:9]
	s_waitcnt vmcnt(0) lgkmcnt(0)
	v_lshlrev_b32_e32 v10, 16, v7
	v_lshlrev_b32_e32 v12, 16, v12
	v_pk_mul_f32 v[10:11], v[10:11], v[12:13] op_sel_hi:[0,1]
	v_and_b32_e32 v7, 0x7f800000, v10
	v_cmp_ne_u32_e32 vcc, s21, v7
                                        ; implicit-def: $vgpr7
	s_and_saveexec_b64 s[14:15], vcc
	s_xor_b64 s[14:15], exec, s[14:15]
; %bb.15:                               ;   in Loop: Header=BB624_14 Depth=1
	v_bfe_u32 v7, v10, 16, 1
	v_add3_u32 v7, v10, v7, s23
                                        ; implicit-def: $vgpr10_vgpr11
; %bb.16:                               ;   in Loop: Header=BB624_14 Depth=1
	s_andn2_saveexec_b64 s[14:15], s[14:15]
	s_cbranch_execz .LBB624_13
; %bb.17:                               ;   in Loop: Header=BB624_14 Depth=1
	v_or_b32_e32 v7, 0x10000, v10
	v_cmp_eq_u32_sdwa vcc, v10, v1 src0_sel:WORD_0 src1_sel:DWORD
	s_nop 1
	v_cndmask_b32_e32 v7, v7, v10, vcc
	s_branch .LBB624_13
.LBB624_18:
	s_or_b64 exec, exec, s[16:17]
	s_and_b64 vcc, exec, s[10:11]
	s_cbranch_vccnz .LBB624_11
	s_branch .LBB624_52
.LBB624_19:
	s_or_b64 exec, exec, s[8:9]
.LBB624_20:
	s_or_b64 exec, exec, s[4:5]
	v_or_b32_e32 v1, s0, v0
	v_cmp_gt_i32_e32 vcc, s17, v1
	s_and_saveexec_b64 s[4:5], vcc
	s_cbranch_execz .LBB624_26
; %bb.21:
	s_ashr_i32 s1, s0, 31
	v_mul_lo_u32 v6, v1, s16
	v_lshl_add_u64 v[4:5], s[0:1], 1, v[4:5]
	v_ashrrev_i32_e32 v7, 31, v6
	v_lshl_add_u64 v[6:7], v[6:7], 1, s[12:13]
	flat_load_ushort v1, v[4:5]
	flat_load_ushort v8, v[6:7]
	s_mov_b32 s0, 0x7f800000
	s_waitcnt vmcnt(0) lgkmcnt(0)
	v_lshlrev_b32_e32 v2, 16, v1
	v_lshlrev_b32_e32 v4, 16, v8
	v_pk_mul_f32 v[4:5], v[4:5], v[2:3] op_sel_hi:[0,1]
	v_and_b32_e32 v1, 0x7f800000, v4
	v_cmp_ne_u32_e32 vcc, s0, v1
                                        ; implicit-def: $vgpr1
	s_and_saveexec_b64 s[0:1], vcc
	s_xor_b64 s[0:1], exec, s[0:1]
; %bb.22:
	v_bfe_u32 v1, v4, 16, 1
	s_movk_i32 s8, 0x7fff
	v_add3_u32 v1, v4, v1, s8
                                        ; implicit-def: $vgpr4_vgpr5
; %bb.23:
	s_andn2_saveexec_b64 s[0:1], s[0:1]
; %bb.24:
	v_mov_b32_e32 v1, 0
	v_or_b32_e32 v2, 0x10000, v4
	v_cmp_eq_u32_sdwa vcc, v4, v1 src0_sel:WORD_0 src1_sel:DWORD
	s_nop 1
	v_cndmask_b32_e32 v1, v2, v4, vcc
; %bb.25:
	s_or_b64 exec, exec, s[0:1]
	v_and_b32_e32 v1, 0xffff0000, v1
	v_add_f32_e32 v3, v3, v1
.LBB624_26:
	s_or_b64 exec, exec, s[4:5]
	v_and_b32_e32 v2, 63, v0
	v_cmp_gt_u32_e32 vcc, 64, v0
	v_lshlrev_b32_e32 v1, 2, v2
	s_and_saveexec_b64 s[0:1], vcc
	s_cbranch_execz .LBB624_28
; %bb.27:
	v_mov_b32_e32 v4, 0
	ds_write_b32 v1, v4
.LBB624_28:
	s_or_b64 exec, exec, s[0:1]
	v_mbcnt_lo_u32_b32 v4, -1, 0
	v_mbcnt_hi_u32_b32 v6, -1, v4
	v_and_b32_e32 v7, 63, v6
	v_cmp_gt_u32_e64 s[0:1], 32, v7
	s_waitcnt lgkmcnt(0)
	s_barrier
	v_cndmask_b32_e64 v4, 0, 1, s[0:1]
	v_lshlrev_b32_e32 v4, 5, v4
	v_add_lshl_u32 v4, v4, v6, 2
	ds_bpermute_b32 v4, v4, v3
	v_cmp_gt_u32_e64 s[0:1], 48, v7
	s_waitcnt lgkmcnt(0)
	v_add_f32_e32 v3, v3, v4
	v_cndmask_b32_e64 v5, 0, 1, s[0:1]
	v_lshlrev_b32_e32 v5, 4, v5
	v_add_lshl_u32 v4, v5, v6, 2
	ds_bpermute_b32 v4, v4, v3
	v_cmp_gt_u32_e64 s[0:1], 56, v7
	s_waitcnt lgkmcnt(0)
	v_add_f32_e32 v4, v3, v4
	;; [unrolled: 7-line block ×4, first 2 shown]
	v_cndmask_b32_e64 v9, 0, 1, s[0:1]
	v_lshlrev_b32_e32 v9, 1, v9
	v_add_lshl_u32 v5, v9, v6, 2
	ds_bpermute_b32 v9, v5, v8
	v_cmp_ne_u32_e64 s[0:1], 63, v7
	s_waitcnt lgkmcnt(0)
	v_add_f32_e32 v7, v8, v9
	v_addc_co_u32_e64 v6, s[0:1], 0, v6, s[0:1]
	v_lshlrev_b32_e32 v6, 2, v6
	ds_bpermute_b32 v8, v6, v7
	v_cmp_eq_u32_e64 s[0:1], 0, v2
	s_and_saveexec_b64 s[4:5], s[0:1]
	s_cbranch_execz .LBB624_30
; %bb.29:
	v_lshrrev_b32_e32 v2, 4, v0
	v_and_b32_e32 v2, 60, v2
	s_waitcnt lgkmcnt(0)
	v_add_f32_e32 v7, v7, v8
	ds_write_b32 v2, v7
.LBB624_30:
	s_or_b64 exec, exec, s[4:5]
	v_cmp_gt_u32_e64 s[0:1], 16, v0
	v_mov_b32_e32 v2, 0
	s_waitcnt lgkmcnt(0)
	s_barrier
	s_and_saveexec_b64 s[4:5], s[0:1]
	s_cbranch_execz .LBB624_32
; %bb.31:
	ds_read_b32 v2, v1
	s_or_b64 exec, exec, s[4:5]
	s_and_saveexec_b64 s[0:1], vcc
	s_cbranch_execz .LBB624_34
	s_branch .LBB624_33
.LBB624_32:
	s_or_b64 exec, exec, s[4:5]
	s_and_saveexec_b64 s[0:1], vcc
	s_cbranch_execz .LBB624_34
.LBB624_33:
	s_waitcnt lgkmcnt(0)
	ds_bpermute_b32 v1, v3, v2
	s_waitcnt lgkmcnt(0)
	v_add_f32_e32 v1, v2, v1
	ds_bpermute_b32 v2, v4, v1
	s_waitcnt lgkmcnt(0)
	v_add_f32_e32 v1, v1, v2
	;; [unrolled: 3-line block ×4, first 2 shown]
.LBB624_34:
	s_or_b64 exec, exec, s[0:1]
	v_cmp_eq_u32_e32 vcc, 0, v0
                                        ; implicit-def: $vgpr1
                                        ; implicit-def: $sgpr8_sgpr9
	s_and_saveexec_b64 s[0:1], vcc
	s_cbranch_execz .LBB624_41
; %bb.35:
	v_cmp_eq_f32_e64 s[4:5], s3, 0
	s_waitcnt lgkmcnt(0)
	v_mul_f32_e32 v0, s22, v2
	s_and_b64 vcc, exec, s[4:5]
	s_cbranch_vccz .LBB624_44
; %bb.36:
	s_mov_b32 s4, 0x7f800000
	v_and_b32_e32 v1, 0x7f800000, v0
	v_cmp_ne_u32_e32 vcc, s4, v1
                                        ; implicit-def: $vgpr1
	s_and_saveexec_b64 s[4:5], vcc
	s_xor_b64 s[4:5], exec, s[4:5]
; %bb.37:
	v_bfe_u32 v1, v0, 16, 1
	s_movk_i32 s8, 0x7fff
	v_add3_u32 v1, v0, v1, s8
; %bb.38:
	s_andn2_saveexec_b64 s[4:5], s[4:5]
; %bb.39:
	v_mov_b32_e32 v1, 0
	v_or_b32_e32 v2, 0x10000, v0
	v_cmp_eq_u32_sdwa vcc, v0, v1 src0_sel:WORD_0 src1_sel:DWORD
	s_nop 1
	v_cndmask_b32_e32 v1, v2, v0, vcc
; %bb.40:
	s_or_b64 exec, exec, s[4:5]
	s_mul_i32 s8, s2, s20
	s_cbranch_execz .LBB624_45
	s_branch .LBB624_61
.LBB624_41:
	s_or_b64 exec, exec, s[0:1]
	s_and_saveexec_b64 s[0:1], s[6:7]
	s_cbranch_execz .LBB624_43
.LBB624_42:
	s_lshl_b64 s[0:1], s[8:9], 1
	s_add_u32 s0, s18, s0
	s_addc_u32 s1, s19, s1
	v_mov_b32_e32 v0, 0
	global_store_short v0, v1, s[0:1]
.LBB624_43:
	s_endpgm
.LBB624_44:
                                        ; implicit-def: $vgpr1
	s_mul_i32 s8, s2, s20
.LBB624_45:
	s_ashr_i32 s9, s8, 31
	s_lshl_b64 s[4:5], s[8:9], 1
	s_add_u32 s4, s18, s4
	s_addc_u32 s5, s19, s5
	v_mov_b32_e32 v1, 0
	global_load_ushort v1, v1, s[4:5]
	s_mov_b32 s2, 0x7f800000
	s_waitcnt vmcnt(0)
	v_lshlrev_b32_e32 v1, 16, v1
	v_mul_f32_e32 v1, s3, v1
	v_and_b32_e32 v2, 0x7f800000, v1
	v_cmp_eq_u32_e32 vcc, s2, v2
	v_readfirstlane_b32 s4, v1
	s_cbranch_vccnz .LBB624_53
; %bb.46:
	s_bfe_u32 s2, s4, 0x10010
	s_add_i32 s2, s4, s2
	s_add_i32 s5, s2, 0x7fff
	s_mov_b64 s[2:3], 0
	s_branch .LBB624_54
.LBB624_47:
	s_mov_b64 s[4:5], -1
                                        ; implicit-def: $sgpr7
.LBB624_48:
	s_andn2_b64 vcc, exec, s[4:5]
	s_cbranch_vccnz .LBB624_50
; %bb.49:
	s_and_b32 s4, s6, 0xffff
	s_or_b32 s5, s6, 0x10000
	s_cmp_eq_u32 s4, 0
	s_cselect_b32 s7, s6, s5
.LBB624_50:
	s_lshr_b32 s21, s7, 16
.LBB624_51:
	s_mov_b64 s[6:7], exec
	s_or_b64 exec, exec, s[16:17]
	s_and_b64 vcc, exec, s[10:11]
	s_cbranch_vccnz .LBB624_11
.LBB624_52:
	v_mov_b32_e32 v1, s21
	s_and_saveexec_b64 s[0:1], s[6:7]
	s_cbranch_execnz .LBB624_42
	s_branch .LBB624_43
.LBB624_53:
	s_mov_b64 s[2:3], -1
                                        ; implicit-def: $sgpr5
.LBB624_54:
	s_andn2_b64 vcc, exec, s[2:3]
	s_cbranch_vccnz .LBB624_56
; %bb.55:
	s_and_b32 s2, s4, 0xffff
	s_or_b32 s3, s4, 0x10000
	s_cmp_eq_u32 s2, 0
	s_cselect_b32 s5, s4, s3
.LBB624_56:
	s_and_b32 s2, s5, 0xffff0000
	v_add_f32_e32 v0, s2, v0
	s_mov_b32 s2, 0x7f800000
	v_and_b32_e32 v1, 0x7f800000, v0
	v_cmp_ne_u32_e32 vcc, s2, v1
                                        ; implicit-def: $vgpr1
	s_and_saveexec_b64 s[2:3], vcc
	s_xor_b64 s[2:3], exec, s[2:3]
; %bb.57:
	v_bfe_u32 v1, v0, 16, 1
	s_movk_i32 s4, 0x7fff
	v_add3_u32 v1, v0, v1, s4
                                        ; implicit-def: $vgpr0
; %bb.58:
	s_andn2_saveexec_b64 s[2:3], s[2:3]
; %bb.59:
	v_mov_b32_e32 v1, 0
	v_or_b32_e32 v2, 0x10000, v0
	v_cmp_eq_u32_sdwa vcc, v0, v1 src0_sel:WORD_0 src1_sel:DWORD
	s_nop 1
	v_cndmask_b32_e32 v1, v2, v0, vcc
; %bb.60:
	s_or_b64 exec, exec, s[2:3]
.LBB624_61:
	v_lshrrev_b32_e32 v1, 16, v1
	s_ashr_i32 s9, s8, 31
	s_or_b64 s[6:7], s[6:7], exec
	s_or_b64 exec, exec, s[0:1]
	s_and_saveexec_b64 s[0:1], s[6:7]
	s_cbranch_execnz .LBB624_42
	s_branch .LBB624_43
	.section	.rodata,"a",@progbits
	.p2align	6, 0x0
	.amdhsa_kernel _ZL32rocblas_gemvt_warp_reduce_kernelILb1ELi1024EiPK16rocblas_bfloat16PKfKPS0_EviiT3_lPKT2_lT1_lSA_lSB_lS7_lPT4_lSB_li
		.amdhsa_group_segment_fixed_size 256
		.amdhsa_private_segment_fixed_size 0
		.amdhsa_kernarg_size 140
		.amdhsa_user_sgpr_count 2
		.amdhsa_user_sgpr_dispatch_ptr 0
		.amdhsa_user_sgpr_queue_ptr 0
		.amdhsa_user_sgpr_kernarg_segment_ptr 1
		.amdhsa_user_sgpr_dispatch_id 0
		.amdhsa_user_sgpr_kernarg_preload_length 0
		.amdhsa_user_sgpr_kernarg_preload_offset 0
		.amdhsa_user_sgpr_private_segment_size 0
		.amdhsa_uses_dynamic_stack 0
		.amdhsa_enable_private_segment 0
		.amdhsa_system_sgpr_workgroup_id_x 1
		.amdhsa_system_sgpr_workgroup_id_y 0
		.amdhsa_system_sgpr_workgroup_id_z 1
		.amdhsa_system_sgpr_workgroup_info 0
		.amdhsa_system_vgpr_workitem_id 0
		.amdhsa_next_free_vgpr 14
		.amdhsa_next_free_sgpr 24
		.amdhsa_accum_offset 16
		.amdhsa_reserve_vcc 1
		.amdhsa_float_round_mode_32 0
		.amdhsa_float_round_mode_16_64 0
		.amdhsa_float_denorm_mode_32 3
		.amdhsa_float_denorm_mode_16_64 3
		.amdhsa_dx10_clamp 1
		.amdhsa_ieee_mode 1
		.amdhsa_fp16_overflow 0
		.amdhsa_tg_split 0
		.amdhsa_exception_fp_ieee_invalid_op 0
		.amdhsa_exception_fp_denorm_src 0
		.amdhsa_exception_fp_ieee_div_zero 0
		.amdhsa_exception_fp_ieee_overflow 0
		.amdhsa_exception_fp_ieee_underflow 0
		.amdhsa_exception_fp_ieee_inexact 0
		.amdhsa_exception_int_div_zero 0
	.end_amdhsa_kernel
	.section	.text._ZL32rocblas_gemvt_warp_reduce_kernelILb1ELi1024EiPK16rocblas_bfloat16PKfKPS0_EviiT3_lPKT2_lT1_lSA_lSB_lS7_lPT4_lSB_li,"axG",@progbits,_ZL32rocblas_gemvt_warp_reduce_kernelILb1ELi1024EiPK16rocblas_bfloat16PKfKPS0_EviiT3_lPKT2_lT1_lSA_lSB_lS7_lPT4_lSB_li,comdat
.Lfunc_end624:
	.size	_ZL32rocblas_gemvt_warp_reduce_kernelILb1ELi1024EiPK16rocblas_bfloat16PKfKPS0_EviiT3_lPKT2_lT1_lSA_lSB_lS7_lPT4_lSB_li, .Lfunc_end624-_ZL32rocblas_gemvt_warp_reduce_kernelILb1ELi1024EiPK16rocblas_bfloat16PKfKPS0_EviiT3_lPKT2_lT1_lSA_lSB_lS7_lPT4_lSB_li
                                        ; -- End function
	.section	.AMDGPU.csdata,"",@progbits
; Kernel info:
; codeLenInByte = 1988
; NumSgprs: 30
; NumVgprs: 14
; NumAgprs: 0
; TotalNumVgprs: 14
; ScratchSize: 0
; MemoryBound: 0
; FloatMode: 240
; IeeeMode: 1
; LDSByteSize: 256 bytes/workgroup (compile time only)
; SGPRBlocks: 3
; VGPRBlocks: 1
; NumSGPRsForWavesPerEU: 30
; NumVGPRsForWavesPerEU: 14
; AccumOffset: 16
; Occupancy: 8
; WaveLimiterHint : 1
; COMPUTE_PGM_RSRC2:SCRATCH_EN: 0
; COMPUTE_PGM_RSRC2:USER_SGPR: 2
; COMPUTE_PGM_RSRC2:TRAP_HANDLER: 0
; COMPUTE_PGM_RSRC2:TGID_X_EN: 1
; COMPUTE_PGM_RSRC2:TGID_Y_EN: 0
; COMPUTE_PGM_RSRC2:TGID_Z_EN: 1
; COMPUTE_PGM_RSRC2:TIDIG_COMP_CNT: 0
; COMPUTE_PGM_RSRC3_GFX90A:ACCUM_OFFSET: 3
; COMPUTE_PGM_RSRC3_GFX90A:TG_SPLIT: 0
	.section	.text._ZL32rocblas_gemvt_warp_reduce_kernelILb1ELi1024ElPK16rocblas_bfloat16PKfKPS0_EviiT3_lPKT2_lT1_lSA_lSB_lS7_lPT4_lSB_li,"axG",@progbits,_ZL32rocblas_gemvt_warp_reduce_kernelILb1ELi1024ElPK16rocblas_bfloat16PKfKPS0_EviiT3_lPKT2_lT1_lSA_lSB_lS7_lPT4_lSB_li,comdat
	.globl	_ZL32rocblas_gemvt_warp_reduce_kernelILb1ELi1024ElPK16rocblas_bfloat16PKfKPS0_EviiT3_lPKT2_lT1_lSA_lSB_lS7_lPT4_lSB_li ; -- Begin function _ZL32rocblas_gemvt_warp_reduce_kernelILb1ELi1024ElPK16rocblas_bfloat16PKfKPS0_EviiT3_lPKT2_lT1_lSA_lSB_lS7_lPT4_lSB_li
	.p2align	8
	.type	_ZL32rocblas_gemvt_warp_reduce_kernelILb1ELi1024ElPK16rocblas_bfloat16PKfKPS0_EviiT3_lPKT2_lT1_lSA_lSB_lS7_lPT4_lSB_li,@function
_ZL32rocblas_gemvt_warp_reduce_kernelILb1ELi1024ElPK16rocblas_bfloat16PKfKPS0_EviiT3_lPKT2_lT1_lSA_lSB_lS7_lPT4_lSB_li: ; @_ZL32rocblas_gemvt_warp_reduce_kernelILb1ELi1024ElPK16rocblas_bfloat16PKfKPS0_EviiT3_lPKT2_lT1_lSA_lSB_lS7_lPT4_lSB_li
; %bb.0:
	s_load_dwordx8 s[12:19], s[0:1], 0x8
	s_load_dwordx8 s[4:11], s[0:1], 0x58
	s_mov_b32 s24, s3
	s_waitcnt lgkmcnt(0)
	s_mul_i32 s3, s3, s15
	s_mul_hi_u32 s15, s24, s14
	s_add_i32 s15, s15, s3
	s_mul_i32 s14, s24, s14
	s_lshl_b64 s[14:15], s[14:15], 2
	s_add_u32 s12, s12, s14
	s_mul_i32 s3, s24, s7
	s_mul_hi_u32 s7, s24, s6
	s_addc_u32 s13, s13, s15
	s_add_i32 s7, s7, s3
	s_mul_i32 s6, s24, s6
	s_lshl_b64 s[6:7], s[6:7], 2
	s_add_u32 s4, s4, s6
	s_addc_u32 s5, s5, s7
	s_load_dword s30, s[12:13], 0x0
	s_load_dword s3, s[4:5], 0x0
	s_waitcnt lgkmcnt(0)
	v_cmp_eq_f32_e64 s[26:27], s30, 0
	v_cmp_eq_f32_e64 s[4:5], s3, 1.0
	s_and_b64 s[4:5], s[26:27], s[4:5]
	s_and_b64 vcc, exec, s[4:5]
	s_cbranch_vccnz .LBB625_43
; %bb.1:
	s_load_dwordx2 s[20:21], s[0:1], 0x28
	s_load_dwordx2 s[12:13], s[0:1], 0x78
	s_mov_b32 s25, 0
	v_cmp_neq_f32_e64 s[28:29], s30, 0
	s_mov_b64 s[14:15], 0
	s_and_b64 vcc, exec, s[26:27]
	s_mov_b64 s[22:23], 0
	s_cbranch_vccnz .LBB625_3
; %bb.2:
	s_lshl_b64 s[4:5], s[24:25], 3
	s_add_u32 s4, s16, s4
	s_addc_u32 s5, s17, s5
	s_load_dwordx2 s[4:5], s[4:5], 0x0
	s_lshl_b64 s[6:7], s[18:19], 1
	s_waitcnt lgkmcnt(0)
	s_add_u32 s22, s4, s6
	s_addc_u32 s23, s5, s7
.LBB625_3:
	s_load_dwordx4 s[4:7], s[0:1], 0x38
	s_load_dwordx2 s[16:17], s[0:1], 0x48
	s_andn2_b64 vcc, exec, s[28:29]
	s_cbranch_vccnz .LBB625_5
; %bb.4:
	s_lshl_b64 s[14:15], s[24:25], 3
	s_waitcnt lgkmcnt(0)
	s_add_u32 s4, s4, s14
	s_addc_u32 s5, s5, s15
	s_load_dwordx2 s[4:5], s[4:5], 0x0
	s_lshl_b64 s[6:7], s[6:7], 1
	s_waitcnt lgkmcnt(0)
	s_add_u32 s14, s4, s6
	s_addc_u32 s15, s5, s7
.LBB625_5:
	s_waitcnt lgkmcnt(0)
	s_lshl_b64 s[4:5], s[24:25], 3
	s_add_u32 s4, s8, s4
	s_addc_u32 s5, s9, s5
	s_load_dwordx2 s[4:5], s[4:5], 0x0
	s_lshl_b64 s[6:7], s[10:11], 1
	s_waitcnt lgkmcnt(0)
	s_add_u32 s24, s4, s6
	s_addc_u32 s25, s5, s7
	s_andn2_b64 vcc, exec, s[26:27]
	v_cmp_eq_u32_e64 s[4:5], 0, v0
	s_cbranch_vccnz .LBB625_10
; %bb.6:
	s_mov_b64 s[10:11], 0
	s_mov_b64 s[6:7], 0
                                        ; implicit-def: $sgpr26
                                        ; implicit-def: $sgpr8_sgpr9
	s_and_saveexec_b64 s[18:19], s[4:5]
	s_cbranch_execz .LBB625_18
; %bb.7:
	s_ashr_i32 s6, s2, 31
	s_mul_i32 s7, s2, s13
	s_mul_hi_u32 s8, s2, s12
	v_cmp_eq_f32_e64 s[4:5], s3, 0
	s_add_i32 s7, s8, s7
	s_mul_i32 s6, s6, s12
	s_mov_b32 s26, 0
	s_add_i32 s9, s7, s6
	s_mul_i32 s8, s2, s12
	s_and_b64 vcc, exec, s[4:5]
	s_cbranch_vccnz .LBB625_52
; %bb.8:
	s_lshl_b64 s[4:5], s[8:9], 1
	s_add_u32 s4, s24, s4
	s_addc_u32 s5, s25, s5
	v_mov_b32_e32 v1, 0
	global_load_ushort v1, v1, s[4:5]
	s_mov_b32 s4, 0x7f800000
	s_waitcnt vmcnt(0)
	v_lshlrev_b32_e32 v1, 16, v1
	v_mul_f32_e32 v1, s3, v1
	v_and_b32_e32 v2, 0x7f800000, v1
	v_cmp_eq_u32_e32 vcc, s4, v2
	v_readfirstlane_b32 s6, v1
	s_cbranch_vccnz .LBB625_48
; %bb.9:
	s_bfe_u32 s4, s6, 0x10010
	s_add_i32 s4, s6, s4
	s_add_i32 s7, s4, 0x7fff
	s_mov_b64 s[4:5], 0
	s_branch .LBB625_49
.LBB625_10:
	s_mov_b64 s[6:7], 0
                                        ; implicit-def: $sgpr26
                                        ; implicit-def: $sgpr8_sgpr9
	s_cbranch_execz .LBB625_53
.LBB625_11:
	s_load_dword s1, s[0:1], 0x0
	s_ashr_i32 s26, s2, 31
	s_mul_i32 s0, s2, s21
	s_mul_hi_u32 s4, s2, s20
	s_add_i32 s0, s4, s0
	s_mul_i32 s4, s26, s20
	s_add_i32 s5, s0, s4
	s_mul_i32 s4, s2, s20
	s_lshl_b64 s[4:5], s[4:5], 1
	s_add_u32 s4, s4, s22
	s_addc_u32 s5, s5, s23
	s_waitcnt lgkmcnt(0)
	s_ashr_i32 s0, s1, 31
	v_cmp_gt_i32_e32 vcc, s1, v0
	s_lshr_b32 s0, s0, 22
	s_add_i32 s0, s1, s0
	v_cndmask_b32_e32 v1, 0, v0, vcc
	v_mov_b32_e32 v3, 0
	v_lshlrev_b32_e32 v2, 1, v1
	s_and_b32 s0, s0, 0xfffffc00
	v_lshl_add_u64 v[4:5], s[4:5], 0, v[2:3]
	v_cmp_gt_i32_e32 vcc, s0, v0
	s_and_saveexec_b64 s[4:5], vcc
	s_cbranch_execz .LBB625_20
; %bb.12:
	v_mad_u64_u32 v[2:3], s[8:9], s16, v0, 0
	v_mov_b32_e32 v6, v3
	v_mad_u64_u32 v[6:7], s[8:9], s17, v0, v[6:7]
	v_mov_b32_e32 v3, v6
	v_lshl_add_u64 v[6:7], v[2:3], 1, s[14:15]
	s_lshl_b64 s[10:11], s[16:17], 11
	s_mov_b64 s[8:9], 0
	v_mov_b32_e32 v1, 0
	s_mov_b32 s22, 0x7f800000
	s_movk_i32 s23, 0x7fff
	s_mov_b64 s[18:19], 0x800
	v_mov_b64_e32 v[8:9], v[4:5]
	v_mov_b32_e32 v2, v0
	v_mov_b32_e32 v3, 0
	s_branch .LBB625_14
.LBB625_13:                             ;   in Loop: Header=BB625_14 Depth=1
	s_or_b64 exec, exec, s[20:21]
	v_add_u32_e32 v2, 0x400, v2
	v_and_b32_e32 v10, 0xffff0000, v12
	v_cmp_le_i32_e32 vcc, s0, v2
	v_add_f32_e32 v3, v3, v10
	v_lshl_add_u64 v[8:9], v[8:9], 0, s[18:19]
	s_or_b64 s[8:9], vcc, s[8:9]
	v_lshl_add_u64 v[6:7], v[6:7], 0, s[10:11]
	s_andn2_b64 exec, exec, s[8:9]
	s_cbranch_execz .LBB625_19
.LBB625_14:                             ; =>This Inner Loop Header: Depth=1
	flat_load_ushort v10, v[6:7]
	flat_load_ushort v11, v[8:9]
	s_waitcnt vmcnt(0) lgkmcnt(0)
	v_lshlrev_b32_e32 v10, 16, v10
	v_lshlrev_b32_e32 v12, 16, v11
	v_pk_mul_f32 v[10:11], v[10:11], v[12:13] op_sel_hi:[0,1]
	v_and_b32_e32 v11, 0x7f800000, v10
	v_cmp_ne_u32_e32 vcc, s22, v11
                                        ; implicit-def: $vgpr12
	s_and_saveexec_b64 s[20:21], vcc
	s_xor_b64 s[20:21], exec, s[20:21]
; %bb.15:                               ;   in Loop: Header=BB625_14 Depth=1
	v_bfe_u32 v11, v10, 16, 1
	v_add3_u32 v12, v10, v11, s23
                                        ; implicit-def: $vgpr10_vgpr11
; %bb.16:                               ;   in Loop: Header=BB625_14 Depth=1
	s_andn2_saveexec_b64 s[20:21], s[20:21]
	s_cbranch_execz .LBB625_13
; %bb.17:                               ;   in Loop: Header=BB625_14 Depth=1
	v_or_b32_e32 v11, 0x10000, v10
	v_cmp_eq_u32_sdwa vcc, v10, v1 src0_sel:WORD_0 src1_sel:DWORD
	s_nop 1
	v_cndmask_b32_e32 v12, v11, v10, vcc
	s_branch .LBB625_13
.LBB625_18:
	s_or_b64 exec, exec, s[18:19]
	s_and_b64 vcc, exec, s[10:11]
	s_cbranch_vccnz .LBB625_11
	s_branch .LBB625_53
.LBB625_19:
	s_or_b64 exec, exec, s[8:9]
.LBB625_20:
	s_or_b64 exec, exec, s[4:5]
	v_or_b32_e32 v1, s0, v0
	v_cmp_gt_i32_e32 vcc, s1, v1
	s_and_saveexec_b64 s[4:5], vcc
	s_cbranch_execz .LBB625_26
; %bb.21:
	s_ashr_i32 s1, s0, 31
	v_ashrrev_i32_e32 v2, 31, v1
	v_lshl_add_u64 v[4:5], s[0:1], 1, v[4:5]
	v_mul_lo_u32 v8, v1, s17
	v_mul_lo_u32 v2, v2, s16
	v_mad_u64_u32 v[6:7], s[0:1], v1, s16, 0
	v_add3_u32 v7, v7, v8, v2
	v_lshl_add_u64 v[6:7], v[6:7], 1, s[14:15]
	flat_load_ushort v1, v[4:5]
	flat_load_ushort v8, v[6:7]
	s_mov_b32 s0, 0x7f800000
	s_waitcnt vmcnt(0) lgkmcnt(0)
	v_lshlrev_b32_e32 v2, 16, v1
	v_lshlrev_b32_e32 v4, 16, v8
	v_pk_mul_f32 v[4:5], v[4:5], v[2:3] op_sel_hi:[0,1]
	v_and_b32_e32 v1, 0x7f800000, v4
	v_cmp_ne_u32_e32 vcc, s0, v1
                                        ; implicit-def: $vgpr1
	s_and_saveexec_b64 s[0:1], vcc
	s_xor_b64 s[0:1], exec, s[0:1]
; %bb.22:
	v_bfe_u32 v1, v4, 16, 1
	s_movk_i32 s8, 0x7fff
	v_add3_u32 v1, v4, v1, s8
                                        ; implicit-def: $vgpr4_vgpr5
; %bb.23:
	s_andn2_saveexec_b64 s[0:1], s[0:1]
; %bb.24:
	v_mov_b32_e32 v1, 0
	v_or_b32_e32 v2, 0x10000, v4
	v_cmp_eq_u32_sdwa vcc, v4, v1 src0_sel:WORD_0 src1_sel:DWORD
	s_nop 1
	v_cndmask_b32_e32 v1, v2, v4, vcc
; %bb.25:
	s_or_b64 exec, exec, s[0:1]
	v_and_b32_e32 v1, 0xffff0000, v1
	v_add_f32_e32 v3, v3, v1
.LBB625_26:
	s_or_b64 exec, exec, s[4:5]
	v_and_b32_e32 v2, 63, v0
	v_cmp_gt_u32_e32 vcc, 64, v0
	v_lshlrev_b32_e32 v1, 2, v2
	s_and_saveexec_b64 s[0:1], vcc
	s_cbranch_execz .LBB625_28
; %bb.27:
	v_mov_b32_e32 v4, 0
	ds_write_b32 v1, v4
.LBB625_28:
	s_or_b64 exec, exec, s[0:1]
	v_mbcnt_lo_u32_b32 v4, -1, 0
	v_mbcnt_hi_u32_b32 v6, -1, v4
	v_and_b32_e32 v7, 63, v6
	v_cmp_gt_u32_e64 s[0:1], 32, v7
	s_waitcnt lgkmcnt(0)
	s_barrier
	v_cndmask_b32_e64 v4, 0, 1, s[0:1]
	v_lshlrev_b32_e32 v4, 5, v4
	v_add_lshl_u32 v4, v4, v6, 2
	ds_bpermute_b32 v4, v4, v3
	v_cmp_gt_u32_e64 s[0:1], 48, v7
	s_waitcnt lgkmcnt(0)
	v_add_f32_e32 v3, v3, v4
	v_cndmask_b32_e64 v5, 0, 1, s[0:1]
	v_lshlrev_b32_e32 v5, 4, v5
	v_add_lshl_u32 v4, v5, v6, 2
	ds_bpermute_b32 v4, v4, v3
	v_cmp_gt_u32_e64 s[0:1], 56, v7
	s_waitcnt lgkmcnt(0)
	v_add_f32_e32 v4, v3, v4
	;; [unrolled: 7-line block ×4, first 2 shown]
	v_cndmask_b32_e64 v9, 0, 1, s[0:1]
	v_lshlrev_b32_e32 v9, 1, v9
	v_add_lshl_u32 v5, v9, v6, 2
	ds_bpermute_b32 v9, v5, v8
	v_cmp_ne_u32_e64 s[0:1], 63, v7
	s_waitcnt lgkmcnt(0)
	v_add_f32_e32 v7, v8, v9
	v_addc_co_u32_e64 v6, s[0:1], 0, v6, s[0:1]
	v_lshlrev_b32_e32 v6, 2, v6
	ds_bpermute_b32 v8, v6, v7
	v_cmp_eq_u32_e64 s[0:1], 0, v2
	s_and_saveexec_b64 s[4:5], s[0:1]
	s_cbranch_execz .LBB625_30
; %bb.29:
	v_lshrrev_b32_e32 v2, 4, v0
	v_and_b32_e32 v2, 60, v2
	s_waitcnt lgkmcnt(0)
	v_add_f32_e32 v7, v7, v8
	ds_write_b32 v2, v7
.LBB625_30:
	s_or_b64 exec, exec, s[4:5]
	v_cmp_gt_u32_e64 s[0:1], 16, v0
	v_mov_b32_e32 v2, 0
	s_waitcnt lgkmcnt(0)
	s_barrier
	s_and_saveexec_b64 s[4:5], s[0:1]
	s_cbranch_execz .LBB625_32
; %bb.31:
	ds_read_b32 v2, v1
	s_or_b64 exec, exec, s[4:5]
	s_and_saveexec_b64 s[0:1], vcc
	s_cbranch_execz .LBB625_34
	s_branch .LBB625_33
.LBB625_32:
	s_or_b64 exec, exec, s[4:5]
	s_and_saveexec_b64 s[0:1], vcc
	s_cbranch_execz .LBB625_34
.LBB625_33:
	s_waitcnt lgkmcnt(0)
	ds_bpermute_b32 v1, v3, v2
	s_waitcnt lgkmcnt(0)
	v_add_f32_e32 v1, v2, v1
	ds_bpermute_b32 v2, v4, v1
	s_waitcnt lgkmcnt(0)
	v_add_f32_e32 v1, v1, v2
	;; [unrolled: 3-line block ×4, first 2 shown]
.LBB625_34:
	s_or_b64 exec, exec, s[0:1]
	v_cmp_eq_u32_e32 vcc, 0, v0
                                        ; implicit-def: $vgpr1
                                        ; implicit-def: $sgpr8_sgpr9
	s_and_saveexec_b64 s[0:1], vcc
	s_cbranch_execz .LBB625_41
; %bb.35:
	v_cmp_eq_f32_e64 s[4:5], s3, 0
	s_waitcnt lgkmcnt(0)
	v_mul_f32_e32 v0, s30, v2
	s_and_b64 vcc, exec, s[4:5]
	s_cbranch_vccz .LBB625_44
; %bb.36:
	s_mov_b32 s4, 0x7f800000
	v_and_b32_e32 v1, 0x7f800000, v0
	v_cmp_ne_u32_e32 vcc, s4, v1
                                        ; implicit-def: $vgpr1
	s_and_saveexec_b64 s[4:5], vcc
	s_xor_b64 s[4:5], exec, s[4:5]
; %bb.37:
	v_bfe_u32 v1, v0, 16, 1
	s_movk_i32 s8, 0x7fff
	v_add3_u32 v1, v0, v1, s8
; %bb.38:
	s_andn2_saveexec_b64 s[4:5], s[4:5]
; %bb.39:
	v_mov_b32_e32 v1, 0
	v_or_b32_e32 v2, 0x10000, v0
	v_cmp_eq_u32_sdwa vcc, v0, v1 src0_sel:WORD_0 src1_sel:DWORD
	s_nop 1
	v_cndmask_b32_e32 v1, v2, v0, vcc
; %bb.40:
	s_or_b64 exec, exec, s[4:5]
	s_mov_b64 s[4:5], 0
	s_branch .LBB625_45
.LBB625_41:
	s_or_b64 exec, exec, s[0:1]
	s_and_saveexec_b64 s[0:1], s[6:7]
	s_cbranch_execz .LBB625_43
.LBB625_42:
	s_lshl_b64 s[0:1], s[8:9], 1
	s_add_u32 s0, s24, s0
	s_addc_u32 s1, s25, s1
	v_mov_b32_e32 v0, 0
	global_store_short v0, v1, s[0:1]
.LBB625_43:
	s_endpgm
.LBB625_44:
	s_mov_b64 s[4:5], -1
                                        ; implicit-def: $vgpr1
.LBB625_45:
	s_andn2_b64 vcc, exec, s[4:5]
	s_mul_i32 s4, s2, s13
	s_mul_hi_u32 s5, s2, s12
	s_mul_i32 s10, s26, s12
	s_mul_i32 s8, s2, s12
	s_cbranch_vccnz .LBB625_62
; %bb.46:
	s_add_i32 s2, s5, s4
	s_add_i32 s9, s2, s10
	s_lshl_b64 s[12:13], s[8:9], 1
	s_add_u32 s12, s24, s12
	s_addc_u32 s13, s25, s13
	v_mov_b32_e32 v1, 0
	global_load_ushort v1, v1, s[12:13]
	s_mov_b32 s2, 0x7f800000
	s_waitcnt vmcnt(0)
	v_lshlrev_b32_e32 v1, 16, v1
	v_mul_f32_e32 v1, s3, v1
	v_and_b32_e32 v2, 0x7f800000, v1
	v_cmp_eq_u32_e32 vcc, s2, v2
	v_readfirstlane_b32 s9, v1
	s_cbranch_vccnz .LBB625_54
; %bb.47:
	s_bfe_u32 s2, s9, 0x10010
	s_add_i32 s2, s9, s2
	s_add_i32 s11, s2, 0x7fff
	s_mov_b64 s[2:3], 0
	s_branch .LBB625_55
.LBB625_48:
	s_mov_b64 s[4:5], -1
                                        ; implicit-def: $sgpr7
.LBB625_49:
	s_andn2_b64 vcc, exec, s[4:5]
	s_cbranch_vccnz .LBB625_51
; %bb.50:
	s_and_b32 s4, s6, 0xffff
	s_or_b32 s5, s6, 0x10000
	s_cmp_eq_u32 s4, 0
	s_cselect_b32 s7, s6, s5
.LBB625_51:
	s_lshr_b32 s26, s7, 16
.LBB625_52:
	s_mov_b64 s[6:7], exec
	s_or_b64 exec, exec, s[18:19]
	s_and_b64 vcc, exec, s[10:11]
	s_cbranch_vccnz .LBB625_11
.LBB625_53:
	v_mov_b32_e32 v1, s26
	s_and_saveexec_b64 s[0:1], s[6:7]
	s_cbranch_execnz .LBB625_42
	s_branch .LBB625_43
.LBB625_54:
	s_mov_b64 s[2:3], -1
                                        ; implicit-def: $sgpr11
.LBB625_55:
	s_andn2_b64 vcc, exec, s[2:3]
	s_cbranch_vccnz .LBB625_57
; %bb.56:
	s_and_b32 s2, s9, 0xffff
	s_or_b32 s3, s9, 0x10000
	s_cmp_eq_u32 s2, 0
	s_cselect_b32 s11, s9, s3
.LBB625_57:
	s_and_b32 s2, s11, 0xffff0000
	v_add_f32_e32 v0, s2, v0
	s_mov_b32 s2, 0x7f800000
	v_and_b32_e32 v1, 0x7f800000, v0
	v_cmp_ne_u32_e32 vcc, s2, v1
                                        ; implicit-def: $vgpr1
	s_and_saveexec_b64 s[2:3], vcc
	s_xor_b64 s[2:3], exec, s[2:3]
; %bb.58:
	v_bfe_u32 v1, v0, 16, 1
	s_movk_i32 s9, 0x7fff
	v_add3_u32 v1, v0, v1, s9
                                        ; implicit-def: $vgpr0
; %bb.59:
	s_andn2_saveexec_b64 s[2:3], s[2:3]
; %bb.60:
	v_mov_b32_e32 v1, 0
	v_or_b32_e32 v2, 0x10000, v0
	v_cmp_eq_u32_sdwa vcc, v0, v1 src0_sel:WORD_0 src1_sel:DWORD
	s_nop 1
	v_cndmask_b32_e32 v1, v2, v0, vcc
; %bb.61:
	s_or_b64 exec, exec, s[2:3]
.LBB625_62:
	s_add_i32 s2, s5, s4
	v_lshrrev_b32_e32 v1, 16, v1
	s_add_i32 s9, s2, s10
	s_or_b64 s[6:7], s[6:7], exec
	s_or_b64 exec, exec, s[0:1]
	s_and_saveexec_b64 s[0:1], s[6:7]
	s_cbranch_execnz .LBB625_42
	s_branch .LBB625_43
	.section	.rodata,"a",@progbits
	.p2align	6, 0x0
	.amdhsa_kernel _ZL32rocblas_gemvt_warp_reduce_kernelILb1ELi1024ElPK16rocblas_bfloat16PKfKPS0_EviiT3_lPKT2_lT1_lSA_lSB_lS7_lPT4_lSB_li
		.amdhsa_group_segment_fixed_size 256
		.amdhsa_private_segment_fixed_size 0
		.amdhsa_kernarg_size 140
		.amdhsa_user_sgpr_count 2
		.amdhsa_user_sgpr_dispatch_ptr 0
		.amdhsa_user_sgpr_queue_ptr 0
		.amdhsa_user_sgpr_kernarg_segment_ptr 1
		.amdhsa_user_sgpr_dispatch_id 0
		.amdhsa_user_sgpr_kernarg_preload_length 0
		.amdhsa_user_sgpr_kernarg_preload_offset 0
		.amdhsa_user_sgpr_private_segment_size 0
		.amdhsa_uses_dynamic_stack 0
		.amdhsa_enable_private_segment 0
		.amdhsa_system_sgpr_workgroup_id_x 1
		.amdhsa_system_sgpr_workgroup_id_y 0
		.amdhsa_system_sgpr_workgroup_id_z 1
		.amdhsa_system_sgpr_workgroup_info 0
		.amdhsa_system_vgpr_workitem_id 0
		.amdhsa_next_free_vgpr 14
		.amdhsa_next_free_sgpr 31
		.amdhsa_accum_offset 16
		.amdhsa_reserve_vcc 1
		.amdhsa_float_round_mode_32 0
		.amdhsa_float_round_mode_16_64 0
		.amdhsa_float_denorm_mode_32 3
		.amdhsa_float_denorm_mode_16_64 3
		.amdhsa_dx10_clamp 1
		.amdhsa_ieee_mode 1
		.amdhsa_fp16_overflow 0
		.amdhsa_tg_split 0
		.amdhsa_exception_fp_ieee_invalid_op 0
		.amdhsa_exception_fp_denorm_src 0
		.amdhsa_exception_fp_ieee_div_zero 0
		.amdhsa_exception_fp_ieee_overflow 0
		.amdhsa_exception_fp_ieee_underflow 0
		.amdhsa_exception_fp_ieee_inexact 0
		.amdhsa_exception_int_div_zero 0
	.end_amdhsa_kernel
	.section	.text._ZL32rocblas_gemvt_warp_reduce_kernelILb1ELi1024ElPK16rocblas_bfloat16PKfKPS0_EviiT3_lPKT2_lT1_lSA_lSB_lS7_lPT4_lSB_li,"axG",@progbits,_ZL32rocblas_gemvt_warp_reduce_kernelILb1ELi1024ElPK16rocblas_bfloat16PKfKPS0_EviiT3_lPKT2_lT1_lSA_lSB_lS7_lPT4_lSB_li,comdat
.Lfunc_end625:
	.size	_ZL32rocblas_gemvt_warp_reduce_kernelILb1ELi1024ElPK16rocblas_bfloat16PKfKPS0_EviiT3_lPKT2_lT1_lSA_lSB_lS7_lPT4_lSB_li, .Lfunc_end625-_ZL32rocblas_gemvt_warp_reduce_kernelILb1ELi1024ElPK16rocblas_bfloat16PKfKPS0_EviiT3_lPKT2_lT1_lSA_lSB_lS7_lPT4_lSB_li
                                        ; -- End function
	.section	.AMDGPU.csdata,"",@progbits
; Kernel info:
; codeLenInByte = 2100
; NumSgprs: 37
; NumVgprs: 14
; NumAgprs: 0
; TotalNumVgprs: 14
; ScratchSize: 0
; MemoryBound: 0
; FloatMode: 240
; IeeeMode: 1
; LDSByteSize: 256 bytes/workgroup (compile time only)
; SGPRBlocks: 4
; VGPRBlocks: 1
; NumSGPRsForWavesPerEU: 37
; NumVGPRsForWavesPerEU: 14
; AccumOffset: 16
; Occupancy: 8
; WaveLimiterHint : 1
; COMPUTE_PGM_RSRC2:SCRATCH_EN: 0
; COMPUTE_PGM_RSRC2:USER_SGPR: 2
; COMPUTE_PGM_RSRC2:TRAP_HANDLER: 0
; COMPUTE_PGM_RSRC2:TGID_X_EN: 1
; COMPUTE_PGM_RSRC2:TGID_Y_EN: 0
; COMPUTE_PGM_RSRC2:TGID_Z_EN: 1
; COMPUTE_PGM_RSRC2:TIDIG_COMP_CNT: 0
; COMPUTE_PGM_RSRC3_GFX90A:ACCUM_OFFSET: 3
; COMPUTE_PGM_RSRC3_GFX90A:TG_SPLIT: 0
	.section	.text._ZL32rocblas_gemvt_warp_reduce_kernelILb1ELi1024EiPK16rocblas_bfloat16fKPS0_EviiT3_lPKT2_lT1_lS8_lS9_lS5_lPT4_lS9_li,"axG",@progbits,_ZL32rocblas_gemvt_warp_reduce_kernelILb1ELi1024EiPK16rocblas_bfloat16fKPS0_EviiT3_lPKT2_lT1_lS8_lS9_lS5_lPT4_lS9_li,comdat
	.globl	_ZL32rocblas_gemvt_warp_reduce_kernelILb1ELi1024EiPK16rocblas_bfloat16fKPS0_EviiT3_lPKT2_lT1_lS8_lS9_lS5_lPT4_lS9_li ; -- Begin function _ZL32rocblas_gemvt_warp_reduce_kernelILb1ELi1024EiPK16rocblas_bfloat16fKPS0_EviiT3_lPKT2_lT1_lS8_lS9_lS5_lPT4_lS9_li
	.p2align	8
	.type	_ZL32rocblas_gemvt_warp_reduce_kernelILb1ELi1024EiPK16rocblas_bfloat16fKPS0_EviiT3_lPKT2_lT1_lS8_lS9_lS5_lPT4_lS9_li,@function
_ZL32rocblas_gemvt_warp_reduce_kernelILb1ELi1024EiPK16rocblas_bfloat16fKPS0_EviiT3_lPKT2_lT1_lS8_lS9_lS5_lPT4_lS9_li: ; @_ZL32rocblas_gemvt_warp_reduce_kernelILb1ELi1024EiPK16rocblas_bfloat16fKPS0_EviiT3_lPKT2_lT1_lS8_lS9_lS5_lPT4_lS9_li
; %bb.0:
	s_mov_b32 s10, s3
	s_load_dword s20, s[0:1], 0x8
	s_load_dword s3, s[0:1], 0x58
	s_waitcnt lgkmcnt(0)
	v_cmp_eq_f32_e64 s[4:5], s20, 0
	v_cmp_eq_f32_e64 s[6:7], s3, 1.0
	s_and_b64 s[6:7], s[4:5], s[6:7]
	s_and_b64 vcc, exec, s[6:7]
	s_cbranch_vccnz .LBB626_45
; %bb.1:
	v_cmp_neq_f32_e64 s[8:9], s20, 0
	s_mov_b32 s11, 0
	s_and_b64 vcc, exec, s[8:9]
	s_cbranch_vccnz .LBB626_3
; %bb.2:
	s_mov_b64 s[12:13], 0
	s_cbranch_execz .LBB626_4
	s_branch .LBB626_5
.LBB626_3:
                                        ; implicit-def: $sgpr12_sgpr13
.LBB626_4:
	s_load_dwordx4 s[12:15], s[0:1], 0x18
	s_lshl_b64 s[6:7], s[10:11], 3
	s_waitcnt lgkmcnt(0)
	s_add_u32 s6, s12, s6
	s_addc_u32 s7, s13, s7
	s_load_dwordx2 s[6:7], s[6:7], 0x0
	s_lshl_b64 s[12:13], s[14:15], 1
	s_waitcnt lgkmcnt(0)
	s_add_u32 s12, s6, s12
	s_addc_u32 s13, s7, s13
.LBB626_5:
	s_mov_b64 s[6:7], 0
	s_andn2_b64 vcc, exec, s[8:9]
	s_mov_b64 s[8:9], 0
	s_cbranch_vccnz .LBB626_7
; %bb.6:
	s_load_dwordx4 s[16:19], s[0:1], 0x38
	s_lshl_b64 s[8:9], s[10:11], 3
	s_waitcnt lgkmcnt(0)
	s_add_u32 s8, s16, s8
	s_addc_u32 s9, s17, s9
	s_load_dwordx2 s[8:9], s[8:9], 0x0
	s_lshl_b64 s[14:15], s[18:19], 1
	s_waitcnt lgkmcnt(0)
	s_add_u32 s8, s8, s14
	s_addc_u32 s9, s9, s15
.LBB626_7:
	s_load_dwordx4 s[16:19], s[0:1], 0x68
	s_load_dword s21, s[0:1], 0x78
	s_lshl_b64 s[10:11], s[10:11], 3
	s_waitcnt lgkmcnt(0)
	s_add_u32 s10, s16, s10
	s_addc_u32 s11, s17, s11
	s_load_dwordx2 s[10:11], s[10:11], 0x0
	s_lshl_b64 s[14:15], s[18:19], 1
	s_waitcnt lgkmcnt(0)
	s_add_u32 s18, s10, s14
	s_addc_u32 s19, s11, s15
	s_andn2_b64 vcc, exec, s[4:5]
	v_cmp_eq_u32_e64 s[4:5], 0, v0
	s_cbranch_vccnz .LBB626_12
; %bb.8:
	s_mov_b64 s[14:15], 0
                                        ; implicit-def: $sgpr22
                                        ; implicit-def: $sgpr10_sgpr11
	s_and_saveexec_b64 s[16:17], s[4:5]
	s_cbranch_execz .LBB626_20
; %bb.9:
	v_cmp_eq_f32_e64 s[4:5], s3, 0
	s_mul_i32 s10, s2, s21
	s_mov_b32 s22, 0
	s_ashr_i32 s11, s10, 31
	s_and_b64 vcc, exec, s[4:5]
	s_cbranch_vccnz .LBB626_53
; %bb.10:
	s_lshl_b64 s[4:5], s[10:11], 1
	s_add_u32 s4, s18, s4
	s_addc_u32 s5, s19, s5
	v_mov_b32_e32 v1, 0
	global_load_ushort v1, v1, s[4:5]
	s_mov_b32 s4, 0x7f800000
	s_waitcnt vmcnt(0)
	v_lshlrev_b32_e32 v1, 16, v1
	v_mul_f32_e32 v1, s3, v1
	v_and_b32_e32 v2, 0x7f800000, v1
	v_cmp_eq_u32_e32 vcc, s4, v2
	v_readfirstlane_b32 s6, v1
	s_cbranch_vccnz .LBB626_49
; %bb.11:
	s_bfe_u32 s4, s6, 0x10010
	s_add_i32 s4, s6, s4
	s_add_i32 s7, s4, 0x7fff
	s_mov_b64 s[4:5], 0
	s_branch .LBB626_50
.LBB626_12:
                                        ; implicit-def: $sgpr22
                                        ; implicit-def: $sgpr10_sgpr11
	s_cbranch_execz .LBB626_54
.LBB626_13:
	s_load_dword s17, s[0:1], 0x0
	s_load_dword s4, s[0:1], 0x28
	;; [unrolled: 1-line block ×3, first 2 shown]
	v_mov_b32_e32 v3, 0
	s_waitcnt lgkmcnt(0)
	v_cmp_gt_i32_e32 vcc, s17, v0
	s_mul_i32 s0, s2, s4
	s_ashr_i32 s1, s0, 31
	s_lshl_b64 s[0:1], s[0:1], 1
	v_cndmask_b32_e32 v1, 0, v0, vcc
	s_add_u32 s0, s0, s12
	v_lshlrev_b32_e32 v2, 1, v1
	s_addc_u32 s1, s1, s13
	v_lshl_add_u64 v[4:5], s[0:1], 0, v[2:3]
	s_ashr_i32 s0, s17, 31
	s_lshr_b32 s0, s0, 22
	s_add_i32 s0, s17, s0
	s_and_b32 s0, s0, 0xfffffc00
	v_cmp_gt_i32_e32 vcc, s0, v0
	s_and_saveexec_b64 s[4:5], vcc
	s_cbranch_execz .LBB626_22
; %bb.14:
	v_mul_lo_u32 v6, v0, s16
	s_lshl_b32 s1, s16, 10
	s_mov_b64 s[10:11], 0
	v_mov_b32_e32 v1, 0
	s_mov_b32 s22, 0x7f800000
	s_movk_i32 s23, 0x7fff
	s_mov_b64 s[12:13], 0x800
	v_mov_b64_e32 v[8:9], v[4:5]
	v_mov_b32_e32 v2, v0
	v_mov_b32_e32 v3, 0
	s_branch .LBB626_16
.LBB626_15:                             ;   in Loop: Header=BB626_16 Depth=1
	s_or_b64 exec, exec, s[14:15]
	v_add_u32_e32 v2, 0x400, v2
	v_and_b32_e32 v7, 0xffff0000, v7
	v_cmp_le_i32_e32 vcc, s0, v2
	v_add_f32_e32 v3, v3, v7
	v_add_u32_e32 v6, s1, v6
	s_or_b64 s[10:11], vcc, s[10:11]
	v_lshl_add_u64 v[8:9], v[8:9], 0, s[12:13]
	s_andn2_b64 exec, exec, s[10:11]
	s_cbranch_execz .LBB626_21
.LBB626_16:                             ; =>This Inner Loop Header: Depth=1
	v_ashrrev_i32_e32 v7, 31, v6
	v_lshl_add_u64 v[10:11], v[6:7], 1, s[8:9]
	flat_load_ushort v7, v[10:11]
	flat_load_ushort v12, v[8:9]
	s_waitcnt vmcnt(0) lgkmcnt(0)
	v_lshlrev_b32_e32 v10, 16, v7
	v_lshlrev_b32_e32 v12, 16, v12
	v_pk_mul_f32 v[10:11], v[10:11], v[12:13] op_sel_hi:[0,1]
	v_and_b32_e32 v7, 0x7f800000, v10
	v_cmp_ne_u32_e32 vcc, s22, v7
                                        ; implicit-def: $vgpr7
	s_and_saveexec_b64 s[14:15], vcc
	s_xor_b64 s[14:15], exec, s[14:15]
; %bb.17:                               ;   in Loop: Header=BB626_16 Depth=1
	v_bfe_u32 v7, v10, 16, 1
	v_add3_u32 v7, v10, v7, s23
                                        ; implicit-def: $vgpr10_vgpr11
; %bb.18:                               ;   in Loop: Header=BB626_16 Depth=1
	s_andn2_saveexec_b64 s[14:15], s[14:15]
	s_cbranch_execz .LBB626_15
; %bb.19:                               ;   in Loop: Header=BB626_16 Depth=1
	v_or_b32_e32 v7, 0x10000, v10
	v_cmp_eq_u32_sdwa vcc, v10, v1 src0_sel:WORD_0 src1_sel:DWORD
	s_nop 1
	v_cndmask_b32_e32 v7, v7, v10, vcc
	s_branch .LBB626_15
.LBB626_20:
	s_or_b64 exec, exec, s[16:17]
	s_and_b64 vcc, exec, s[14:15]
	s_cbranch_vccnz .LBB626_13
	s_branch .LBB626_54
.LBB626_21:
	s_or_b64 exec, exec, s[10:11]
.LBB626_22:
	s_or_b64 exec, exec, s[4:5]
	v_or_b32_e32 v1, s0, v0
	v_cmp_gt_i32_e32 vcc, s17, v1
	s_and_saveexec_b64 s[4:5], vcc
	s_cbranch_execz .LBB626_28
; %bb.23:
	s_ashr_i32 s1, s0, 31
	v_mul_lo_u32 v6, v1, s16
	v_lshl_add_u64 v[4:5], s[0:1], 1, v[4:5]
	v_ashrrev_i32_e32 v7, 31, v6
	v_lshl_add_u64 v[6:7], v[6:7], 1, s[8:9]
	flat_load_ushort v1, v[4:5]
	flat_load_ushort v8, v[6:7]
	s_mov_b32 s0, 0x7f800000
	s_waitcnt vmcnt(0) lgkmcnt(0)
	v_lshlrev_b32_e32 v2, 16, v1
	v_lshlrev_b32_e32 v4, 16, v8
	v_pk_mul_f32 v[4:5], v[4:5], v[2:3] op_sel_hi:[0,1]
	v_and_b32_e32 v1, 0x7f800000, v4
	v_cmp_ne_u32_e32 vcc, s0, v1
                                        ; implicit-def: $vgpr1
	s_and_saveexec_b64 s[0:1], vcc
	s_xor_b64 s[0:1], exec, s[0:1]
; %bb.24:
	v_bfe_u32 v1, v4, 16, 1
	s_movk_i32 s8, 0x7fff
	v_add3_u32 v1, v4, v1, s8
                                        ; implicit-def: $vgpr4_vgpr5
; %bb.25:
	s_andn2_saveexec_b64 s[0:1], s[0:1]
; %bb.26:
	v_mov_b32_e32 v1, 0
	v_or_b32_e32 v2, 0x10000, v4
	v_cmp_eq_u32_sdwa vcc, v4, v1 src0_sel:WORD_0 src1_sel:DWORD
	s_nop 1
	v_cndmask_b32_e32 v1, v2, v4, vcc
; %bb.27:
	s_or_b64 exec, exec, s[0:1]
	v_and_b32_e32 v1, 0xffff0000, v1
	v_add_f32_e32 v3, v3, v1
.LBB626_28:
	s_or_b64 exec, exec, s[4:5]
	v_and_b32_e32 v2, 63, v0
	v_cmp_gt_u32_e32 vcc, 64, v0
	v_lshlrev_b32_e32 v1, 2, v2
	s_and_saveexec_b64 s[0:1], vcc
	s_cbranch_execz .LBB626_30
; %bb.29:
	v_mov_b32_e32 v4, 0
	ds_write_b32 v1, v4
.LBB626_30:
	s_or_b64 exec, exec, s[0:1]
	v_mbcnt_lo_u32_b32 v4, -1, 0
	v_mbcnt_hi_u32_b32 v6, -1, v4
	v_and_b32_e32 v7, 63, v6
	v_cmp_gt_u32_e64 s[0:1], 32, v7
	s_waitcnt lgkmcnt(0)
	s_barrier
	v_cndmask_b32_e64 v4, 0, 1, s[0:1]
	v_lshlrev_b32_e32 v4, 5, v4
	v_add_lshl_u32 v4, v4, v6, 2
	ds_bpermute_b32 v4, v4, v3
	v_cmp_gt_u32_e64 s[0:1], 48, v7
	s_waitcnt lgkmcnt(0)
	v_add_f32_e32 v3, v3, v4
	v_cndmask_b32_e64 v5, 0, 1, s[0:1]
	v_lshlrev_b32_e32 v5, 4, v5
	v_add_lshl_u32 v4, v5, v6, 2
	ds_bpermute_b32 v4, v4, v3
	v_cmp_gt_u32_e64 s[0:1], 56, v7
	s_waitcnt lgkmcnt(0)
	v_add_f32_e32 v4, v3, v4
	;; [unrolled: 7-line block ×4, first 2 shown]
	v_cndmask_b32_e64 v9, 0, 1, s[0:1]
	v_lshlrev_b32_e32 v9, 1, v9
	v_add_lshl_u32 v5, v9, v6, 2
	ds_bpermute_b32 v9, v5, v8
	v_cmp_ne_u32_e64 s[0:1], 63, v7
	s_waitcnt lgkmcnt(0)
	v_add_f32_e32 v7, v8, v9
	v_addc_co_u32_e64 v6, s[0:1], 0, v6, s[0:1]
	v_lshlrev_b32_e32 v6, 2, v6
	ds_bpermute_b32 v8, v6, v7
	v_cmp_eq_u32_e64 s[0:1], 0, v2
	s_and_saveexec_b64 s[4:5], s[0:1]
	s_cbranch_execz .LBB626_32
; %bb.31:
	v_lshrrev_b32_e32 v2, 4, v0
	v_and_b32_e32 v2, 60, v2
	s_waitcnt lgkmcnt(0)
	v_add_f32_e32 v7, v7, v8
	ds_write_b32 v2, v7
.LBB626_32:
	s_or_b64 exec, exec, s[4:5]
	v_cmp_gt_u32_e64 s[0:1], 16, v0
	v_mov_b32_e32 v2, 0
	s_waitcnt lgkmcnt(0)
	s_barrier
	s_and_saveexec_b64 s[4:5], s[0:1]
	s_cbranch_execz .LBB626_34
; %bb.33:
	ds_read_b32 v2, v1
	s_or_b64 exec, exec, s[4:5]
	s_and_saveexec_b64 s[0:1], vcc
	s_cbranch_execz .LBB626_36
	s_branch .LBB626_35
.LBB626_34:
	s_or_b64 exec, exec, s[4:5]
	s_and_saveexec_b64 s[0:1], vcc
	s_cbranch_execz .LBB626_36
.LBB626_35:
	s_waitcnt lgkmcnt(0)
	ds_bpermute_b32 v1, v3, v2
	s_waitcnt lgkmcnt(0)
	v_add_f32_e32 v1, v2, v1
	ds_bpermute_b32 v2, v4, v1
	s_waitcnt lgkmcnt(0)
	v_add_f32_e32 v1, v1, v2
	;; [unrolled: 3-line block ×4, first 2 shown]
.LBB626_36:
	s_or_b64 exec, exec, s[0:1]
	v_cmp_eq_u32_e32 vcc, 0, v0
                                        ; implicit-def: $vgpr1
                                        ; implicit-def: $sgpr10_sgpr11
	s_and_saveexec_b64 s[0:1], vcc
	s_cbranch_execz .LBB626_43
; %bb.37:
	v_cmp_eq_f32_e64 s[4:5], s3, 0
	s_waitcnt lgkmcnt(0)
	v_mul_f32_e32 v0, s20, v2
	s_and_b64 vcc, exec, s[4:5]
	s_cbranch_vccz .LBB626_46
; %bb.38:
	s_mov_b32 s4, 0x7f800000
	v_and_b32_e32 v1, 0x7f800000, v0
	v_cmp_ne_u32_e32 vcc, s4, v1
                                        ; implicit-def: $vgpr1
	s_and_saveexec_b64 s[4:5], vcc
	s_xor_b64 s[4:5], exec, s[4:5]
; %bb.39:
	v_bfe_u32 v1, v0, 16, 1
	s_movk_i32 s8, 0x7fff
	v_add3_u32 v1, v0, v1, s8
; %bb.40:
	s_andn2_saveexec_b64 s[4:5], s[4:5]
; %bb.41:
	v_mov_b32_e32 v1, 0
	v_or_b32_e32 v2, 0x10000, v0
	v_cmp_eq_u32_sdwa vcc, v0, v1 src0_sel:WORD_0 src1_sel:DWORD
	s_nop 1
	v_cndmask_b32_e32 v1, v2, v0, vcc
; %bb.42:
	s_or_b64 exec, exec, s[4:5]
	s_mul_i32 s10, s2, s21
	s_cbranch_execz .LBB626_47
	s_branch .LBB626_63
.LBB626_43:
	s_or_b64 exec, exec, s[0:1]
	s_and_saveexec_b64 s[0:1], s[6:7]
	s_cbranch_execz .LBB626_45
.LBB626_44:
	s_lshl_b64 s[0:1], s[10:11], 1
	s_add_u32 s0, s18, s0
	s_addc_u32 s1, s19, s1
	v_mov_b32_e32 v0, 0
	global_store_short v0, v1, s[0:1]
.LBB626_45:
	s_endpgm
.LBB626_46:
                                        ; implicit-def: $vgpr1
	s_mul_i32 s10, s2, s21
.LBB626_47:
	s_ashr_i32 s11, s10, 31
	s_lshl_b64 s[4:5], s[10:11], 1
	s_add_u32 s4, s18, s4
	s_addc_u32 s5, s19, s5
	v_mov_b32_e32 v1, 0
	global_load_ushort v1, v1, s[4:5]
	s_mov_b32 s2, 0x7f800000
	s_waitcnt vmcnt(0)
	v_lshlrev_b32_e32 v1, 16, v1
	v_mul_f32_e32 v1, s3, v1
	v_and_b32_e32 v2, 0x7f800000, v1
	v_cmp_eq_u32_e32 vcc, s2, v2
	v_readfirstlane_b32 s4, v1
	s_cbranch_vccnz .LBB626_55
; %bb.48:
	s_bfe_u32 s2, s4, 0x10010
	s_add_i32 s2, s4, s2
	s_add_i32 s5, s2, 0x7fff
	s_mov_b64 s[2:3], 0
	s_branch .LBB626_56
.LBB626_49:
	s_mov_b64 s[4:5], -1
                                        ; implicit-def: $sgpr7
.LBB626_50:
	s_andn2_b64 vcc, exec, s[4:5]
	s_cbranch_vccnz .LBB626_52
; %bb.51:
	s_and_b32 s4, s6, 0xffff
	s_or_b32 s5, s6, 0x10000
	s_cmp_eq_u32 s4, 0
	s_cselect_b32 s7, s6, s5
.LBB626_52:
	s_lshr_b32 s22, s7, 16
.LBB626_53:
	s_mov_b64 s[6:7], exec
	s_or_b64 exec, exec, s[16:17]
	s_and_b64 vcc, exec, s[14:15]
	s_cbranch_vccnz .LBB626_13
.LBB626_54:
	v_mov_b32_e32 v1, s22
	s_and_saveexec_b64 s[0:1], s[6:7]
	s_cbranch_execnz .LBB626_44
	s_branch .LBB626_45
.LBB626_55:
	s_mov_b64 s[2:3], -1
                                        ; implicit-def: $sgpr5
.LBB626_56:
	s_andn2_b64 vcc, exec, s[2:3]
	s_cbranch_vccnz .LBB626_58
; %bb.57:
	s_and_b32 s2, s4, 0xffff
	s_or_b32 s3, s4, 0x10000
	s_cmp_eq_u32 s2, 0
	s_cselect_b32 s5, s4, s3
.LBB626_58:
	s_and_b32 s2, s5, 0xffff0000
	v_add_f32_e32 v0, s2, v0
	s_mov_b32 s2, 0x7f800000
	v_and_b32_e32 v1, 0x7f800000, v0
	v_cmp_ne_u32_e32 vcc, s2, v1
                                        ; implicit-def: $vgpr1
	s_and_saveexec_b64 s[2:3], vcc
	s_xor_b64 s[2:3], exec, s[2:3]
; %bb.59:
	v_bfe_u32 v1, v0, 16, 1
	s_movk_i32 s4, 0x7fff
	v_add3_u32 v1, v0, v1, s4
                                        ; implicit-def: $vgpr0
; %bb.60:
	s_andn2_saveexec_b64 s[2:3], s[2:3]
; %bb.61:
	v_mov_b32_e32 v1, 0
	v_or_b32_e32 v2, 0x10000, v0
	v_cmp_eq_u32_sdwa vcc, v0, v1 src0_sel:WORD_0 src1_sel:DWORD
	s_nop 1
	v_cndmask_b32_e32 v1, v2, v0, vcc
; %bb.62:
	s_or_b64 exec, exec, s[2:3]
.LBB626_63:
	v_lshrrev_b32_e32 v1, 16, v1
	s_ashr_i32 s11, s10, 31
	s_or_b64 s[6:7], s[6:7], exec
	s_or_b64 exec, exec, s[0:1]
	s_and_saveexec_b64 s[0:1], s[6:7]
	s_cbranch_execnz .LBB626_44
	s_branch .LBB626_45
	.section	.rodata,"a",@progbits
	.p2align	6, 0x0
	.amdhsa_kernel _ZL32rocblas_gemvt_warp_reduce_kernelILb1ELi1024EiPK16rocblas_bfloat16fKPS0_EviiT3_lPKT2_lT1_lS8_lS9_lS5_lPT4_lS9_li
		.amdhsa_group_segment_fixed_size 256
		.amdhsa_private_segment_fixed_size 0
		.amdhsa_kernarg_size 140
		.amdhsa_user_sgpr_count 2
		.amdhsa_user_sgpr_dispatch_ptr 0
		.amdhsa_user_sgpr_queue_ptr 0
		.amdhsa_user_sgpr_kernarg_segment_ptr 1
		.amdhsa_user_sgpr_dispatch_id 0
		.amdhsa_user_sgpr_kernarg_preload_length 0
		.amdhsa_user_sgpr_kernarg_preload_offset 0
		.amdhsa_user_sgpr_private_segment_size 0
		.amdhsa_uses_dynamic_stack 0
		.amdhsa_enable_private_segment 0
		.amdhsa_system_sgpr_workgroup_id_x 1
		.amdhsa_system_sgpr_workgroup_id_y 0
		.amdhsa_system_sgpr_workgroup_id_z 1
		.amdhsa_system_sgpr_workgroup_info 0
		.amdhsa_system_vgpr_workitem_id 0
		.amdhsa_next_free_vgpr 14
		.amdhsa_next_free_sgpr 24
		.amdhsa_accum_offset 16
		.amdhsa_reserve_vcc 1
		.amdhsa_float_round_mode_32 0
		.amdhsa_float_round_mode_16_64 0
		.amdhsa_float_denorm_mode_32 3
		.amdhsa_float_denorm_mode_16_64 3
		.amdhsa_dx10_clamp 1
		.amdhsa_ieee_mode 1
		.amdhsa_fp16_overflow 0
		.amdhsa_tg_split 0
		.amdhsa_exception_fp_ieee_invalid_op 0
		.amdhsa_exception_fp_denorm_src 0
		.amdhsa_exception_fp_ieee_div_zero 0
		.amdhsa_exception_fp_ieee_overflow 0
		.amdhsa_exception_fp_ieee_underflow 0
		.amdhsa_exception_fp_ieee_inexact 0
		.amdhsa_exception_int_div_zero 0
	.end_amdhsa_kernel
	.section	.text._ZL32rocblas_gemvt_warp_reduce_kernelILb1ELi1024EiPK16rocblas_bfloat16fKPS0_EviiT3_lPKT2_lT1_lS8_lS9_lS5_lPT4_lS9_li,"axG",@progbits,_ZL32rocblas_gemvt_warp_reduce_kernelILb1ELi1024EiPK16rocblas_bfloat16fKPS0_EviiT3_lPKT2_lT1_lS8_lS9_lS5_lPT4_lS9_li,comdat
.Lfunc_end626:
	.size	_ZL32rocblas_gemvt_warp_reduce_kernelILb1ELi1024EiPK16rocblas_bfloat16fKPS0_EviiT3_lPKT2_lT1_lS8_lS9_lS5_lPT4_lS9_li, .Lfunc_end626-_ZL32rocblas_gemvt_warp_reduce_kernelILb1ELi1024EiPK16rocblas_bfloat16fKPS0_EviiT3_lPKT2_lT1_lS8_lS9_lS5_lPT4_lS9_li
                                        ; -- End function
	.section	.AMDGPU.csdata,"",@progbits
; Kernel info:
; codeLenInByte = 1940
; NumSgprs: 30
; NumVgprs: 14
; NumAgprs: 0
; TotalNumVgprs: 14
; ScratchSize: 0
; MemoryBound: 0
; FloatMode: 240
; IeeeMode: 1
; LDSByteSize: 256 bytes/workgroup (compile time only)
; SGPRBlocks: 3
; VGPRBlocks: 1
; NumSGPRsForWavesPerEU: 30
; NumVGPRsForWavesPerEU: 14
; AccumOffset: 16
; Occupancy: 8
; WaveLimiterHint : 1
; COMPUTE_PGM_RSRC2:SCRATCH_EN: 0
; COMPUTE_PGM_RSRC2:USER_SGPR: 2
; COMPUTE_PGM_RSRC2:TRAP_HANDLER: 0
; COMPUTE_PGM_RSRC2:TGID_X_EN: 1
; COMPUTE_PGM_RSRC2:TGID_Y_EN: 0
; COMPUTE_PGM_RSRC2:TGID_Z_EN: 1
; COMPUTE_PGM_RSRC2:TIDIG_COMP_CNT: 0
; COMPUTE_PGM_RSRC3_GFX90A:ACCUM_OFFSET: 3
; COMPUTE_PGM_RSRC3_GFX90A:TG_SPLIT: 0
	.section	.text._ZL32rocblas_gemvt_warp_reduce_kernelILb1ELi1024ElPK16rocblas_bfloat16fKPS0_EviiT3_lPKT2_lT1_lS8_lS9_lS5_lPT4_lS9_li,"axG",@progbits,_ZL32rocblas_gemvt_warp_reduce_kernelILb1ELi1024ElPK16rocblas_bfloat16fKPS0_EviiT3_lPKT2_lT1_lS8_lS9_lS5_lPT4_lS9_li,comdat
	.globl	_ZL32rocblas_gemvt_warp_reduce_kernelILb1ELi1024ElPK16rocblas_bfloat16fKPS0_EviiT3_lPKT2_lT1_lS8_lS9_lS5_lPT4_lS9_li ; -- Begin function _ZL32rocblas_gemvt_warp_reduce_kernelILb1ELi1024ElPK16rocblas_bfloat16fKPS0_EviiT3_lPKT2_lT1_lS8_lS9_lS5_lPT4_lS9_li
	.p2align	8
	.type	_ZL32rocblas_gemvt_warp_reduce_kernelILb1ELi1024ElPK16rocblas_bfloat16fKPS0_EviiT3_lPKT2_lT1_lS8_lS9_lS5_lPT4_lS9_li,@function
_ZL32rocblas_gemvt_warp_reduce_kernelILb1ELi1024ElPK16rocblas_bfloat16fKPS0_EviiT3_lPKT2_lT1_lS8_lS9_lS5_lPT4_lS9_li: ; @_ZL32rocblas_gemvt_warp_reduce_kernelILb1ELi1024ElPK16rocblas_bfloat16fKPS0_EviiT3_lPKT2_lT1_lS8_lS9_lS5_lPT4_lS9_li
; %bb.0:
	s_mov_b32 s20, s3
	s_load_dword s26, s[0:1], 0x8
	s_load_dword s3, s[0:1], 0x58
	s_waitcnt lgkmcnt(0)
	v_cmp_eq_f32_e64 s[16:17], s26, 0
	v_cmp_eq_f32_e64 s[4:5], s3, 1.0
	s_and_b64 s[4:5], s[16:17], s[4:5]
	s_and_b64 vcc, exec, s[4:5]
	s_cbranch_vccnz .LBB627_45
; %bb.1:
	s_load_dwordx4 s[4:7], s[0:1], 0x18
	s_load_dwordx2 s[14:15], s[0:1], 0x28
	v_cmp_neq_f32_e64 s[12:13], s26, 0
	s_mov_b32 s21, 0
	s_and_b64 vcc, exec, s[12:13]
	s_cbranch_vccnz .LBB627_3
; %bb.2:
	s_mov_b64 s[18:19], 0
	s_cbranch_execz .LBB627_4
	s_branch .LBB627_5
.LBB627_3:
                                        ; implicit-def: $sgpr18_sgpr19
.LBB627_4:
	s_lshl_b64 s[8:9], s[20:21], 3
	s_waitcnt lgkmcnt(0)
	s_add_u32 s4, s4, s8
	s_addc_u32 s5, s5, s9
	s_load_dwordx2 s[4:5], s[4:5], 0x0
	s_lshl_b64 s[6:7], s[6:7], 1
	s_waitcnt lgkmcnt(0)
	s_add_u32 s18, s4, s6
	s_addc_u32 s19, s5, s7
.LBB627_5:
	s_waitcnt lgkmcnt(0)
	s_load_dwordx4 s[4:7], s[0:1], 0x38
	s_load_dwordx2 s[10:11], s[0:1], 0x48
	s_mov_b64 s[8:9], 0
	s_andn2_b64 vcc, exec, s[12:13]
	s_mov_b64 s[12:13], 0
	s_cbranch_vccnz .LBB627_7
; %bb.6:
	s_lshl_b64 s[12:13], s[20:21], 3
	s_waitcnt lgkmcnt(0)
	s_add_u32 s4, s4, s12
	s_addc_u32 s5, s5, s13
	s_load_dwordx2 s[4:5], s[4:5], 0x0
	s_lshl_b64 s[6:7], s[6:7], 1
	s_waitcnt lgkmcnt(0)
	s_add_u32 s12, s4, s6
	s_addc_u32 s13, s5, s7
.LBB627_7:
	s_load_dwordx4 s[28:31], s[0:1], 0x68
	s_waitcnt lgkmcnt(0)
	s_load_dwordx2 s[6:7], s[0:1], 0x78
	s_lshl_b64 s[4:5], s[20:21], 3
	s_add_u32 s4, s28, s4
	s_addc_u32 s5, s29, s5
	s_load_dwordx2 s[4:5], s[4:5], 0x0
	s_lshl_b64 s[20:21], s[30:31], 1
	s_waitcnt lgkmcnt(0)
	s_add_u32 s24, s4, s20
	s_addc_u32 s25, s5, s21
	s_andn2_b64 vcc, exec, s[16:17]
	v_cmp_eq_u32_e64 s[4:5], 0, v0
	s_cbranch_vccnz .LBB627_12
; %bb.8:
	s_mov_b64 s[20:21], 0
                                        ; implicit-def: $sgpr27
                                        ; implicit-def: $sgpr16_sgpr17
	s_and_saveexec_b64 s[22:23], s[4:5]
	s_cbranch_execz .LBB627_20
; %bb.9:
	s_ashr_i32 s8, s2, 31
	s_mul_i32 s9, s2, s7
	s_mul_hi_u32 s16, s2, s6
	v_cmp_eq_f32_e64 s[4:5], s3, 0
	s_add_i32 s9, s16, s9
	s_mul_i32 s8, s8, s6
	s_mov_b32 s27, 0
	s_add_i32 s17, s9, s8
	s_mul_i32 s16, s2, s6
	s_and_b64 vcc, exec, s[4:5]
	s_cbranch_vccnz .LBB627_54
; %bb.10:
	s_lshl_b64 s[4:5], s[16:17], 1
	s_add_u32 s4, s24, s4
	s_addc_u32 s5, s25, s5
	v_mov_b32_e32 v1, 0
	global_load_ushort v1, v1, s[4:5]
	s_mov_b32 s4, 0x7f800000
	s_waitcnt vmcnt(0)
	v_lshlrev_b32_e32 v1, 16, v1
	v_mul_f32_e32 v1, s3, v1
	v_and_b32_e32 v2, 0x7f800000, v1
	v_cmp_eq_u32_e32 vcc, s4, v2
	v_readfirstlane_b32 s8, v1
	s_cbranch_vccnz .LBB627_50
; %bb.11:
	s_bfe_u32 s4, s8, 0x10010
	s_add_i32 s4, s8, s4
	s_add_i32 s9, s4, 0x7fff
	s_mov_b64 s[4:5], 0
	s_branch .LBB627_51
.LBB627_12:
                                        ; implicit-def: $sgpr27
                                        ; implicit-def: $sgpr16_sgpr17
	s_cbranch_execz .LBB627_55
.LBB627_13:
	s_load_dword s1, s[0:1], 0x0
	s_ashr_i32 s22, s2, 31
	s_mul_i32 s0, s2, s15
	s_mul_hi_u32 s4, s2, s14
	s_add_i32 s0, s4, s0
	s_mul_i32 s4, s22, s14
	s_add_i32 s5, s0, s4
	s_mul_i32 s4, s2, s14
	s_lshl_b64 s[4:5], s[4:5], 1
	s_add_u32 s4, s4, s18
	s_addc_u32 s5, s5, s19
	s_waitcnt lgkmcnt(0)
	s_ashr_i32 s0, s1, 31
	v_cmp_gt_i32_e32 vcc, s1, v0
	s_lshr_b32 s0, s0, 22
	s_add_i32 s0, s1, s0
	v_cndmask_b32_e32 v1, 0, v0, vcc
	v_mov_b32_e32 v3, 0
	v_lshlrev_b32_e32 v2, 1, v1
	s_and_b32 s0, s0, 0xfffffc00
	v_lshl_add_u64 v[4:5], s[4:5], 0, v[2:3]
	v_cmp_gt_i32_e32 vcc, s0, v0
	s_and_saveexec_b64 s[4:5], vcc
	s_cbranch_execz .LBB627_22
; %bb.14:
	v_mad_u64_u32 v[2:3], s[14:15], s10, v0, 0
	v_mov_b32_e32 v6, v3
	v_mad_u64_u32 v[6:7], s[14:15], s11, v0, v[6:7]
	v_mov_b32_e32 v3, v6
	v_lshl_add_u64 v[6:7], v[2:3], 1, s[12:13]
	s_lshl_b64 s[16:17], s[10:11], 11
	s_mov_b64 s[14:15], 0
	v_mov_b32_e32 v1, 0
	s_mov_b32 s23, 0x7f800000
	s_movk_i32 s27, 0x7fff
	s_mov_b64 s[18:19], 0x800
	v_mov_b64_e32 v[8:9], v[4:5]
	v_mov_b32_e32 v2, v0
	v_mov_b32_e32 v3, 0
	s_branch .LBB627_16
.LBB627_15:                             ;   in Loop: Header=BB627_16 Depth=1
	s_or_b64 exec, exec, s[20:21]
	v_add_u32_e32 v2, 0x400, v2
	v_and_b32_e32 v10, 0xffff0000, v12
	v_cmp_le_i32_e32 vcc, s0, v2
	v_add_f32_e32 v3, v3, v10
	v_lshl_add_u64 v[8:9], v[8:9], 0, s[18:19]
	s_or_b64 s[14:15], vcc, s[14:15]
	v_lshl_add_u64 v[6:7], v[6:7], 0, s[16:17]
	s_andn2_b64 exec, exec, s[14:15]
	s_cbranch_execz .LBB627_21
.LBB627_16:                             ; =>This Inner Loop Header: Depth=1
	flat_load_ushort v10, v[6:7]
	flat_load_ushort v11, v[8:9]
	s_waitcnt vmcnt(0) lgkmcnt(0)
	v_lshlrev_b32_e32 v10, 16, v10
	v_lshlrev_b32_e32 v12, 16, v11
	v_pk_mul_f32 v[10:11], v[10:11], v[12:13] op_sel_hi:[0,1]
	v_and_b32_e32 v11, 0x7f800000, v10
	v_cmp_ne_u32_e32 vcc, s23, v11
                                        ; implicit-def: $vgpr12
	s_and_saveexec_b64 s[20:21], vcc
	s_xor_b64 s[20:21], exec, s[20:21]
; %bb.17:                               ;   in Loop: Header=BB627_16 Depth=1
	v_bfe_u32 v11, v10, 16, 1
	v_add3_u32 v12, v10, v11, s27
                                        ; implicit-def: $vgpr10_vgpr11
; %bb.18:                               ;   in Loop: Header=BB627_16 Depth=1
	s_andn2_saveexec_b64 s[20:21], s[20:21]
	s_cbranch_execz .LBB627_15
; %bb.19:                               ;   in Loop: Header=BB627_16 Depth=1
	v_or_b32_e32 v11, 0x10000, v10
	v_cmp_eq_u32_sdwa vcc, v10, v1 src0_sel:WORD_0 src1_sel:DWORD
	s_nop 1
	v_cndmask_b32_e32 v12, v11, v10, vcc
	s_branch .LBB627_15
.LBB627_20:
	s_or_b64 exec, exec, s[22:23]
	s_and_b64 vcc, exec, s[20:21]
	s_cbranch_vccnz .LBB627_13
	s_branch .LBB627_55
.LBB627_21:
	s_or_b64 exec, exec, s[14:15]
.LBB627_22:
	s_or_b64 exec, exec, s[4:5]
	v_or_b32_e32 v1, s0, v0
	v_cmp_gt_i32_e32 vcc, s1, v1
	s_and_saveexec_b64 s[4:5], vcc
	s_cbranch_execz .LBB627_28
; %bb.23:
	s_ashr_i32 s1, s0, 31
	v_ashrrev_i32_e32 v2, 31, v1
	v_lshl_add_u64 v[4:5], s[0:1], 1, v[4:5]
	v_mul_lo_u32 v8, v1, s11
	v_mul_lo_u32 v2, v2, s10
	v_mad_u64_u32 v[6:7], s[0:1], v1, s10, 0
	v_add3_u32 v7, v7, v8, v2
	v_lshl_add_u64 v[6:7], v[6:7], 1, s[12:13]
	flat_load_ushort v1, v[4:5]
	flat_load_ushort v8, v[6:7]
	s_mov_b32 s0, 0x7f800000
	s_waitcnt vmcnt(0) lgkmcnt(0)
	v_lshlrev_b32_e32 v2, 16, v1
	v_lshlrev_b32_e32 v4, 16, v8
	v_pk_mul_f32 v[4:5], v[4:5], v[2:3] op_sel_hi:[0,1]
	v_and_b32_e32 v1, 0x7f800000, v4
	v_cmp_ne_u32_e32 vcc, s0, v1
                                        ; implicit-def: $vgpr1
	s_and_saveexec_b64 s[0:1], vcc
	s_xor_b64 s[0:1], exec, s[0:1]
; %bb.24:
	v_bfe_u32 v1, v4, 16, 1
	s_movk_i32 s10, 0x7fff
	v_add3_u32 v1, v4, v1, s10
                                        ; implicit-def: $vgpr4_vgpr5
; %bb.25:
	s_andn2_saveexec_b64 s[0:1], s[0:1]
; %bb.26:
	v_mov_b32_e32 v1, 0
	v_or_b32_e32 v2, 0x10000, v4
	v_cmp_eq_u32_sdwa vcc, v4, v1 src0_sel:WORD_0 src1_sel:DWORD
	s_nop 1
	v_cndmask_b32_e32 v1, v2, v4, vcc
; %bb.27:
	s_or_b64 exec, exec, s[0:1]
	v_and_b32_e32 v1, 0xffff0000, v1
	v_add_f32_e32 v3, v3, v1
.LBB627_28:
	s_or_b64 exec, exec, s[4:5]
	v_and_b32_e32 v2, 63, v0
	v_cmp_gt_u32_e32 vcc, 64, v0
	v_lshlrev_b32_e32 v1, 2, v2
	s_and_saveexec_b64 s[0:1], vcc
	s_cbranch_execz .LBB627_30
; %bb.29:
	v_mov_b32_e32 v4, 0
	ds_write_b32 v1, v4
.LBB627_30:
	s_or_b64 exec, exec, s[0:1]
	v_mbcnt_lo_u32_b32 v4, -1, 0
	v_mbcnt_hi_u32_b32 v6, -1, v4
	v_and_b32_e32 v7, 63, v6
	v_cmp_gt_u32_e64 s[0:1], 32, v7
	s_waitcnt lgkmcnt(0)
	s_barrier
	v_cndmask_b32_e64 v4, 0, 1, s[0:1]
	v_lshlrev_b32_e32 v4, 5, v4
	v_add_lshl_u32 v4, v4, v6, 2
	ds_bpermute_b32 v4, v4, v3
	v_cmp_gt_u32_e64 s[0:1], 48, v7
	s_waitcnt lgkmcnt(0)
	v_add_f32_e32 v3, v3, v4
	v_cndmask_b32_e64 v5, 0, 1, s[0:1]
	v_lshlrev_b32_e32 v5, 4, v5
	v_add_lshl_u32 v4, v5, v6, 2
	ds_bpermute_b32 v4, v4, v3
	v_cmp_gt_u32_e64 s[0:1], 56, v7
	s_waitcnt lgkmcnt(0)
	v_add_f32_e32 v4, v3, v4
	;; [unrolled: 7-line block ×4, first 2 shown]
	v_cndmask_b32_e64 v9, 0, 1, s[0:1]
	v_lshlrev_b32_e32 v9, 1, v9
	v_add_lshl_u32 v5, v9, v6, 2
	ds_bpermute_b32 v9, v5, v8
	v_cmp_ne_u32_e64 s[0:1], 63, v7
	s_waitcnt lgkmcnt(0)
	v_add_f32_e32 v7, v8, v9
	v_addc_co_u32_e64 v6, s[0:1], 0, v6, s[0:1]
	v_lshlrev_b32_e32 v6, 2, v6
	ds_bpermute_b32 v8, v6, v7
	v_cmp_eq_u32_e64 s[0:1], 0, v2
	s_and_saveexec_b64 s[4:5], s[0:1]
	s_cbranch_execz .LBB627_32
; %bb.31:
	v_lshrrev_b32_e32 v2, 4, v0
	v_and_b32_e32 v2, 60, v2
	s_waitcnt lgkmcnt(0)
	v_add_f32_e32 v7, v7, v8
	ds_write_b32 v2, v7
.LBB627_32:
	s_or_b64 exec, exec, s[4:5]
	v_cmp_gt_u32_e64 s[0:1], 16, v0
	v_mov_b32_e32 v2, 0
	s_waitcnt lgkmcnt(0)
	s_barrier
	s_and_saveexec_b64 s[4:5], s[0:1]
	s_cbranch_execz .LBB627_34
; %bb.33:
	ds_read_b32 v2, v1
	s_or_b64 exec, exec, s[4:5]
	s_and_saveexec_b64 s[0:1], vcc
	s_cbranch_execz .LBB627_36
	s_branch .LBB627_35
.LBB627_34:
	s_or_b64 exec, exec, s[4:5]
	s_and_saveexec_b64 s[0:1], vcc
	s_cbranch_execz .LBB627_36
.LBB627_35:
	s_waitcnt lgkmcnt(0)
	ds_bpermute_b32 v1, v3, v2
	s_waitcnt lgkmcnt(0)
	v_add_f32_e32 v1, v2, v1
	ds_bpermute_b32 v2, v4, v1
	s_waitcnt lgkmcnt(0)
	v_add_f32_e32 v1, v1, v2
	;; [unrolled: 3-line block ×4, first 2 shown]
.LBB627_36:
	s_or_b64 exec, exec, s[0:1]
	v_cmp_eq_u32_e32 vcc, 0, v0
                                        ; implicit-def: $vgpr1
                                        ; implicit-def: $sgpr16_sgpr17
	s_and_saveexec_b64 s[0:1], vcc
	s_cbranch_execz .LBB627_43
; %bb.37:
	v_cmp_eq_f32_e64 s[4:5], s3, 0
	s_waitcnt lgkmcnt(0)
	v_mul_f32_e32 v0, s26, v2
	s_and_b64 vcc, exec, s[4:5]
	s_cbranch_vccz .LBB627_46
; %bb.38:
	s_mov_b32 s4, 0x7f800000
	v_and_b32_e32 v1, 0x7f800000, v0
	v_cmp_ne_u32_e32 vcc, s4, v1
                                        ; implicit-def: $vgpr1
	s_and_saveexec_b64 s[4:5], vcc
	s_xor_b64 s[4:5], exec, s[4:5]
; %bb.39:
	v_bfe_u32 v1, v0, 16, 1
	s_movk_i32 s10, 0x7fff
	v_add3_u32 v1, v0, v1, s10
; %bb.40:
	s_andn2_saveexec_b64 s[4:5], s[4:5]
; %bb.41:
	v_mov_b32_e32 v1, 0
	v_or_b32_e32 v2, 0x10000, v0
	v_cmp_eq_u32_sdwa vcc, v0, v1 src0_sel:WORD_0 src1_sel:DWORD
	s_nop 1
	v_cndmask_b32_e32 v1, v2, v0, vcc
; %bb.42:
	s_or_b64 exec, exec, s[4:5]
	s_mov_b64 s[4:5], 0
	s_branch .LBB627_47
.LBB627_43:
	s_or_b64 exec, exec, s[0:1]
	s_and_saveexec_b64 s[0:1], s[8:9]
	s_cbranch_execz .LBB627_45
.LBB627_44:
	s_lshl_b64 s[0:1], s[16:17], 1
	s_add_u32 s0, s24, s0
	s_addc_u32 s1, s25, s1
	v_mov_b32_e32 v0, 0
	global_store_short v0, v1, s[0:1]
.LBB627_45:
	s_endpgm
.LBB627_46:
	s_mov_b64 s[4:5], -1
                                        ; implicit-def: $vgpr1
.LBB627_47:
	s_andn2_b64 vcc, exec, s[4:5]
	s_mul_i32 s4, s2, s7
	s_mul_hi_u32 s5, s2, s6
	s_mul_i32 s7, s22, s6
	s_mul_i32 s16, s2, s6
	s_cbranch_vccnz .LBB627_64
; %bb.48:
	s_add_i32 s2, s5, s4
	s_add_i32 s17, s2, s7
	s_lshl_b64 s[10:11], s[16:17], 1
	s_add_u32 s10, s24, s10
	s_addc_u32 s11, s25, s11
	v_mov_b32_e32 v1, 0
	global_load_ushort v1, v1, s[10:11]
	s_mov_b32 s2, 0x7f800000
	s_waitcnt vmcnt(0)
	v_lshlrev_b32_e32 v1, 16, v1
	v_mul_f32_e32 v1, s3, v1
	v_and_b32_e32 v2, 0x7f800000, v1
	v_cmp_eq_u32_e32 vcc, s2, v2
	v_readfirstlane_b32 s6, v1
	s_cbranch_vccnz .LBB627_56
; %bb.49:
	s_bfe_u32 s2, s6, 0x10010
	s_add_i32 s2, s6, s2
	s_add_i32 s10, s2, 0x7fff
	s_mov_b64 s[2:3], 0
	s_branch .LBB627_57
.LBB627_50:
	s_mov_b64 s[4:5], -1
                                        ; implicit-def: $sgpr9
.LBB627_51:
	s_andn2_b64 vcc, exec, s[4:5]
	s_cbranch_vccnz .LBB627_53
; %bb.52:
	s_and_b32 s4, s8, 0xffff
	s_or_b32 s5, s8, 0x10000
	s_cmp_eq_u32 s4, 0
	s_cselect_b32 s9, s8, s5
.LBB627_53:
	s_lshr_b32 s27, s9, 16
.LBB627_54:
	s_mov_b64 s[8:9], exec
	s_or_b64 exec, exec, s[22:23]
	s_and_b64 vcc, exec, s[20:21]
	s_cbranch_vccnz .LBB627_13
.LBB627_55:
	v_mov_b32_e32 v1, s27
	s_and_saveexec_b64 s[0:1], s[8:9]
	s_cbranch_execnz .LBB627_44
	s_branch .LBB627_45
.LBB627_56:
	s_mov_b64 s[2:3], -1
                                        ; implicit-def: $sgpr10
.LBB627_57:
	s_andn2_b64 vcc, exec, s[2:3]
	s_cbranch_vccnz .LBB627_59
; %bb.58:
	s_and_b32 s2, s6, 0xffff
	s_or_b32 s3, s6, 0x10000
	s_cmp_eq_u32 s2, 0
	s_cselect_b32 s10, s6, s3
.LBB627_59:
	s_and_b32 s2, s10, 0xffff0000
	v_add_f32_e32 v0, s2, v0
	s_mov_b32 s2, 0x7f800000
	v_and_b32_e32 v1, 0x7f800000, v0
	v_cmp_ne_u32_e32 vcc, s2, v1
                                        ; implicit-def: $vgpr1
	s_and_saveexec_b64 s[2:3], vcc
	s_xor_b64 s[2:3], exec, s[2:3]
; %bb.60:
	v_bfe_u32 v1, v0, 16, 1
	s_movk_i32 s6, 0x7fff
	v_add3_u32 v1, v0, v1, s6
                                        ; implicit-def: $vgpr0
; %bb.61:
	s_andn2_saveexec_b64 s[2:3], s[2:3]
; %bb.62:
	v_mov_b32_e32 v1, 0
	v_or_b32_e32 v2, 0x10000, v0
	v_cmp_eq_u32_sdwa vcc, v0, v1 src0_sel:WORD_0 src1_sel:DWORD
	s_nop 1
	v_cndmask_b32_e32 v1, v2, v0, vcc
; %bb.63:
	s_or_b64 exec, exec, s[2:3]
.LBB627_64:
	s_add_i32 s2, s5, s4
	v_lshrrev_b32_e32 v1, 16, v1
	s_add_i32 s17, s2, s7
	s_or_b64 s[8:9], s[8:9], exec
	s_or_b64 exec, exec, s[0:1]
	s_and_saveexec_b64 s[0:1], s[8:9]
	s_cbranch_execnz .LBB627_44
	s_branch .LBB627_45
	.section	.rodata,"a",@progbits
	.p2align	6, 0x0
	.amdhsa_kernel _ZL32rocblas_gemvt_warp_reduce_kernelILb1ELi1024ElPK16rocblas_bfloat16fKPS0_EviiT3_lPKT2_lT1_lS8_lS9_lS5_lPT4_lS9_li
		.amdhsa_group_segment_fixed_size 256
		.amdhsa_private_segment_fixed_size 0
		.amdhsa_kernarg_size 140
		.amdhsa_user_sgpr_count 2
		.amdhsa_user_sgpr_dispatch_ptr 0
		.amdhsa_user_sgpr_queue_ptr 0
		.amdhsa_user_sgpr_kernarg_segment_ptr 1
		.amdhsa_user_sgpr_dispatch_id 0
		.amdhsa_user_sgpr_kernarg_preload_length 0
		.amdhsa_user_sgpr_kernarg_preload_offset 0
		.amdhsa_user_sgpr_private_segment_size 0
		.amdhsa_uses_dynamic_stack 0
		.amdhsa_enable_private_segment 0
		.amdhsa_system_sgpr_workgroup_id_x 1
		.amdhsa_system_sgpr_workgroup_id_y 0
		.amdhsa_system_sgpr_workgroup_id_z 1
		.amdhsa_system_sgpr_workgroup_info 0
		.amdhsa_system_vgpr_workitem_id 0
		.amdhsa_next_free_vgpr 14
		.amdhsa_next_free_sgpr 32
		.amdhsa_accum_offset 16
		.amdhsa_reserve_vcc 1
		.amdhsa_float_round_mode_32 0
		.amdhsa_float_round_mode_16_64 0
		.amdhsa_float_denorm_mode_32 3
		.amdhsa_float_denorm_mode_16_64 3
		.amdhsa_dx10_clamp 1
		.amdhsa_ieee_mode 1
		.amdhsa_fp16_overflow 0
		.amdhsa_tg_split 0
		.amdhsa_exception_fp_ieee_invalid_op 0
		.amdhsa_exception_fp_denorm_src 0
		.amdhsa_exception_fp_ieee_div_zero 0
		.amdhsa_exception_fp_ieee_overflow 0
		.amdhsa_exception_fp_ieee_underflow 0
		.amdhsa_exception_fp_ieee_inexact 0
		.amdhsa_exception_int_div_zero 0
	.end_amdhsa_kernel
	.section	.text._ZL32rocblas_gemvt_warp_reduce_kernelILb1ELi1024ElPK16rocblas_bfloat16fKPS0_EviiT3_lPKT2_lT1_lS8_lS9_lS5_lPT4_lS9_li,"axG",@progbits,_ZL32rocblas_gemvt_warp_reduce_kernelILb1ELi1024ElPK16rocblas_bfloat16fKPS0_EviiT3_lPKT2_lT1_lS8_lS9_lS5_lPT4_lS9_li,comdat
.Lfunc_end627:
	.size	_ZL32rocblas_gemvt_warp_reduce_kernelILb1ELi1024ElPK16rocblas_bfloat16fKPS0_EviiT3_lPKT2_lT1_lS8_lS9_lS5_lPT4_lS9_li, .Lfunc_end627-_ZL32rocblas_gemvt_warp_reduce_kernelILb1ELi1024ElPK16rocblas_bfloat16fKPS0_EviiT3_lPKT2_lT1_lS8_lS9_lS5_lPT4_lS9_li
                                        ; -- End function
	.section	.AMDGPU.csdata,"",@progbits
; Kernel info:
; codeLenInByte = 2052
; NumSgprs: 38
; NumVgprs: 14
; NumAgprs: 0
; TotalNumVgprs: 14
; ScratchSize: 0
; MemoryBound: 0
; FloatMode: 240
; IeeeMode: 1
; LDSByteSize: 256 bytes/workgroup (compile time only)
; SGPRBlocks: 4
; VGPRBlocks: 1
; NumSGPRsForWavesPerEU: 38
; NumVGPRsForWavesPerEU: 14
; AccumOffset: 16
; Occupancy: 8
; WaveLimiterHint : 1
; COMPUTE_PGM_RSRC2:SCRATCH_EN: 0
; COMPUTE_PGM_RSRC2:USER_SGPR: 2
; COMPUTE_PGM_RSRC2:TRAP_HANDLER: 0
; COMPUTE_PGM_RSRC2:TGID_X_EN: 1
; COMPUTE_PGM_RSRC2:TGID_Y_EN: 0
; COMPUTE_PGM_RSRC2:TGID_Z_EN: 1
; COMPUTE_PGM_RSRC2:TIDIG_COMP_CNT: 0
; COMPUTE_PGM_RSRC3_GFX90A:ACCUM_OFFSET: 3
; COMPUTE_PGM_RSRC3_GFX90A:TG_SPLIT: 0
	.section	.text._ZL34rocblas_gemvn_sm_mn_batched_kernelILi32ELi24E16rocblas_bfloat16PKffEviiT2_lPKT1_lilS6_lilS3_lPT3_lili,"axG",@progbits,_ZL34rocblas_gemvn_sm_mn_batched_kernelILi32ELi24E16rocblas_bfloat16PKffEviiT2_lPKT1_lilS6_lilS3_lPT3_lili,comdat
	.globl	_ZL34rocblas_gemvn_sm_mn_batched_kernelILi32ELi24E16rocblas_bfloat16PKffEviiT2_lPKT1_lilS6_lilS3_lPT3_lili ; -- Begin function _ZL34rocblas_gemvn_sm_mn_batched_kernelILi32ELi24E16rocblas_bfloat16PKffEviiT2_lPKT1_lilS6_lilS3_lPT3_lili
	.p2align	8
	.type	_ZL34rocblas_gemvn_sm_mn_batched_kernelILi32ELi24E16rocblas_bfloat16PKffEviiT2_lPKT1_lilS6_lilS3_lPT3_lili,@function
_ZL34rocblas_gemvn_sm_mn_batched_kernelILi32ELi24E16rocblas_bfloat16PKffEviiT2_lPKT1_lilS6_lilS3_lPT3_lili: ; @_ZL34rocblas_gemvn_sm_mn_batched_kernelILi32ELi24E16rocblas_bfloat16PKffEviiT2_lPKT1_lilS6_lilS3_lPT3_lili
; %bb.0:
	s_load_dword s3, s[0:1], 0x9c
	s_load_dword s4, s[0:1], 0x88
	v_bfe_u32 v7, v0, 10, 10
	s_waitcnt lgkmcnt(0)
	s_lshr_b32 s3, s3, 16
	s_mul_i32 s2, s2, s3
	v_add_u32_e32 v4, s2, v7
	v_cmp_gt_i32_e32 vcc, s4, v4
	s_and_saveexec_b64 s[2:3], vcc
	s_cbranch_execz .LBB628_121
; %bb.1:
	s_load_dwordx8 s[4:11], s[0:1], 0x8
	s_load_dwordx8 s[12:19], s[0:1], 0x50
	s_waitcnt lgkmcnt(0)
	v_mad_u64_u32 v[10:11], s[2:3], v4, s6, 0
	v_mov_b32_e32 v6, v11
	v_mad_u64_u32 v[12:13], s[2:3], v4, s7, v[6:7]
	v_mov_b32_e32 v2, s4
	v_mov_b32_e32 v3, s5
	;; [unrolled: 1-line block ×3, first 2 shown]
	v_lshl_add_u64 v[2:3], v[10:11], 2, v[2:3]
	global_load_dword v1, v[2:3], off
	v_mad_u64_u32 v[2:3], s[2:3], v4, s16, 0
	v_mov_b32_e32 v6, v3
	v_mad_u64_u32 v[10:11], s[2:3], v4, s17, v[6:7]
	v_mov_b32_e32 v8, s14
	v_mov_b32_e32 v9, s15
	;; [unrolled: 1-line block ×3, first 2 shown]
	v_lshl_add_u64 v[2:3], v[2:3], 2, v[8:9]
	global_load_dword v5, v[2:3], off
	s_waitcnt vmcnt(1)
	v_cmp_neq_f32_e32 vcc, 0, v1
	s_waitcnt vmcnt(0)
	v_cmp_neq_f32_e64 s[2:3], 1.0, v5
	s_or_b64 s[2:3], vcc, s[2:3]
	s_and_b64 exec, exec, s[2:3]
	s_cbranch_execz .LBB628_121
; %bb.2:
	s_load_dwordx2 s[2:3], s[0:1], 0x80
	s_load_dword s33, s[0:1], 0x78
	s_load_dwordx2 s[4:5], s[0:1], 0x70
	s_load_dwordx2 s[14:15], s[0:1], 0x0
	v_cmp_eq_f32_e32 vcc, 0, v1
	s_waitcnt lgkmcnt(0)
	v_mad_u64_u32 v[2:3], s[6:7], v4, s2, 0
	v_mov_b32_e32 v6, v3
	v_mad_u64_u32 v[8:9], s[2:3], v4, s3, v[6:7]
	s_lshl_b64 s[2:3], s[4:5], 2
	s_add_u32 s2, s2, s18
	v_mov_b32_e32 v3, v8
	s_addc_u32 s3, s3, s19
	v_lshl_add_u64 v[2:3], v[2:3], 2, s[2:3]
	v_and_b32_e32 v6, 0x3ff, v0
	s_and_saveexec_b64 s[2:3], vcc
	s_xor_b64 s[4:5], exec, s[2:3]
	s_cbranch_execz .LBB628_12
; %bb.3:
	v_cmp_eq_f32_e64 s[2:3], 0, v5
	v_cmp_gt_i32_e32 vcc, s14, v6
	s_and_saveexec_b64 s[6:7], s[2:3]
	s_xor_b64 s[2:3], exec, s[6:7]
	s_cbranch_execz .LBB628_7
; %bb.4:
	s_and_saveexec_b64 s[6:7], vcc
	s_cbranch_execz .LBB628_6
; %bb.5:
	v_mad_i64_i32 v[0:1], s[16:17], s33, v6, 0
	v_lshl_add_u64 v[0:1], v[0:1], 2, v[2:3]
	v_mov_b32_e32 v2, 0
	global_store_dword v[0:1], v2, off
.LBB628_6:
	s_or_b64 exec, exec, s[6:7]
                                        ; implicit-def: $vgpr6
                                        ; implicit-def: $vgpr2_vgpr3
                                        ; implicit-def: $vgpr5
.LBB628_7:
	s_andn2_saveexec_b64 s[2:3], s[2:3]
	s_cbranch_execz .LBB628_11
; %bb.8:
	s_and_saveexec_b64 s[6:7], vcc
	s_cbranch_execz .LBB628_10
; %bb.9:
	v_mad_i64_i32 v[0:1], s[16:17], s33, v6, 0
	v_lshl_add_u64 v[0:1], v[0:1], 2, v[2:3]
	global_load_dword v2, v[0:1], off
	s_waitcnt vmcnt(0)
	v_mul_f32_e32 v2, v5, v2
	global_store_dword v[0:1], v2, off
.LBB628_10:
	s_or_b64 exec, exec, s[6:7]
.LBB628_11:
	s_or_b64 exec, exec, s[2:3]
                                        ; implicit-def: $vgpr6
                                        ; implicit-def: $vgpr2_vgpr3
                                        ; implicit-def: $vgpr7
                                        ; implicit-def: $vgpr4
                                        ; implicit-def: $vgpr1
                                        ; implicit-def: $vgpr5
.LBB628_12:
	s_andn2_saveexec_b64 s[2:3], s[4:5]
	s_cbranch_execz .LBB628_121
; %bb.13:
	s_load_dwordx4 s[4:7], s[0:1], 0x30
	s_load_dwordx2 s[16:17], s[0:1], 0x40
	v_lshlrev_b32_e32 v7, 7, v7
	v_cmp_gt_i32_e32 vcc, s15, v6
	s_and_saveexec_b64 s[2:3], vcc
	s_cbranch_execz .LBB628_19
; %bb.14:
	v_mad_u64_u32 v[8:9], s[18:19], v4, s12, 0
	v_mov_b32_e32 v0, v9
	v_mad_u64_u32 v[10:11], s[12:13], v4, s13, v[0:1]
	s_waitcnt lgkmcnt(0)
	s_lshl_b64 s[12:13], s[16:17], 1
	s_load_dword s16, s[0:1], 0x48
	s_add_u32 s6, s12, s6
	v_mov_b32_e32 v9, v10
	s_addc_u32 s7, s13, s7
	v_lshl_add_u64 v[8:9], v[8:9], 1, s[6:7]
	s_waitcnt lgkmcnt(0)
	v_mad_i64_i32 v[10:11], s[6:7], s16, v6, 0
	v_lshl_add_u64 v[8:9], v[10:11], 1, v[8:9]
	global_load_ushort v0, v[8:9], off
	s_mov_b32 s6, 0x7f800000
	s_waitcnt vmcnt(0)
	v_lshlrev_b32_e32 v0, 16, v0
	v_mul_f32_e32 v0, v1, v0
	v_and_b32_e32 v1, 0x7f800000, v0
	v_cmp_ne_u32_e32 vcc, s6, v1
                                        ; implicit-def: $vgpr1
	s_and_saveexec_b64 s[6:7], vcc
	s_xor_b64 s[6:7], exec, s[6:7]
; %bb.15:
	v_bfe_u32 v1, v0, 16, 1
	s_movk_i32 s12, 0x7fff
	v_add3_u32 v1, v0, v1, s12
                                        ; implicit-def: $vgpr0
; %bb.16:
	s_andn2_saveexec_b64 s[6:7], s[6:7]
; %bb.17:
	v_mov_b32_e32 v1, 0
	v_or_b32_e32 v8, 0x10000, v0
	v_cmp_eq_u32_sdwa vcc, v0, v1 src0_sel:WORD_0 src1_sel:DWORD
	s_nop 1
	v_cndmask_b32_e32 v1, v8, v0, vcc
; %bb.18:
	s_or_b64 exec, exec, s[6:7]
	v_and_b32_e32 v0, 0xffff0000, v1
	v_lshl_add_u32 v1, v6, 2, v7
	ds_write_b32 v1, v0
.LBB628_19:
	s_or_b64 exec, exec, s[2:3]
	v_cmp_gt_i32_e32 vcc, s14, v6
	s_waitcnt lgkmcnt(0)
	s_barrier
	s_and_saveexec_b64 s[2:3], vcc
	s_cbranch_execz .LBB628_121
; %bb.20:
	v_cmp_neq_f32_e32 vcc, 0, v5
	v_mov_b32_e32 v1, 0
	v_mov_b32_e32 v8, 0
	s_and_saveexec_b64 s[2:3], vcc
	s_cbranch_execz .LBB628_22
; %bb.21:
	v_mad_i64_i32 v[8:9], s[6:7], s33, v6, 0
	v_lshl_add_u64 v[8:9], v[8:9], 2, v[2:3]
	global_load_dword v0, v[8:9], off
	s_waitcnt vmcnt(0)
	v_mul_f32_e32 v8, v5, v0
.LBB628_22:
	s_or_b64 exec, exec, s[2:3]
	v_mad_u64_u32 v[10:11], s[2:3], v4, s4, 0
	v_mov_b32_e32 v0, v11
	v_mad_u64_u32 v[4:5], s[2:3], v4, s5, v[0:1]
	s_lshl_b64 s[2:3], s[10:11], 1
	s_add_u32 s2, s2, s8
	v_mov_b32_e32 v11, v4
	s_addc_u32 s3, s3, s9
	v_lshl_add_u64 v[4:5], v[10:11], 1, s[2:3]
	v_lshlrev_b32_e32 v0, 1, v6
	s_cmp_gt_i32 s15, 0
	s_cselect_b64 s[2:3], -1, 0
	s_cmp_lt_i32 s15, 1
	v_lshl_add_u64 v[4:5], v[4:5], 0, v[0:1]
	s_cbranch_scc1 .LBB628_24
; %bb.23:
	global_load_ushort v0, v[4:5], off
	s_waitcnt vmcnt(0)
	v_lshlrev_b32_e32 v1, 16, v0
.LBB628_24:
	s_load_dword s36, s[0:1], 0x28
	v_mov_b32_e32 v0, 0
	v_mov_b32_e32 v15, 0
	s_waitcnt lgkmcnt(0)
	s_ashr_i32 s37, s36, 31
	s_cmp_gt_i32 s15, 1
	s_cselect_b64 s[0:1], -1, 0
	s_cmp_lt_i32 s15, 2
	s_cbranch_scc1 .LBB628_26
; %bb.25:
	v_lshl_add_u64 v[10:11], s[36:37], 1, v[4:5]
	global_load_ushort v9, v[10:11], off
	s_waitcnt vmcnt(0)
	v_lshlrev_b32_e32 v15, 16, v9
.LBB628_26:
	s_cmp_gt_i32 s15, 2
	s_cselect_b64 s[4:5], -1, 0
	s_cmp_lt_i32 s15, 3
	s_cbranch_scc1 .LBB628_28
; %bb.27:
	v_lshl_add_u64 v[10:11], s[36:37], 2, v[4:5]
	global_load_ushort v0, v[10:11], off
	s_waitcnt vmcnt(0)
	v_lshlrev_b32_e32 v0, 16, v0
.LBB628_28:
	s_cmp_gt_i32 s15, 3
	s_cselect_b64 s[6:7], -1, 0
	s_cmp_lt_i32 s15, 4
	v_mov_b32_e32 v9, 0
	v_mov_b32_e32 v16, 0
	s_cbranch_scc1 .LBB628_30
; %bb.29:
	v_mad_i64_i32 v[10:11], s[8:9], s36, 6, v[4:5]
	global_load_ushort v10, v[10:11], off
	s_waitcnt vmcnt(0)
	v_lshlrev_b32_e32 v16, 16, v10
.LBB628_30:
	s_cmp_gt_i32 s15, 4
	s_cselect_b64 s[8:9], -1, 0
	s_cmp_lt_i32 s15, 5
	s_cbranch_scc1 .LBB628_32
; %bb.31:
	v_lshl_add_u64 v[10:11], s[36:37], 3, v[4:5]
	global_load_ushort v9, v[10:11], off
	s_waitcnt vmcnt(0)
	v_lshlrev_b32_e32 v9, 16, v9
.LBB628_32:
	s_cmp_gt_i32 s15, 5
	s_cselect_b64 s[10:11], -1, 0
	s_cmp_lt_i32 s15, 6
	v_mov_b32_e32 v10, 0
	v_mov_b32_e32 v18, 0
	s_cbranch_scc1 .LBB628_34
; %bb.33:
	v_mad_i64_i32 v[12:13], s[12:13], s36, 10, v[4:5]
	global_load_ushort v11, v[12:13], off
	s_waitcnt vmcnt(0)
	v_lshlrev_b32_e32 v18, 16, v11
.LBB628_34:
	s_cmp_gt_i32 s15, 6
	s_cselect_b64 s[12:13], -1, 0
	s_cmp_lt_i32 s15, 7
	s_cbranch_scc1 .LBB628_36
; %bb.35:
	v_mad_i64_i32 v[10:11], s[16:17], s36, 12, v[4:5]
	global_load_ushort v10, v[10:11], off
	s_waitcnt vmcnt(0)
	v_lshlrev_b32_e32 v10, 16, v10
.LBB628_36:
	s_cmp_gt_i32 s15, 7
	s_cselect_b64 s[16:17], -1, 0
	s_cmp_lt_i32 s15, 8
	v_mov_b32_e32 v11, 0
	v_mov_b32_e32 v20, 0
	s_cbranch_scc1 .LBB628_38
; %bb.37:
	v_mad_i64_i32 v[12:13], s[18:19], s36, 14, v[4:5]
	global_load_ushort v12, v[12:13], off
	s_waitcnt vmcnt(0)
	v_lshlrev_b32_e32 v20, 16, v12
.LBB628_38:
	s_cmp_gt_i32 s15, 8
	s_cselect_b64 s[18:19], -1, 0
	s_cmp_lt_i32 s15, 9
	s_cbranch_scc1 .LBB628_40
; %bb.39:
	v_lshl_add_u64 v[12:13], s[36:37], 4, v[4:5]
	global_load_ushort v11, v[12:13], off
	s_waitcnt vmcnt(0)
	v_lshlrev_b32_e32 v11, 16, v11
.LBB628_40:
	s_cmp_gt_i32 s15, 9
	s_cselect_b64 s[20:21], -1, 0
	s_cmp_lt_i32 s15, 10
	v_mov_b32_e32 v12, 0
	v_mov_b32_e32 v22, 0
	s_cbranch_scc1 .LBB628_42
; %bb.41:
	v_mad_i64_i32 v[22:23], s[22:23], s36, 18, v[4:5]
	global_load_ushort v13, v[22:23], off
	s_waitcnt vmcnt(0)
	v_lshlrev_b32_e32 v22, 16, v13
.LBB628_42:
	s_cmp_gt_i32 s15, 10
	s_cselect_b64 s[22:23], -1, 0
	s_cmp_lt_i32 s15, 11
	s_cbranch_scc1 .LBB628_44
; %bb.43:
	v_mad_i64_i32 v[12:13], s[24:25], s36, 20, v[4:5]
	global_load_ushort v12, v[12:13], off
	s_waitcnt vmcnt(0)
	v_lshlrev_b32_e32 v12, 16, v12
.LBB628_44:
	s_cmp_gt_i32 s15, 11
	s_cselect_b64 s[24:25], -1, 0
	s_cmp_lt_i32 s15, 12
	v_mov_b32_e32 v13, 0
	v_mov_b32_e32 v24, 0
	s_cbranch_scc1 .LBB628_46
; %bb.45:
	v_mad_i64_i32 v[24:25], s[26:27], s36, 22, v[4:5]
	global_load_ushort v14, v[24:25], off
	s_waitcnt vmcnt(0)
	v_lshlrev_b32_e32 v24, 16, v14
.LBB628_46:
	s_cmp_gt_i32 s15, 12
	s_cselect_b64 s[26:27], -1, 0
	s_cmp_lt_i32 s15, 13
	s_cbranch_scc1 .LBB628_48
; %bb.47:
	v_mad_i64_i32 v[26:27], s[28:29], s36, 24, v[4:5]
	global_load_ushort v13, v[26:27], off
	s_waitcnt vmcnt(0)
	v_lshlrev_b32_e32 v13, 16, v13
.LBB628_48:
	;; [unrolled: 22-line block ×3, first 2 shown]
	s_cmp_gt_i32 s15, 15
	s_cselect_b64 s[34:35], -1, 0
	s_cmp_lt_i32 s15, 16
	v_mov_b32_e32 v17, 0
	v_mov_b32_e32 v28, 0
	s_cbranch_scc1 .LBB628_54
; %bb.53:
	v_mad_i64_i32 v[28:29], s[38:39], s36, 30, v[4:5]
	global_load_ushort v19, v[28:29], off
	s_waitcnt vmcnt(0)
	v_lshlrev_b32_e32 v28, 16, v19
.LBB628_54:
	s_cmp_gt_i32 s15, 16
	s_cselect_b64 s[38:39], -1, 0
	s_cmp_lt_i32 s15, 17
	s_cbranch_scc1 .LBB628_56
; %bb.55:
	s_lshl_b64 s[40:41], s[36:37], 5
	v_lshl_add_u64 v[30:31], v[4:5], 0, s[40:41]
	global_load_ushort v17, v[30:31], off
	s_waitcnt vmcnt(0)
	v_lshlrev_b32_e32 v17, 16, v17
.LBB628_56:
	s_cmp_gt_i32 s15, 17
	s_cselect_b64 s[40:41], -1, 0
	s_cmp_lt_i32 s15, 18
	v_mov_b32_e32 v19, 0
	v_mov_b32_e32 v31, 0
	s_cbranch_scc1 .LBB628_58
; %bb.57:
	v_mad_i64_i32 v[30:31], s[42:43], s36, 34, v[4:5]
	global_load_ushort v21, v[30:31], off
	s_waitcnt vmcnt(0)
	v_lshlrev_b32_e32 v31, 16, v21
.LBB628_58:
	s_cmp_gt_i32 s15, 18
	s_cselect_b64 s[42:43], -1, 0
	s_cmp_lt_i32 s15, 19
	s_cbranch_scc1 .LBB628_60
; %bb.59:
	v_mad_i64_i32 v[32:33], s[44:45], s36, 36, v[4:5]
	global_load_ushort v19, v[32:33], off
	s_waitcnt vmcnt(0)
	v_lshlrev_b32_e32 v19, 16, v19
.LBB628_60:
	s_cmp_gt_i32 s15, 19
	s_cselect_b64 s[44:45], -1, 0
	s_cmp_lt_i32 s15, 20
	v_mov_b32_e32 v21, 0
	v_mov_b32_e32 v32, 0
	s_cbranch_scc1 .LBB628_62
; %bb.61:
	v_mad_i64_i32 v[32:33], s[46:47], s36, 38, v[4:5]
	global_load_ushort v23, v[32:33], off
	s_waitcnt vmcnt(0)
	v_lshlrev_b32_e32 v32, 16, v23
.LBB628_62:
	s_cmp_gt_i32 s15, 20
	s_cselect_b64 s[46:47], -1, 0
	s_cmp_lt_i32 s15, 21
	s_cbranch_scc1 .LBB628_64
; %bb.63:
	v_mad_i64_i32 v[34:35], s[48:49], s36, 40, v[4:5]
	global_load_ushort v21, v[34:35], off
	s_waitcnt vmcnt(0)
	v_lshlrev_b32_e32 v21, 16, v21
.LBB628_64:
	;; [unrolled: 22-line block ×7, first 2 shown]
	s_cmp_gt_i32 s15, 31
	s_cselect_b64 s[68:69], -1, 0
	s_cmp_lt_i32 s15, 32
	v_mov_b32_e32 v36, 0
	v_mov_b32_e32 v39, 0
	s_cbranch_scc1 .LBB628_86
; %bb.85:
	v_mad_i64_i32 v[4:5], s[14:15], s36, 62, v[4:5]
	global_load_ushort v4, v[4:5], off
	s_waitcnt vmcnt(0)
	v_lshlrev_b32_e32 v39, 16, v4
.LBB628_86:
	s_andn2_b64 vcc, exec, s[2:3]
	s_cbranch_vccnz .LBB628_88
; %bb.87:
	ds_read_b32 v4, v7
	s_waitcnt lgkmcnt(0)
	v_mul_f32_e32 v36, v1, v4
.LBB628_88:
	s_andn2_b64 vcc, exec, s[0:1]
	v_mov_b32_e32 v1, 0
	v_mov_b32_e32 v4, 0
	s_cbranch_vccz .LBB628_122
; %bb.89:
	s_andn2_b64 vcc, exec, s[4:5]
	s_cbranch_vccz .LBB628_123
.LBB628_90:
	s_andn2_b64 vcc, exec, s[6:7]
	v_mov_b32_e32 v0, 0
	v_mov_b32_e32 v5, 0
	s_cbranch_vccz .LBB628_124
.LBB628_91:
	s_andn2_b64 vcc, exec, s[8:9]
	s_cbranch_vccz .LBB628_125
.LBB628_92:
	s_andn2_b64 vcc, exec, s[10:11]
	v_mov_b32_e32 v9, 0
	v_mov_b32_e32 v15, 0
	s_cbranch_vccz .LBB628_126
.LBB628_93:
	s_andn2_b64 vcc, exec, s[12:13]
	s_cbranch_vccz .LBB628_127
.LBB628_94:
	s_andn2_b64 vcc, exec, s[16:17]
	v_mov_b32_e32 v10, 0
	v_mov_b32_e32 v16, 0
	s_cbranch_vccz .LBB628_128
.LBB628_95:
	s_andn2_b64 vcc, exec, s[18:19]
	s_cbranch_vccz .LBB628_129
.LBB628_96:
	s_andn2_b64 vcc, exec, s[20:21]
	v_mov_b32_e32 v11, 0
	v_mov_b32_e32 v18, 0
	s_cbranch_vccz .LBB628_130
.LBB628_97:
	s_andn2_b64 vcc, exec, s[22:23]
	s_cbranch_vccz .LBB628_131
.LBB628_98:
	s_andn2_b64 vcc, exec, s[24:25]
	v_mov_b32_e32 v12, 0
	v_mov_b32_e32 v20, 0
	s_cbranch_vccz .LBB628_132
.LBB628_99:
	s_andn2_b64 vcc, exec, s[26:27]
	s_cbranch_vccz .LBB628_133
.LBB628_100:
	s_andn2_b64 vcc, exec, s[28:29]
	v_mov_b32_e32 v13, 0
	v_mov_b32_e32 v22, 0
	s_cbranch_vccz .LBB628_134
.LBB628_101:
	s_andn2_b64 vcc, exec, s[30:31]
	s_cbranch_vccz .LBB628_135
.LBB628_102:
	s_andn2_b64 vcc, exec, s[34:35]
	v_mov_b32_e32 v14, 0
	v_mov_b32_e32 v24, 0
	s_cbranch_vccz .LBB628_136
.LBB628_103:
	s_andn2_b64 vcc, exec, s[38:39]
	s_cbranch_vccz .LBB628_137
.LBB628_104:
	s_andn2_b64 vcc, exec, s[40:41]
	v_mov_b32_e32 v17, 0
	v_mov_b32_e32 v26, 0
	s_cbranch_vccz .LBB628_138
.LBB628_105:
	s_andn2_b64 vcc, exec, s[42:43]
	s_cbranch_vccz .LBB628_139
.LBB628_106:
	s_andn2_b64 vcc, exec, s[44:45]
	v_mov_b32_e32 v19, 0
	v_mov_b32_e32 v28, 0
	s_cbranch_vccz .LBB628_140
.LBB628_107:
	s_andn2_b64 vcc, exec, s[46:47]
	s_cbranch_vccz .LBB628_141
.LBB628_108:
	s_andn2_b64 vcc, exec, s[48:49]
	v_mov_b32_e32 v21, 0
	v_mov_b32_e32 v31, 0
	s_cbranch_vccz .LBB628_142
.LBB628_109:
	s_andn2_b64 vcc, exec, s[50:51]
	s_cbranch_vccz .LBB628_143
.LBB628_110:
	s_andn2_b64 vcc, exec, s[52:53]
	v_mov_b32_e32 v23, 0
	v_mov_b32_e32 v32, 0
	s_cbranch_vccz .LBB628_144
.LBB628_111:
	s_andn2_b64 vcc, exec, s[54:55]
	s_cbranch_vccz .LBB628_145
.LBB628_112:
	s_andn2_b64 vcc, exec, s[56:57]
	v_mov_b32_e32 v25, 0
	v_mov_b32_e32 v33, 0
	s_cbranch_vccz .LBB628_146
.LBB628_113:
	s_andn2_b64 vcc, exec, s[58:59]
	s_cbranch_vccz .LBB628_147
.LBB628_114:
	s_andn2_b64 vcc, exec, s[60:61]
	v_mov_b32_e32 v27, 0
	v_mov_b32_e32 v34, 0
	s_cbranch_vccz .LBB628_148
.LBB628_115:
	s_andn2_b64 vcc, exec, s[62:63]
	s_cbranch_vccz .LBB628_149
.LBB628_116:
	s_andn2_b64 vcc, exec, s[64:65]
	v_mov_b32_e32 v29, 0
	v_mov_b32_e32 v35, 0
	s_cbranch_vccz .LBB628_150
.LBB628_117:
	s_andn2_b64 vcc, exec, s[66:67]
	s_cbranch_vccz .LBB628_151
.LBB628_118:
	s_andn2_b64 vcc, exec, s[68:69]
	v_mov_b32_e32 v30, 0
	s_cbranch_vccnz .LBB628_120
.LBB628_119:
	ds_read_b32 v7, v7 offset:124
	s_waitcnt lgkmcnt(0)
	v_mul_f32_e32 v30, v39, v7
.LBB628_120:
	v_add_f32_e32 v7, v8, v36
	v_add_f32_e32 v4, v7, v4
	;; [unrolled: 1-line block ×32, first 2 shown]
	v_mad_i64_i32 v[0:1], s[0:1], s33, v6, 0
	v_lshl_add_u64 v[0:1], v[0:1], 2, v[2:3]
	global_store_dword v[0:1], v4, off
.LBB628_121:
	s_endpgm
.LBB628_122:
	ds_read_b32 v4, v7 offset:4
	s_waitcnt lgkmcnt(0)
	v_mul_f32_e32 v4, v15, v4
	s_andn2_b64 vcc, exec, s[4:5]
	s_cbranch_vccnz .LBB628_90
.LBB628_123:
	ds_read_b32 v1, v7 offset:8
	s_waitcnt lgkmcnt(0)
	v_mul_f32_e32 v1, v0, v1
	s_andn2_b64 vcc, exec, s[6:7]
	v_mov_b32_e32 v0, 0
	v_mov_b32_e32 v5, 0
	s_cbranch_vccnz .LBB628_91
.LBB628_124:
	ds_read_b32 v5, v7 offset:12
	s_waitcnt lgkmcnt(0)
	v_mul_f32_e32 v5, v16, v5
	s_andn2_b64 vcc, exec, s[8:9]
	s_cbranch_vccnz .LBB628_92
.LBB628_125:
	ds_read_b32 v0, v7 offset:16
	s_waitcnt lgkmcnt(0)
	v_mul_f32_e32 v0, v9, v0
	s_andn2_b64 vcc, exec, s[10:11]
	v_mov_b32_e32 v9, 0
	v_mov_b32_e32 v15, 0
	s_cbranch_vccnz .LBB628_93
.LBB628_126:
	ds_read_b32 v15, v7 offset:20
	s_waitcnt lgkmcnt(0)
	v_mul_f32_e32 v15, v18, v15
	s_andn2_b64 vcc, exec, s[12:13]
	s_cbranch_vccnz .LBB628_94
.LBB628_127:
	ds_read_b32 v9, v7 offset:24
	s_waitcnt lgkmcnt(0)
	v_mul_f32_e32 v9, v10, v9
	s_andn2_b64 vcc, exec, s[16:17]
	v_mov_b32_e32 v10, 0
	v_mov_b32_e32 v16, 0
	s_cbranch_vccnz .LBB628_95
.LBB628_128:
	ds_read_b32 v16, v7 offset:28
	s_waitcnt lgkmcnt(0)
	v_mul_f32_e32 v16, v20, v16
	s_andn2_b64 vcc, exec, s[18:19]
	s_cbranch_vccnz .LBB628_96
.LBB628_129:
	ds_read_b32 v10, v7 offset:32
	s_waitcnt lgkmcnt(0)
	v_mul_f32_e32 v10, v11, v10
	s_andn2_b64 vcc, exec, s[20:21]
	v_mov_b32_e32 v11, 0
	v_mov_b32_e32 v18, 0
	s_cbranch_vccnz .LBB628_97
.LBB628_130:
	ds_read_b32 v18, v7 offset:36
	s_waitcnt lgkmcnt(0)
	v_mul_f32_e32 v18, v22, v18
	s_andn2_b64 vcc, exec, s[22:23]
	s_cbranch_vccnz .LBB628_98
.LBB628_131:
	ds_read_b32 v11, v7 offset:40
	s_waitcnt lgkmcnt(0)
	v_mul_f32_e32 v11, v12, v11
	s_andn2_b64 vcc, exec, s[24:25]
	v_mov_b32_e32 v12, 0
	v_mov_b32_e32 v20, 0
	s_cbranch_vccnz .LBB628_99
.LBB628_132:
	ds_read_b32 v20, v7 offset:44
	s_waitcnt lgkmcnt(0)
	v_mul_f32_e32 v20, v24, v20
	s_andn2_b64 vcc, exec, s[26:27]
	s_cbranch_vccnz .LBB628_100
.LBB628_133:
	ds_read_b32 v12, v7 offset:48
	s_waitcnt lgkmcnt(0)
	v_mul_f32_e32 v12, v13, v12
	s_andn2_b64 vcc, exec, s[28:29]
	v_mov_b32_e32 v13, 0
	v_mov_b32_e32 v22, 0
	s_cbranch_vccnz .LBB628_101
.LBB628_134:
	ds_read_b32 v22, v7 offset:52
	s_waitcnt lgkmcnt(0)
	v_mul_f32_e32 v22, v26, v22
	s_andn2_b64 vcc, exec, s[30:31]
	s_cbranch_vccnz .LBB628_102
.LBB628_135:
	ds_read_b32 v13, v7 offset:56
	s_waitcnt lgkmcnt(0)
	v_mul_f32_e32 v13, v14, v13
	s_andn2_b64 vcc, exec, s[34:35]
	v_mov_b32_e32 v14, 0
	v_mov_b32_e32 v24, 0
	s_cbranch_vccnz .LBB628_103
.LBB628_136:
	ds_read_b32 v24, v7 offset:60
	s_waitcnt lgkmcnt(0)
	v_mul_f32_e32 v24, v28, v24
	s_andn2_b64 vcc, exec, s[38:39]
	s_cbranch_vccnz .LBB628_104
.LBB628_137:
	ds_read_b32 v14, v7 offset:64
	s_waitcnt lgkmcnt(0)
	v_mul_f32_e32 v14, v17, v14
	s_andn2_b64 vcc, exec, s[40:41]
	v_mov_b32_e32 v17, 0
	v_mov_b32_e32 v26, 0
	s_cbranch_vccnz .LBB628_105
.LBB628_138:
	ds_read_b32 v26, v7 offset:68
	s_waitcnt lgkmcnt(0)
	v_mul_f32_e32 v26, v31, v26
	s_andn2_b64 vcc, exec, s[42:43]
	s_cbranch_vccnz .LBB628_106
.LBB628_139:
	ds_read_b32 v17, v7 offset:72
	s_waitcnt lgkmcnt(0)
	v_mul_f32_e32 v17, v19, v17
	s_andn2_b64 vcc, exec, s[44:45]
	v_mov_b32_e32 v19, 0
	v_mov_b32_e32 v28, 0
	s_cbranch_vccnz .LBB628_107
.LBB628_140:
	ds_read_b32 v28, v7 offset:76
	s_waitcnt lgkmcnt(0)
	v_mul_f32_e32 v28, v32, v28
	s_andn2_b64 vcc, exec, s[46:47]
	s_cbranch_vccnz .LBB628_108
.LBB628_141:
	ds_read_b32 v19, v7 offset:80
	s_waitcnt lgkmcnt(0)
	v_mul_f32_e32 v19, v21, v19
	s_andn2_b64 vcc, exec, s[48:49]
	v_mov_b32_e32 v21, 0
	v_mov_b32_e32 v31, 0
	s_cbranch_vccnz .LBB628_109
.LBB628_142:
	ds_read_b32 v31, v7 offset:84
	s_waitcnt lgkmcnt(0)
	v_mul_f32_e32 v31, v33, v31
	s_andn2_b64 vcc, exec, s[50:51]
	s_cbranch_vccnz .LBB628_110
.LBB628_143:
	ds_read_b32 v21, v7 offset:88
	s_waitcnt lgkmcnt(0)
	v_mul_f32_e32 v21, v23, v21
	s_andn2_b64 vcc, exec, s[52:53]
	v_mov_b32_e32 v23, 0
	v_mov_b32_e32 v32, 0
	s_cbranch_vccnz .LBB628_111
.LBB628_144:
	ds_read_b32 v32, v7 offset:92
	s_waitcnt lgkmcnt(0)
	v_mul_f32_e32 v32, v34, v32
	s_andn2_b64 vcc, exec, s[54:55]
	s_cbranch_vccnz .LBB628_112
.LBB628_145:
	ds_read_b32 v23, v7 offset:96
	s_waitcnt lgkmcnt(0)
	v_mul_f32_e32 v23, v25, v23
	s_andn2_b64 vcc, exec, s[56:57]
	v_mov_b32_e32 v25, 0
	v_mov_b32_e32 v33, 0
	s_cbranch_vccnz .LBB628_113
.LBB628_146:
	ds_read_b32 v33, v7 offset:100
	s_waitcnt lgkmcnt(0)
	v_mul_f32_e32 v33, v35, v33
	s_andn2_b64 vcc, exec, s[58:59]
	s_cbranch_vccnz .LBB628_114
.LBB628_147:
	ds_read_b32 v25, v7 offset:104
	s_waitcnt lgkmcnt(0)
	v_mul_f32_e32 v25, v27, v25
	s_andn2_b64 vcc, exec, s[60:61]
	v_mov_b32_e32 v27, 0
	v_mov_b32_e32 v34, 0
	s_cbranch_vccnz .LBB628_115
.LBB628_148:
	ds_read_b32 v34, v7 offset:108
	s_waitcnt lgkmcnt(0)
	v_mul_f32_e32 v34, v37, v34
	s_andn2_b64 vcc, exec, s[62:63]
	s_cbranch_vccnz .LBB628_116
.LBB628_149:
	ds_read_b32 v27, v7 offset:112
	s_waitcnt lgkmcnt(0)
	v_mul_f32_e32 v27, v29, v27
	s_andn2_b64 vcc, exec, s[64:65]
	v_mov_b32_e32 v29, 0
	v_mov_b32_e32 v35, 0
	s_cbranch_vccnz .LBB628_117
.LBB628_150:
	ds_read_b32 v35, v7 offset:116
	s_waitcnt lgkmcnt(0)
	v_mul_f32_e32 v35, v38, v35
	s_andn2_b64 vcc, exec, s[66:67]
	s_cbranch_vccnz .LBB628_118
.LBB628_151:
	ds_read_b32 v29, v7 offset:120
	s_waitcnt lgkmcnt(0)
	v_mul_f32_e32 v29, v30, v29
	s_andn2_b64 vcc, exec, s[68:69]
	v_mov_b32_e32 v30, 0
	s_cbranch_vccz .LBB628_119
	s_branch .LBB628_120
	.section	.rodata,"a",@progbits
	.p2align	6, 0x0
	.amdhsa_kernel _ZL34rocblas_gemvn_sm_mn_batched_kernelILi32ELi24E16rocblas_bfloat16PKffEviiT2_lPKT1_lilS6_lilS3_lPT3_lili
		.amdhsa_group_segment_fixed_size 3072
		.amdhsa_private_segment_fixed_size 0
		.amdhsa_kernarg_size 400
		.amdhsa_user_sgpr_count 2
		.amdhsa_user_sgpr_dispatch_ptr 0
		.amdhsa_user_sgpr_queue_ptr 0
		.amdhsa_user_sgpr_kernarg_segment_ptr 1
		.amdhsa_user_sgpr_dispatch_id 0
		.amdhsa_user_sgpr_kernarg_preload_length 0
		.amdhsa_user_sgpr_kernarg_preload_offset 0
		.amdhsa_user_sgpr_private_segment_size 0
		.amdhsa_uses_dynamic_stack 0
		.amdhsa_enable_private_segment 0
		.amdhsa_system_sgpr_workgroup_id_x 1
		.amdhsa_system_sgpr_workgroup_id_y 0
		.amdhsa_system_sgpr_workgroup_id_z 0
		.amdhsa_system_sgpr_workgroup_info 0
		.amdhsa_system_vgpr_workitem_id 1
		.amdhsa_next_free_vgpr 42
		.amdhsa_next_free_sgpr 70
		.amdhsa_accum_offset 44
		.amdhsa_reserve_vcc 1
		.amdhsa_float_round_mode_32 0
		.amdhsa_float_round_mode_16_64 0
		.amdhsa_float_denorm_mode_32 3
		.amdhsa_float_denorm_mode_16_64 3
		.amdhsa_dx10_clamp 1
		.amdhsa_ieee_mode 1
		.amdhsa_fp16_overflow 0
		.amdhsa_tg_split 0
		.amdhsa_exception_fp_ieee_invalid_op 0
		.amdhsa_exception_fp_denorm_src 0
		.amdhsa_exception_fp_ieee_div_zero 0
		.amdhsa_exception_fp_ieee_overflow 0
		.amdhsa_exception_fp_ieee_underflow 0
		.amdhsa_exception_fp_ieee_inexact 0
		.amdhsa_exception_int_div_zero 0
	.end_amdhsa_kernel
	.section	.text._ZL34rocblas_gemvn_sm_mn_batched_kernelILi32ELi24E16rocblas_bfloat16PKffEviiT2_lPKT1_lilS6_lilS3_lPT3_lili,"axG",@progbits,_ZL34rocblas_gemvn_sm_mn_batched_kernelILi32ELi24E16rocblas_bfloat16PKffEviiT2_lPKT1_lilS6_lilS3_lPT3_lili,comdat
.Lfunc_end628:
	.size	_ZL34rocblas_gemvn_sm_mn_batched_kernelILi32ELi24E16rocblas_bfloat16PKffEviiT2_lPKT1_lilS6_lilS3_lPT3_lili, .Lfunc_end628-_ZL34rocblas_gemvn_sm_mn_batched_kernelILi32ELi24E16rocblas_bfloat16PKffEviiT2_lPKT1_lilS6_lilS3_lPT3_lili
                                        ; -- End function
	.section	.AMDGPU.csdata,"",@progbits
; Kernel info:
; codeLenInByte = 3640
; NumSgprs: 76
; NumVgprs: 42
; NumAgprs: 0
; TotalNumVgprs: 42
; ScratchSize: 0
; MemoryBound: 0
; FloatMode: 240
; IeeeMode: 1
; LDSByteSize: 3072 bytes/workgroup (compile time only)
; SGPRBlocks: 9
; VGPRBlocks: 5
; NumSGPRsForWavesPerEU: 76
; NumVGPRsForWavesPerEU: 42
; AccumOffset: 44
; Occupancy: 6
; WaveLimiterHint : 1
; COMPUTE_PGM_RSRC2:SCRATCH_EN: 0
; COMPUTE_PGM_RSRC2:USER_SGPR: 2
; COMPUTE_PGM_RSRC2:TRAP_HANDLER: 0
; COMPUTE_PGM_RSRC2:TGID_X_EN: 1
; COMPUTE_PGM_RSRC2:TGID_Y_EN: 0
; COMPUTE_PGM_RSRC2:TGID_Z_EN: 0
; COMPUTE_PGM_RSRC2:TIDIG_COMP_CNT: 1
; COMPUTE_PGM_RSRC3_GFX90A:ACCUM_OFFSET: 10
; COMPUTE_PGM_RSRC3_GFX90A:TG_SPLIT: 0
	.section	.text._ZL34rocblas_gemvn_sm_mn_batched_kernelILi32ELi24E16rocblas_bfloat16ffEviiT2_lPKT1_lilS4_lilS1_lPT3_lili,"axG",@progbits,_ZL34rocblas_gemvn_sm_mn_batched_kernelILi32ELi24E16rocblas_bfloat16ffEviiT2_lPKT1_lilS4_lilS1_lPT3_lili,comdat
	.globl	_ZL34rocblas_gemvn_sm_mn_batched_kernelILi32ELi24E16rocblas_bfloat16ffEviiT2_lPKT1_lilS4_lilS1_lPT3_lili ; -- Begin function _ZL34rocblas_gemvn_sm_mn_batched_kernelILi32ELi24E16rocblas_bfloat16ffEviiT2_lPKT1_lilS4_lilS1_lPT3_lili
	.p2align	8
	.type	_ZL34rocblas_gemvn_sm_mn_batched_kernelILi32ELi24E16rocblas_bfloat16ffEviiT2_lPKT1_lilS4_lilS1_lPT3_lili,@function
_ZL34rocblas_gemvn_sm_mn_batched_kernelILi32ELi24E16rocblas_bfloat16ffEviiT2_lPKT1_lilS4_lilS1_lPT3_lili: ; @_ZL34rocblas_gemvn_sm_mn_batched_kernelILi32ELi24E16rocblas_bfloat16ffEviiT2_lPKT1_lilS4_lilS1_lPT3_lili
; %bb.0:
	s_load_dword s3, s[0:1], 0x9c
	s_load_dword s4, s[0:1], 0x88
	v_bfe_u32 v1, v0, 10, 10
	s_waitcnt lgkmcnt(0)
	s_lshr_b32 s3, s3, 16
	s_mul_i32 s2, s2, s3
	v_add_u32_e32 v4, s2, v1
	v_cmp_gt_i32_e32 vcc, s4, v4
	s_and_saveexec_b64 s[2:3], vcc
	s_cbranch_execz .LBB629_8
; %bb.1:
	s_load_dwordx4 s[4:7], s[0:1], 0x0
	s_load_dword s14, s[0:1], 0x58
	s_waitcnt lgkmcnt(0)
	v_cmp_eq_f32_e64 s[2:3], s6, 0
	v_cmp_eq_f32_e64 s[8:9], s14, 1.0
	s_and_b64 s[2:3], s[2:3], s[8:9]
	s_and_b64 vcc, exec, s[2:3]
	s_cbranch_vccnz .LBB629_8
; %bb.2:
	s_load_dwordx2 s[2:3], s[0:1], 0x80
	s_load_dwordx4 s[8:11], s[0:1], 0x68
	s_load_dword s33, s[0:1], 0x78
	s_waitcnt lgkmcnt(0)
	v_mad_u64_u32 v[2:3], s[12:13], v4, s2, 0
	v_mov_b32_e32 v6, v3
	v_mad_u64_u32 v[6:7], s[2:3], v4, s3, v[6:7]
	s_lshl_b64 s[2:3], s[10:11], 2
	s_add_u32 s2, s2, s8
	v_mov_b32_e32 v3, v6
	s_addc_u32 s3, s3, s9
	v_lshl_add_u64 v[2:3], v[2:3], 2, s[2:3]
	v_and_b32_e32 v6, 0x3ff, v0
	v_cmp_neq_f32_e64 s[2:3], s6, 0
	s_and_b64 vcc, exec, s[2:3]
	v_cmp_gt_i32_e64 s[2:3], s4, v6
	s_cbranch_vccnz .LBB629_7
; %bb.3:
	v_cmp_eq_f32_e64 s[8:9], s14, 0
	s_and_b64 vcc, exec, s[8:9]
	s_cbranch_vccz .LBB629_9
; %bb.4:
	s_and_saveexec_b64 s[8:9], s[2:3]
	s_cbranch_execz .LBB629_6
; %bb.5:
	v_mad_i64_i32 v[8:9], s[10:11], s33, v6, 0
	v_lshl_add_u64 v[8:9], v[8:9], 2, v[2:3]
	v_mov_b32_e32 v0, 0
	global_store_dword v[8:9], v0, off
.LBB629_6:
	s_or_b64 exec, exec, s[8:9]
	s_cbranch_execz .LBB629_10
	s_branch .LBB629_13
.LBB629_7:
	s_branch .LBB629_14
.LBB629_8:
	s_endpgm
.LBB629_9:
.LBB629_10:
	s_and_saveexec_b64 s[8:9], s[2:3]
	s_cbranch_execz .LBB629_12
; %bb.11:
	v_mad_i64_i32 v[8:9], s[2:3], s33, v6, 0
	v_lshl_add_u64 v[8:9], v[8:9], 2, v[2:3]
	global_load_dword v0, v[8:9], off
	s_waitcnt vmcnt(0)
	v_mul_f32_e32 v0, s14, v0
	global_store_dword v[8:9], v0, off
.LBB629_12:
	s_or_b64 exec, exec, s[8:9]
.LBB629_13:
	s_cbranch_execnz .LBB629_8
.LBB629_14:
	s_load_dwordx4 s[8:11], s[0:1], 0x30
	s_load_dwordx2 s[12:13], s[0:1], 0x40
	v_lshlrev_b32_e32 v7, 7, v1
	v_cmp_gt_i32_e32 vcc, s5, v6
	s_and_saveexec_b64 s[2:3], vcc
	s_cbranch_execz .LBB629_20
; %bb.15:
	s_load_dwordx2 s[16:17], s[0:1], 0x50
	s_load_dword s7, s[0:1], 0x48
	s_waitcnt lgkmcnt(0)
	s_lshl_b64 s[12:13], s[12:13], 1
	s_add_u32 s10, s12, s10
	s_addc_u32 s11, s13, s11
	v_mad_u64_u32 v[0:1], s[18:19], v4, s16, 0
	v_mov_b32_e32 v8, v1
	v_mad_u64_u32 v[8:9], s[16:17], v4, s17, v[8:9]
	v_mov_b32_e32 v1, v8
	v_lshl_add_u64 v[0:1], v[0:1], 1, s[10:11]
	v_mad_i64_i32 v[8:9], s[10:11], s7, v6, 0
	v_lshl_add_u64 v[0:1], v[8:9], 1, v[0:1]
	global_load_ushort v0, v[0:1], off
	s_waitcnt vmcnt(0)
	v_lshlrev_b32_e32 v0, 16, v0
	v_mul_f32_e32 v0, s6, v0
	s_mov_b32 s6, 0x7f800000
	v_and_b32_e32 v1, 0x7f800000, v0
	v_cmp_ne_u32_e32 vcc, s6, v1
                                        ; implicit-def: $vgpr1
	s_and_saveexec_b64 s[6:7], vcc
	s_xor_b64 s[6:7], exec, s[6:7]
; %bb.16:
	v_bfe_u32 v1, v0, 16, 1
	s_movk_i32 s10, 0x7fff
	v_add3_u32 v1, v0, v1, s10
                                        ; implicit-def: $vgpr0
; %bb.17:
	s_andn2_saveexec_b64 s[6:7], s[6:7]
; %bb.18:
	v_mov_b32_e32 v1, 0
	v_or_b32_e32 v5, 0x10000, v0
	v_cmp_eq_u32_sdwa vcc, v0, v1 src0_sel:WORD_0 src1_sel:DWORD
	s_nop 1
	v_cndmask_b32_e32 v1, v5, v0, vcc
; %bb.19:
	s_or_b64 exec, exec, s[6:7]
	v_and_b32_e32 v0, 0xffff0000, v1
	v_lshl_add_u32 v1, v6, 2, v7
	ds_write_b32 v1, v0
.LBB629_20:
	s_or_b64 exec, exec, s[2:3]
	v_cmp_gt_i32_e32 vcc, s4, v6
	s_waitcnt lgkmcnt(0)
	s_barrier
	s_and_b64 exec, exec, vcc
	s_cbranch_execz .LBB629_8
; %bb.21:
	v_cmp_eq_f32_e64 s[2:3], s14, 0
	v_mov_b32_e32 v8, 0
	v_mov_b32_e32 v1, 0
	s_and_b64 vcc, exec, s[2:3]
	s_cbranch_vccnz .LBB629_23
; %bb.22:
	v_mad_i64_i32 v[8:9], s[2:3], s33, v6, 0
	v_lshl_add_u64 v[8:9], v[8:9], 2, v[2:3]
	global_load_dword v0, v[8:9], off
	s_waitcnt vmcnt(0)
	v_mul_f32_e32 v8, s14, v0
.LBB629_23:
	s_load_dwordx4 s[12:15], s[0:1], 0x18
	v_mad_u64_u32 v[10:11], s[2:3], v4, s8, 0
	v_mov_b32_e32 v0, v11
	v_mad_u64_u32 v[4:5], s[2:3], v4, s9, v[0:1]
	s_waitcnt lgkmcnt(0)
	s_lshl_b64 s[2:3], s[14:15], 1
	s_add_u32 s2, s2, s12
	v_mov_b32_e32 v11, v4
	s_addc_u32 s3, s3, s13
	v_lshl_add_u64 v[4:5], v[10:11], 1, s[2:3]
	v_lshlrev_b32_e32 v0, 1, v6
	s_cmp_gt_i32 s5, 0
	s_cselect_b64 s[2:3], -1, 0
	s_cmp_lt_i32 s5, 1
	v_lshl_add_u64 v[4:5], v[4:5], 0, v[0:1]
	s_cbranch_scc1 .LBB629_25
; %bb.24:
	global_load_ushort v0, v[4:5], off
	s_waitcnt vmcnt(0)
	v_lshlrev_b32_e32 v1, 16, v0
.LBB629_25:
	s_load_dword s36, s[0:1], 0x28
	v_mov_b32_e32 v0, 0
	v_mov_b32_e32 v15, 0
	s_waitcnt lgkmcnt(0)
	s_ashr_i32 s37, s36, 31
	s_cmp_gt_i32 s5, 1
	s_cselect_b64 s[0:1], -1, 0
	s_cmp_lt_i32 s5, 2
	s_cbranch_scc1 .LBB629_27
; %bb.26:
	v_lshl_add_u64 v[10:11], s[36:37], 1, v[4:5]
	global_load_ushort v9, v[10:11], off
	s_waitcnt vmcnt(0)
	v_lshlrev_b32_e32 v15, 16, v9
.LBB629_27:
	s_cmp_gt_i32 s5, 2
	s_cselect_b64 s[6:7], -1, 0
	s_cmp_lt_i32 s5, 3
	s_cbranch_scc1 .LBB629_29
; %bb.28:
	v_lshl_add_u64 v[10:11], s[36:37], 2, v[4:5]
	global_load_ushort v0, v[10:11], off
	s_waitcnt vmcnt(0)
	v_lshlrev_b32_e32 v0, 16, v0
.LBB629_29:
	s_cmp_gt_i32 s5, 3
	s_cselect_b64 s[8:9], -1, 0
	s_cmp_lt_i32 s5, 4
	v_mov_b32_e32 v9, 0
	v_mov_b32_e32 v16, 0
	s_cbranch_scc1 .LBB629_31
; %bb.30:
	v_mad_i64_i32 v[10:11], s[10:11], s36, 6, v[4:5]
	global_load_ushort v10, v[10:11], off
	s_waitcnt vmcnt(0)
	v_lshlrev_b32_e32 v16, 16, v10
.LBB629_31:
	s_cmp_gt_i32 s5, 4
	s_cselect_b64 s[10:11], -1, 0
	s_cmp_lt_i32 s5, 5
	s_cbranch_scc1 .LBB629_33
; %bb.32:
	v_lshl_add_u64 v[10:11], s[36:37], 3, v[4:5]
	global_load_ushort v9, v[10:11], off
	s_waitcnt vmcnt(0)
	v_lshlrev_b32_e32 v9, 16, v9
.LBB629_33:
	s_cmp_gt_i32 s5, 5
	s_cselect_b64 s[12:13], -1, 0
	s_cmp_lt_i32 s5, 6
	v_mov_b32_e32 v10, 0
	v_mov_b32_e32 v18, 0
	s_cbranch_scc1 .LBB629_35
; %bb.34:
	v_mad_i64_i32 v[12:13], s[14:15], s36, 10, v[4:5]
	global_load_ushort v11, v[12:13], off
	s_waitcnt vmcnt(0)
	v_lshlrev_b32_e32 v18, 16, v11
.LBB629_35:
	s_cmp_gt_i32 s5, 6
	s_cselect_b64 s[14:15], -1, 0
	s_cmp_lt_i32 s5, 7
	s_cbranch_scc1 .LBB629_37
; %bb.36:
	v_mad_i64_i32 v[10:11], s[16:17], s36, 12, v[4:5]
	global_load_ushort v10, v[10:11], off
	s_waitcnt vmcnt(0)
	v_lshlrev_b32_e32 v10, 16, v10
.LBB629_37:
	s_cmp_gt_i32 s5, 7
	s_cselect_b64 s[16:17], -1, 0
	s_cmp_lt_i32 s5, 8
	v_mov_b32_e32 v11, 0
	v_mov_b32_e32 v20, 0
	s_cbranch_scc1 .LBB629_39
; %bb.38:
	v_mad_i64_i32 v[12:13], s[18:19], s36, 14, v[4:5]
	global_load_ushort v12, v[12:13], off
	s_waitcnt vmcnt(0)
	v_lshlrev_b32_e32 v20, 16, v12
.LBB629_39:
	s_cmp_gt_i32 s5, 8
	s_cselect_b64 s[18:19], -1, 0
	s_cmp_lt_i32 s5, 9
	s_cbranch_scc1 .LBB629_41
; %bb.40:
	v_lshl_add_u64 v[12:13], s[36:37], 4, v[4:5]
	global_load_ushort v11, v[12:13], off
	s_waitcnt vmcnt(0)
	v_lshlrev_b32_e32 v11, 16, v11
.LBB629_41:
	s_cmp_gt_i32 s5, 9
	s_cselect_b64 s[20:21], -1, 0
	s_cmp_lt_i32 s5, 10
	v_mov_b32_e32 v12, 0
	v_mov_b32_e32 v22, 0
	s_cbranch_scc1 .LBB629_43
; %bb.42:
	v_mad_i64_i32 v[22:23], s[22:23], s36, 18, v[4:5]
	global_load_ushort v13, v[22:23], off
	s_waitcnt vmcnt(0)
	v_lshlrev_b32_e32 v22, 16, v13
.LBB629_43:
	s_cmp_gt_i32 s5, 10
	s_cselect_b64 s[22:23], -1, 0
	s_cmp_lt_i32 s5, 11
	s_cbranch_scc1 .LBB629_45
; %bb.44:
	v_mad_i64_i32 v[12:13], s[24:25], s36, 20, v[4:5]
	global_load_ushort v12, v[12:13], off
	s_waitcnt vmcnt(0)
	v_lshlrev_b32_e32 v12, 16, v12
.LBB629_45:
	s_cmp_gt_i32 s5, 11
	s_cselect_b64 s[24:25], -1, 0
	s_cmp_lt_i32 s5, 12
	v_mov_b32_e32 v13, 0
	v_mov_b32_e32 v24, 0
	s_cbranch_scc1 .LBB629_47
; %bb.46:
	v_mad_i64_i32 v[24:25], s[26:27], s36, 22, v[4:5]
	global_load_ushort v14, v[24:25], off
	s_waitcnt vmcnt(0)
	v_lshlrev_b32_e32 v24, 16, v14
.LBB629_47:
	s_cmp_gt_i32 s5, 12
	s_cselect_b64 s[26:27], -1, 0
	s_cmp_lt_i32 s5, 13
	s_cbranch_scc1 .LBB629_49
; %bb.48:
	v_mad_i64_i32 v[26:27], s[28:29], s36, 24, v[4:5]
	global_load_ushort v13, v[26:27], off
	s_waitcnt vmcnt(0)
	v_lshlrev_b32_e32 v13, 16, v13
.LBB629_49:
	;; [unrolled: 22-line block ×3, first 2 shown]
	s_cmp_gt_i32 s5, 15
	s_cselect_b64 s[34:35], -1, 0
	s_cmp_lt_i32 s5, 16
	v_mov_b32_e32 v17, 0
	v_mov_b32_e32 v28, 0
	s_cbranch_scc1 .LBB629_55
; %bb.54:
	v_mad_i64_i32 v[28:29], s[38:39], s36, 30, v[4:5]
	global_load_ushort v19, v[28:29], off
	s_waitcnt vmcnt(0)
	v_lshlrev_b32_e32 v28, 16, v19
.LBB629_55:
	s_cmp_gt_i32 s5, 16
	s_cselect_b64 s[38:39], -1, 0
	s_cmp_lt_i32 s5, 17
	s_cbranch_scc1 .LBB629_57
; %bb.56:
	s_lshl_b64 s[40:41], s[36:37], 5
	v_lshl_add_u64 v[30:31], v[4:5], 0, s[40:41]
	global_load_ushort v17, v[30:31], off
	s_waitcnt vmcnt(0)
	v_lshlrev_b32_e32 v17, 16, v17
.LBB629_57:
	s_cmp_gt_i32 s5, 17
	s_cselect_b64 s[40:41], -1, 0
	s_cmp_lt_i32 s5, 18
	v_mov_b32_e32 v19, 0
	v_mov_b32_e32 v31, 0
	s_cbranch_scc1 .LBB629_59
; %bb.58:
	v_mad_i64_i32 v[30:31], s[42:43], s36, 34, v[4:5]
	global_load_ushort v21, v[30:31], off
	s_waitcnt vmcnt(0)
	v_lshlrev_b32_e32 v31, 16, v21
.LBB629_59:
	s_cmp_gt_i32 s5, 18
	s_cselect_b64 s[42:43], -1, 0
	s_cmp_lt_i32 s5, 19
	s_cbranch_scc1 .LBB629_61
; %bb.60:
	v_mad_i64_i32 v[32:33], s[44:45], s36, 36, v[4:5]
	global_load_ushort v19, v[32:33], off
	s_waitcnt vmcnt(0)
	v_lshlrev_b32_e32 v19, 16, v19
.LBB629_61:
	s_cmp_gt_i32 s5, 19
	s_cselect_b64 s[44:45], -1, 0
	s_cmp_lt_i32 s5, 20
	v_mov_b32_e32 v21, 0
	v_mov_b32_e32 v32, 0
	s_cbranch_scc1 .LBB629_63
; %bb.62:
	v_mad_i64_i32 v[32:33], s[46:47], s36, 38, v[4:5]
	global_load_ushort v23, v[32:33], off
	s_waitcnt vmcnt(0)
	v_lshlrev_b32_e32 v32, 16, v23
.LBB629_63:
	s_cmp_gt_i32 s5, 20
	s_cselect_b64 s[46:47], -1, 0
	s_cmp_lt_i32 s5, 21
	s_cbranch_scc1 .LBB629_65
; %bb.64:
	v_mad_i64_i32 v[34:35], s[48:49], s36, 40, v[4:5]
	global_load_ushort v21, v[34:35], off
	s_waitcnt vmcnt(0)
	v_lshlrev_b32_e32 v21, 16, v21
.LBB629_65:
	;; [unrolled: 22-line block ×7, first 2 shown]
	s_cmp_gt_i32 s5, 31
	s_cselect_b64 s[68:69], -1, 0
	s_cmp_lt_i32 s5, 32
	v_mov_b32_e32 v36, 0
	v_mov_b32_e32 v39, 0
	s_cbranch_scc1 .LBB629_87
; %bb.86:
	v_mad_i64_i32 v[4:5], s[4:5], s36, 62, v[4:5]
	global_load_ushort v4, v[4:5], off
	s_waitcnt vmcnt(0)
	v_lshlrev_b32_e32 v39, 16, v4
.LBB629_87:
	s_andn2_b64 vcc, exec, s[2:3]
	s_cbranch_vccnz .LBB629_89
; %bb.88:
	ds_read_b32 v4, v7
	s_waitcnt lgkmcnt(0)
	v_mul_f32_e32 v36, v1, v4
.LBB629_89:
	s_andn2_b64 vcc, exec, s[0:1]
	v_mov_b32_e32 v1, 0
	v_mov_b32_e32 v4, 0
	s_cbranch_vccz .LBB629_122
; %bb.90:
	s_andn2_b64 vcc, exec, s[6:7]
	s_cbranch_vccz .LBB629_123
.LBB629_91:
	s_andn2_b64 vcc, exec, s[8:9]
	v_mov_b32_e32 v0, 0
	v_mov_b32_e32 v5, 0
	s_cbranch_vccz .LBB629_124
.LBB629_92:
	s_andn2_b64 vcc, exec, s[10:11]
	s_cbranch_vccz .LBB629_125
.LBB629_93:
	s_andn2_b64 vcc, exec, s[12:13]
	v_mov_b32_e32 v9, 0
	v_mov_b32_e32 v15, 0
	s_cbranch_vccz .LBB629_126
.LBB629_94:
	s_andn2_b64 vcc, exec, s[14:15]
	s_cbranch_vccz .LBB629_127
.LBB629_95:
	s_andn2_b64 vcc, exec, s[16:17]
	v_mov_b32_e32 v10, 0
	v_mov_b32_e32 v16, 0
	s_cbranch_vccz .LBB629_128
.LBB629_96:
	s_andn2_b64 vcc, exec, s[18:19]
	s_cbranch_vccz .LBB629_129
.LBB629_97:
	s_andn2_b64 vcc, exec, s[20:21]
	v_mov_b32_e32 v11, 0
	v_mov_b32_e32 v18, 0
	s_cbranch_vccz .LBB629_130
.LBB629_98:
	s_andn2_b64 vcc, exec, s[22:23]
	s_cbranch_vccz .LBB629_131
.LBB629_99:
	s_andn2_b64 vcc, exec, s[24:25]
	v_mov_b32_e32 v12, 0
	v_mov_b32_e32 v20, 0
	s_cbranch_vccz .LBB629_132
.LBB629_100:
	s_andn2_b64 vcc, exec, s[26:27]
	s_cbranch_vccz .LBB629_133
.LBB629_101:
	s_andn2_b64 vcc, exec, s[28:29]
	v_mov_b32_e32 v13, 0
	v_mov_b32_e32 v22, 0
	s_cbranch_vccz .LBB629_134
.LBB629_102:
	s_andn2_b64 vcc, exec, s[30:31]
	s_cbranch_vccz .LBB629_135
.LBB629_103:
	s_andn2_b64 vcc, exec, s[34:35]
	v_mov_b32_e32 v14, 0
	v_mov_b32_e32 v24, 0
	s_cbranch_vccz .LBB629_136
.LBB629_104:
	s_andn2_b64 vcc, exec, s[38:39]
	s_cbranch_vccz .LBB629_137
.LBB629_105:
	s_andn2_b64 vcc, exec, s[40:41]
	v_mov_b32_e32 v17, 0
	v_mov_b32_e32 v26, 0
	s_cbranch_vccz .LBB629_138
.LBB629_106:
	s_andn2_b64 vcc, exec, s[42:43]
	s_cbranch_vccz .LBB629_139
.LBB629_107:
	s_andn2_b64 vcc, exec, s[44:45]
	v_mov_b32_e32 v19, 0
	v_mov_b32_e32 v28, 0
	s_cbranch_vccz .LBB629_140
.LBB629_108:
	s_andn2_b64 vcc, exec, s[46:47]
	s_cbranch_vccz .LBB629_141
.LBB629_109:
	s_andn2_b64 vcc, exec, s[48:49]
	v_mov_b32_e32 v21, 0
	v_mov_b32_e32 v31, 0
	s_cbranch_vccz .LBB629_142
.LBB629_110:
	s_andn2_b64 vcc, exec, s[50:51]
	s_cbranch_vccz .LBB629_143
.LBB629_111:
	s_andn2_b64 vcc, exec, s[52:53]
	v_mov_b32_e32 v23, 0
	v_mov_b32_e32 v32, 0
	s_cbranch_vccz .LBB629_144
.LBB629_112:
	s_andn2_b64 vcc, exec, s[54:55]
	s_cbranch_vccz .LBB629_145
.LBB629_113:
	s_andn2_b64 vcc, exec, s[56:57]
	v_mov_b32_e32 v25, 0
	v_mov_b32_e32 v33, 0
	s_cbranch_vccz .LBB629_146
.LBB629_114:
	s_andn2_b64 vcc, exec, s[58:59]
	s_cbranch_vccz .LBB629_147
.LBB629_115:
	s_andn2_b64 vcc, exec, s[60:61]
	v_mov_b32_e32 v27, 0
	v_mov_b32_e32 v34, 0
	s_cbranch_vccz .LBB629_148
.LBB629_116:
	s_andn2_b64 vcc, exec, s[62:63]
	s_cbranch_vccz .LBB629_149
.LBB629_117:
	s_andn2_b64 vcc, exec, s[64:65]
	v_mov_b32_e32 v29, 0
	v_mov_b32_e32 v35, 0
	s_cbranch_vccz .LBB629_150
.LBB629_118:
	s_andn2_b64 vcc, exec, s[66:67]
	s_cbranch_vccz .LBB629_151
.LBB629_119:
	s_andn2_b64 vcc, exec, s[68:69]
	v_mov_b32_e32 v30, 0
	s_cbranch_vccnz .LBB629_121
.LBB629_120:
	ds_read_b32 v7, v7 offset:124
	s_waitcnt lgkmcnt(0)
	v_mul_f32_e32 v30, v39, v7
.LBB629_121:
	v_add_f32_e32 v7, v8, v36
	v_add_f32_e32 v4, v7, v4
	;; [unrolled: 1-line block ×32, first 2 shown]
	v_mad_i64_i32 v[0:1], s[0:1], s33, v6, 0
	v_lshl_add_u64 v[0:1], v[0:1], 2, v[2:3]
	global_store_dword v[0:1], v4, off
	s_endpgm
.LBB629_122:
	ds_read_b32 v4, v7 offset:4
	s_waitcnt lgkmcnt(0)
	v_mul_f32_e32 v4, v15, v4
	s_andn2_b64 vcc, exec, s[6:7]
	s_cbranch_vccnz .LBB629_91
.LBB629_123:
	ds_read_b32 v1, v7 offset:8
	s_waitcnt lgkmcnt(0)
	v_mul_f32_e32 v1, v0, v1
	s_andn2_b64 vcc, exec, s[8:9]
	v_mov_b32_e32 v0, 0
	v_mov_b32_e32 v5, 0
	s_cbranch_vccnz .LBB629_92
.LBB629_124:
	ds_read_b32 v5, v7 offset:12
	s_waitcnt lgkmcnt(0)
	v_mul_f32_e32 v5, v16, v5
	s_andn2_b64 vcc, exec, s[10:11]
	s_cbranch_vccnz .LBB629_93
.LBB629_125:
	ds_read_b32 v0, v7 offset:16
	s_waitcnt lgkmcnt(0)
	v_mul_f32_e32 v0, v9, v0
	s_andn2_b64 vcc, exec, s[12:13]
	v_mov_b32_e32 v9, 0
	v_mov_b32_e32 v15, 0
	s_cbranch_vccnz .LBB629_94
.LBB629_126:
	ds_read_b32 v15, v7 offset:20
	s_waitcnt lgkmcnt(0)
	v_mul_f32_e32 v15, v18, v15
	s_andn2_b64 vcc, exec, s[14:15]
	s_cbranch_vccnz .LBB629_95
.LBB629_127:
	ds_read_b32 v9, v7 offset:24
	s_waitcnt lgkmcnt(0)
	v_mul_f32_e32 v9, v10, v9
	s_andn2_b64 vcc, exec, s[16:17]
	v_mov_b32_e32 v10, 0
	v_mov_b32_e32 v16, 0
	s_cbranch_vccnz .LBB629_96
.LBB629_128:
	ds_read_b32 v16, v7 offset:28
	s_waitcnt lgkmcnt(0)
	v_mul_f32_e32 v16, v20, v16
	s_andn2_b64 vcc, exec, s[18:19]
	s_cbranch_vccnz .LBB629_97
.LBB629_129:
	ds_read_b32 v10, v7 offset:32
	s_waitcnt lgkmcnt(0)
	v_mul_f32_e32 v10, v11, v10
	s_andn2_b64 vcc, exec, s[20:21]
	v_mov_b32_e32 v11, 0
	v_mov_b32_e32 v18, 0
	s_cbranch_vccnz .LBB629_98
.LBB629_130:
	ds_read_b32 v18, v7 offset:36
	s_waitcnt lgkmcnt(0)
	v_mul_f32_e32 v18, v22, v18
	s_andn2_b64 vcc, exec, s[22:23]
	s_cbranch_vccnz .LBB629_99
.LBB629_131:
	ds_read_b32 v11, v7 offset:40
	s_waitcnt lgkmcnt(0)
	v_mul_f32_e32 v11, v12, v11
	s_andn2_b64 vcc, exec, s[24:25]
	v_mov_b32_e32 v12, 0
	v_mov_b32_e32 v20, 0
	s_cbranch_vccnz .LBB629_100
.LBB629_132:
	ds_read_b32 v20, v7 offset:44
	s_waitcnt lgkmcnt(0)
	v_mul_f32_e32 v20, v24, v20
	s_andn2_b64 vcc, exec, s[26:27]
	s_cbranch_vccnz .LBB629_101
.LBB629_133:
	ds_read_b32 v12, v7 offset:48
	s_waitcnt lgkmcnt(0)
	v_mul_f32_e32 v12, v13, v12
	s_andn2_b64 vcc, exec, s[28:29]
	v_mov_b32_e32 v13, 0
	v_mov_b32_e32 v22, 0
	s_cbranch_vccnz .LBB629_102
.LBB629_134:
	ds_read_b32 v22, v7 offset:52
	s_waitcnt lgkmcnt(0)
	v_mul_f32_e32 v22, v26, v22
	s_andn2_b64 vcc, exec, s[30:31]
	s_cbranch_vccnz .LBB629_103
.LBB629_135:
	ds_read_b32 v13, v7 offset:56
	s_waitcnt lgkmcnt(0)
	v_mul_f32_e32 v13, v14, v13
	s_andn2_b64 vcc, exec, s[34:35]
	v_mov_b32_e32 v14, 0
	v_mov_b32_e32 v24, 0
	s_cbranch_vccnz .LBB629_104
.LBB629_136:
	ds_read_b32 v24, v7 offset:60
	s_waitcnt lgkmcnt(0)
	v_mul_f32_e32 v24, v28, v24
	s_andn2_b64 vcc, exec, s[38:39]
	s_cbranch_vccnz .LBB629_105
.LBB629_137:
	ds_read_b32 v14, v7 offset:64
	s_waitcnt lgkmcnt(0)
	v_mul_f32_e32 v14, v17, v14
	s_andn2_b64 vcc, exec, s[40:41]
	v_mov_b32_e32 v17, 0
	v_mov_b32_e32 v26, 0
	s_cbranch_vccnz .LBB629_106
.LBB629_138:
	ds_read_b32 v26, v7 offset:68
	s_waitcnt lgkmcnt(0)
	v_mul_f32_e32 v26, v31, v26
	s_andn2_b64 vcc, exec, s[42:43]
	s_cbranch_vccnz .LBB629_107
.LBB629_139:
	ds_read_b32 v17, v7 offset:72
	s_waitcnt lgkmcnt(0)
	v_mul_f32_e32 v17, v19, v17
	s_andn2_b64 vcc, exec, s[44:45]
	v_mov_b32_e32 v19, 0
	v_mov_b32_e32 v28, 0
	s_cbranch_vccnz .LBB629_108
.LBB629_140:
	ds_read_b32 v28, v7 offset:76
	s_waitcnt lgkmcnt(0)
	v_mul_f32_e32 v28, v32, v28
	s_andn2_b64 vcc, exec, s[46:47]
	s_cbranch_vccnz .LBB629_109
.LBB629_141:
	ds_read_b32 v19, v7 offset:80
	s_waitcnt lgkmcnt(0)
	v_mul_f32_e32 v19, v21, v19
	s_andn2_b64 vcc, exec, s[48:49]
	v_mov_b32_e32 v21, 0
	v_mov_b32_e32 v31, 0
	s_cbranch_vccnz .LBB629_110
.LBB629_142:
	ds_read_b32 v31, v7 offset:84
	s_waitcnt lgkmcnt(0)
	v_mul_f32_e32 v31, v33, v31
	s_andn2_b64 vcc, exec, s[50:51]
	s_cbranch_vccnz .LBB629_111
.LBB629_143:
	ds_read_b32 v21, v7 offset:88
	s_waitcnt lgkmcnt(0)
	v_mul_f32_e32 v21, v23, v21
	s_andn2_b64 vcc, exec, s[52:53]
	v_mov_b32_e32 v23, 0
	v_mov_b32_e32 v32, 0
	s_cbranch_vccnz .LBB629_112
.LBB629_144:
	ds_read_b32 v32, v7 offset:92
	s_waitcnt lgkmcnt(0)
	v_mul_f32_e32 v32, v34, v32
	s_andn2_b64 vcc, exec, s[54:55]
	s_cbranch_vccnz .LBB629_113
.LBB629_145:
	ds_read_b32 v23, v7 offset:96
	s_waitcnt lgkmcnt(0)
	v_mul_f32_e32 v23, v25, v23
	s_andn2_b64 vcc, exec, s[56:57]
	v_mov_b32_e32 v25, 0
	v_mov_b32_e32 v33, 0
	s_cbranch_vccnz .LBB629_114
.LBB629_146:
	ds_read_b32 v33, v7 offset:100
	s_waitcnt lgkmcnt(0)
	v_mul_f32_e32 v33, v35, v33
	s_andn2_b64 vcc, exec, s[58:59]
	s_cbranch_vccnz .LBB629_115
.LBB629_147:
	ds_read_b32 v25, v7 offset:104
	s_waitcnt lgkmcnt(0)
	v_mul_f32_e32 v25, v27, v25
	s_andn2_b64 vcc, exec, s[60:61]
	v_mov_b32_e32 v27, 0
	v_mov_b32_e32 v34, 0
	s_cbranch_vccnz .LBB629_116
.LBB629_148:
	ds_read_b32 v34, v7 offset:108
	s_waitcnt lgkmcnt(0)
	v_mul_f32_e32 v34, v37, v34
	s_andn2_b64 vcc, exec, s[62:63]
	s_cbranch_vccnz .LBB629_117
.LBB629_149:
	ds_read_b32 v27, v7 offset:112
	s_waitcnt lgkmcnt(0)
	v_mul_f32_e32 v27, v29, v27
	s_andn2_b64 vcc, exec, s[64:65]
	v_mov_b32_e32 v29, 0
	v_mov_b32_e32 v35, 0
	s_cbranch_vccnz .LBB629_118
.LBB629_150:
	ds_read_b32 v35, v7 offset:116
	s_waitcnt lgkmcnt(0)
	v_mul_f32_e32 v35, v38, v35
	s_andn2_b64 vcc, exec, s[66:67]
	s_cbranch_vccnz .LBB629_119
.LBB629_151:
	ds_read_b32 v29, v7 offset:120
	s_waitcnt lgkmcnt(0)
	v_mul_f32_e32 v29, v30, v29
	s_andn2_b64 vcc, exec, s[68:69]
	v_mov_b32_e32 v30, 0
	s_cbranch_vccz .LBB629_120
	s_branch .LBB629_121
	.section	.rodata,"a",@progbits
	.p2align	6, 0x0
	.amdhsa_kernel _ZL34rocblas_gemvn_sm_mn_batched_kernelILi32ELi24E16rocblas_bfloat16ffEviiT2_lPKT1_lilS4_lilS1_lPT3_lili
		.amdhsa_group_segment_fixed_size 3072
		.amdhsa_private_segment_fixed_size 0
		.amdhsa_kernarg_size 400
		.amdhsa_user_sgpr_count 2
		.amdhsa_user_sgpr_dispatch_ptr 0
		.amdhsa_user_sgpr_queue_ptr 0
		.amdhsa_user_sgpr_kernarg_segment_ptr 1
		.amdhsa_user_sgpr_dispatch_id 0
		.amdhsa_user_sgpr_kernarg_preload_length 0
		.amdhsa_user_sgpr_kernarg_preload_offset 0
		.amdhsa_user_sgpr_private_segment_size 0
		.amdhsa_uses_dynamic_stack 0
		.amdhsa_enable_private_segment 0
		.amdhsa_system_sgpr_workgroup_id_x 1
		.amdhsa_system_sgpr_workgroup_id_y 0
		.amdhsa_system_sgpr_workgroup_id_z 0
		.amdhsa_system_sgpr_workgroup_info 0
		.amdhsa_system_vgpr_workitem_id 1
		.amdhsa_next_free_vgpr 42
		.amdhsa_next_free_sgpr 70
		.amdhsa_accum_offset 44
		.amdhsa_reserve_vcc 1
		.amdhsa_float_round_mode_32 0
		.amdhsa_float_round_mode_16_64 0
		.amdhsa_float_denorm_mode_32 3
		.amdhsa_float_denorm_mode_16_64 3
		.amdhsa_dx10_clamp 1
		.amdhsa_ieee_mode 1
		.amdhsa_fp16_overflow 0
		.amdhsa_tg_split 0
		.amdhsa_exception_fp_ieee_invalid_op 0
		.amdhsa_exception_fp_denorm_src 0
		.amdhsa_exception_fp_ieee_div_zero 0
		.amdhsa_exception_fp_ieee_overflow 0
		.amdhsa_exception_fp_ieee_underflow 0
		.amdhsa_exception_fp_ieee_inexact 0
		.amdhsa_exception_int_div_zero 0
	.end_amdhsa_kernel
	.section	.text._ZL34rocblas_gemvn_sm_mn_batched_kernelILi32ELi24E16rocblas_bfloat16ffEviiT2_lPKT1_lilS4_lilS1_lPT3_lili,"axG",@progbits,_ZL34rocblas_gemvn_sm_mn_batched_kernelILi32ELi24E16rocblas_bfloat16ffEviiT2_lPKT1_lilS4_lilS1_lPT3_lili,comdat
.Lfunc_end629:
	.size	_ZL34rocblas_gemvn_sm_mn_batched_kernelILi32ELi24E16rocblas_bfloat16ffEviiT2_lPKT1_lilS4_lilS1_lPT3_lili, .Lfunc_end629-_ZL34rocblas_gemvn_sm_mn_batched_kernelILi32ELi24E16rocblas_bfloat16ffEviiT2_lPKT1_lilS4_lilS1_lPT3_lili
                                        ; -- End function
	.section	.AMDGPU.csdata,"",@progbits
; Kernel info:
; codeLenInByte = 3548
; NumSgprs: 76
; NumVgprs: 42
; NumAgprs: 0
; TotalNumVgprs: 42
; ScratchSize: 0
; MemoryBound: 0
; FloatMode: 240
; IeeeMode: 1
; LDSByteSize: 3072 bytes/workgroup (compile time only)
; SGPRBlocks: 9
; VGPRBlocks: 5
; NumSGPRsForWavesPerEU: 76
; NumVGPRsForWavesPerEU: 42
; AccumOffset: 44
; Occupancy: 6
; WaveLimiterHint : 1
; COMPUTE_PGM_RSRC2:SCRATCH_EN: 0
; COMPUTE_PGM_RSRC2:USER_SGPR: 2
; COMPUTE_PGM_RSRC2:TRAP_HANDLER: 0
; COMPUTE_PGM_RSRC2:TGID_X_EN: 1
; COMPUTE_PGM_RSRC2:TGID_Y_EN: 0
; COMPUTE_PGM_RSRC2:TGID_Z_EN: 0
; COMPUTE_PGM_RSRC2:TIDIG_COMP_CNT: 1
; COMPUTE_PGM_RSRC3_GFX90A:ACCUM_OFFSET: 10
; COMPUTE_PGM_RSRC3_GFX90A:TG_SPLIT: 0
	.section	.text._ZL20rocblas_gemvn_kernelILi64ELi4Ei16rocblas_bfloat16PKffEviiT3_lPKT2_lT1_lS6_lS7_lS3_lPT4_lS7_li,"axG",@progbits,_ZL20rocblas_gemvn_kernelILi64ELi4Ei16rocblas_bfloat16PKffEviiT3_lPKT2_lT1_lS6_lS7_lS3_lPT4_lS7_li,comdat
	.globl	_ZL20rocblas_gemvn_kernelILi64ELi4Ei16rocblas_bfloat16PKffEviiT3_lPKT2_lT1_lS6_lS7_lS3_lPT4_lS7_li ; -- Begin function _ZL20rocblas_gemvn_kernelILi64ELi4Ei16rocblas_bfloat16PKffEviiT3_lPKT2_lT1_lS6_lS7_lS3_lPT4_lS7_li
	.p2align	8
	.type	_ZL20rocblas_gemvn_kernelILi64ELi4Ei16rocblas_bfloat16PKffEviiT3_lPKT2_lT1_lS6_lS7_lS3_lPT4_lS7_li,@function
_ZL20rocblas_gemvn_kernelILi64ELi4Ei16rocblas_bfloat16PKffEviiT3_lPKT2_lT1_lS6_lS7_lS3_lPT4_lS7_li: ; @_ZL20rocblas_gemvn_kernelILi64ELi4Ei16rocblas_bfloat16PKffEviiT3_lPKT2_lT1_lS6_lS7_lS3_lPT4_lS7_li
; %bb.0:
	s_load_dwordx2 s[4:5], s[0:1], 0x9c
	s_waitcnt lgkmcnt(0)
	s_lshr_b32 s6, s4, 16
	s_and_b32 s4, s4, 0xffff
	s_and_b32 s5, s5, 0xffff
	s_mul_i32 s4, s6, s4
	s_mul_i32 s4, s4, s5
	s_cmpk_lg_i32 s4, 0x100
	s_cbranch_scc1 .LBB630_50
; %bb.1:
	s_load_dwordx8 s[12:19], s[0:1], 0x8
	s_load_dwordx8 s[4:11], s[0:1], 0x50
	s_waitcnt lgkmcnt(0)
	s_mul_i32 s15, s3, s15
	s_mul_hi_u32 s20, s3, s14
	s_mul_i32 s14, s3, s14
	s_add_i32 s15, s20, s15
	s_lshl_b64 s[14:15], s[14:15], 2
	s_add_u32 s12, s12, s14
	s_addc_u32 s13, s13, s15
	s_mul_i32 s9, s3, s9
	s_load_dword s29, s[12:13], 0x0
	s_mul_hi_u32 s12, s3, s8
	s_add_i32 s9, s12, s9
	s_mul_i32 s8, s3, s8
	s_lshl_b64 s[8:9], s[8:9], 2
	s_add_u32 s6, s6, s8
	s_addc_u32 s7, s7, s9
	s_load_dword s28, s[6:7], 0x0
	s_waitcnt lgkmcnt(0)
	v_cmp_eq_f32_e64 s[6:7], s29, 0
	v_cmp_eq_f32_e64 s[8:9], s28, 1.0
	s_and_b64 s[6:7], s[6:7], s[8:9]
	s_and_b64 vcc, exec, s[6:7]
	s_cbranch_vccnz .LBB630_50
; %bb.2:
	s_load_dwordx2 s[6:7], s[0:1], 0x80
	s_load_dword s30, s[0:1], 0x78
	s_load_dwordx2 s[8:9], s[0:1], 0x70
	s_load_dwordx2 s[12:13], s[0:1], 0x0
	v_and_b32_e32 v2, 0x3ff, v0
	s_waitcnt lgkmcnt(0)
	s_mul_i32 s7, s3, s7
	s_mul_hi_u32 s14, s3, s6
	s_add_i32 s7, s14, s7
	s_mul_i32 s6, s3, s6
	s_lshl_b64 s[6:7], s[6:7], 2
	s_add_u32 s10, s10, s6
	s_addc_u32 s11, s11, s7
	s_lshl_b64 s[6:7], s[8:9], 2
	s_add_u32 s8, s10, s6
	s_addc_u32 s9, s11, s7
	v_bfe_u32 v18, v0, 10, 10
	v_cmp_neq_f32_e64 s[6:7], s29, 0
	v_lshl_add_u32 v3, v18, 6, v2
	s_and_b64 vcc, exec, s[6:7]
	s_cbranch_vccnz .LBB630_9
; %bb.3:
	s_movk_i32 s6, 0x100
	v_cmp_gt_u32_e32 vcc, s6, v3
	s_mov_b64 s[6:7], 0
	s_mov_b64 s[10:11], 0
                                        ; implicit-def: $vgpr1
                                        ; implicit-def: $vgpr4_vgpr5
	s_and_saveexec_b64 s[14:15], vcc
	s_cbranch_execz .LBB630_10
; %bb.4:
	v_lshl_or_b32 v0, s2, 8, v3
	v_mov_b32_e32 v1, 0
	s_ashr_i32 s11, s12, 31
	s_mov_b32 s10, s12
	v_cmp_gt_i64_e32 vcc, s[10:11], v[0:1]
	s_mov_b64 s[20:21], 0
                                        ; implicit-def: $vgpr4_vgpr5
	s_and_saveexec_b64 s[10:11], vcc
	s_cbranch_execz .LBB630_8
; %bb.5:
	v_mad_u64_u32 v[4:5], s[22:23], s30, v0, 0
	s_ashr_i32 s24, s30, 31
	v_mov_b32_e32 v6, v5
	v_cmp_eq_f32_e64 s[20:21], s28, 0
	v_mad_u64_u32 v[6:7], s[22:23], s24, v0, v[6:7]
	v_mov_b32_e32 v5, v6
	s_and_b64 vcc, exec, s[20:21]
	s_cbranch_vccnz .LBB630_7
; %bb.6:
	v_lshl_add_u64 v[0:1], v[4:5], 2, s[8:9]
	global_load_dword v0, v[0:1], off
	s_waitcnt vmcnt(0)
	v_mul_f32_e32 v1, s28, v0
.LBB630_7:
	s_mov_b64 s[20:21], exec
.LBB630_8:
	s_or_b64 exec, exec, s[10:11]
	s_and_b64 s[10:11], s[20:21], exec
	s_or_b64 exec, exec, s[14:15]
	s_and_b64 vcc, exec, s[6:7]
	s_cbranch_vccnz .LBB630_11
	s_branch .LBB630_48
.LBB630_9:
	s_mov_b64 s[10:11], 0
                                        ; implicit-def: $vgpr1
                                        ; implicit-def: $vgpr4_vgpr5
	s_cbranch_execnz .LBB630_11
	s_branch .LBB630_48
.LBB630_10:
	s_or_b64 exec, exec, s[14:15]
	s_and_b64 vcc, exec, s[6:7]
	s_cbranch_vccz .LBB630_48
.LBB630_11:
	s_load_dwordx4 s[20:23], s[0:1], 0x30
	s_load_dword s33, s[0:1], 0x28
	s_load_dwordx2 s[6:7], s[0:1], 0x40
	s_load_dword s34, s[0:1], 0x48
	v_lshlrev_b32_e32 v24, 2, v18
	s_waitcnt lgkmcnt(0)
	s_mul_i32 s0, s3, s21
	s_mul_hi_u32 s1, s3, s20
	s_add_i32 s1, s1, s0
	s_mul_i32 s0, s3, s20
	s_lshl_b64 s[0:1], s[0:1], 1
	s_add_u32 s14, s16, s0
	s_addc_u32 s15, s17, s1
	s_lshl_b64 s[0:1], s[18:19], 1
	s_add_u32 s14, s14, s0
	s_addc_u32 s15, s15, s1
	s_mul_i32 s0, s3, s5
	s_mul_hi_u32 s1, s3, s4
	s_add_i32 s1, s1, s0
	s_mul_i32 s0, s3, s4
	s_lshl_b64 s[0:1], s[0:1], 1
	s_add_u32 s3, s22, s0
	s_addc_u32 s4, s23, s1
	s_lshl_b64 s[0:1], s[6:7], 1
	s_add_u32 s16, s3, s0
	s_addc_u32 s17, s4, s1
	s_ashr_i32 s0, s13, 31
	s_lshr_b32 s0, s0, 28
	s_add_i32 s0, s13, s0
	s_lshl_b32 s31, s2, 8
	s_and_b32 s35, s0, -16
	v_add_u32_e32 v23, s31, v2
	v_cmp_gt_i32_e32 vcc, s35, v24
	v_mov_b32_e32 v19, 0
	v_mov_b32_e32 v20, 0
	;; [unrolled: 1-line block ×4, first 2 shown]
	s_and_saveexec_b64 s[18:19], vcc
	s_cbranch_execz .LBB630_23
; %bb.12:
	v_add_u32_e32 v0, 64, v23
	v_cmp_gt_i32_e64 s[0:1], s12, v0
	v_add_u32_e32 v0, 0x80, v23
	v_cmp_gt_i32_e64 s[2:3], s12, v0
	;; [unrolled: 2-line block ×3, first 2 shown]
	v_mul_lo_u32 v0, s33, v24
	v_add_u32_e32 v6, 2, v24
	v_add_u32_e32 v7, 3, v24
	v_add3_u32 v25, v0, s33, v2
	v_mad_u64_u32 v[0:1], s[6:7], s33, v6, v[2:3]
	v_mad_u64_u32 v[4:5], s[6:7], s33, v7, v[2:3]
	v_mul_lo_u32 v1, v18, s33
	v_mul_lo_u32 v5, s34, v24
	;; [unrolled: 1-line block ×4, first 2 shown]
	v_cmp_gt_i32_e32 vcc, s12, v23
	s_lshl_b32 s36, s33, 4
	v_lshl_add_u32 v1, v1, 2, v2
	v_add_u32_e32 v5, s34, v5
	s_lshl_b32 s37, s34, 4
	v_mul_lo_u32 v27, s34, v7
	v_lshlrev_b32_e32 v28, 2, v6
	s_mov_b32 s38, 0
	s_mov_b64 s[20:21], 0
	v_mov_b32_e32 v19, 0
	v_mov_b32_e32 v20, 0
	;; [unrolled: 1-line block ×4, first 2 shown]
	s_branch .LBB630_17
.LBB630_13:                             ;   in Loop: Header=BB630_17 Depth=1
	s_or_b64 exec, exec, s[26:27]
	s_waitcnt vmcnt(3)
	v_lshlrev_b32_e32 v10, 16, v40
	v_fmac_f32_e32 v21, v8, v10
	s_waitcnt vmcnt(2)
	v_lshlrev_b32_e32 v10, 16, v39
	v_fmac_f32_e32 v21, v9, v10
	s_waitcnt vmcnt(1)
	v_lshlrev_b32_e32 v10, 16, v38
	v_fmac_f32_e32 v21, v6, v10
	s_waitcnt vmcnt(0)
	v_lshlrev_b32_e32 v10, 16, v37
	v_fmac_f32_e32 v21, v7, v10
.LBB630_14:                             ;   in Loop: Header=BB630_17 Depth=1
	s_or_b64 exec, exec, s[24:25]
	s_waitcnt vmcnt(3)
	v_lshlrev_b32_e32 v10, 16, v36
	v_fmac_f32_e32 v20, v8, v10
	s_waitcnt vmcnt(2)
	v_lshlrev_b32_e32 v10, 16, v35
	v_fmac_f32_e32 v20, v9, v10
	;; [unrolled: 3-line block ×4, first 2 shown]
.LBB630_15:                             ;   in Loop: Header=BB630_17 Depth=1
	s_or_b64 exec, exec, s[22:23]
	s_waitcnt vmcnt(3)
	v_lshlrev_b32_e32 v10, 16, v32
	v_fmac_f32_e32 v19, v8, v10
	s_waitcnt vmcnt(2)
	v_lshlrev_b32_e32 v8, 16, v31
	v_fmac_f32_e32 v19, v9, v8
	;; [unrolled: 3-line block ×4, first 2 shown]
.LBB630_16:                             ;   in Loop: Header=BB630_17 Depth=1
	s_or_b64 exec, exec, s[6:7]
	v_add_u32_e32 v24, 16, v24
	s_add_i32 s38, s38, s37
	v_cmp_le_i32_e64 s[6:7], s35, v24
	v_add_u32_e32 v25, s36, v25
	v_add_u32_e32 v0, s36, v0
	;; [unrolled: 1-line block ×3, first 2 shown]
	s_or_b64 s[20:21], s[6:7], s[20:21]
	v_add_u32_e32 v1, s36, v1
	s_andn2_b64 exec, exec, s[20:21]
	s_cbranch_execz .LBB630_22
.LBB630_17:                             ; =>This Inner Loop Header: Depth=1
	s_and_saveexec_b64 s[6:7], vcc
	s_cbranch_execz .LBB630_16
; %bb.18:                               ;   in Loop: Header=BB630_17 Depth=1
	v_add_u32_e32 v6, s38, v28
	v_ashrrev_i32_e32 v7, 31, v6
	v_add_u32_e32 v8, s38, v5
	v_add_u32_e32 v10, s38, v26
	;; [unrolled: 1-line block ×3, first 2 shown]
	v_lshl_add_u64 v[6:7], v[6:7], 1, s[16:17]
	v_ashrrev_i32_e32 v9, 31, v8
	v_ashrrev_i32_e32 v11, 31, v10
	;; [unrolled: 1-line block ×3, first 2 shown]
	v_lshl_add_u64 v[8:9], v[8:9], 1, s[16:17]
	v_lshl_add_u64 v[10:11], v[10:11], 1, s[16:17]
	;; [unrolled: 1-line block ×3, first 2 shown]
	global_load_ushort v33, v[6:7], off
	global_load_ushort v34, v[8:9], off
	;; [unrolled: 1-line block ×4, first 2 shown]
	v_add_u32_e32 v6, s31, v1
	v_ashrrev_i32_e32 v7, 31, v6
	v_lshl_add_u64 v[10:11], v[6:7], 1, s[14:15]
	v_add_u32_e32 v6, s31, v25
	v_ashrrev_i32_e32 v7, 31, v6
	v_lshl_add_u64 v[12:13], v[6:7], 1, s[14:15]
	;; [unrolled: 3-line block ×4, first 2 shown]
	global_load_ushort v32, v[10:11], off
	global_load_ushort v31, v[12:13], off
	;; [unrolled: 1-line block ×4, first 2 shown]
	s_waitcnt vmcnt(7)
	v_lshlrev_b32_e32 v8, 16, v33
	s_waitcnt vmcnt(6)
	v_lshlrev_b32_e32 v9, 16, v34
	;; [unrolled: 2-line block ×4, first 2 shown]
	s_and_saveexec_b64 s[22:23], s[0:1]
	s_cbranch_execz .LBB630_15
; %bb.19:                               ;   in Loop: Header=BB630_17 Depth=1
	global_load_ushort v36, v[10:11], off offset:128
	global_load_ushort v35, v[12:13], off offset:128
	global_load_ushort v34, v[14:15], off offset:128
	global_load_ushort v33, v[16:17], off offset:128
	s_and_saveexec_b64 s[24:25], s[2:3]
	s_cbranch_execz .LBB630_14
; %bb.20:                               ;   in Loop: Header=BB630_17 Depth=1
	global_load_ushort v40, v[10:11], off offset:256
	global_load_ushort v39, v[12:13], off offset:256
	global_load_ushort v38, v[14:15], off offset:256
	global_load_ushort v37, v[16:17], off offset:256
	;; [unrolled: 7-line block ×3, first 2 shown]
	s_waitcnt vmcnt(3)
	v_lshlrev_b32_e32 v11, 16, v41
	s_waitcnt vmcnt(2)
	v_lshlrev_b32_e32 v10, 16, v42
	v_pk_mul_f32 v[10:11], v[8:9], v[10:11]
	s_waitcnt vmcnt(1)
	v_lshlrev_b32_e32 v13, 16, v43
	s_waitcnt vmcnt(0)
	v_lshlrev_b32_e32 v12, 16, v44
	v_add_f32_e32 v10, v22, v10
	v_add_f32_e32 v14, v10, v11
	v_pk_mul_f32 v[10:11], v[6:7], v[12:13]
	s_nop 0
	v_add_f32_e32 v10, v14, v10
	v_add_f32_e32 v22, v10, v11
	s_branch .LBB630_13
.LBB630_22:
	s_or_b64 exec, exec, s[20:21]
.LBB630_23:
	s_or_b64 exec, exec, s[18:19]
	s_sub_i32 s0, s13, s35
	s_cmp_lt_i32 s0, 1
	s_cbranch_scc1 .LBB630_41
; %bb.24:
	v_cmp_gt_i32_e32 vcc, s13, v24
	v_mov_b32_e32 v10, 0
	v_or_b32_e32 v4, 1, v24
	v_mov_b32_e32 v11, 0
	v_mov_b32_e32 v12, 0
	;; [unrolled: 1-line block ×3, first 2 shown]
	s_and_saveexec_b64 s[2:3], vcc
	s_cbranch_execz .LBB630_32
; %bb.25:
	v_mul_lo_u32 v0, v24, s34
	v_ashrrev_i32_e32 v1, 31, v0
	v_lshl_add_u64 v[0:1], v[0:1], 1, s[16:17]
	global_load_ushort v0, v[0:1], off
	v_cmp_gt_i32_e64 s[0:1], s13, v4
	v_mov_b32_e32 v12, 0
	v_mov_b32_e32 v11, 0
	;; [unrolled: 1-line block ×3, first 2 shown]
	s_and_saveexec_b64 s[4:5], s[0:1]
	s_cbranch_execz .LBB630_31
; %bb.26:
	v_mul_lo_u32 v6, v4, s34
	v_ashrrev_i32_e32 v7, 31, v6
	v_lshl_add_u64 v[6:7], v[6:7], 1, s[16:17]
	global_load_ushort v1, v[6:7], off
	v_or_b32_e32 v5, 2, v24
	v_cmp_gt_i32_e64 s[0:1], s13, v5
	v_mov_b32_e32 v11, 0
	v_mov_b32_e32 v10, 0
	s_and_saveexec_b64 s[6:7], s[0:1]
	s_cbranch_execz .LBB630_30
; %bb.27:
	v_mul_lo_u32 v6, v5, s34
	v_ashrrev_i32_e32 v7, 31, v6
	v_lshl_add_u64 v[6:7], v[6:7], 1, s[16:17]
	global_load_ushort v5, v[6:7], off
	v_or_b32_e32 v6, 3, v24
	v_cmp_gt_i32_e64 s[0:1], s13, v6
	v_mov_b32_e32 v10, 0
	s_and_saveexec_b64 s[18:19], s[0:1]
	s_cbranch_execz .LBB630_29
; %bb.28:
	v_mul_lo_u32 v6, v6, s34
	v_ashrrev_i32_e32 v7, 31, v6
	v_lshl_add_u64 v[6:7], v[6:7], 1, s[16:17]
	global_load_ushort v6, v[6:7], off
	s_waitcnt vmcnt(0)
	v_lshlrev_b32_e32 v10, 16, v6
.LBB630_29:
	s_or_b64 exec, exec, s[18:19]
	s_waitcnt vmcnt(0)
	v_lshlrev_b32_e32 v11, 16, v5
.LBB630_30:
	s_or_b64 exec, exec, s[6:7]
	s_waitcnt vmcnt(0)
	v_lshlrev_b32_e32 v12, 16, v1
.LBB630_31:
	s_or_b64 exec, exec, s[4:5]
	s_waitcnt vmcnt(0)
	v_lshlrev_b32_e32 v13, 16, v0
.LBB630_32:
	s_or_b64 exec, exec, s[2:3]
	v_cmp_gt_i32_e64 s[0:1], s12, v23
	s_and_saveexec_b64 s[2:3], s[0:1]
	s_cbranch_execz .LBB630_40
; %bb.33:
	v_mul_lo_u32 v0, v24, s33
	v_cndmask_b32_e32 v0, 0, v0, vcc
	v_mul_lo_u32 v5, v4, s33
	v_cmp_gt_i32_e32 vcc, s13, v4
	v_or_b32_e32 v6, 2, v24
	v_add_u32_e32 v0, v0, v23
	v_cndmask_b32_e32 v4, 0, v5, vcc
	v_mul_lo_u32 v7, v6, s33
	v_cmp_gt_i32_e32 vcc, s13, v6
	v_or_b32_e32 v8, 3, v24
	v_ashrrev_i32_e32 v1, 31, v0
	v_add_u32_e32 v4, v4, v23
	v_cndmask_b32_e32 v6, 0, v7, vcc
	v_mul_lo_u32 v9, v8, s33
	v_cmp_gt_i32_e32 vcc, s13, v8
	v_lshl_add_u64 v[0:1], v[0:1], 1, s[14:15]
	v_ashrrev_i32_e32 v5, 31, v4
	v_add_u32_e32 v6, v6, v23
	v_cndmask_b32_e32 v8, 0, v9, vcc
	v_lshl_add_u64 v[4:5], v[4:5], 1, s[14:15]
	v_ashrrev_i32_e32 v7, 31, v6
	v_add_u32_e32 v8, v8, v23
	global_load_ushort v14, v[0:1], off
	global_load_ushort v15, v[4:5], off
	v_lshl_add_u64 v[6:7], v[6:7], 1, s[14:15]
	v_ashrrev_i32_e32 v9, 31, v8
	v_lshl_add_u64 v[8:9], v[8:9], 1, s[14:15]
	global_load_ushort v16, v[6:7], off
	global_load_ushort v17, v[8:9], off
	v_add_u32_e32 v24, 64, v23
	v_cmp_gt_i32_e32 vcc, s12, v24
	s_waitcnt vmcnt(3)
	v_lshlrev_b32_e32 v14, 16, v14
	s_waitcnt vmcnt(2)
	v_lshlrev_b32_e32 v15, 16, v15
	v_fmac_f32_e32 v19, v13, v14
	v_fmac_f32_e32 v19, v12, v15
	s_waitcnt vmcnt(1)
	v_lshlrev_b32_e32 v16, 16, v16
	s_waitcnt vmcnt(0)
	v_lshlrev_b32_e32 v14, 16, v17
	v_fmac_f32_e32 v19, v11, v16
	s_and_saveexec_b64 s[0:1], vcc
	s_cbranch_execz .LBB630_39
; %bb.34:
	global_load_ushort v15, v[0:1], off offset:128
	global_load_ushort v16, v[4:5], off offset:128
	;; [unrolled: 1-line block ×4, first 2 shown]
	v_add_u32_e32 v25, 0x80, v23
	v_cmp_gt_i32_e32 vcc, s12, v25
	s_waitcnt vmcnt(3)
	v_lshlrev_b32_e32 v26, 16, v15
	s_waitcnt vmcnt(2)
	v_lshlrev_b32_e32 v16, 16, v16
	v_fmac_f32_e32 v20, v13, v26
	s_waitcnt vmcnt(1)
	v_lshlrev_b32_e32 v17, 16, v17
	v_fmac_f32_e32 v20, v12, v16
	;; [unrolled: 3-line block ×3, first 2 shown]
	s_and_saveexec_b64 s[4:5], vcc
	s_cbranch_execz .LBB630_38
; %bb.35:
	global_load_ushort v16, v[0:1], off offset:256
	global_load_ushort v17, v[4:5], off offset:256
	;; [unrolled: 1-line block ×4, first 2 shown]
	v_add_u32_e32 v23, 0xc0, v23
	v_cmp_gt_i32_e32 vcc, s12, v23
	s_waitcnt vmcnt(3)
	v_lshlrev_b32_e32 v26, 16, v16
	s_waitcnt vmcnt(2)
	v_lshlrev_b32_e32 v17, 16, v17
	v_fmac_f32_e32 v21, v13, v26
	s_waitcnt vmcnt(1)
	v_lshlrev_b32_e32 v24, 16, v24
	v_fmac_f32_e32 v21, v12, v17
	;; [unrolled: 3-line block ×3, first 2 shown]
	s_and_saveexec_b64 s[6:7], vcc
	s_cbranch_execz .LBB630_37
; %bb.36:
	global_load_ushort v17, v[0:1], off offset:384
	global_load_ushort v23, v[4:5], off offset:384
	;; [unrolled: 1-line block ×4, first 2 shown]
	s_waitcnt vmcnt(3)
	v_lshlrev_b32_e32 v0, 16, v17
	s_waitcnt vmcnt(2)
	v_lshlrev_b32_e32 v1, 16, v23
	v_fmac_f32_e32 v22, v13, v0
	s_waitcnt vmcnt(1)
	v_lshlrev_b32_e32 v4, 16, v24
	v_fmac_f32_e32 v22, v12, v1
	v_fmac_f32_e32 v22, v11, v4
	s_waitcnt vmcnt(0)
	v_lshlrev_b32_e32 v0, 16, v25
	v_fmac_f32_e32 v22, v10, v0
.LBB630_37:
	s_or_b64 exec, exec, s[6:7]
	v_fmac_f32_e32 v21, v10, v16
.LBB630_38:
	s_or_b64 exec, exec, s[4:5]
	v_fmac_f32_e32 v20, v10, v15
.LBB630_39:
	s_or_b64 exec, exec, s[0:1]
	v_fmac_f32_e32 v19, v10, v14
.LBB630_40:
	s_or_b64 exec, exec, s[2:3]
.LBB630_41:
	v_lshlrev_b32_e32 v0, 8, v18
	s_movk_i32 s0, 0x100
	v_add_lshl_u32 v0, v0, v2, 2
	v_cmp_gt_u32_e32 vcc, s0, v3
	ds_write2st64_b32 v0, v19, v20 offset1:1
	ds_write2st64_b32 v0, v21, v22 offset0:2 offset1:3
	s_waitcnt lgkmcnt(0)
	s_barrier
	s_waitcnt lgkmcnt(0)
                                        ; implicit-def: $vgpr1
                                        ; implicit-def: $vgpr4_vgpr5
	s_and_saveexec_b64 s[0:1], vcc
	s_cbranch_execz .LBB630_47
; %bb.42:
	v_lshlrev_b32_e32 v1, 2, v3
	ds_read2st64_b32 v[4:5], v1 offset1:4
	ds_read2st64_b32 v[6:7], v1 offset0:8 offset1:12
	v_or_b32_e32 v0, s31, v3
	v_cmp_gt_i32_e32 vcc, s12, v0
	s_mov_b64 s[4:5], s[10:11]
	s_waitcnt lgkmcnt(1)
	v_add_f32_e32 v2, v4, v5
	s_waitcnt lgkmcnt(0)
	v_add_f32_e32 v2, v6, v2
	v_add_f32_e32 v2, v7, v2
	ds_write_b32 v1, v2
                                        ; implicit-def: $vgpr1
                                        ; implicit-def: $vgpr4_vgpr5
	s_and_saveexec_b64 s[2:3], vcc
	s_cbranch_execz .LBB630_46
; %bb.43:
	v_cmp_eq_f32_e64 s[4:5], s28, 0
	v_mul_lo_u32 v4, v0, s30
	v_mul_f32_e32 v1, s29, v2
	v_ashrrev_i32_e32 v5, 31, v4
	s_and_b64 vcc, exec, s[4:5]
	s_cbranch_vccnz .LBB630_45
; %bb.44:
	v_lshl_add_u64 v[2:3], v[4:5], 2, s[8:9]
	global_load_dword v0, v[2:3], off
	s_waitcnt vmcnt(0)
	v_fmac_f32_e32 v1, s28, v0
.LBB630_45:
	s_or_b64 s[4:5], s[10:11], exec
.LBB630_46:
	s_or_b64 exec, exec, s[2:3]
	s_andn2_b64 s[2:3], s[10:11], exec
	s_and_b64 s[4:5], s[4:5], exec
	s_or_b64 s[10:11], s[2:3], s[4:5]
.LBB630_47:
	s_or_b64 exec, exec, s[0:1]
.LBB630_48:
	s_and_saveexec_b64 s[0:1], s[10:11]
	s_cbranch_execz .LBB630_50
; %bb.49:
	v_lshl_add_u64 v[2:3], v[4:5], 2, s[8:9]
	global_store_dword v[2:3], v1, off
.LBB630_50:
	s_endpgm
	.section	.rodata,"a",@progbits
	.p2align	6, 0x0
	.amdhsa_kernel _ZL20rocblas_gemvn_kernelILi64ELi4Ei16rocblas_bfloat16PKffEviiT3_lPKT2_lT1_lS6_lS7_lS3_lPT4_lS7_li
		.amdhsa_group_segment_fixed_size 4096
		.amdhsa_private_segment_fixed_size 0
		.amdhsa_kernarg_size 400
		.amdhsa_user_sgpr_count 2
		.amdhsa_user_sgpr_dispatch_ptr 0
		.amdhsa_user_sgpr_queue_ptr 0
		.amdhsa_user_sgpr_kernarg_segment_ptr 1
		.amdhsa_user_sgpr_dispatch_id 0
		.amdhsa_user_sgpr_kernarg_preload_length 0
		.amdhsa_user_sgpr_kernarg_preload_offset 0
		.amdhsa_user_sgpr_private_segment_size 0
		.amdhsa_uses_dynamic_stack 0
		.amdhsa_enable_private_segment 0
		.amdhsa_system_sgpr_workgroup_id_x 1
		.amdhsa_system_sgpr_workgroup_id_y 0
		.amdhsa_system_sgpr_workgroup_id_z 1
		.amdhsa_system_sgpr_workgroup_info 0
		.amdhsa_system_vgpr_workitem_id 1
		.amdhsa_next_free_vgpr 45
		.amdhsa_next_free_sgpr 39
		.amdhsa_accum_offset 48
		.amdhsa_reserve_vcc 1
		.amdhsa_float_round_mode_32 0
		.amdhsa_float_round_mode_16_64 0
		.amdhsa_float_denorm_mode_32 3
		.amdhsa_float_denorm_mode_16_64 3
		.amdhsa_dx10_clamp 1
		.amdhsa_ieee_mode 1
		.amdhsa_fp16_overflow 0
		.amdhsa_tg_split 0
		.amdhsa_exception_fp_ieee_invalid_op 0
		.amdhsa_exception_fp_denorm_src 0
		.amdhsa_exception_fp_ieee_div_zero 0
		.amdhsa_exception_fp_ieee_overflow 0
		.amdhsa_exception_fp_ieee_underflow 0
		.amdhsa_exception_fp_ieee_inexact 0
		.amdhsa_exception_int_div_zero 0
	.end_amdhsa_kernel
	.section	.text._ZL20rocblas_gemvn_kernelILi64ELi4Ei16rocblas_bfloat16PKffEviiT3_lPKT2_lT1_lS6_lS7_lS3_lPT4_lS7_li,"axG",@progbits,_ZL20rocblas_gemvn_kernelILi64ELi4Ei16rocblas_bfloat16PKffEviiT3_lPKT2_lT1_lS6_lS7_lS3_lPT4_lS7_li,comdat
.Lfunc_end630:
	.size	_ZL20rocblas_gemvn_kernelILi64ELi4Ei16rocblas_bfloat16PKffEviiT3_lPKT2_lT1_lS6_lS7_lS3_lPT4_lS7_li, .Lfunc_end630-_ZL20rocblas_gemvn_kernelILi64ELi4Ei16rocblas_bfloat16PKffEviiT3_lPKT2_lT1_lS6_lS7_lS3_lPT4_lS7_li
                                        ; -- End function
	.section	.AMDGPU.csdata,"",@progbits
; Kernel info:
; codeLenInByte = 2512
; NumSgprs: 45
; NumVgprs: 45
; NumAgprs: 0
; TotalNumVgprs: 45
; ScratchSize: 0
; MemoryBound: 0
; FloatMode: 240
; IeeeMode: 1
; LDSByteSize: 4096 bytes/workgroup (compile time only)
; SGPRBlocks: 5
; VGPRBlocks: 5
; NumSGPRsForWavesPerEU: 45
; NumVGPRsForWavesPerEU: 45
; AccumOffset: 48
; Occupancy: 8
; WaveLimiterHint : 1
; COMPUTE_PGM_RSRC2:SCRATCH_EN: 0
; COMPUTE_PGM_RSRC2:USER_SGPR: 2
; COMPUTE_PGM_RSRC2:TRAP_HANDLER: 0
; COMPUTE_PGM_RSRC2:TGID_X_EN: 1
; COMPUTE_PGM_RSRC2:TGID_Y_EN: 0
; COMPUTE_PGM_RSRC2:TGID_Z_EN: 1
; COMPUTE_PGM_RSRC2:TIDIG_COMP_CNT: 1
; COMPUTE_PGM_RSRC3_GFX90A:ACCUM_OFFSET: 11
; COMPUTE_PGM_RSRC3_GFX90A:TG_SPLIT: 0
	.section	.text._ZL20rocblas_gemvn_kernelILi64ELi4El16rocblas_bfloat16PKffEviiT3_lPKT2_lT1_lS6_lS7_lS3_lPT4_lS7_li,"axG",@progbits,_ZL20rocblas_gemvn_kernelILi64ELi4El16rocblas_bfloat16PKffEviiT3_lPKT2_lT1_lS6_lS7_lS3_lPT4_lS7_li,comdat
	.globl	_ZL20rocblas_gemvn_kernelILi64ELi4El16rocblas_bfloat16PKffEviiT3_lPKT2_lT1_lS6_lS7_lS3_lPT4_lS7_li ; -- Begin function _ZL20rocblas_gemvn_kernelILi64ELi4El16rocblas_bfloat16PKffEviiT3_lPKT2_lT1_lS6_lS7_lS3_lPT4_lS7_li
	.p2align	8
	.type	_ZL20rocblas_gemvn_kernelILi64ELi4El16rocblas_bfloat16PKffEviiT3_lPKT2_lT1_lS6_lS7_lS3_lPT4_lS7_li,@function
_ZL20rocblas_gemvn_kernelILi64ELi4El16rocblas_bfloat16PKffEviiT3_lPKT2_lT1_lS6_lS7_lS3_lPT4_lS7_li: ; @_ZL20rocblas_gemvn_kernelILi64ELi4El16rocblas_bfloat16PKffEviiT3_lPKT2_lT1_lS6_lS7_lS3_lPT4_lS7_li
; %bb.0:
	s_load_dwordx2 s[4:5], s[0:1], 0x9c
	s_waitcnt lgkmcnt(0)
	s_lshr_b32 s6, s4, 16
	s_and_b32 s4, s4, 0xffff
	s_and_b32 s5, s5, 0xffff
	s_mul_i32 s4, s6, s4
	s_mul_i32 s4, s4, s5
	s_cmpk_lg_i32 s4, 0x100
	s_cbranch_scc1 .LBB631_50
; %bb.1:
	s_load_dwordx16 s[36:51], s[0:1], 0x8
	s_load_dwordx16 s[8:23], s[0:1], 0x48
	s_waitcnt lgkmcnt(0)
	s_mul_i32 s5, s3, s39
	s_mul_hi_u32 s6, s3, s38
	s_mul_i32 s4, s3, s38
	s_add_i32 s5, s6, s5
	s_lshl_b64 s[4:5], s[4:5], 2
	s_add_u32 s4, s36, s4
	s_addc_u32 s5, s37, s5
	s_mul_i32 s7, s3, s15
	s_load_dword s52, s[4:5], 0x0
	s_mul_hi_u32 s4, s3, s14
	s_add_i32 s5, s4, s7
	s_mul_i32 s4, s3, s14
	s_lshl_b64 s[4:5], s[4:5], 2
	s_add_u32 s4, s12, s4
	s_addc_u32 s5, s13, s5
	s_load_dword s33, s[4:5], 0x0
	s_waitcnt lgkmcnt(0)
	v_cmp_eq_f32_e64 s[4:5], s52, 0
	v_cmp_eq_f32_e64 s[6:7], s33, 1.0
	s_and_b64 s[4:5], s[4:5], s[6:7]
	s_and_b64 vcc, exec, s[4:5]
	s_cbranch_vccnz .LBB631_50
; %bb.2:
	s_load_dwordx2 s[14:15], s[0:1], 0x0
	s_mul_i32 s0, s3, s23
	s_mul_hi_u32 s1, s3, s22
	s_add_i32 s1, s1, s0
	s_mul_i32 s0, s3, s22
	s_lshl_b64 s[0:1], s[0:1], 2
	s_add_u32 s4, s16, s0
	s_addc_u32 s5, s17, s1
	s_lshl_b64 s[0:1], s[18:19], 2
	s_add_u32 s12, s4, s0
	s_addc_u32 s13, s5, s1
	v_and_b32_e32 v33, 0x3ff, v0
	v_bfe_u32 v34, v0, 10, 10
	v_cmp_neq_f32_e64 s[0:1], s52, 0
	v_lshl_add_u32 v32, v34, 6, v33
	s_and_b64 vcc, exec, s[0:1]
	s_cbranch_vccnz .LBB631_9
; %bb.3:
	s_movk_i32 s0, 0x100
	v_cmp_gt_u32_e32 vcc, s0, v32
	s_mov_b64 s[0:1], 0
	s_mov_b64 s[16:17], 0
                                        ; implicit-def: $vgpr1
                                        ; implicit-def: $vgpr2_vgpr3
	s_and_saveexec_b64 s[4:5], vcc
	s_cbranch_execz .LBB631_10
; %bb.4:
	v_lshl_or_b32 v0, s2, 8, v32
	v_mov_b32_e32 v1, 0
	s_waitcnt lgkmcnt(0)
	s_ashr_i32 s7, s14, 31
	s_mov_b32 s6, s14
	v_cmp_gt_i64_e32 vcc, s[6:7], v[0:1]
                                        ; implicit-def: $vgpr2_vgpr3
	s_and_saveexec_b64 s[6:7], vcc
	s_cbranch_execz .LBB631_8
; %bb.5:
	v_mad_u64_u32 v[2:3], s[18:19], v0, s20, 0
	v_mov_b32_e32 v4, v3
	v_cmp_eq_f32_e64 s[16:17], s33, 0
	v_mad_u64_u32 v[4:5], s[18:19], v0, s21, v[4:5]
	v_mov_b32_e32 v3, v4
	s_and_b64 vcc, exec, s[16:17]
	s_cbranch_vccnz .LBB631_7
; %bb.6:
	v_lshl_add_u64 v[0:1], v[2:3], 2, s[12:13]
	global_load_dword v0, v[0:1], off
	s_waitcnt vmcnt(0)
	v_mul_f32_e32 v1, s33, v0
.LBB631_7:
	s_mov_b64 s[16:17], exec
.LBB631_8:
	s_or_b64 exec, exec, s[6:7]
	s_and_b64 s[16:17], s[16:17], exec
	s_or_b64 exec, exec, s[4:5]
	s_and_b64 vcc, exec, s[0:1]
	s_cbranch_vccnz .LBB631_11
	s_branch .LBB631_48
.LBB631_9:
	s_mov_b64 s[16:17], 0
                                        ; implicit-def: $vgpr1
                                        ; implicit-def: $vgpr2_vgpr3
	s_cbranch_execnz .LBB631_11
	s_branch .LBB631_48
.LBB631_10:
	s_or_b64 exec, exec, s[4:5]
	s_and_b64 vcc, exec, s[0:1]
	s_cbranch_vccz .LBB631_48
.LBB631_11:
	s_mul_i32 s0, s3, s47
	s_mul_hi_u32 s1, s3, s46
	s_add_i32 s19, s1, s0
	s_mul_i32 s0, s3, s11
	s_mul_hi_u32 s1, s3, s10
	s_add_i32 s11, s1, s0
	s_waitcnt lgkmcnt(0)
	s_ashr_i32 s0, s15, 31
	s_lshr_b32 s0, s0, 28
	s_add_i32 s0, s15, s0
	s_mul_i32 s18, s3, s46
	s_lshl_b32 s46, s2, 8
	s_and_b32 s47, s0, -16
	v_lshlrev_b32_e32 v39, 2, v34
	s_mul_i32 s10, s3, s10
	v_add_u32_e32 v0, s46, v33
	v_cmp_gt_i32_e32 vcc, s47, v39
	v_mov_b32_e32 v35, 0
	v_mov_b32_e32 v36, 0
	v_mov_b32_e32 v37, 0
	v_mov_b32_e32 v38, 0
	s_and_saveexec_b64 s[22:23], vcc
	s_cbranch_execz .LBB631_23
; %bb.12:
	v_add_u32_e32 v2, 64, v0
	v_cmp_gt_i32_e64 s[0:1], s14, v2
	v_add_u32_e32 v2, 0x80, v0
	v_cmp_gt_i32_e64 s[2:3], s14, v2
	v_add_u32_e32 v2, 0xc0, v0
	v_cmp_gt_i32_e64 s[4:5], s14, v2
	v_mad_u64_u32 v[2:3], s[6:7], s8, v34, 0
	v_mov_b32_e32 v4, v3
	v_ashrrev_i32_e32 v1, 31, v0
	v_mad_u64_u32 v[4:5], s[6:7], s9, v34, v[4:5]
	v_mov_b32_e32 v3, v4
	v_lshlrev_b64 v[4:5], 1, v[0:1]
	v_lshlrev_b32_e32 v1, 2, v34
	v_or_b32_e32 v11, 3, v1
	v_mad_u64_u32 v[6:7], s[28:29], s44, v11, 0
	v_mov_b32_e32 v8, v7
	v_mad_u64_u32 v[8:9], s[28:29], s45, v11, v[8:9]
	v_mov_b32_e32 v7, v8
	;; [unrolled: 2-line block ×5, first 2 shown]
	v_mad_u64_u32 v[12:13], s[34:35], s45, v34, v[12:13]
	v_or_b32_e32 v17, 2, v1
	v_mov_b32_e32 v11, v12
	v_mad_u64_u32 v[12:13], s[34:35], s44, v17, 0
	v_mov_b32_e32 v14, v13
	v_mad_u64_u32 v[14:15], s[34:35], s45, v17, v[14:15]
	;; [unrolled: 2-line block ×4, first 2 shown]
	v_mov_b32_e32 v15, v16
	v_mov_b64_e32 v[16:17], s[8:9]
	v_mad_u64_u32 v[16:17], s[34:35], s8, v1, v[16:17]
	s_lshl_b64 s[24:25], s[50:51], 1
	s_lshl_b64 s[6:7], s[10:11], 1
	v_mov_b32_e32 v18, v17
	s_add_u32 s6, s48, s6
	v_mad_u64_u32 v[18:19], s[34:35], s9, v1, v[18:19]
	s_addc_u32 s7, s49, s7
	s_lshl_b64 s[26:27], s[8:9], 5
	s_lshl_b64 s[28:29], s[18:19], 1
	;; [unrolled: 1-line block ×3, first 2 shown]
	v_mov_b32_e32 v17, v18
	v_mov_b64_e32 v[18:19], s[44:45]
	v_lshl_add_u64 v[2:3], v[2:3], 3, s[6:7]
	s_add_u32 s30, s40, s30
	v_lshl_add_u64 v[8:9], v[8:9], 1, s[6:7]
	v_lshl_add_u64 v[14:15], v[14:15], 1, s[6:7]
	;; [unrolled: 1-line block ×3, first 2 shown]
	v_mad_u64_u32 v[18:19], s[6:7], s44, v1, v[18:19]
	s_addc_u32 s31, s41, s31
	v_mov_b32_e32 v20, v19
	s_add_u32 s30, s30, s28
	v_mad_u64_u32 v[20:21], s[6:7], s45, v1, v[20:21]
	s_addc_u32 s31, s31, s29
	v_mov_b32_e32 v19, v20
	v_cmp_gt_i32_e32 vcc, s14, v0
	v_lshl_add_u64 v[6:7], v[6:7], 1, s[30:31]
	s_lshl_b64 s[28:29], s[44:45], 5
	v_lshl_add_u64 v[10:11], v[10:11], 3, s[30:31]
	v_lshl_add_u64 v[12:13], v[12:13], 1, s[30:31]
	;; [unrolled: 1-line block ×3, first 2 shown]
	s_mov_b64 s[30:31], 0
	v_mov_b32_e32 v35, 0
	v_mov_b32_e32 v36, 0
	;; [unrolled: 1-line block ×4, first 2 shown]
	s_branch .LBB631_17
.LBB631_13:                             ;   in Loop: Header=BB631_17 Depth=1
	s_or_b64 exec, exec, s[38:39]
	s_waitcnt vmcnt(3)
	v_lshlrev_b32_e32 v24, 16, v50
	v_fmac_f32_e32 v37, v22, v24
	s_waitcnt vmcnt(2)
	v_lshlrev_b32_e32 v24, 16, v49
	v_fmac_f32_e32 v37, v23, v24
	;; [unrolled: 3-line block ×4, first 2 shown]
.LBB631_14:                             ;   in Loop: Header=BB631_17 Depth=1
	s_or_b64 exec, exec, s[36:37]
	s_waitcnt vmcnt(3)
	v_lshlrev_b32_e32 v24, 16, v46
	v_fmac_f32_e32 v36, v22, v24
	s_waitcnt vmcnt(2)
	v_lshlrev_b32_e32 v24, 16, v45
	v_fmac_f32_e32 v36, v23, v24
	;; [unrolled: 3-line block ×4, first 2 shown]
.LBB631_15:                             ;   in Loop: Header=BB631_17 Depth=1
	s_or_b64 exec, exec, s[34:35]
	s_waitcnt vmcnt(3)
	v_lshlrev_b32_e32 v24, 16, v42
	v_fmac_f32_e32 v35, v22, v24
	s_waitcnt vmcnt(2)
	v_lshlrev_b32_e32 v22, 16, v41
	v_fmac_f32_e32 v35, v23, v22
	;; [unrolled: 3-line block ×4, first 2 shown]
.LBB631_16:                             ;   in Loop: Header=BB631_17 Depth=1
	s_or_b64 exec, exec, s[6:7]
	v_add_u32_e32 v39, 16, v39
	v_cmp_le_i32_e64 s[6:7], s47, v39
	v_lshl_add_u64 v[2:3], v[2:3], 0, s[26:27]
	v_lshl_add_u64 v[6:7], v[6:7], 0, s[28:29]
	;; [unrolled: 1-line block ×7, first 2 shown]
	s_or_b64 s[30:31], s[6:7], s[30:31]
	v_lshl_add_u64 v[18:19], v[18:19], 0, s[28:29]
	s_andn2_b64 exec, exec, s[30:31]
	s_cbranch_execz .LBB631_22
.LBB631_17:                             ; =>This Inner Loop Header: Depth=1
	s_and_saveexec_b64 s[6:7], vcc
	s_cbranch_execz .LBB631_16
; %bb.18:                               ;   in Loop: Header=BB631_17 Depth=1
	v_lshl_add_u64 v[20:21], v[2:3], 0, s[24:25]
	v_lshl_add_u64 v[22:23], v[16:17], 0, s[24:25]
	global_load_ushort v43, v[20:21], off
	global_load_ushort v44, v[22:23], off
	v_lshl_add_u64 v[20:21], v[14:15], 0, s[24:25]
	v_lshl_add_u64 v[22:23], v[8:9], 0, s[24:25]
	global_load_ushort v45, v[20:21], off
	global_load_ushort v46, v[22:23], off
	v_lshl_add_u64 v[28:29], v[10:11], 0, v[4:5]
	v_lshl_add_u64 v[30:31], v[18:19], 0, v[4:5]
	;; [unrolled: 1-line block ×4, first 2 shown]
	global_load_ushort v42, v[28:29], off
	global_load_ushort v41, v[30:31], off
	;; [unrolled: 1-line block ×4, first 2 shown]
	s_waitcnt vmcnt(7)
	v_lshlrev_b32_e32 v22, 16, v43
	s_waitcnt vmcnt(6)
	v_lshlrev_b32_e32 v23, 16, v44
	s_waitcnt vmcnt(5)
	v_lshlrev_b32_e32 v20, 16, v45
	s_waitcnt vmcnt(4)
	v_lshlrev_b32_e32 v21, 16, v46
	s_and_saveexec_b64 s[34:35], s[0:1]
	s_cbranch_execz .LBB631_15
; %bb.19:                               ;   in Loop: Header=BB631_17 Depth=1
	global_load_ushort v46, v[28:29], off offset:128
	global_load_ushort v45, v[30:31], off offset:128
	;; [unrolled: 1-line block ×4, first 2 shown]
	s_and_saveexec_b64 s[36:37], s[2:3]
	s_cbranch_execz .LBB631_14
; %bb.20:                               ;   in Loop: Header=BB631_17 Depth=1
	global_load_ushort v50, v[28:29], off offset:256
	global_load_ushort v49, v[30:31], off offset:256
	;; [unrolled: 1-line block ×4, first 2 shown]
	s_and_saveexec_b64 s[38:39], s[4:5]
	s_cbranch_execz .LBB631_13
; %bb.21:                               ;   in Loop: Header=BB631_17 Depth=1
	global_load_ushort v30, v[30:31], off offset:384
	s_nop 0
	global_load_ushort v28, v[28:29], off offset:384
	s_nop 0
	;; [unrolled: 2-line block ×3, first 2 shown]
	global_load_ushort v29, v[24:25], off offset:384
	s_waitcnt vmcnt(3)
	v_lshlrev_b32_e32 v25, 16, v30
	s_waitcnt vmcnt(2)
	v_lshlrev_b32_e32 v24, 16, v28
	v_pk_mul_f32 v[24:25], v[22:23], v[24:25]
	s_waitcnt vmcnt(1)
	v_lshlrev_b32_e32 v27, 16, v26
	s_waitcnt vmcnt(0)
	v_lshlrev_b32_e32 v26, 16, v29
	v_add_f32_e32 v24, v38, v24
	v_add_f32_e32 v28, v24, v25
	v_pk_mul_f32 v[24:25], v[20:21], v[26:27]
	s_nop 0
	v_add_f32_e32 v24, v28, v24
	v_add_f32_e32 v38, v24, v25
	s_branch .LBB631_13
.LBB631_22:
	s_or_b64 exec, exec, s[30:31]
.LBB631_23:
	s_or_b64 exec, exec, s[22:23]
	s_sub_i32 s0, s15, s47
	s_cmp_lt_i32 s0, 1
	s_cbranch_scc1 .LBB631_41
; %bb.24:
	v_cmp_gt_i32_e32 vcc, s15, v39
	v_mov_b32_e32 v10, 0
	v_or_b32_e32 v4, 1, v39
	v_mov_b32_e32 v11, 0
	v_mov_b32_e32 v12, 0
	v_mov_b32_e32 v13, 0
	s_and_saveexec_b64 s[2:3], vcc
	s_cbranch_execz .LBB631_32
; %bb.25:
	s_lshl_b64 s[0:1], s[10:11], 1
	s_add_u32 s4, s48, s0
	s_addc_u32 s5, s49, s1
	s_lshl_b64 s[0:1], s[50:51], 1
	s_add_u32 s6, s4, s0
	s_addc_u32 s7, s5, s1
	v_mad_u64_u32 v[2:3], s[0:1], v39, s8, 0
	v_mov_b32_e32 v6, v3
	v_mad_u64_u32 v[6:7], s[0:1], v39, s9, v[6:7]
	v_mov_b32_e32 v3, v6
	v_lshl_add_u64 v[2:3], v[2:3], 1, s[6:7]
	global_load_ushort v1, v[2:3], off
	v_cmp_gt_i32_e64 s[0:1], s15, v4
	v_mov_b32_e32 v12, 0
	v_mov_b32_e32 v11, 0
	;; [unrolled: 1-line block ×3, first 2 shown]
	s_and_saveexec_b64 s[4:5], s[0:1]
	s_cbranch_execz .LBB631_31
; %bb.26:
	v_mad_u64_u32 v[2:3], s[0:1], v4, s8, 0
	v_mov_b32_e32 v6, v3
	v_mad_u64_u32 v[6:7], s[0:1], v4, s9, v[6:7]
	v_mov_b32_e32 v3, v6
	v_lshl_add_u64 v[2:3], v[2:3], 1, s[6:7]
	global_load_ushort v2, v[2:3], off
	v_or_b32_e32 v3, 2, v39
	v_cmp_gt_i32_e64 s[0:1], s15, v3
	v_mov_b32_e32 v11, 0
	v_mov_b32_e32 v10, 0
	s_and_saveexec_b64 s[10:11], s[0:1]
	s_cbranch_execz .LBB631_30
; %bb.27:
	v_mad_u64_u32 v[6:7], s[0:1], v3, s8, 0
	v_mov_b32_e32 v8, v7
	v_mad_u64_u32 v[8:9], s[0:1], v3, s9, v[8:9]
	v_mov_b32_e32 v7, v8
	v_lshl_add_u64 v[6:7], v[6:7], 1, s[6:7]
	global_load_ushort v3, v[6:7], off
	v_or_b32_e32 v5, 3, v39
	v_cmp_gt_i32_e64 s[0:1], s15, v5
	v_mov_b32_e32 v10, 0
	s_and_saveexec_b64 s[22:23], s[0:1]
	s_cbranch_execz .LBB631_29
; %bb.28:
	v_mad_u64_u32 v[6:7], s[0:1], v5, s8, 0
	v_mov_b32_e32 v8, v7
	v_mad_u64_u32 v[8:9], s[0:1], v5, s9, v[8:9]
	v_mov_b32_e32 v7, v8
	v_lshl_add_u64 v[6:7], v[6:7], 1, s[6:7]
	global_load_ushort v5, v[6:7], off
	s_waitcnt vmcnt(0)
	v_lshlrev_b32_e32 v10, 16, v5
.LBB631_29:
	s_or_b64 exec, exec, s[22:23]
	s_waitcnt vmcnt(0)
	v_lshlrev_b32_e32 v11, 16, v3
.LBB631_30:
	s_or_b64 exec, exec, s[10:11]
	s_waitcnt vmcnt(0)
	v_lshlrev_b32_e32 v12, 16, v2
.LBB631_31:
	s_or_b64 exec, exec, s[4:5]
	s_waitcnt vmcnt(0)
	v_lshlrev_b32_e32 v13, 16, v1
.LBB631_32:
	s_or_b64 exec, exec, s[2:3]
	v_cmp_gt_i32_e64 s[0:1], s14, v0
	s_and_saveexec_b64 s[2:3], s[0:1]
	s_cbranch_execz .LBB631_40
; %bb.33:
	s_lshl_b64 s[0:1], s[18:19], 1
	s_add_u32 s4, s40, s0
	s_addc_u32 s5, s41, s1
	s_lshl_b64 s[0:1], s[42:43], 1
	s_add_u32 s0, s4, s0
	s_addc_u32 s1, s5, s1
	v_mad_u64_u32 v[2:3], s[4:5], v39, s44, 0
	v_mov_b32_e32 v6, v3
	v_mad_u64_u32 v[6:7], s[4:5], v39, s45, v[6:7]
	v_ashrrev_i32_e32 v1, 31, v0
	v_cndmask_b32_e32 v3, 0, v6, vcc
	v_mad_u64_u32 v[6:7], s[4:5], v4, s44, 0
	v_cndmask_b32_e32 v2, 0, v2, vcc
	v_lshlrev_b64 v[8:9], 1, v[0:1]
	v_mov_b32_e32 v14, v7
	v_cmp_gt_i32_e32 vcc, s15, v4
	v_or_b32_e32 v1, 2, v39
	v_mad_u64_u32 v[14:15], s[4:5], v4, s45, v[14:15]
	v_cndmask_b32_e32 v4, 0, v6, vcc
	v_mad_u64_u32 v[6:7], s[4:5], v1, s44, 0
	v_cndmask_b32_e32 v5, 0, v14, vcc
	v_mov_b32_e32 v14, v7
	v_mad_u64_u32 v[14:15], s[4:5], v1, s45, v[14:15]
	v_cmp_gt_i32_e32 vcc, s15, v1
	v_or_b32_e32 v1, 3, v39
	v_lshl_add_u64 v[2:3], v[2:3], 1, s[0:1]
	v_cndmask_b32_e32 v7, 0, v14, vcc
	v_mad_u64_u32 v[14:15], s[4:5], v1, s44, 0
	v_mov_b32_e32 v16, v15
	v_cndmask_b32_e32 v6, 0, v6, vcc
	v_mad_u64_u32 v[16:17], s[4:5], v1, s45, v[16:17]
	v_cmp_gt_i32_e32 vcc, s15, v1
	v_lshl_add_u64 v[2:3], v[2:3], 0, v[8:9]
	v_lshl_add_u64 v[4:5], v[4:5], 1, s[0:1]
	v_cndmask_b32_e32 v14, 0, v14, vcc
	v_cndmask_b32_e32 v15, 0, v16, vcc
	v_lshl_add_u64 v[6:7], v[6:7], 1, s[0:1]
	v_lshl_add_u64 v[14:15], v[14:15], 1, s[0:1]
	;; [unrolled: 1-line block ×5, first 2 shown]
	global_load_ushort v1, v[2:3], off
	global_load_ushort v14, v[4:5], off
	;; [unrolled: 1-line block ×4, first 2 shown]
	v_add_u32_e32 v17, 64, v0
	v_cmp_gt_i32_e32 vcc, s14, v17
	s_waitcnt vmcnt(3)
	v_lshlrev_b32_e32 v18, 16, v1
	s_waitcnt vmcnt(2)
	v_lshlrev_b32_e32 v14, 16, v14
	v_fmac_f32_e32 v35, v13, v18
	s_waitcnt vmcnt(1)
	v_lshlrev_b32_e32 v15, 16, v15
	v_fmac_f32_e32 v35, v12, v14
	s_waitcnt vmcnt(0)
	v_lshlrev_b32_e32 v1, 16, v16
	v_fmac_f32_e32 v35, v11, v15
	s_and_saveexec_b64 s[0:1], vcc
	s_cbranch_execz .LBB631_39
; %bb.34:
	global_load_ushort v14, v[2:3], off offset:128
	global_load_ushort v15, v[4:5], off offset:128
	global_load_ushort v16, v[6:7], off offset:128
	global_load_ushort v17, v[8:9], off offset:128
	v_add_u32_e32 v18, 0x80, v0
	v_cmp_gt_i32_e32 vcc, s14, v18
	s_waitcnt vmcnt(3)
	v_lshlrev_b32_e32 v19, 16, v14
	s_waitcnt vmcnt(2)
	v_lshlrev_b32_e32 v15, 16, v15
	v_fmac_f32_e32 v36, v13, v19
	s_waitcnt vmcnt(1)
	v_lshlrev_b32_e32 v16, 16, v16
	v_fmac_f32_e32 v36, v12, v15
	s_waitcnt vmcnt(0)
	v_lshlrev_b32_e32 v14, 16, v17
	v_fmac_f32_e32 v36, v11, v16
	s_and_saveexec_b64 s[4:5], vcc
	s_cbranch_execz .LBB631_38
; %bb.35:
	global_load_ushort v15, v[2:3], off offset:256
	global_load_ushort v16, v[4:5], off offset:256
	global_load_ushort v17, v[6:7], off offset:256
	global_load_ushort v18, v[8:9], off offset:256
	;; [unrolled: 20-line block ×3, first 2 shown]
	s_waitcnt vmcnt(3)
	v_lshlrev_b32_e32 v2, 16, v15
	s_waitcnt vmcnt(2)
	v_lshlrev_b32_e32 v3, 16, v16
	v_fmac_f32_e32 v38, v13, v2
	s_waitcnt vmcnt(1)
	v_lshlrev_b32_e32 v4, 16, v17
	v_fmac_f32_e32 v38, v12, v3
	v_fmac_f32_e32 v38, v11, v4
	s_waitcnt vmcnt(0)
	v_lshlrev_b32_e32 v2, 16, v18
	v_fmac_f32_e32 v38, v10, v2
.LBB631_37:
	s_or_b64 exec, exec, s[6:7]
	v_fmac_f32_e32 v37, v10, v0
.LBB631_38:
	s_or_b64 exec, exec, s[4:5]
	v_fmac_f32_e32 v36, v10, v14
.LBB631_39:
	s_or_b64 exec, exec, s[0:1]
	v_fmac_f32_e32 v35, v10, v1
.LBB631_40:
	s_or_b64 exec, exec, s[2:3]
.LBB631_41:
	v_lshlrev_b32_e32 v0, 8, v34
	s_movk_i32 s0, 0x100
	v_add_lshl_u32 v0, v0, v33, 2
	v_cmp_gt_u32_e32 vcc, s0, v32
	ds_write2st64_b32 v0, v35, v36 offset1:1
	ds_write2st64_b32 v0, v37, v38 offset0:2 offset1:3
	s_waitcnt lgkmcnt(0)
	s_barrier
	s_waitcnt lgkmcnt(0)
                                        ; implicit-def: $vgpr1
                                        ; implicit-def: $vgpr2_vgpr3
	s_and_saveexec_b64 s[0:1], vcc
	s_cbranch_execz .LBB631_47
; %bb.42:
	v_lshlrev_b32_e32 v1, 2, v32
	ds_read2st64_b32 v[2:3], v1 offset1:4
	ds_read2st64_b32 v[4:5], v1 offset0:8 offset1:12
	v_or_b32_e32 v0, s46, v32
	v_cmp_gt_i32_e32 vcc, s14, v0
	s_mov_b64 s[4:5], s[16:17]
	s_waitcnt lgkmcnt(1)
	v_add_f32_e32 v2, v2, v3
	s_waitcnt lgkmcnt(0)
	v_add_f32_e32 v2, v4, v2
	v_add_f32_e32 v4, v5, v2
	ds_write_b32 v1, v4
                                        ; implicit-def: $vgpr1
                                        ; implicit-def: $vgpr2_vgpr3
	s_and_saveexec_b64 s[2:3], vcc
	s_cbranch_execz .LBB631_46
; %bb.43:
	v_ashrrev_i32_e32 v2, 31, v0
	v_cmp_eq_f32_e64 s[4:5], s33, 0
	v_mul_f32_e32 v1, s52, v4
	v_mul_lo_u32 v4, v0, s21
	v_mul_lo_u32 v5, v2, s20
	v_mad_u64_u32 v[2:3], s[6:7], v0, s20, 0
	v_add3_u32 v3, v3, v4, v5
	s_and_b64 vcc, exec, s[4:5]
	s_cbranch_vccnz .LBB631_45
; %bb.44:
	v_lshl_add_u64 v[4:5], v[2:3], 2, s[12:13]
	global_load_dword v0, v[4:5], off
	s_waitcnt vmcnt(0)
	v_fmac_f32_e32 v1, s33, v0
.LBB631_45:
	s_or_b64 s[4:5], s[16:17], exec
.LBB631_46:
	s_or_b64 exec, exec, s[2:3]
	s_andn2_b64 s[2:3], s[16:17], exec
	s_and_b64 s[4:5], s[4:5], exec
	s_or_b64 s[16:17], s[2:3], s[4:5]
.LBB631_47:
	s_or_b64 exec, exec, s[0:1]
.LBB631_48:
	s_and_saveexec_b64 s[0:1], s[16:17]
	s_cbranch_execz .LBB631_50
; %bb.49:
	v_lshl_add_u64 v[2:3], v[2:3], 2, s[12:13]
	global_store_dword v[2:3], v1, off
.LBB631_50:
	s_endpgm
	.section	.rodata,"a",@progbits
	.p2align	6, 0x0
	.amdhsa_kernel _ZL20rocblas_gemvn_kernelILi64ELi4El16rocblas_bfloat16PKffEviiT3_lPKT2_lT1_lS6_lS7_lS3_lPT4_lS7_li
		.amdhsa_group_segment_fixed_size 4096
		.amdhsa_private_segment_fixed_size 0
		.amdhsa_kernarg_size 400
		.amdhsa_user_sgpr_count 2
		.amdhsa_user_sgpr_dispatch_ptr 0
		.amdhsa_user_sgpr_queue_ptr 0
		.amdhsa_user_sgpr_kernarg_segment_ptr 1
		.amdhsa_user_sgpr_dispatch_id 0
		.amdhsa_user_sgpr_kernarg_preload_length 0
		.amdhsa_user_sgpr_kernarg_preload_offset 0
		.amdhsa_user_sgpr_private_segment_size 0
		.amdhsa_uses_dynamic_stack 0
		.amdhsa_enable_private_segment 0
		.amdhsa_system_sgpr_workgroup_id_x 1
		.amdhsa_system_sgpr_workgroup_id_y 0
		.amdhsa_system_sgpr_workgroup_id_z 1
		.amdhsa_system_sgpr_workgroup_info 0
		.amdhsa_system_vgpr_workitem_id 1
		.amdhsa_next_free_vgpr 51
		.amdhsa_next_free_sgpr 53
		.amdhsa_accum_offset 52
		.amdhsa_reserve_vcc 1
		.amdhsa_float_round_mode_32 0
		.amdhsa_float_round_mode_16_64 0
		.amdhsa_float_denorm_mode_32 3
		.amdhsa_float_denorm_mode_16_64 3
		.amdhsa_dx10_clamp 1
		.amdhsa_ieee_mode 1
		.amdhsa_fp16_overflow 0
		.amdhsa_tg_split 0
		.amdhsa_exception_fp_ieee_invalid_op 0
		.amdhsa_exception_fp_denorm_src 0
		.amdhsa_exception_fp_ieee_div_zero 0
		.amdhsa_exception_fp_ieee_overflow 0
		.amdhsa_exception_fp_ieee_underflow 0
		.amdhsa_exception_fp_ieee_inexact 0
		.amdhsa_exception_int_div_zero 0
	.end_amdhsa_kernel
	.section	.text._ZL20rocblas_gemvn_kernelILi64ELi4El16rocblas_bfloat16PKffEviiT3_lPKT2_lT1_lS6_lS7_lS3_lPT4_lS7_li,"axG",@progbits,_ZL20rocblas_gemvn_kernelILi64ELi4El16rocblas_bfloat16PKffEviiT3_lPKT2_lT1_lS6_lS7_lS3_lPT4_lS7_li,comdat
.Lfunc_end631:
	.size	_ZL20rocblas_gemvn_kernelILi64ELi4El16rocblas_bfloat16PKffEviiT3_lPKT2_lT1_lS6_lS7_lS3_lPT4_lS7_li, .Lfunc_end631-_ZL20rocblas_gemvn_kernelILi64ELi4El16rocblas_bfloat16PKffEviiT3_lPKT2_lT1_lS6_lS7_lS3_lPT4_lS7_li
                                        ; -- End function
	.section	.AMDGPU.csdata,"",@progbits
; Kernel info:
; codeLenInByte = 2816
; NumSgprs: 59
; NumVgprs: 51
; NumAgprs: 0
; TotalNumVgprs: 51
; ScratchSize: 0
; MemoryBound: 0
; FloatMode: 240
; IeeeMode: 1
; LDSByteSize: 4096 bytes/workgroup (compile time only)
; SGPRBlocks: 7
; VGPRBlocks: 6
; NumSGPRsForWavesPerEU: 59
; NumVGPRsForWavesPerEU: 51
; AccumOffset: 52
; Occupancy: 8
; WaveLimiterHint : 0
; COMPUTE_PGM_RSRC2:SCRATCH_EN: 0
; COMPUTE_PGM_RSRC2:USER_SGPR: 2
; COMPUTE_PGM_RSRC2:TRAP_HANDLER: 0
; COMPUTE_PGM_RSRC2:TGID_X_EN: 1
; COMPUTE_PGM_RSRC2:TGID_Y_EN: 0
; COMPUTE_PGM_RSRC2:TGID_Z_EN: 1
; COMPUTE_PGM_RSRC2:TIDIG_COMP_CNT: 1
; COMPUTE_PGM_RSRC3_GFX90A:ACCUM_OFFSET: 12
; COMPUTE_PGM_RSRC3_GFX90A:TG_SPLIT: 0
	.section	.text._ZL20rocblas_gemvn_kernelILi64ELi4Ei16rocblas_bfloat16ffEviiT3_lPKT2_lT1_lS4_lS5_lS1_lPT4_lS5_li,"axG",@progbits,_ZL20rocblas_gemvn_kernelILi64ELi4Ei16rocblas_bfloat16ffEviiT3_lPKT2_lT1_lS4_lS5_lS1_lPT4_lS5_li,comdat
	.globl	_ZL20rocblas_gemvn_kernelILi64ELi4Ei16rocblas_bfloat16ffEviiT3_lPKT2_lT1_lS4_lS5_lS1_lPT4_lS5_li ; -- Begin function _ZL20rocblas_gemvn_kernelILi64ELi4Ei16rocblas_bfloat16ffEviiT3_lPKT2_lT1_lS4_lS5_lS1_lPT4_lS5_li
	.p2align	8
	.type	_ZL20rocblas_gemvn_kernelILi64ELi4Ei16rocblas_bfloat16ffEviiT3_lPKT2_lT1_lS4_lS5_lS1_lPT4_lS5_li,@function
_ZL20rocblas_gemvn_kernelILi64ELi4Ei16rocblas_bfloat16ffEviiT3_lPKT2_lT1_lS4_lS5_lS1_lPT4_lS5_li: ; @_ZL20rocblas_gemvn_kernelILi64ELi4Ei16rocblas_bfloat16ffEviiT3_lPKT2_lT1_lS4_lS5_lS1_lPT4_lS5_li
; %bb.0:
	s_load_dwordx2 s[4:5], s[0:1], 0x9c
	s_waitcnt lgkmcnt(0)
	s_lshr_b32 s6, s4, 16
	s_and_b32 s4, s4, 0xffff
	s_and_b32 s5, s5, 0xffff
	s_mul_i32 s4, s6, s4
	s_mul_i32 s4, s4, s5
	s_cmpk_lg_i32 s4, 0x100
	s_cbranch_scc1 .LBB632_50
; %bb.1:
	s_load_dwordx4 s[8:11], s[0:1], 0x0
	s_waitcnt lgkmcnt(0)
	s_load_dword s11, s[0:1], 0x58
	v_cmp_eq_f32_e64 s[4:5], s10, 0
	s_waitcnt lgkmcnt(0)
	v_cmp_eq_f32_e64 s[6:7], s11, 1.0
	s_and_b64 s[4:5], s[4:5], s[6:7]
	s_and_b64 vcc, exec, s[4:5]
	s_cbranch_vccnz .LBB632_50
; %bb.2:
	s_load_dwordx2 s[12:13], s[0:1], 0x80
	s_load_dwordx4 s[4:7], s[0:1], 0x68
	s_load_dword s30, s[0:1], 0x78
	v_and_b32_e32 v2, 0x3ff, v0
	v_bfe_u32 v18, v0, 10, 10
	s_waitcnt lgkmcnt(0)
	s_mul_i32 s13, s3, s13
	s_mul_hi_u32 s14, s3, s12
	s_mul_i32 s12, s3, s12
	s_add_i32 s13, s14, s13
	s_lshl_b64 s[12:13], s[12:13], 2
	s_add_u32 s12, s4, s12
	s_addc_u32 s13, s5, s13
	s_lshl_b64 s[4:5], s[6:7], 2
	s_add_u32 s12, s12, s4
	s_addc_u32 s13, s13, s5
	v_cmp_neq_f32_e64 s[4:5], s10, 0
	v_lshl_add_u32 v3, v18, 6, v2
	s_and_b64 vcc, exec, s[4:5]
	s_cbranch_vccnz .LBB632_9
; %bb.3:
	s_movk_i32 s4, 0x100
	v_cmp_gt_u32_e32 vcc, s4, v3
	s_mov_b64 s[4:5], 0
	s_mov_b64 s[14:15], 0
                                        ; implicit-def: $vgpr1
                                        ; implicit-def: $vgpr4_vgpr5
	s_and_saveexec_b64 s[6:7], vcc
	s_cbranch_execz .LBB632_10
; %bb.4:
	v_lshl_or_b32 v0, s2, 8, v3
	v_mov_b32_e32 v1, 0
	s_ashr_i32 s15, s8, 31
	s_mov_b32 s14, s8
	v_cmp_gt_i64_e32 vcc, s[14:15], v[0:1]
	s_mov_b64 s[16:17], 0
                                        ; implicit-def: $vgpr4_vgpr5
	s_and_saveexec_b64 s[14:15], vcc
	s_cbranch_execz .LBB632_8
; %bb.5:
	v_mad_u64_u32 v[4:5], s[18:19], s30, v0, 0
	s_ashr_i32 s20, s30, 31
	v_mov_b32_e32 v6, v5
	v_cmp_eq_f32_e64 s[16:17], s11, 0
	v_mad_u64_u32 v[6:7], s[18:19], s20, v0, v[6:7]
	v_mov_b32_e32 v5, v6
	s_and_b64 vcc, exec, s[16:17]
	s_cbranch_vccnz .LBB632_7
; %bb.6:
	v_lshl_add_u64 v[0:1], v[4:5], 2, s[12:13]
	global_load_dword v0, v[0:1], off
	s_waitcnt vmcnt(0)
	v_mul_f32_e32 v1, s11, v0
.LBB632_7:
	s_mov_b64 s[16:17], exec
.LBB632_8:
	s_or_b64 exec, exec, s[14:15]
	s_and_b64 s[14:15], s[16:17], exec
	s_or_b64 exec, exec, s[6:7]
	s_and_b64 vcc, exec, s[4:5]
	s_cbranch_vccnz .LBB632_11
	s_branch .LBB632_48
.LBB632_9:
	s_mov_b64 s[14:15], 0
                                        ; implicit-def: $vgpr1
                                        ; implicit-def: $vgpr4_vgpr5
	s_cbranch_execnz .LBB632_11
	s_branch .LBB632_48
.LBB632_10:
	s_or_b64 exec, exec, s[6:7]
	s_and_b64 vcc, exec, s[4:5]
	s_cbranch_vccz .LBB632_48
.LBB632_11:
	s_load_dwordx4 s[4:7], s[0:1], 0x30
	s_load_dwordx4 s[16:19], s[0:1], 0x18
	s_load_dword s33, s[0:1], 0x28
	s_load_dwordx2 s[20:21], s[0:1], 0x40
	s_load_dword s34, s[0:1], 0x48
	s_load_dwordx2 s[22:23], s[0:1], 0x50
	s_waitcnt lgkmcnt(0)
	s_mul_i32 s0, s3, s5
	s_mul_hi_u32 s1, s3, s4
	s_add_i32 s1, s1, s0
	s_mul_i32 s0, s3, s4
	s_lshl_b64 s[0:1], s[0:1], 1
	s_add_u32 s4, s16, s0
	s_addc_u32 s5, s17, s1
	s_lshl_b64 s[0:1], s[18:19], 1
	s_add_u32 s16, s4, s0
	s_addc_u32 s17, s5, s1
	s_mul_i32 s0, s3, s23
	s_mul_hi_u32 s1, s3, s22
	s_add_i32 s1, s1, s0
	s_mul_i32 s0, s3, s22
	s_lshl_b64 s[0:1], s[0:1], 1
	s_add_u32 s3, s6, s0
	s_addc_u32 s4, s7, s1
	s_lshl_b64 s[0:1], s[20:21], 1
	s_add_u32 s18, s3, s0
	s_addc_u32 s19, s4, s1
	s_ashr_i32 s0, s9, 31
	s_lshr_b32 s0, s0, 28
	s_add_i32 s0, s9, s0
	s_lshl_b32 s31, s2, 8
	s_and_b32 s35, s0, -16
	v_lshlrev_b32_e32 v24, 2, v18
	v_add_u32_e32 v23, s31, v2
	v_cmp_gt_i32_e32 vcc, s35, v24
	v_mov_b32_e32 v19, 0
	v_mov_b32_e32 v20, 0
	;; [unrolled: 1-line block ×4, first 2 shown]
	s_and_saveexec_b64 s[20:21], vcc
	s_cbranch_execz .LBB632_23
; %bb.12:
	v_add_u32_e32 v0, 64, v23
	v_cmp_gt_i32_e64 s[0:1], s8, v0
	v_add_u32_e32 v0, 0x80, v23
	v_cmp_gt_i32_e64 s[2:3], s8, v0
	;; [unrolled: 2-line block ×3, first 2 shown]
	v_mul_lo_u32 v0, s33, v24
	v_add_u32_e32 v6, 2, v24
	v_add_u32_e32 v7, 3, v24
	v_add3_u32 v25, v0, s33, v2
	v_mad_u64_u32 v[0:1], s[6:7], s33, v6, v[2:3]
	v_mad_u64_u32 v[4:5], s[6:7], s33, v7, v[2:3]
	v_mul_lo_u32 v1, v18, s33
	v_mul_lo_u32 v5, s34, v24
	;; [unrolled: 1-line block ×4, first 2 shown]
	v_cmp_gt_i32_e32 vcc, s8, v23
	s_lshl_b32 s36, s33, 4
	v_lshl_add_u32 v1, v1, 2, v2
	v_add_u32_e32 v5, s34, v5
	s_lshl_b32 s37, s34, 4
	v_mul_lo_u32 v27, s34, v7
	v_lshlrev_b32_e32 v28, 2, v6
	s_mov_b32 s38, 0
	s_mov_b64 s[22:23], 0
	v_mov_b32_e32 v19, 0
	v_mov_b32_e32 v20, 0
	;; [unrolled: 1-line block ×4, first 2 shown]
	s_branch .LBB632_17
.LBB632_13:                             ;   in Loop: Header=BB632_17 Depth=1
	s_or_b64 exec, exec, s[28:29]
	s_waitcnt vmcnt(3)
	v_lshlrev_b32_e32 v10, 16, v40
	v_fmac_f32_e32 v21, v8, v10
	s_waitcnt vmcnt(2)
	v_lshlrev_b32_e32 v10, 16, v39
	v_fmac_f32_e32 v21, v9, v10
	;; [unrolled: 3-line block ×4, first 2 shown]
.LBB632_14:                             ;   in Loop: Header=BB632_17 Depth=1
	s_or_b64 exec, exec, s[26:27]
	s_waitcnt vmcnt(3)
	v_lshlrev_b32_e32 v10, 16, v36
	v_fmac_f32_e32 v20, v8, v10
	s_waitcnt vmcnt(2)
	v_lshlrev_b32_e32 v10, 16, v35
	v_fmac_f32_e32 v20, v9, v10
	;; [unrolled: 3-line block ×4, first 2 shown]
.LBB632_15:                             ;   in Loop: Header=BB632_17 Depth=1
	s_or_b64 exec, exec, s[24:25]
	s_waitcnt vmcnt(3)
	v_lshlrev_b32_e32 v10, 16, v32
	v_fmac_f32_e32 v19, v8, v10
	s_waitcnt vmcnt(2)
	v_lshlrev_b32_e32 v8, 16, v31
	v_fmac_f32_e32 v19, v9, v8
	;; [unrolled: 3-line block ×4, first 2 shown]
.LBB632_16:                             ;   in Loop: Header=BB632_17 Depth=1
	s_or_b64 exec, exec, s[6:7]
	v_add_u32_e32 v24, 16, v24
	s_add_i32 s38, s38, s37
	v_cmp_le_i32_e64 s[6:7], s35, v24
	v_add_u32_e32 v25, s36, v25
	v_add_u32_e32 v0, s36, v0
	;; [unrolled: 1-line block ×3, first 2 shown]
	s_or_b64 s[22:23], s[6:7], s[22:23]
	v_add_u32_e32 v1, s36, v1
	s_andn2_b64 exec, exec, s[22:23]
	s_cbranch_execz .LBB632_22
.LBB632_17:                             ; =>This Inner Loop Header: Depth=1
	s_and_saveexec_b64 s[6:7], vcc
	s_cbranch_execz .LBB632_16
; %bb.18:                               ;   in Loop: Header=BB632_17 Depth=1
	v_add_u32_e32 v6, s38, v28
	v_ashrrev_i32_e32 v7, 31, v6
	v_add_u32_e32 v8, s38, v5
	v_add_u32_e32 v10, s38, v26
	;; [unrolled: 1-line block ×3, first 2 shown]
	v_lshl_add_u64 v[6:7], v[6:7], 1, s[18:19]
	v_ashrrev_i32_e32 v9, 31, v8
	v_ashrrev_i32_e32 v11, 31, v10
	;; [unrolled: 1-line block ×3, first 2 shown]
	v_lshl_add_u64 v[8:9], v[8:9], 1, s[18:19]
	v_lshl_add_u64 v[10:11], v[10:11], 1, s[18:19]
	;; [unrolled: 1-line block ×3, first 2 shown]
	global_load_ushort v33, v[6:7], off
	global_load_ushort v34, v[8:9], off
	;; [unrolled: 1-line block ×4, first 2 shown]
	v_add_u32_e32 v6, s31, v1
	v_ashrrev_i32_e32 v7, 31, v6
	v_lshl_add_u64 v[10:11], v[6:7], 1, s[16:17]
	v_add_u32_e32 v6, s31, v25
	v_ashrrev_i32_e32 v7, 31, v6
	v_lshl_add_u64 v[12:13], v[6:7], 1, s[16:17]
	;; [unrolled: 3-line block ×4, first 2 shown]
	global_load_ushort v32, v[10:11], off
	global_load_ushort v31, v[12:13], off
	;; [unrolled: 1-line block ×4, first 2 shown]
	s_waitcnt vmcnt(7)
	v_lshlrev_b32_e32 v8, 16, v33
	s_waitcnt vmcnt(6)
	v_lshlrev_b32_e32 v9, 16, v34
	;; [unrolled: 2-line block ×4, first 2 shown]
	s_and_saveexec_b64 s[24:25], s[0:1]
	s_cbranch_execz .LBB632_15
; %bb.19:                               ;   in Loop: Header=BB632_17 Depth=1
	global_load_ushort v36, v[10:11], off offset:128
	global_load_ushort v35, v[12:13], off offset:128
	global_load_ushort v34, v[14:15], off offset:128
	global_load_ushort v33, v[16:17], off offset:128
	s_and_saveexec_b64 s[26:27], s[2:3]
	s_cbranch_execz .LBB632_14
; %bb.20:                               ;   in Loop: Header=BB632_17 Depth=1
	global_load_ushort v40, v[10:11], off offset:256
	global_load_ushort v39, v[12:13], off offset:256
	global_load_ushort v38, v[14:15], off offset:256
	global_load_ushort v37, v[16:17], off offset:256
	;; [unrolled: 7-line block ×3, first 2 shown]
	s_waitcnt vmcnt(3)
	v_lshlrev_b32_e32 v11, 16, v41
	s_waitcnt vmcnt(2)
	v_lshlrev_b32_e32 v10, 16, v42
	v_pk_mul_f32 v[10:11], v[8:9], v[10:11]
	s_waitcnt vmcnt(1)
	v_lshlrev_b32_e32 v13, 16, v43
	s_waitcnt vmcnt(0)
	v_lshlrev_b32_e32 v12, 16, v44
	v_add_f32_e32 v10, v22, v10
	v_add_f32_e32 v14, v10, v11
	v_pk_mul_f32 v[10:11], v[6:7], v[12:13]
	s_nop 0
	v_add_f32_e32 v10, v14, v10
	v_add_f32_e32 v22, v10, v11
	s_branch .LBB632_13
.LBB632_22:
	s_or_b64 exec, exec, s[22:23]
.LBB632_23:
	s_or_b64 exec, exec, s[20:21]
	s_sub_i32 s0, s9, s35
	s_cmp_lt_i32 s0, 1
	s_cbranch_scc1 .LBB632_41
; %bb.24:
	v_cmp_gt_i32_e32 vcc, s9, v24
	v_mov_b32_e32 v10, 0
	v_or_b32_e32 v4, 1, v24
	v_mov_b32_e32 v11, 0
	v_mov_b32_e32 v12, 0
	;; [unrolled: 1-line block ×3, first 2 shown]
	s_and_saveexec_b64 s[2:3], vcc
	s_cbranch_execz .LBB632_32
; %bb.25:
	v_mul_lo_u32 v0, v24, s34
	v_ashrrev_i32_e32 v1, 31, v0
	v_lshl_add_u64 v[0:1], v[0:1], 1, s[18:19]
	global_load_ushort v0, v[0:1], off
	v_cmp_gt_i32_e64 s[0:1], s9, v4
	v_mov_b32_e32 v12, 0
	v_mov_b32_e32 v11, 0
	;; [unrolled: 1-line block ×3, first 2 shown]
	s_and_saveexec_b64 s[4:5], s[0:1]
	s_cbranch_execz .LBB632_31
; %bb.26:
	v_mul_lo_u32 v6, v4, s34
	v_ashrrev_i32_e32 v7, 31, v6
	v_lshl_add_u64 v[6:7], v[6:7], 1, s[18:19]
	global_load_ushort v1, v[6:7], off
	v_or_b32_e32 v5, 2, v24
	v_cmp_gt_i32_e64 s[0:1], s9, v5
	v_mov_b32_e32 v11, 0
	v_mov_b32_e32 v10, 0
	s_and_saveexec_b64 s[6:7], s[0:1]
	s_cbranch_execz .LBB632_30
; %bb.27:
	v_mul_lo_u32 v6, v5, s34
	v_ashrrev_i32_e32 v7, 31, v6
	v_lshl_add_u64 v[6:7], v[6:7], 1, s[18:19]
	global_load_ushort v5, v[6:7], off
	v_or_b32_e32 v6, 3, v24
	v_cmp_gt_i32_e64 s[0:1], s9, v6
	v_mov_b32_e32 v10, 0
	s_and_saveexec_b64 s[20:21], s[0:1]
	s_cbranch_execz .LBB632_29
; %bb.28:
	v_mul_lo_u32 v6, v6, s34
	v_ashrrev_i32_e32 v7, 31, v6
	v_lshl_add_u64 v[6:7], v[6:7], 1, s[18:19]
	global_load_ushort v6, v[6:7], off
	s_waitcnt vmcnt(0)
	v_lshlrev_b32_e32 v10, 16, v6
.LBB632_29:
	s_or_b64 exec, exec, s[20:21]
	s_waitcnt vmcnt(0)
	v_lshlrev_b32_e32 v11, 16, v5
.LBB632_30:
	s_or_b64 exec, exec, s[6:7]
	s_waitcnt vmcnt(0)
	v_lshlrev_b32_e32 v12, 16, v1
.LBB632_31:
	s_or_b64 exec, exec, s[4:5]
	s_waitcnt vmcnt(0)
	v_lshlrev_b32_e32 v13, 16, v0
.LBB632_32:
	s_or_b64 exec, exec, s[2:3]
	v_cmp_gt_i32_e64 s[0:1], s8, v23
	s_and_saveexec_b64 s[2:3], s[0:1]
	s_cbranch_execz .LBB632_40
; %bb.33:
	v_mul_lo_u32 v0, v24, s33
	v_cndmask_b32_e32 v0, 0, v0, vcc
	v_mul_lo_u32 v5, v4, s33
	v_cmp_gt_i32_e32 vcc, s9, v4
	v_or_b32_e32 v6, 2, v24
	v_add_u32_e32 v0, v0, v23
	v_cndmask_b32_e32 v4, 0, v5, vcc
	v_mul_lo_u32 v7, v6, s33
	v_cmp_gt_i32_e32 vcc, s9, v6
	v_or_b32_e32 v8, 3, v24
	v_ashrrev_i32_e32 v1, 31, v0
	v_add_u32_e32 v4, v4, v23
	v_cndmask_b32_e32 v6, 0, v7, vcc
	v_mul_lo_u32 v9, v8, s33
	v_cmp_gt_i32_e32 vcc, s9, v8
	v_lshl_add_u64 v[0:1], v[0:1], 1, s[16:17]
	v_ashrrev_i32_e32 v5, 31, v4
	v_add_u32_e32 v6, v6, v23
	v_cndmask_b32_e32 v8, 0, v9, vcc
	v_lshl_add_u64 v[4:5], v[4:5], 1, s[16:17]
	v_ashrrev_i32_e32 v7, 31, v6
	v_add_u32_e32 v8, v8, v23
	global_load_ushort v14, v[0:1], off
	global_load_ushort v15, v[4:5], off
	v_lshl_add_u64 v[6:7], v[6:7], 1, s[16:17]
	v_ashrrev_i32_e32 v9, 31, v8
	v_lshl_add_u64 v[8:9], v[8:9], 1, s[16:17]
	global_load_ushort v16, v[6:7], off
	global_load_ushort v17, v[8:9], off
	v_add_u32_e32 v24, 64, v23
	v_cmp_gt_i32_e32 vcc, s8, v24
	s_waitcnt vmcnt(3)
	v_lshlrev_b32_e32 v14, 16, v14
	s_waitcnt vmcnt(2)
	v_lshlrev_b32_e32 v15, 16, v15
	v_fmac_f32_e32 v19, v13, v14
	v_fmac_f32_e32 v19, v12, v15
	s_waitcnt vmcnt(1)
	v_lshlrev_b32_e32 v16, 16, v16
	s_waitcnt vmcnt(0)
	v_lshlrev_b32_e32 v14, 16, v17
	v_fmac_f32_e32 v19, v11, v16
	s_and_saveexec_b64 s[0:1], vcc
	s_cbranch_execz .LBB632_39
; %bb.34:
	global_load_ushort v15, v[0:1], off offset:128
	global_load_ushort v16, v[4:5], off offset:128
	;; [unrolled: 1-line block ×4, first 2 shown]
	v_add_u32_e32 v25, 0x80, v23
	v_cmp_gt_i32_e32 vcc, s8, v25
	s_waitcnt vmcnt(3)
	v_lshlrev_b32_e32 v26, 16, v15
	s_waitcnt vmcnt(2)
	v_lshlrev_b32_e32 v16, 16, v16
	v_fmac_f32_e32 v20, v13, v26
	s_waitcnt vmcnt(1)
	v_lshlrev_b32_e32 v17, 16, v17
	v_fmac_f32_e32 v20, v12, v16
	;; [unrolled: 3-line block ×3, first 2 shown]
	s_and_saveexec_b64 s[4:5], vcc
	s_cbranch_execz .LBB632_38
; %bb.35:
	global_load_ushort v16, v[0:1], off offset:256
	global_load_ushort v17, v[4:5], off offset:256
	;; [unrolled: 1-line block ×4, first 2 shown]
	v_add_u32_e32 v23, 0xc0, v23
	v_cmp_gt_i32_e32 vcc, s8, v23
	s_waitcnt vmcnt(3)
	v_lshlrev_b32_e32 v26, 16, v16
	s_waitcnt vmcnt(2)
	v_lshlrev_b32_e32 v17, 16, v17
	v_fmac_f32_e32 v21, v13, v26
	s_waitcnt vmcnt(1)
	v_lshlrev_b32_e32 v24, 16, v24
	v_fmac_f32_e32 v21, v12, v17
	;; [unrolled: 3-line block ×3, first 2 shown]
	s_and_saveexec_b64 s[6:7], vcc
	s_cbranch_execz .LBB632_37
; %bb.36:
	global_load_ushort v17, v[0:1], off offset:384
	global_load_ushort v23, v[4:5], off offset:384
	;; [unrolled: 1-line block ×4, first 2 shown]
	s_waitcnt vmcnt(3)
	v_lshlrev_b32_e32 v0, 16, v17
	s_waitcnt vmcnt(2)
	v_lshlrev_b32_e32 v1, 16, v23
	v_fmac_f32_e32 v22, v13, v0
	s_waitcnt vmcnt(1)
	v_lshlrev_b32_e32 v4, 16, v24
	v_fmac_f32_e32 v22, v12, v1
	v_fmac_f32_e32 v22, v11, v4
	s_waitcnt vmcnt(0)
	v_lshlrev_b32_e32 v0, 16, v25
	v_fmac_f32_e32 v22, v10, v0
.LBB632_37:
	s_or_b64 exec, exec, s[6:7]
	v_fmac_f32_e32 v21, v10, v16
.LBB632_38:
	s_or_b64 exec, exec, s[4:5]
	v_fmac_f32_e32 v20, v10, v15
.LBB632_39:
	s_or_b64 exec, exec, s[0:1]
	v_fmac_f32_e32 v19, v10, v14
.LBB632_40:
	s_or_b64 exec, exec, s[2:3]
.LBB632_41:
	v_lshlrev_b32_e32 v0, 8, v18
	s_movk_i32 s0, 0x100
	v_add_lshl_u32 v0, v0, v2, 2
	v_cmp_gt_u32_e32 vcc, s0, v3
	ds_write2st64_b32 v0, v19, v20 offset1:1
	ds_write2st64_b32 v0, v21, v22 offset0:2 offset1:3
	s_waitcnt lgkmcnt(0)
	s_barrier
	s_waitcnt lgkmcnt(0)
                                        ; implicit-def: $vgpr1
                                        ; implicit-def: $vgpr4_vgpr5
	s_and_saveexec_b64 s[0:1], vcc
	s_cbranch_execz .LBB632_47
; %bb.42:
	v_lshlrev_b32_e32 v1, 2, v3
	ds_read2st64_b32 v[4:5], v1 offset1:4
	ds_read2st64_b32 v[6:7], v1 offset0:8 offset1:12
	v_or_b32_e32 v0, s31, v3
	v_cmp_gt_i32_e32 vcc, s8, v0
	s_mov_b64 s[4:5], s[14:15]
	s_waitcnt lgkmcnt(1)
	v_add_f32_e32 v2, v4, v5
	s_waitcnt lgkmcnt(0)
	v_add_f32_e32 v2, v6, v2
	v_add_f32_e32 v2, v7, v2
	ds_write_b32 v1, v2
                                        ; implicit-def: $vgpr1
                                        ; implicit-def: $vgpr4_vgpr5
	s_and_saveexec_b64 s[2:3], vcc
	s_cbranch_execz .LBB632_46
; %bb.43:
	v_cmp_eq_f32_e64 s[4:5], s11, 0
	v_mul_lo_u32 v4, v0, s30
	v_mul_f32_e32 v1, s10, v2
	v_ashrrev_i32_e32 v5, 31, v4
	s_and_b64 vcc, exec, s[4:5]
	s_cbranch_vccnz .LBB632_45
; %bb.44:
	v_lshl_add_u64 v[2:3], v[4:5], 2, s[12:13]
	global_load_dword v0, v[2:3], off
	s_waitcnt vmcnt(0)
	v_fmac_f32_e32 v1, s11, v0
.LBB632_45:
	s_or_b64 s[4:5], s[14:15], exec
.LBB632_46:
	s_or_b64 exec, exec, s[2:3]
	s_andn2_b64 s[2:3], s[14:15], exec
	s_and_b64 s[4:5], s[4:5], exec
	s_or_b64 s[14:15], s[2:3], s[4:5]
.LBB632_47:
	s_or_b64 exec, exec, s[0:1]
.LBB632_48:
	s_and_saveexec_b64 s[0:1], s[14:15]
	s_cbranch_execz .LBB632_50
; %bb.49:
	v_lshl_add_u64 v[2:3], v[4:5], 2, s[12:13]
	global_store_dword v[2:3], v1, off
.LBB632_50:
	s_endpgm
	.section	.rodata,"a",@progbits
	.p2align	6, 0x0
	.amdhsa_kernel _ZL20rocblas_gemvn_kernelILi64ELi4Ei16rocblas_bfloat16ffEviiT3_lPKT2_lT1_lS4_lS5_lS1_lPT4_lS5_li
		.amdhsa_group_segment_fixed_size 4096
		.amdhsa_private_segment_fixed_size 0
		.amdhsa_kernarg_size 400
		.amdhsa_user_sgpr_count 2
		.amdhsa_user_sgpr_dispatch_ptr 0
		.amdhsa_user_sgpr_queue_ptr 0
		.amdhsa_user_sgpr_kernarg_segment_ptr 1
		.amdhsa_user_sgpr_dispatch_id 0
		.amdhsa_user_sgpr_kernarg_preload_length 0
		.amdhsa_user_sgpr_kernarg_preload_offset 0
		.amdhsa_user_sgpr_private_segment_size 0
		.amdhsa_uses_dynamic_stack 0
		.amdhsa_enable_private_segment 0
		.amdhsa_system_sgpr_workgroup_id_x 1
		.amdhsa_system_sgpr_workgroup_id_y 0
		.amdhsa_system_sgpr_workgroup_id_z 1
		.amdhsa_system_sgpr_workgroup_info 0
		.amdhsa_system_vgpr_workitem_id 1
		.amdhsa_next_free_vgpr 45
		.amdhsa_next_free_sgpr 39
		.amdhsa_accum_offset 48
		.amdhsa_reserve_vcc 1
		.amdhsa_float_round_mode_32 0
		.amdhsa_float_round_mode_16_64 0
		.amdhsa_float_denorm_mode_32 3
		.amdhsa_float_denorm_mode_16_64 3
		.amdhsa_dx10_clamp 1
		.amdhsa_ieee_mode 1
		.amdhsa_fp16_overflow 0
		.amdhsa_tg_split 0
		.amdhsa_exception_fp_ieee_invalid_op 0
		.amdhsa_exception_fp_denorm_src 0
		.amdhsa_exception_fp_ieee_div_zero 0
		.amdhsa_exception_fp_ieee_overflow 0
		.amdhsa_exception_fp_ieee_underflow 0
		.amdhsa_exception_fp_ieee_inexact 0
		.amdhsa_exception_int_div_zero 0
	.end_amdhsa_kernel
	.section	.text._ZL20rocblas_gemvn_kernelILi64ELi4Ei16rocblas_bfloat16ffEviiT3_lPKT2_lT1_lS4_lS5_lS1_lPT4_lS5_li,"axG",@progbits,_ZL20rocblas_gemvn_kernelILi64ELi4Ei16rocblas_bfloat16ffEviiT3_lPKT2_lT1_lS4_lS5_lS1_lPT4_lS5_li,comdat
.Lfunc_end632:
	.size	_ZL20rocblas_gemvn_kernelILi64ELi4Ei16rocblas_bfloat16ffEviiT3_lPKT2_lT1_lS4_lS5_lS1_lPT4_lS5_li, .Lfunc_end632-_ZL20rocblas_gemvn_kernelILi64ELi4Ei16rocblas_bfloat16ffEviiT3_lPKT2_lT1_lS4_lS5_lS1_lPT4_lS5_li
                                        ; -- End function
	.section	.AMDGPU.csdata,"",@progbits
; Kernel info:
; codeLenInByte = 2448
; NumSgprs: 45
; NumVgprs: 45
; NumAgprs: 0
; TotalNumVgprs: 45
; ScratchSize: 0
; MemoryBound: 0
; FloatMode: 240
; IeeeMode: 1
; LDSByteSize: 4096 bytes/workgroup (compile time only)
; SGPRBlocks: 5
; VGPRBlocks: 5
; NumSGPRsForWavesPerEU: 45
; NumVGPRsForWavesPerEU: 45
; AccumOffset: 48
; Occupancy: 8
; WaveLimiterHint : 1
; COMPUTE_PGM_RSRC2:SCRATCH_EN: 0
; COMPUTE_PGM_RSRC2:USER_SGPR: 2
; COMPUTE_PGM_RSRC2:TRAP_HANDLER: 0
; COMPUTE_PGM_RSRC2:TGID_X_EN: 1
; COMPUTE_PGM_RSRC2:TGID_Y_EN: 0
; COMPUTE_PGM_RSRC2:TGID_Z_EN: 1
; COMPUTE_PGM_RSRC2:TIDIG_COMP_CNT: 1
; COMPUTE_PGM_RSRC3_GFX90A:ACCUM_OFFSET: 11
; COMPUTE_PGM_RSRC3_GFX90A:TG_SPLIT: 0
	.section	.text._ZL20rocblas_gemvn_kernelILi64ELi4El16rocblas_bfloat16ffEviiT3_lPKT2_lT1_lS4_lS5_lS1_lPT4_lS5_li,"axG",@progbits,_ZL20rocblas_gemvn_kernelILi64ELi4El16rocblas_bfloat16ffEviiT3_lPKT2_lT1_lS4_lS5_lS1_lPT4_lS5_li,comdat
	.globl	_ZL20rocblas_gemvn_kernelILi64ELi4El16rocblas_bfloat16ffEviiT3_lPKT2_lT1_lS4_lS5_lS1_lPT4_lS5_li ; -- Begin function _ZL20rocblas_gemvn_kernelILi64ELi4El16rocblas_bfloat16ffEviiT3_lPKT2_lT1_lS4_lS5_lS1_lPT4_lS5_li
	.p2align	8
	.type	_ZL20rocblas_gemvn_kernelILi64ELi4El16rocblas_bfloat16ffEviiT3_lPKT2_lT1_lS4_lS5_lS1_lPT4_lS5_li,@function
_ZL20rocblas_gemvn_kernelILi64ELi4El16rocblas_bfloat16ffEviiT3_lPKT2_lT1_lS4_lS5_lS1_lPT4_lS5_li: ; @_ZL20rocblas_gemvn_kernelILi64ELi4El16rocblas_bfloat16ffEviiT3_lPKT2_lT1_lS4_lS5_lS1_lPT4_lS5_li
; %bb.0:
	s_load_dwordx2 s[4:5], s[0:1], 0x9c
	s_waitcnt lgkmcnt(0)
	s_lshr_b32 s6, s4, 16
	s_and_b32 s4, s4, 0xffff
	s_and_b32 s5, s5, 0xffff
	s_mul_i32 s4, s6, s4
	s_mul_i32 s4, s4, s5
	s_cmpk_lg_i32 s4, 0x100
	s_cbranch_scc1 .LBB633_50
; %bb.1:
	s_load_dwordx4 s[28:31], s[0:1], 0x0
	s_waitcnt lgkmcnt(0)
	s_load_dword s31, s[0:1], 0x58
	v_cmp_eq_f32_e64 s[4:5], s30, 0
	s_waitcnt lgkmcnt(0)
	v_cmp_eq_f32_e64 s[6:7], s31, 1.0
	s_and_b64 s[4:5], s[4:5], s[6:7]
	s_and_b64 vcc, exec, s[4:5]
	s_cbranch_vccnz .LBB633_50
; %bb.2:
	s_load_dwordx8 s[20:27], s[0:1], 0x68
	v_and_b32_e32 v33, 0x3ff, v0
	v_bfe_u32 v34, v0, 10, 10
	v_lshl_add_u32 v32, v34, 6, v33
	s_waitcnt lgkmcnt(0)
	s_mul_i32 s5, s3, s27
	s_mul_hi_u32 s6, s3, s26
	s_mul_i32 s4, s3, s26
	s_add_i32 s5, s6, s5
	s_lshl_b64 s[4:5], s[4:5], 2
	s_add_u32 s6, s20, s4
	s_addc_u32 s7, s21, s5
	s_lshl_b64 s[4:5], s[22:23], 2
	s_add_u32 s26, s6, s4
	s_addc_u32 s27, s7, s5
	v_cmp_neq_f32_e64 s[4:5], s30, 0
	s_and_b64 vcc, exec, s[4:5]
	s_cbranch_vccnz .LBB633_9
; %bb.3:
	s_movk_i32 s4, 0x100
	v_cmp_gt_u32_e32 vcc, s4, v32
	s_mov_b64 s[4:5], 0
	s_mov_b64 s[34:35], 0
                                        ; implicit-def: $vgpr1
                                        ; implicit-def: $vgpr2_vgpr3
	s_and_saveexec_b64 s[6:7], vcc
	s_cbranch_execz .LBB633_10
; %bb.4:
	v_lshl_or_b32 v0, s2, 8, v32
	v_mov_b32_e32 v1, 0
	s_ashr_i32 s9, s28, 31
	s_mov_b32 s8, s28
	v_cmp_gt_i64_e32 vcc, s[8:9], v[0:1]
	s_mov_b64 s[10:11], 0
                                        ; implicit-def: $vgpr2_vgpr3
	s_and_saveexec_b64 s[8:9], vcc
	s_cbranch_execz .LBB633_8
; %bb.5:
	v_mad_u64_u32 v[2:3], s[12:13], v0, s24, 0
	v_mov_b32_e32 v4, v3
	v_cmp_eq_f32_e64 s[10:11], s31, 0
	v_mad_u64_u32 v[4:5], s[12:13], v0, s25, v[4:5]
	v_mov_b32_e32 v3, v4
	s_and_b64 vcc, exec, s[10:11]
	s_cbranch_vccnz .LBB633_7
; %bb.6:
	v_lshl_add_u64 v[0:1], v[2:3], 2, s[26:27]
	global_load_dword v0, v[0:1], off
	s_waitcnt vmcnt(0)
	v_mul_f32_e32 v1, s31, v0
.LBB633_7:
	s_mov_b64 s[10:11], exec
.LBB633_8:
	s_or_b64 exec, exec, s[8:9]
	s_and_b64 s[34:35], s[10:11], exec
	s_or_b64 exec, exec, s[6:7]
	s_and_b64 vcc, exec, s[4:5]
	s_cbranch_vccnz .LBB633_11
	s_branch .LBB633_48
.LBB633_9:
	s_mov_b64 s[34:35], 0
                                        ; implicit-def: $vgpr1
                                        ; implicit-def: $vgpr2_vgpr3
	s_cbranch_execnz .LBB633_11
	s_branch .LBB633_48
.LBB633_10:
	s_or_b64 exec, exec, s[6:7]
	s_and_b64 vcc, exec, s[4:5]
	s_cbranch_vccz .LBB633_48
.LBB633_11:
	s_load_dwordx16 s[8:23], s[0:1], 0x18
	s_lshl_b32 s33, s2, 8
	v_lshlrev_b32_e32 v39, 2, v34
	v_add_u32_e32 v0, s33, v33
	v_mov_b32_e32 v35, 0
	s_waitcnt lgkmcnt(0)
	s_mul_i32 s0, s3, s15
	s_mul_hi_u32 s1, s3, s14
	s_add_i32 s15, s1, s0
	s_ashr_i32 s0, s29, 31
	s_lshr_b32 s0, s0, 28
	s_add_i32 s0, s29, s0
	s_mul_i32 s4, s3, s23
	s_mul_hi_u32 s5, s3, s22
	s_and_b32 s52, s0, -16
	s_mul_i32 s14, s3, s14
	s_add_i32 s23, s5, s4
	s_mul_i32 s22, s3, s22
	v_cmp_gt_i32_e32 vcc, s52, v39
	v_mov_b32_e32 v36, 0
	v_mov_b32_e32 v37, 0
	;; [unrolled: 1-line block ×3, first 2 shown]
	s_and_saveexec_b64 s[36:37], vcc
	s_cbranch_execz .LBB633_23
; %bb.12:
	v_add_u32_e32 v2, 64, v0
	v_cmp_gt_i32_e64 s[0:1], s28, v2
	v_add_u32_e32 v2, 0x80, v0
	v_cmp_gt_i32_e64 s[2:3], s28, v2
	;; [unrolled: 2-line block ×3, first 2 shown]
	v_mad_u64_u32 v[2:3], s[6:7], s20, v34, 0
	v_mov_b32_e32 v4, v3
	v_ashrrev_i32_e32 v1, 31, v0
	v_mad_u64_u32 v[4:5], s[6:7], s21, v34, v[4:5]
	v_mov_b32_e32 v3, v4
	v_lshlrev_b64 v[4:5], 1, v[0:1]
	v_lshlrev_b32_e32 v1, 2, v34
	v_or_b32_e32 v11, 3, v1
	v_mad_u64_u32 v[6:7], s[42:43], s12, v11, 0
	v_mov_b32_e32 v8, v7
	v_mad_u64_u32 v[8:9], s[42:43], s13, v11, v[8:9]
	v_mov_b32_e32 v7, v8
	;; [unrolled: 2-line block ×5, first 2 shown]
	v_mad_u64_u32 v[12:13], s[46:47], s13, v34, v[12:13]
	v_or_b32_e32 v17, 2, v1
	v_mov_b32_e32 v11, v12
	v_mad_u64_u32 v[12:13], s[46:47], s12, v17, 0
	v_mov_b32_e32 v14, v13
	v_mad_u64_u32 v[14:15], s[46:47], s13, v17, v[14:15]
	;; [unrolled: 2-line block ×4, first 2 shown]
	v_mov_b32_e32 v15, v16
	v_mov_b64_e32 v[16:17], s[20:21]
	v_mad_u64_u32 v[16:17], s[46:47], s20, v1, v[16:17]
	s_lshl_b64 s[38:39], s[18:19], 1
	s_lshl_b64 s[6:7], s[22:23], 1
	v_mov_b32_e32 v18, v17
	s_add_u32 s6, s16, s6
	v_mad_u64_u32 v[18:19], s[46:47], s21, v1, v[18:19]
	s_addc_u32 s7, s17, s7
	s_lshl_b64 s[40:41], s[20:21], 5
	s_lshl_b64 s[42:43], s[14:15], 1
	;; [unrolled: 1-line block ×3, first 2 shown]
	v_mov_b32_e32 v17, v18
	v_mov_b64_e32 v[18:19], s[12:13]
	v_lshl_add_u64 v[2:3], v[2:3], 3, s[6:7]
	s_add_u32 s44, s8, s44
	v_lshl_add_u64 v[8:9], v[8:9], 1, s[6:7]
	v_lshl_add_u64 v[14:15], v[14:15], 1, s[6:7]
	;; [unrolled: 1-line block ×3, first 2 shown]
	v_mad_u64_u32 v[18:19], s[6:7], s12, v1, v[18:19]
	s_addc_u32 s45, s9, s45
	v_mov_b32_e32 v20, v19
	s_add_u32 s44, s44, s42
	v_mad_u64_u32 v[20:21], s[6:7], s13, v1, v[20:21]
	s_addc_u32 s45, s45, s43
	v_mov_b32_e32 v19, v20
	v_cmp_gt_i32_e32 vcc, s28, v0
	v_lshl_add_u64 v[6:7], v[6:7], 1, s[44:45]
	s_lshl_b64 s[42:43], s[12:13], 5
	v_lshl_add_u64 v[10:11], v[10:11], 3, s[44:45]
	v_lshl_add_u64 v[12:13], v[12:13], 1, s[44:45]
	;; [unrolled: 1-line block ×3, first 2 shown]
	s_mov_b64 s[44:45], 0
	v_mov_b32_e32 v35, 0
	v_mov_b32_e32 v36, 0
	v_mov_b32_e32 v37, 0
	v_mov_b32_e32 v38, 0
	s_branch .LBB633_17
.LBB633_13:                             ;   in Loop: Header=BB633_17 Depth=1
	s_or_b64 exec, exec, s[50:51]
	s_waitcnt vmcnt(3)
	v_lshlrev_b32_e32 v24, 16, v50
	v_fmac_f32_e32 v37, v22, v24
	s_waitcnt vmcnt(2)
	v_lshlrev_b32_e32 v24, 16, v49
	v_fmac_f32_e32 v37, v23, v24
	;; [unrolled: 3-line block ×4, first 2 shown]
.LBB633_14:                             ;   in Loop: Header=BB633_17 Depth=1
	s_or_b64 exec, exec, s[48:49]
	s_waitcnt vmcnt(3)
	v_lshlrev_b32_e32 v24, 16, v46
	v_fmac_f32_e32 v36, v22, v24
	s_waitcnt vmcnt(2)
	v_lshlrev_b32_e32 v24, 16, v45
	v_fmac_f32_e32 v36, v23, v24
	;; [unrolled: 3-line block ×4, first 2 shown]
.LBB633_15:                             ;   in Loop: Header=BB633_17 Depth=1
	s_or_b64 exec, exec, s[46:47]
	s_waitcnt vmcnt(3)
	v_lshlrev_b32_e32 v24, 16, v42
	v_fmac_f32_e32 v35, v22, v24
	s_waitcnt vmcnt(2)
	v_lshlrev_b32_e32 v22, 16, v41
	v_fmac_f32_e32 v35, v23, v22
	;; [unrolled: 3-line block ×4, first 2 shown]
.LBB633_16:                             ;   in Loop: Header=BB633_17 Depth=1
	s_or_b64 exec, exec, s[6:7]
	v_add_u32_e32 v39, 16, v39
	v_cmp_le_i32_e64 s[6:7], s52, v39
	v_lshl_add_u64 v[2:3], v[2:3], 0, s[40:41]
	v_lshl_add_u64 v[6:7], v[6:7], 0, s[42:43]
	;; [unrolled: 1-line block ×7, first 2 shown]
	s_or_b64 s[44:45], s[6:7], s[44:45]
	v_lshl_add_u64 v[18:19], v[18:19], 0, s[42:43]
	s_andn2_b64 exec, exec, s[44:45]
	s_cbranch_execz .LBB633_22
.LBB633_17:                             ; =>This Inner Loop Header: Depth=1
	s_and_saveexec_b64 s[6:7], vcc
	s_cbranch_execz .LBB633_16
; %bb.18:                               ;   in Loop: Header=BB633_17 Depth=1
	v_lshl_add_u64 v[20:21], v[2:3], 0, s[38:39]
	v_lshl_add_u64 v[22:23], v[16:17], 0, s[38:39]
	global_load_ushort v43, v[20:21], off
	global_load_ushort v44, v[22:23], off
	v_lshl_add_u64 v[20:21], v[14:15], 0, s[38:39]
	v_lshl_add_u64 v[22:23], v[8:9], 0, s[38:39]
	global_load_ushort v45, v[20:21], off
	global_load_ushort v46, v[22:23], off
	v_lshl_add_u64 v[28:29], v[10:11], 0, v[4:5]
	v_lshl_add_u64 v[30:31], v[18:19], 0, v[4:5]
	;; [unrolled: 1-line block ×4, first 2 shown]
	global_load_ushort v42, v[28:29], off
	global_load_ushort v41, v[30:31], off
	global_load_ushort v40, v[24:25], off
	global_load_ushort v1, v[26:27], off
	s_waitcnt vmcnt(7)
	v_lshlrev_b32_e32 v22, 16, v43
	s_waitcnt vmcnt(6)
	v_lshlrev_b32_e32 v23, 16, v44
	;; [unrolled: 2-line block ×4, first 2 shown]
	s_and_saveexec_b64 s[46:47], s[0:1]
	s_cbranch_execz .LBB633_15
; %bb.19:                               ;   in Loop: Header=BB633_17 Depth=1
	global_load_ushort v46, v[28:29], off offset:128
	global_load_ushort v45, v[30:31], off offset:128
	;; [unrolled: 1-line block ×4, first 2 shown]
	s_and_saveexec_b64 s[48:49], s[2:3]
	s_cbranch_execz .LBB633_14
; %bb.20:                               ;   in Loop: Header=BB633_17 Depth=1
	global_load_ushort v50, v[28:29], off offset:256
	global_load_ushort v49, v[30:31], off offset:256
	;; [unrolled: 1-line block ×4, first 2 shown]
	s_and_saveexec_b64 s[50:51], s[4:5]
	s_cbranch_execz .LBB633_13
; %bb.21:                               ;   in Loop: Header=BB633_17 Depth=1
	global_load_ushort v30, v[30:31], off offset:384
	s_nop 0
	global_load_ushort v28, v[28:29], off offset:384
	s_nop 0
	global_load_ushort v26, v[26:27], off offset:384
	s_nop 0
	global_load_ushort v29, v[24:25], off offset:384
	s_waitcnt vmcnt(3)
	v_lshlrev_b32_e32 v25, 16, v30
	s_waitcnt vmcnt(2)
	v_lshlrev_b32_e32 v24, 16, v28
	v_pk_mul_f32 v[24:25], v[22:23], v[24:25]
	s_waitcnt vmcnt(1)
	v_lshlrev_b32_e32 v27, 16, v26
	s_waitcnt vmcnt(0)
	v_lshlrev_b32_e32 v26, 16, v29
	v_add_f32_e32 v24, v38, v24
	v_add_f32_e32 v28, v24, v25
	v_pk_mul_f32 v[24:25], v[20:21], v[26:27]
	s_nop 0
	v_add_f32_e32 v24, v28, v24
	v_add_f32_e32 v38, v24, v25
	s_branch .LBB633_13
.LBB633_22:
	s_or_b64 exec, exec, s[44:45]
.LBB633_23:
	s_or_b64 exec, exec, s[36:37]
	s_sub_i32 s0, s29, s52
	s_cmp_lt_i32 s0, 1
	s_cbranch_scc1 .LBB633_41
; %bb.24:
	v_cmp_gt_i32_e32 vcc, s29, v39
	v_mov_b32_e32 v10, 0
	v_or_b32_e32 v4, 1, v39
	v_mov_b32_e32 v11, 0
	v_mov_b32_e32 v12, 0
	;; [unrolled: 1-line block ×3, first 2 shown]
	s_and_saveexec_b64 s[2:3], vcc
	s_cbranch_execz .LBB633_32
; %bb.25:
	s_lshl_b64 s[0:1], s[22:23], 1
	s_add_u32 s4, s16, s0
	s_addc_u32 s5, s17, s1
	s_lshl_b64 s[0:1], s[18:19], 1
	s_add_u32 s6, s4, s0
	s_addc_u32 s7, s5, s1
	v_mad_u64_u32 v[2:3], s[0:1], v39, s20, 0
	v_mov_b32_e32 v6, v3
	v_mad_u64_u32 v[6:7], s[0:1], v39, s21, v[6:7]
	v_mov_b32_e32 v3, v6
	v_lshl_add_u64 v[2:3], v[2:3], 1, s[6:7]
	global_load_ushort v1, v[2:3], off
	v_cmp_gt_i32_e64 s[0:1], s29, v4
	v_mov_b32_e32 v12, 0
	v_mov_b32_e32 v11, 0
	;; [unrolled: 1-line block ×3, first 2 shown]
	s_and_saveexec_b64 s[4:5], s[0:1]
	s_cbranch_execz .LBB633_31
; %bb.26:
	v_mad_u64_u32 v[2:3], s[0:1], v4, s20, 0
	v_mov_b32_e32 v6, v3
	v_mad_u64_u32 v[6:7], s[0:1], v4, s21, v[6:7]
	v_mov_b32_e32 v3, v6
	v_lshl_add_u64 v[2:3], v[2:3], 1, s[6:7]
	global_load_ushort v2, v[2:3], off
	v_or_b32_e32 v3, 2, v39
	v_cmp_gt_i32_e64 s[0:1], s29, v3
	v_mov_b32_e32 v11, 0
	v_mov_b32_e32 v10, 0
	s_and_saveexec_b64 s[16:17], s[0:1]
	s_cbranch_execz .LBB633_30
; %bb.27:
	v_mad_u64_u32 v[6:7], s[0:1], v3, s20, 0
	v_mov_b32_e32 v8, v7
	v_mad_u64_u32 v[8:9], s[0:1], v3, s21, v[8:9]
	v_mov_b32_e32 v7, v8
	v_lshl_add_u64 v[6:7], v[6:7], 1, s[6:7]
	global_load_ushort v3, v[6:7], off
	v_or_b32_e32 v5, 3, v39
	v_cmp_gt_i32_e64 s[0:1], s29, v5
	v_mov_b32_e32 v10, 0
	s_and_saveexec_b64 s[18:19], s[0:1]
	s_cbranch_execz .LBB633_29
; %bb.28:
	v_mad_u64_u32 v[6:7], s[0:1], v5, s20, 0
	v_mov_b32_e32 v8, v7
	v_mad_u64_u32 v[8:9], s[0:1], v5, s21, v[8:9]
	v_mov_b32_e32 v7, v8
	v_lshl_add_u64 v[6:7], v[6:7], 1, s[6:7]
	global_load_ushort v5, v[6:7], off
	s_waitcnt vmcnt(0)
	v_lshlrev_b32_e32 v10, 16, v5
.LBB633_29:
	s_or_b64 exec, exec, s[18:19]
	s_waitcnt vmcnt(0)
	v_lshlrev_b32_e32 v11, 16, v3
.LBB633_30:
	s_or_b64 exec, exec, s[16:17]
	s_waitcnt vmcnt(0)
	v_lshlrev_b32_e32 v12, 16, v2
.LBB633_31:
	s_or_b64 exec, exec, s[4:5]
	s_waitcnt vmcnt(0)
	v_lshlrev_b32_e32 v13, 16, v1
.LBB633_32:
	s_or_b64 exec, exec, s[2:3]
	v_cmp_gt_i32_e64 s[0:1], s28, v0
	s_and_saveexec_b64 s[2:3], s[0:1]
	s_cbranch_execz .LBB633_40
; %bb.33:
	s_lshl_b64 s[0:1], s[14:15], 1
	s_add_u32 s4, s8, s0
	s_addc_u32 s5, s9, s1
	s_lshl_b64 s[0:1], s[10:11], 1
	s_add_u32 s0, s4, s0
	s_addc_u32 s1, s5, s1
	v_mad_u64_u32 v[2:3], s[4:5], v39, s12, 0
	v_mov_b32_e32 v6, v3
	v_mad_u64_u32 v[6:7], s[4:5], v39, s13, v[6:7]
	v_ashrrev_i32_e32 v1, 31, v0
	v_cndmask_b32_e32 v3, 0, v6, vcc
	v_mad_u64_u32 v[6:7], s[4:5], v4, s12, 0
	v_cndmask_b32_e32 v2, 0, v2, vcc
	v_lshlrev_b64 v[8:9], 1, v[0:1]
	v_mov_b32_e32 v14, v7
	v_cmp_gt_i32_e32 vcc, s29, v4
	v_or_b32_e32 v1, 2, v39
	v_mad_u64_u32 v[14:15], s[4:5], v4, s13, v[14:15]
	v_cndmask_b32_e32 v4, 0, v6, vcc
	v_mad_u64_u32 v[6:7], s[4:5], v1, s12, 0
	v_cndmask_b32_e32 v5, 0, v14, vcc
	v_mov_b32_e32 v14, v7
	v_mad_u64_u32 v[14:15], s[4:5], v1, s13, v[14:15]
	v_cmp_gt_i32_e32 vcc, s29, v1
	v_or_b32_e32 v1, 3, v39
	v_lshl_add_u64 v[2:3], v[2:3], 1, s[0:1]
	v_cndmask_b32_e32 v7, 0, v14, vcc
	v_mad_u64_u32 v[14:15], s[4:5], v1, s12, 0
	v_mov_b32_e32 v16, v15
	v_cndmask_b32_e32 v6, 0, v6, vcc
	v_mad_u64_u32 v[16:17], s[4:5], v1, s13, v[16:17]
	v_cmp_gt_i32_e32 vcc, s29, v1
	v_lshl_add_u64 v[2:3], v[2:3], 0, v[8:9]
	v_lshl_add_u64 v[4:5], v[4:5], 1, s[0:1]
	v_cndmask_b32_e32 v14, 0, v14, vcc
	v_cndmask_b32_e32 v15, 0, v16, vcc
	v_lshl_add_u64 v[6:7], v[6:7], 1, s[0:1]
	v_lshl_add_u64 v[14:15], v[14:15], 1, s[0:1]
	v_lshl_add_u64 v[4:5], v[4:5], 0, v[8:9]
	v_lshl_add_u64 v[6:7], v[6:7], 0, v[8:9]
	v_lshl_add_u64 v[8:9], v[14:15], 0, v[8:9]
	global_load_ushort v1, v[2:3], off
	global_load_ushort v14, v[4:5], off
	;; [unrolled: 1-line block ×4, first 2 shown]
	v_add_u32_e32 v17, 64, v0
	v_cmp_gt_i32_e32 vcc, s28, v17
	s_waitcnt vmcnt(3)
	v_lshlrev_b32_e32 v18, 16, v1
	s_waitcnt vmcnt(2)
	v_lshlrev_b32_e32 v14, 16, v14
	v_fmac_f32_e32 v35, v13, v18
	s_waitcnt vmcnt(1)
	v_lshlrev_b32_e32 v15, 16, v15
	v_fmac_f32_e32 v35, v12, v14
	s_waitcnt vmcnt(0)
	v_lshlrev_b32_e32 v1, 16, v16
	v_fmac_f32_e32 v35, v11, v15
	s_and_saveexec_b64 s[0:1], vcc
	s_cbranch_execz .LBB633_39
; %bb.34:
	global_load_ushort v14, v[2:3], off offset:128
	global_load_ushort v15, v[4:5], off offset:128
	global_load_ushort v16, v[6:7], off offset:128
	global_load_ushort v17, v[8:9], off offset:128
	v_add_u32_e32 v18, 0x80, v0
	v_cmp_gt_i32_e32 vcc, s28, v18
	s_waitcnt vmcnt(3)
	v_lshlrev_b32_e32 v19, 16, v14
	s_waitcnt vmcnt(2)
	v_lshlrev_b32_e32 v15, 16, v15
	v_fmac_f32_e32 v36, v13, v19
	s_waitcnt vmcnt(1)
	v_lshlrev_b32_e32 v16, 16, v16
	v_fmac_f32_e32 v36, v12, v15
	s_waitcnt vmcnt(0)
	v_lshlrev_b32_e32 v14, 16, v17
	v_fmac_f32_e32 v36, v11, v16
	s_and_saveexec_b64 s[4:5], vcc
	s_cbranch_execz .LBB633_38
; %bb.35:
	global_load_ushort v15, v[2:3], off offset:256
	global_load_ushort v16, v[4:5], off offset:256
	global_load_ushort v17, v[6:7], off offset:256
	global_load_ushort v18, v[8:9], off offset:256
	v_add_u32_e32 v19, 0xc0, v0
	v_cmp_gt_i32_e32 vcc, s28, v19
	s_waitcnt vmcnt(3)
	v_lshlrev_b32_e32 v15, 16, v15
	s_waitcnt vmcnt(2)
	v_lshlrev_b32_e32 v16, 16, v16
	v_fmac_f32_e32 v37, v13, v15
	s_waitcnt vmcnt(1)
	v_lshlrev_b32_e32 v17, 16, v17
	v_fmac_f32_e32 v37, v12, v16
	s_waitcnt vmcnt(0)
	v_lshlrev_b32_e32 v0, 16, v18
	v_fmac_f32_e32 v37, v11, v17
	s_and_saveexec_b64 s[6:7], vcc
	s_cbranch_execz .LBB633_37
; %bb.36:
	global_load_ushort v15, v[2:3], off offset:384
	global_load_ushort v16, v[4:5], off offset:384
	global_load_ushort v17, v[6:7], off offset:384
	global_load_ushort v18, v[8:9], off offset:384
	s_waitcnt vmcnt(3)
	v_lshlrev_b32_e32 v2, 16, v15
	s_waitcnt vmcnt(2)
	v_lshlrev_b32_e32 v3, 16, v16
	v_fmac_f32_e32 v38, v13, v2
	s_waitcnt vmcnt(1)
	v_lshlrev_b32_e32 v4, 16, v17
	v_fmac_f32_e32 v38, v12, v3
	v_fmac_f32_e32 v38, v11, v4
	s_waitcnt vmcnt(0)
	v_lshlrev_b32_e32 v2, 16, v18
	v_fmac_f32_e32 v38, v10, v2
.LBB633_37:
	s_or_b64 exec, exec, s[6:7]
	v_fmac_f32_e32 v37, v10, v0
.LBB633_38:
	s_or_b64 exec, exec, s[4:5]
	v_fmac_f32_e32 v36, v10, v14
.LBB633_39:
	s_or_b64 exec, exec, s[0:1]
	v_fmac_f32_e32 v35, v10, v1
.LBB633_40:
	s_or_b64 exec, exec, s[2:3]
.LBB633_41:
	v_lshlrev_b32_e32 v0, 8, v34
	s_movk_i32 s0, 0x100
	v_add_lshl_u32 v0, v0, v33, 2
	v_cmp_gt_u32_e32 vcc, s0, v32
	ds_write2st64_b32 v0, v35, v36 offset1:1
	ds_write2st64_b32 v0, v37, v38 offset0:2 offset1:3
	s_waitcnt lgkmcnt(0)
	s_barrier
	s_waitcnt lgkmcnt(0)
                                        ; implicit-def: $vgpr1
                                        ; implicit-def: $vgpr2_vgpr3
	s_and_saveexec_b64 s[0:1], vcc
	s_cbranch_execz .LBB633_47
; %bb.42:
	v_lshlrev_b32_e32 v1, 2, v32
	ds_read2st64_b32 v[2:3], v1 offset1:4
	ds_read2st64_b32 v[4:5], v1 offset0:8 offset1:12
	v_or_b32_e32 v0, s33, v32
	v_cmp_gt_i32_e32 vcc, s28, v0
	s_mov_b64 s[4:5], s[34:35]
	s_waitcnt lgkmcnt(1)
	v_add_f32_e32 v2, v2, v3
	s_waitcnt lgkmcnt(0)
	v_add_f32_e32 v2, v4, v2
	v_add_f32_e32 v4, v5, v2
	ds_write_b32 v1, v4
                                        ; implicit-def: $vgpr1
                                        ; implicit-def: $vgpr2_vgpr3
	s_and_saveexec_b64 s[2:3], vcc
	s_cbranch_execz .LBB633_46
; %bb.43:
	v_ashrrev_i32_e32 v2, 31, v0
	v_cmp_eq_f32_e64 s[4:5], s31, 0
	v_mul_f32_e32 v1, s30, v4
	v_mul_lo_u32 v4, v0, s25
	v_mul_lo_u32 v5, v2, s24
	v_mad_u64_u32 v[2:3], s[6:7], v0, s24, 0
	v_add3_u32 v3, v3, v4, v5
	s_and_b64 vcc, exec, s[4:5]
	s_cbranch_vccnz .LBB633_45
; %bb.44:
	v_lshl_add_u64 v[4:5], v[2:3], 2, s[26:27]
	global_load_dword v0, v[4:5], off
	s_waitcnt vmcnt(0)
	v_fmac_f32_e32 v1, s31, v0
.LBB633_45:
	s_or_b64 s[4:5], s[34:35], exec
.LBB633_46:
	s_or_b64 exec, exec, s[2:3]
	s_andn2_b64 s[2:3], s[34:35], exec
	s_and_b64 s[4:5], s[4:5], exec
	s_or_b64 s[34:35], s[2:3], s[4:5]
.LBB633_47:
	s_or_b64 exec, exec, s[0:1]
.LBB633_48:
	s_and_saveexec_b64 s[0:1], s[34:35]
	s_cbranch_execz .LBB633_50
; %bb.49:
	v_lshl_add_u64 v[2:3], v[2:3], 2, s[26:27]
	global_store_dword v[2:3], v1, off
.LBB633_50:
	s_endpgm
	.section	.rodata,"a",@progbits
	.p2align	6, 0x0
	.amdhsa_kernel _ZL20rocblas_gemvn_kernelILi64ELi4El16rocblas_bfloat16ffEviiT3_lPKT2_lT1_lS4_lS5_lS1_lPT4_lS5_li
		.amdhsa_group_segment_fixed_size 4096
		.amdhsa_private_segment_fixed_size 0
		.amdhsa_kernarg_size 400
		.amdhsa_user_sgpr_count 2
		.amdhsa_user_sgpr_dispatch_ptr 0
		.amdhsa_user_sgpr_queue_ptr 0
		.amdhsa_user_sgpr_kernarg_segment_ptr 1
		.amdhsa_user_sgpr_dispatch_id 0
		.amdhsa_user_sgpr_kernarg_preload_length 0
		.amdhsa_user_sgpr_kernarg_preload_offset 0
		.amdhsa_user_sgpr_private_segment_size 0
		.amdhsa_uses_dynamic_stack 0
		.amdhsa_enable_private_segment 0
		.amdhsa_system_sgpr_workgroup_id_x 1
		.amdhsa_system_sgpr_workgroup_id_y 0
		.amdhsa_system_sgpr_workgroup_id_z 1
		.amdhsa_system_sgpr_workgroup_info 0
		.amdhsa_system_vgpr_workitem_id 1
		.amdhsa_next_free_vgpr 51
		.amdhsa_next_free_sgpr 53
		.amdhsa_accum_offset 52
		.amdhsa_reserve_vcc 1
		.amdhsa_float_round_mode_32 0
		.amdhsa_float_round_mode_16_64 0
		.amdhsa_float_denorm_mode_32 3
		.amdhsa_float_denorm_mode_16_64 3
		.amdhsa_dx10_clamp 1
		.amdhsa_ieee_mode 1
		.amdhsa_fp16_overflow 0
		.amdhsa_tg_split 0
		.amdhsa_exception_fp_ieee_invalid_op 0
		.amdhsa_exception_fp_denorm_src 0
		.amdhsa_exception_fp_ieee_div_zero 0
		.amdhsa_exception_fp_ieee_overflow 0
		.amdhsa_exception_fp_ieee_underflow 0
		.amdhsa_exception_fp_ieee_inexact 0
		.amdhsa_exception_int_div_zero 0
	.end_amdhsa_kernel
	.section	.text._ZL20rocblas_gemvn_kernelILi64ELi4El16rocblas_bfloat16ffEviiT3_lPKT2_lT1_lS4_lS5_lS1_lPT4_lS5_li,"axG",@progbits,_ZL20rocblas_gemvn_kernelILi64ELi4El16rocblas_bfloat16ffEviiT3_lPKT2_lT1_lS4_lS5_lS1_lPT4_lS5_li,comdat
.Lfunc_end633:
	.size	_ZL20rocblas_gemvn_kernelILi64ELi4El16rocblas_bfloat16ffEviiT3_lPKT2_lT1_lS4_lS5_lS1_lPT4_lS5_li, .Lfunc_end633-_ZL20rocblas_gemvn_kernelILi64ELi4El16rocblas_bfloat16ffEviiT3_lPKT2_lT1_lS4_lS5_lS1_lPT4_lS5_li
                                        ; -- End function
	.section	.AMDGPU.csdata,"",@progbits
; Kernel info:
; codeLenInByte = 2756
; NumSgprs: 59
; NumVgprs: 51
; NumAgprs: 0
; TotalNumVgprs: 51
; ScratchSize: 0
; MemoryBound: 0
; FloatMode: 240
; IeeeMode: 1
; LDSByteSize: 4096 bytes/workgroup (compile time only)
; SGPRBlocks: 7
; VGPRBlocks: 6
; NumSGPRsForWavesPerEU: 59
; NumVGPRsForWavesPerEU: 51
; AccumOffset: 52
; Occupancy: 8
; WaveLimiterHint : 1
; COMPUTE_PGM_RSRC2:SCRATCH_EN: 0
; COMPUTE_PGM_RSRC2:USER_SGPR: 2
; COMPUTE_PGM_RSRC2:TRAP_HANDLER: 0
; COMPUTE_PGM_RSRC2:TGID_X_EN: 1
; COMPUTE_PGM_RSRC2:TGID_Y_EN: 0
; COMPUTE_PGM_RSRC2:TGID_Z_EN: 1
; COMPUTE_PGM_RSRC2:TIDIG_COMP_CNT: 1
; COMPUTE_PGM_RSRC3_GFX90A:ACCUM_OFFSET: 12
; COMPUTE_PGM_RSRC3_GFX90A:TG_SPLIT: 0
	.section	.text._ZL20rocblas_gemvn_kernelILi32ELi16Ei16rocblas_bfloat16PKffEviiT3_lPKT2_lT1_lS6_lS7_lS3_lPT4_lS7_li,"axG",@progbits,_ZL20rocblas_gemvn_kernelILi32ELi16Ei16rocblas_bfloat16PKffEviiT3_lPKT2_lT1_lS6_lS7_lS3_lPT4_lS7_li,comdat
	.globl	_ZL20rocblas_gemvn_kernelILi32ELi16Ei16rocblas_bfloat16PKffEviiT3_lPKT2_lT1_lS6_lS7_lS3_lPT4_lS7_li ; -- Begin function _ZL20rocblas_gemvn_kernelILi32ELi16Ei16rocblas_bfloat16PKffEviiT3_lPKT2_lT1_lS6_lS7_lS3_lPT4_lS7_li
	.p2align	8
	.type	_ZL20rocblas_gemvn_kernelILi32ELi16Ei16rocblas_bfloat16PKffEviiT3_lPKT2_lT1_lS6_lS7_lS3_lPT4_lS7_li,@function
_ZL20rocblas_gemvn_kernelILi32ELi16Ei16rocblas_bfloat16PKffEviiT3_lPKT2_lT1_lS6_lS7_lS3_lPT4_lS7_li: ; @_ZL20rocblas_gemvn_kernelILi32ELi16Ei16rocblas_bfloat16PKffEviiT3_lPKT2_lT1_lS6_lS7_lS3_lPT4_lS7_li
; %bb.0:
	s_load_dwordx2 s[4:5], s[0:1], 0x9c
	s_waitcnt lgkmcnt(0)
	s_lshr_b32 s6, s4, 16
	s_and_b32 s4, s4, 0xffff
	s_and_b32 s5, s5, 0xffff
	s_mul_i32 s4, s6, s4
	s_mul_i32 s4, s4, s5
	s_cmpk_lg_i32 s4, 0x200
	s_cbranch_scc1 .LBB634_50
; %bb.1:
	s_load_dwordx8 s[12:19], s[0:1], 0x8
	s_load_dwordx8 s[4:11], s[0:1], 0x50
	s_waitcnt lgkmcnt(0)
	s_mul_i32 s15, s3, s15
	s_mul_hi_u32 s20, s3, s14
	s_mul_i32 s14, s3, s14
	s_add_i32 s15, s20, s15
	s_lshl_b64 s[14:15], s[14:15], 2
	s_add_u32 s12, s12, s14
	s_addc_u32 s13, s13, s15
	s_mul_i32 s9, s3, s9
	s_load_dword s29, s[12:13], 0x0
	s_mul_hi_u32 s12, s3, s8
	s_add_i32 s9, s12, s9
	s_mul_i32 s8, s3, s8
	s_lshl_b64 s[8:9], s[8:9], 2
	s_add_u32 s6, s6, s8
	s_addc_u32 s7, s7, s9
	s_load_dword s28, s[6:7], 0x0
	s_waitcnt lgkmcnt(0)
	v_cmp_eq_f32_e64 s[6:7], s29, 0
	v_cmp_eq_f32_e64 s[8:9], s28, 1.0
	s_and_b64 s[6:7], s[6:7], s[8:9]
	s_and_b64 vcc, exec, s[6:7]
	s_cbranch_vccnz .LBB634_50
; %bb.2:
	s_load_dwordx2 s[6:7], s[0:1], 0x80
	s_load_dword s30, s[0:1], 0x78
	s_load_dwordx2 s[8:9], s[0:1], 0x70
	s_load_dwordx2 s[12:13], s[0:1], 0x0
	v_and_b32_e32 v2, 0x3ff, v0
	s_waitcnt lgkmcnt(0)
	s_mul_i32 s7, s3, s7
	s_mul_hi_u32 s14, s3, s6
	s_add_i32 s7, s14, s7
	s_mul_i32 s6, s3, s6
	s_lshl_b64 s[6:7], s[6:7], 2
	s_add_u32 s10, s10, s6
	s_addc_u32 s11, s11, s7
	s_lshl_b64 s[6:7], s[8:9], 2
	s_add_u32 s8, s10, s6
	s_addc_u32 s9, s11, s7
	v_bfe_u32 v18, v0, 10, 10
	v_cmp_neq_f32_e64 s[6:7], s29, 0
	v_lshl_add_u32 v3, v18, 5, v2
	s_and_b64 vcc, exec, s[6:7]
	s_cbranch_vccnz .LBB634_9
; %bb.3:
	s_movk_i32 s6, 0x80
	v_cmp_gt_u32_e32 vcc, s6, v3
	s_mov_b64 s[6:7], 0
	s_mov_b64 s[10:11], 0
                                        ; implicit-def: $vgpr1
                                        ; implicit-def: $vgpr4_vgpr5
	s_and_saveexec_b64 s[14:15], vcc
	s_cbranch_execz .LBB634_10
; %bb.4:
	v_lshl_or_b32 v0, s2, 7, v3
	v_mov_b32_e32 v1, 0
	s_ashr_i32 s11, s12, 31
	s_mov_b32 s10, s12
	v_cmp_gt_i64_e32 vcc, s[10:11], v[0:1]
	s_mov_b64 s[20:21], 0
                                        ; implicit-def: $vgpr4_vgpr5
	s_and_saveexec_b64 s[10:11], vcc
	s_cbranch_execz .LBB634_8
; %bb.5:
	v_mad_u64_u32 v[4:5], s[22:23], s30, v0, 0
	s_ashr_i32 s24, s30, 31
	v_mov_b32_e32 v6, v5
	v_cmp_eq_f32_e64 s[20:21], s28, 0
	v_mad_u64_u32 v[6:7], s[22:23], s24, v0, v[6:7]
	v_mov_b32_e32 v5, v6
	s_and_b64 vcc, exec, s[20:21]
	s_cbranch_vccnz .LBB634_7
; %bb.6:
	v_lshl_add_u64 v[0:1], v[4:5], 2, s[8:9]
	global_load_dword v0, v[0:1], off
	s_waitcnt vmcnt(0)
	v_mul_f32_e32 v1, s28, v0
.LBB634_7:
	s_mov_b64 s[20:21], exec
.LBB634_8:
	s_or_b64 exec, exec, s[10:11]
	s_and_b64 s[10:11], s[20:21], exec
	s_or_b64 exec, exec, s[14:15]
	s_and_b64 vcc, exec, s[6:7]
	s_cbranch_vccnz .LBB634_11
	s_branch .LBB634_48
.LBB634_9:
	s_mov_b64 s[10:11], 0
                                        ; implicit-def: $vgpr1
                                        ; implicit-def: $vgpr4_vgpr5
	s_cbranch_execnz .LBB634_11
	s_branch .LBB634_48
.LBB634_10:
	s_or_b64 exec, exec, s[14:15]
	s_and_b64 vcc, exec, s[6:7]
	s_cbranch_vccz .LBB634_48
.LBB634_11:
	s_load_dwordx4 s[20:23], s[0:1], 0x30
	s_load_dword s33, s[0:1], 0x28
	s_load_dwordx2 s[6:7], s[0:1], 0x40
	s_load_dword s34, s[0:1], 0x48
	v_lshlrev_b32_e32 v24, 2, v18
	s_waitcnt lgkmcnt(0)
	s_mul_i32 s0, s3, s21
	s_mul_hi_u32 s1, s3, s20
	s_add_i32 s1, s1, s0
	s_mul_i32 s0, s3, s20
	s_lshl_b64 s[0:1], s[0:1], 1
	s_add_u32 s14, s16, s0
	s_addc_u32 s15, s17, s1
	s_lshl_b64 s[0:1], s[18:19], 1
	s_add_u32 s14, s14, s0
	s_addc_u32 s15, s15, s1
	s_mul_i32 s0, s3, s5
	s_mul_hi_u32 s1, s3, s4
	s_add_i32 s1, s1, s0
	s_mul_i32 s0, s3, s4
	s_lshl_b64 s[0:1], s[0:1], 1
	s_add_u32 s3, s22, s0
	s_addc_u32 s4, s23, s1
	s_lshl_b64 s[0:1], s[6:7], 1
	s_add_u32 s16, s3, s0
	s_addc_u32 s17, s4, s1
	s_ashr_i32 s0, s13, 31
	s_lshr_b32 s0, s0, 26
	s_add_i32 s35, s13, s0
	s_lshl_b32 s31, s2, 7
	s_andn2_b32 s35, s35, 63
	v_add_u32_e32 v23, s31, v2
	v_cmp_gt_i32_e32 vcc, s35, v24
	v_mov_b32_e32 v19, 0
	v_mov_b32_e32 v20, 0
	;; [unrolled: 1-line block ×4, first 2 shown]
	s_and_saveexec_b64 s[18:19], vcc
	s_cbranch_execz .LBB634_23
; %bb.12:
	v_add_u32_e32 v0, 32, v23
	v_cmp_gt_i32_e64 s[0:1], s12, v0
	v_add_u32_e32 v0, 64, v23
	v_cmp_gt_i32_e64 s[2:3], s12, v0
	;; [unrolled: 2-line block ×3, first 2 shown]
	v_mul_lo_u32 v0, s33, v24
	v_add_u32_e32 v6, 2, v24
	v_add_u32_e32 v7, 3, v24
	v_add3_u32 v25, v0, s33, v2
	v_mad_u64_u32 v[0:1], s[6:7], s33, v6, v[2:3]
	v_mad_u64_u32 v[4:5], s[6:7], s33, v7, v[2:3]
	v_mul_lo_u32 v1, v18, s33
	v_mul_lo_u32 v5, s34, v24
	;; [unrolled: 1-line block ×4, first 2 shown]
	v_cmp_gt_i32_e32 vcc, s12, v23
	s_lshl_b32 s36, s33, 6
	v_lshl_add_u32 v1, v1, 2, v2
	v_add_u32_e32 v5, s34, v5
	s_lshl_b32 s37, s34, 6
	v_mul_lo_u32 v27, s34, v7
	v_lshlrev_b32_e32 v28, 2, v6
	s_mov_b32 s38, 0
	s_mov_b64 s[20:21], 0
	v_mov_b32_e32 v19, 0
	v_mov_b32_e32 v20, 0
	;; [unrolled: 1-line block ×4, first 2 shown]
	s_branch .LBB634_17
.LBB634_13:                             ;   in Loop: Header=BB634_17 Depth=1
	s_or_b64 exec, exec, s[26:27]
	s_waitcnt vmcnt(3)
	v_lshlrev_b32_e32 v10, 16, v40
	v_fmac_f32_e32 v21, v8, v10
	s_waitcnt vmcnt(2)
	v_lshlrev_b32_e32 v10, 16, v39
	v_fmac_f32_e32 v21, v9, v10
	;; [unrolled: 3-line block ×4, first 2 shown]
.LBB634_14:                             ;   in Loop: Header=BB634_17 Depth=1
	s_or_b64 exec, exec, s[24:25]
	s_waitcnt vmcnt(3)
	v_lshlrev_b32_e32 v10, 16, v36
	v_fmac_f32_e32 v20, v8, v10
	s_waitcnt vmcnt(2)
	v_lshlrev_b32_e32 v10, 16, v35
	v_fmac_f32_e32 v20, v9, v10
	;; [unrolled: 3-line block ×4, first 2 shown]
.LBB634_15:                             ;   in Loop: Header=BB634_17 Depth=1
	s_or_b64 exec, exec, s[22:23]
	s_waitcnt vmcnt(3)
	v_lshlrev_b32_e32 v10, 16, v32
	v_fmac_f32_e32 v19, v8, v10
	s_waitcnt vmcnt(2)
	v_lshlrev_b32_e32 v8, 16, v31
	v_fmac_f32_e32 v19, v9, v8
	;; [unrolled: 3-line block ×4, first 2 shown]
.LBB634_16:                             ;   in Loop: Header=BB634_17 Depth=1
	s_or_b64 exec, exec, s[6:7]
	v_add_u32_e32 v24, 64, v24
	s_add_i32 s38, s38, s37
	v_cmp_le_i32_e64 s[6:7], s35, v24
	v_add_u32_e32 v25, s36, v25
	v_add_u32_e32 v0, s36, v0
	v_add_u32_e32 v4, s36, v4
	s_or_b64 s[20:21], s[6:7], s[20:21]
	v_add_u32_e32 v1, s36, v1
	s_andn2_b64 exec, exec, s[20:21]
	s_cbranch_execz .LBB634_22
.LBB634_17:                             ; =>This Inner Loop Header: Depth=1
	s_and_saveexec_b64 s[6:7], vcc
	s_cbranch_execz .LBB634_16
; %bb.18:                               ;   in Loop: Header=BB634_17 Depth=1
	v_add_u32_e32 v6, s38, v28
	v_ashrrev_i32_e32 v7, 31, v6
	v_add_u32_e32 v8, s38, v5
	v_add_u32_e32 v10, s38, v26
	;; [unrolled: 1-line block ×3, first 2 shown]
	v_lshl_add_u64 v[6:7], v[6:7], 1, s[16:17]
	v_ashrrev_i32_e32 v9, 31, v8
	v_ashrrev_i32_e32 v11, 31, v10
	v_ashrrev_i32_e32 v13, 31, v12
	v_lshl_add_u64 v[8:9], v[8:9], 1, s[16:17]
	v_lshl_add_u64 v[10:11], v[10:11], 1, s[16:17]
	;; [unrolled: 1-line block ×3, first 2 shown]
	global_load_ushort v33, v[6:7], off
	global_load_ushort v34, v[8:9], off
	;; [unrolled: 1-line block ×4, first 2 shown]
	v_add_u32_e32 v6, s31, v1
	v_ashrrev_i32_e32 v7, 31, v6
	v_lshl_add_u64 v[10:11], v[6:7], 1, s[14:15]
	v_add_u32_e32 v6, s31, v25
	v_ashrrev_i32_e32 v7, 31, v6
	v_lshl_add_u64 v[12:13], v[6:7], 1, s[14:15]
	;; [unrolled: 3-line block ×4, first 2 shown]
	global_load_ushort v32, v[10:11], off
	global_load_ushort v31, v[12:13], off
	;; [unrolled: 1-line block ×4, first 2 shown]
	s_waitcnt vmcnt(7)
	v_lshlrev_b32_e32 v8, 16, v33
	s_waitcnt vmcnt(6)
	v_lshlrev_b32_e32 v9, 16, v34
	;; [unrolled: 2-line block ×4, first 2 shown]
	s_and_saveexec_b64 s[22:23], s[0:1]
	s_cbranch_execz .LBB634_15
; %bb.19:                               ;   in Loop: Header=BB634_17 Depth=1
	global_load_ushort v36, v[10:11], off offset:64
	global_load_ushort v35, v[12:13], off offset:64
	global_load_ushort v34, v[14:15], off offset:64
	global_load_ushort v33, v[16:17], off offset:64
	s_and_saveexec_b64 s[24:25], s[2:3]
	s_cbranch_execz .LBB634_14
; %bb.20:                               ;   in Loop: Header=BB634_17 Depth=1
	global_load_ushort v40, v[10:11], off offset:128
	global_load_ushort v39, v[12:13], off offset:128
	global_load_ushort v38, v[14:15], off offset:128
	global_load_ushort v37, v[16:17], off offset:128
	;; [unrolled: 7-line block ×3, first 2 shown]
	s_waitcnt vmcnt(3)
	v_lshlrev_b32_e32 v11, 16, v41
	s_waitcnt vmcnt(2)
	v_lshlrev_b32_e32 v10, 16, v42
	v_pk_mul_f32 v[10:11], v[8:9], v[10:11]
	s_waitcnt vmcnt(1)
	v_lshlrev_b32_e32 v13, 16, v43
	s_waitcnt vmcnt(0)
	v_lshlrev_b32_e32 v12, 16, v44
	v_add_f32_e32 v10, v22, v10
	v_add_f32_e32 v14, v10, v11
	v_pk_mul_f32 v[10:11], v[6:7], v[12:13]
	s_nop 0
	v_add_f32_e32 v10, v14, v10
	v_add_f32_e32 v22, v10, v11
	s_branch .LBB634_13
.LBB634_22:
	s_or_b64 exec, exec, s[20:21]
.LBB634_23:
	s_or_b64 exec, exec, s[18:19]
	s_sub_i32 s0, s13, s35
	s_cmp_lt_i32 s0, 1
	s_cbranch_scc1 .LBB634_41
; %bb.24:
	v_cmp_gt_i32_e32 vcc, s13, v24
	v_mov_b32_e32 v10, 0
	v_or_b32_e32 v4, 1, v24
	v_mov_b32_e32 v11, 0
	v_mov_b32_e32 v12, 0
	v_mov_b32_e32 v13, 0
	s_and_saveexec_b64 s[2:3], vcc
	s_cbranch_execz .LBB634_32
; %bb.25:
	v_mul_lo_u32 v0, v24, s34
	v_ashrrev_i32_e32 v1, 31, v0
	v_lshl_add_u64 v[0:1], v[0:1], 1, s[16:17]
	global_load_ushort v0, v[0:1], off
	v_cmp_gt_i32_e64 s[0:1], s13, v4
	v_mov_b32_e32 v12, 0
	v_mov_b32_e32 v11, 0
	;; [unrolled: 1-line block ×3, first 2 shown]
	s_and_saveexec_b64 s[4:5], s[0:1]
	s_cbranch_execz .LBB634_31
; %bb.26:
	v_mul_lo_u32 v6, v4, s34
	v_ashrrev_i32_e32 v7, 31, v6
	v_lshl_add_u64 v[6:7], v[6:7], 1, s[16:17]
	global_load_ushort v1, v[6:7], off
	v_or_b32_e32 v5, 2, v24
	v_cmp_gt_i32_e64 s[0:1], s13, v5
	v_mov_b32_e32 v11, 0
	v_mov_b32_e32 v10, 0
	s_and_saveexec_b64 s[6:7], s[0:1]
	s_cbranch_execz .LBB634_30
; %bb.27:
	v_mul_lo_u32 v6, v5, s34
	v_ashrrev_i32_e32 v7, 31, v6
	v_lshl_add_u64 v[6:7], v[6:7], 1, s[16:17]
	global_load_ushort v5, v[6:7], off
	v_or_b32_e32 v6, 3, v24
	v_cmp_gt_i32_e64 s[0:1], s13, v6
	v_mov_b32_e32 v10, 0
	s_and_saveexec_b64 s[18:19], s[0:1]
	s_cbranch_execz .LBB634_29
; %bb.28:
	v_mul_lo_u32 v6, v6, s34
	v_ashrrev_i32_e32 v7, 31, v6
	v_lshl_add_u64 v[6:7], v[6:7], 1, s[16:17]
	global_load_ushort v6, v[6:7], off
	s_waitcnt vmcnt(0)
	v_lshlrev_b32_e32 v10, 16, v6
.LBB634_29:
	s_or_b64 exec, exec, s[18:19]
	s_waitcnt vmcnt(0)
	v_lshlrev_b32_e32 v11, 16, v5
.LBB634_30:
	s_or_b64 exec, exec, s[6:7]
	s_waitcnt vmcnt(0)
	v_lshlrev_b32_e32 v12, 16, v1
.LBB634_31:
	s_or_b64 exec, exec, s[4:5]
	s_waitcnt vmcnt(0)
	v_lshlrev_b32_e32 v13, 16, v0
.LBB634_32:
	s_or_b64 exec, exec, s[2:3]
	v_cmp_gt_i32_e64 s[0:1], s12, v23
	s_and_saveexec_b64 s[2:3], s[0:1]
	s_cbranch_execz .LBB634_40
; %bb.33:
	v_mul_lo_u32 v0, v24, s33
	v_cndmask_b32_e32 v0, 0, v0, vcc
	v_mul_lo_u32 v5, v4, s33
	v_cmp_gt_i32_e32 vcc, s13, v4
	v_or_b32_e32 v6, 2, v24
	v_add_u32_e32 v0, v0, v23
	v_cndmask_b32_e32 v4, 0, v5, vcc
	v_mul_lo_u32 v7, v6, s33
	v_cmp_gt_i32_e32 vcc, s13, v6
	v_or_b32_e32 v8, 3, v24
	v_ashrrev_i32_e32 v1, 31, v0
	v_add_u32_e32 v4, v4, v23
	v_cndmask_b32_e32 v6, 0, v7, vcc
	v_mul_lo_u32 v9, v8, s33
	v_cmp_gt_i32_e32 vcc, s13, v8
	v_lshl_add_u64 v[0:1], v[0:1], 1, s[14:15]
	v_ashrrev_i32_e32 v5, 31, v4
	v_add_u32_e32 v6, v6, v23
	v_cndmask_b32_e32 v8, 0, v9, vcc
	v_lshl_add_u64 v[4:5], v[4:5], 1, s[14:15]
	v_ashrrev_i32_e32 v7, 31, v6
	v_add_u32_e32 v8, v8, v23
	global_load_ushort v14, v[0:1], off
	global_load_ushort v15, v[4:5], off
	v_lshl_add_u64 v[6:7], v[6:7], 1, s[14:15]
	v_ashrrev_i32_e32 v9, 31, v8
	v_lshl_add_u64 v[8:9], v[8:9], 1, s[14:15]
	global_load_ushort v16, v[6:7], off
	global_load_ushort v17, v[8:9], off
	v_add_u32_e32 v24, 32, v23
	v_cmp_gt_i32_e32 vcc, s12, v24
	s_waitcnt vmcnt(3)
	v_lshlrev_b32_e32 v14, 16, v14
	s_waitcnt vmcnt(2)
	v_lshlrev_b32_e32 v15, 16, v15
	v_fmac_f32_e32 v19, v13, v14
	v_fmac_f32_e32 v19, v12, v15
	s_waitcnt vmcnt(1)
	v_lshlrev_b32_e32 v16, 16, v16
	s_waitcnt vmcnt(0)
	v_lshlrev_b32_e32 v14, 16, v17
	v_fmac_f32_e32 v19, v11, v16
	s_and_saveexec_b64 s[0:1], vcc
	s_cbranch_execz .LBB634_39
; %bb.34:
	global_load_ushort v15, v[0:1], off offset:64
	global_load_ushort v16, v[4:5], off offset:64
	;; [unrolled: 1-line block ×4, first 2 shown]
	v_add_u32_e32 v25, 64, v23
	v_cmp_gt_i32_e32 vcc, s12, v25
	s_waitcnt vmcnt(3)
	v_lshlrev_b32_e32 v26, 16, v15
	s_waitcnt vmcnt(2)
	v_lshlrev_b32_e32 v16, 16, v16
	v_fmac_f32_e32 v20, v13, v26
	s_waitcnt vmcnt(1)
	v_lshlrev_b32_e32 v17, 16, v17
	v_fmac_f32_e32 v20, v12, v16
	;; [unrolled: 3-line block ×3, first 2 shown]
	s_and_saveexec_b64 s[4:5], vcc
	s_cbranch_execz .LBB634_38
; %bb.35:
	global_load_ushort v16, v[0:1], off offset:128
	global_load_ushort v17, v[4:5], off offset:128
	;; [unrolled: 1-line block ×4, first 2 shown]
	v_add_u32_e32 v23, 0x60, v23
	v_cmp_gt_i32_e32 vcc, s12, v23
	s_waitcnt vmcnt(3)
	v_lshlrev_b32_e32 v26, 16, v16
	s_waitcnt vmcnt(2)
	v_lshlrev_b32_e32 v17, 16, v17
	v_fmac_f32_e32 v21, v13, v26
	s_waitcnt vmcnt(1)
	v_lshlrev_b32_e32 v24, 16, v24
	v_fmac_f32_e32 v21, v12, v17
	;; [unrolled: 3-line block ×3, first 2 shown]
	s_and_saveexec_b64 s[6:7], vcc
	s_cbranch_execz .LBB634_37
; %bb.36:
	global_load_ushort v17, v[0:1], off offset:192
	global_load_ushort v23, v[4:5], off offset:192
	;; [unrolled: 1-line block ×4, first 2 shown]
	s_waitcnt vmcnt(3)
	v_lshlrev_b32_e32 v0, 16, v17
	s_waitcnt vmcnt(2)
	v_lshlrev_b32_e32 v1, 16, v23
	v_fmac_f32_e32 v22, v13, v0
	s_waitcnt vmcnt(1)
	v_lshlrev_b32_e32 v4, 16, v24
	v_fmac_f32_e32 v22, v12, v1
	v_fmac_f32_e32 v22, v11, v4
	s_waitcnt vmcnt(0)
	v_lshlrev_b32_e32 v0, 16, v25
	v_fmac_f32_e32 v22, v10, v0
.LBB634_37:
	s_or_b64 exec, exec, s[6:7]
	v_fmac_f32_e32 v21, v10, v16
.LBB634_38:
	s_or_b64 exec, exec, s[4:5]
	v_fmac_f32_e32 v20, v10, v15
.LBB634_39:
	s_or_b64 exec, exec, s[0:1]
	v_fmac_f32_e32 v19, v10, v14
.LBB634_40:
	s_or_b64 exec, exec, s[2:3]
.LBB634_41:
	v_lshlrev_b32_e32 v0, 7, v18
	s_movk_i32 s0, 0x80
	v_add_lshl_u32 v0, v0, v2, 2
	v_cmp_gt_u32_e32 vcc, s0, v3
	ds_write2_b32 v0, v19, v20 offset1:32
	ds_write2_b32 v0, v21, v22 offset0:64 offset1:96
	s_waitcnt lgkmcnt(0)
	s_barrier
	s_waitcnt lgkmcnt(0)
                                        ; implicit-def: $vgpr1
                                        ; implicit-def: $vgpr4_vgpr5
	s_and_saveexec_b64 s[0:1], vcc
	s_cbranch_execz .LBB634_47
; %bb.42:
	v_lshlrev_b32_e32 v2, 2, v3
	ds_read2st64_b32 v[0:1], v2 offset1:2
	ds_read2st64_b32 v[4:5], v2 offset0:4 offset1:6
	ds_read2st64_b32 v[6:7], v2 offset0:8 offset1:10
	;; [unrolled: 1-line block ×4, first 2 shown]
	s_waitcnt lgkmcnt(4)
	v_add_f32_e32 v0, v0, v1
	s_waitcnt lgkmcnt(3)
	v_add_f32_e32 v0, v4, v0
	v_add_f32_e32 v0, v5, v0
	s_waitcnt lgkmcnt(2)
	v_add_f32_e32 v0, v6, v0
	;; [unrolled: 3-line block ×3, first 2 shown]
	v_add_f32_e32 v4, v9, v0
	ds_read2st64_b32 v[0:1], v2 offset0:20 offset1:22
	s_waitcnt lgkmcnt(1)
	v_add_f32_e32 v6, v10, v4
	ds_read2st64_b32 v[4:5], v2 offset0:24 offset1:26
	v_add_f32_e32 v8, v11, v6
	ds_read2st64_b32 v[6:7], v2 offset0:28 offset1:30
	s_waitcnt lgkmcnt(2)
	v_add_f32_e32 v0, v0, v8
	v_add_f32_e32 v0, v1, v0
	s_waitcnt lgkmcnt(1)
	v_add_f32_e32 v0, v4, v0
	v_add_f32_e32 v0, v5, v0
	;; [unrolled: 3-line block ×3, first 2 shown]
	ds_write_b32 v2, v0
	v_or_b32_e32 v2, s31, v3
	v_cmp_gt_i32_e32 vcc, s12, v2
	s_mov_b64 s[4:5], s[10:11]
                                        ; implicit-def: $vgpr1
                                        ; implicit-def: $vgpr4_vgpr5
	s_and_saveexec_b64 s[2:3], vcc
	s_cbranch_execz .LBB634_46
; %bb.43:
	v_cmp_eq_f32_e64 s[4:5], s28, 0
	v_mul_lo_u32 v4, v2, s30
	v_mul_f32_e32 v1, s29, v0
	v_ashrrev_i32_e32 v5, 31, v4
	s_and_b64 vcc, exec, s[4:5]
	s_cbranch_vccnz .LBB634_45
; %bb.44:
	v_lshl_add_u64 v[2:3], v[4:5], 2, s[8:9]
	global_load_dword v0, v[2:3], off
	s_waitcnt vmcnt(0)
	v_fmac_f32_e32 v1, s28, v0
.LBB634_45:
	s_or_b64 s[4:5], s[10:11], exec
.LBB634_46:
	s_or_b64 exec, exec, s[2:3]
	s_andn2_b64 s[2:3], s[10:11], exec
	s_and_b64 s[4:5], s[4:5], exec
	s_or_b64 s[10:11], s[2:3], s[4:5]
.LBB634_47:
	s_or_b64 exec, exec, s[0:1]
.LBB634_48:
	s_and_saveexec_b64 s[0:1], s[10:11]
	s_cbranch_execz .LBB634_50
; %bb.49:
	v_lshl_add_u64 v[2:3], v[4:5], 2, s[8:9]
	global_store_dword v[2:3], v1, off
.LBB634_50:
	s_endpgm
	.section	.rodata,"a",@progbits
	.p2align	6, 0x0
	.amdhsa_kernel _ZL20rocblas_gemvn_kernelILi32ELi16Ei16rocblas_bfloat16PKffEviiT3_lPKT2_lT1_lS6_lS7_lS3_lPT4_lS7_li
		.amdhsa_group_segment_fixed_size 8192
		.amdhsa_private_segment_fixed_size 0
		.amdhsa_kernarg_size 400
		.amdhsa_user_sgpr_count 2
		.amdhsa_user_sgpr_dispatch_ptr 0
		.amdhsa_user_sgpr_queue_ptr 0
		.amdhsa_user_sgpr_kernarg_segment_ptr 1
		.amdhsa_user_sgpr_dispatch_id 0
		.amdhsa_user_sgpr_kernarg_preload_length 0
		.amdhsa_user_sgpr_kernarg_preload_offset 0
		.amdhsa_user_sgpr_private_segment_size 0
		.amdhsa_uses_dynamic_stack 0
		.amdhsa_enable_private_segment 0
		.amdhsa_system_sgpr_workgroup_id_x 1
		.amdhsa_system_sgpr_workgroup_id_y 0
		.amdhsa_system_sgpr_workgroup_id_z 1
		.amdhsa_system_sgpr_workgroup_info 0
		.amdhsa_system_vgpr_workitem_id 1
		.amdhsa_next_free_vgpr 45
		.amdhsa_next_free_sgpr 39
		.amdhsa_accum_offset 48
		.amdhsa_reserve_vcc 1
		.amdhsa_float_round_mode_32 0
		.amdhsa_float_round_mode_16_64 0
		.amdhsa_float_denorm_mode_32 3
		.amdhsa_float_denorm_mode_16_64 3
		.amdhsa_dx10_clamp 1
		.amdhsa_ieee_mode 1
		.amdhsa_fp16_overflow 0
		.amdhsa_tg_split 0
		.amdhsa_exception_fp_ieee_invalid_op 0
		.amdhsa_exception_fp_denorm_src 0
		.amdhsa_exception_fp_ieee_div_zero 0
		.amdhsa_exception_fp_ieee_overflow 0
		.amdhsa_exception_fp_ieee_underflow 0
		.amdhsa_exception_fp_ieee_inexact 0
		.amdhsa_exception_int_div_zero 0
	.end_amdhsa_kernel
	.section	.text._ZL20rocblas_gemvn_kernelILi32ELi16Ei16rocblas_bfloat16PKffEviiT3_lPKT2_lT1_lS6_lS7_lS3_lPT4_lS7_li,"axG",@progbits,_ZL20rocblas_gemvn_kernelILi32ELi16Ei16rocblas_bfloat16PKffEviiT3_lPKT2_lT1_lS6_lS7_lS3_lPT4_lS7_li,comdat
.Lfunc_end634:
	.size	_ZL20rocblas_gemvn_kernelILi32ELi16Ei16rocblas_bfloat16PKffEviiT3_lPKT2_lT1_lS6_lS7_lS3_lPT4_lS7_li, .Lfunc_end634-_ZL20rocblas_gemvn_kernelILi32ELi16Ei16rocblas_bfloat16PKffEviiT3_lPKT2_lT1_lS6_lS7_lS3_lPT4_lS7_li
                                        ; -- End function
	.section	.AMDGPU.csdata,"",@progbits
; Kernel info:
; codeLenInByte = 2624
; NumSgprs: 45
; NumVgprs: 45
; NumAgprs: 0
; TotalNumVgprs: 45
; ScratchSize: 0
; MemoryBound: 0
; FloatMode: 240
; IeeeMode: 1
; LDSByteSize: 8192 bytes/workgroup (compile time only)
; SGPRBlocks: 5
; VGPRBlocks: 5
; NumSGPRsForWavesPerEU: 45
; NumVGPRsForWavesPerEU: 45
; AccumOffset: 48
; Occupancy: 8
; WaveLimiterHint : 1
; COMPUTE_PGM_RSRC2:SCRATCH_EN: 0
; COMPUTE_PGM_RSRC2:USER_SGPR: 2
; COMPUTE_PGM_RSRC2:TRAP_HANDLER: 0
; COMPUTE_PGM_RSRC2:TGID_X_EN: 1
; COMPUTE_PGM_RSRC2:TGID_Y_EN: 0
; COMPUTE_PGM_RSRC2:TGID_Z_EN: 1
; COMPUTE_PGM_RSRC2:TIDIG_COMP_CNT: 1
; COMPUTE_PGM_RSRC3_GFX90A:ACCUM_OFFSET: 11
; COMPUTE_PGM_RSRC3_GFX90A:TG_SPLIT: 0
	.section	.text._ZL20rocblas_gemvn_kernelILi32ELi16El16rocblas_bfloat16PKffEviiT3_lPKT2_lT1_lS6_lS7_lS3_lPT4_lS7_li,"axG",@progbits,_ZL20rocblas_gemvn_kernelILi32ELi16El16rocblas_bfloat16PKffEviiT3_lPKT2_lT1_lS6_lS7_lS3_lPT4_lS7_li,comdat
	.globl	_ZL20rocblas_gemvn_kernelILi32ELi16El16rocblas_bfloat16PKffEviiT3_lPKT2_lT1_lS6_lS7_lS3_lPT4_lS7_li ; -- Begin function _ZL20rocblas_gemvn_kernelILi32ELi16El16rocblas_bfloat16PKffEviiT3_lPKT2_lT1_lS6_lS7_lS3_lPT4_lS7_li
	.p2align	8
	.type	_ZL20rocblas_gemvn_kernelILi32ELi16El16rocblas_bfloat16PKffEviiT3_lPKT2_lT1_lS6_lS7_lS3_lPT4_lS7_li,@function
_ZL20rocblas_gemvn_kernelILi32ELi16El16rocblas_bfloat16PKffEviiT3_lPKT2_lT1_lS6_lS7_lS3_lPT4_lS7_li: ; @_ZL20rocblas_gemvn_kernelILi32ELi16El16rocblas_bfloat16PKffEviiT3_lPKT2_lT1_lS6_lS7_lS3_lPT4_lS7_li
; %bb.0:
	s_load_dwordx2 s[4:5], s[0:1], 0x9c
	s_waitcnt lgkmcnt(0)
	s_lshr_b32 s6, s4, 16
	s_and_b32 s4, s4, 0xffff
	s_and_b32 s5, s5, 0xffff
	s_mul_i32 s4, s6, s4
	s_mul_i32 s4, s4, s5
	s_cmpk_lg_i32 s4, 0x200
	s_cbranch_scc1 .LBB635_50
; %bb.1:
	s_load_dwordx16 s[36:51], s[0:1], 0x8
	s_load_dwordx16 s[8:23], s[0:1], 0x48
	s_waitcnt lgkmcnt(0)
	s_mul_i32 s5, s3, s39
	s_mul_hi_u32 s6, s3, s38
	s_mul_i32 s4, s3, s38
	s_add_i32 s5, s6, s5
	s_lshl_b64 s[4:5], s[4:5], 2
	s_add_u32 s4, s36, s4
	s_addc_u32 s5, s37, s5
	s_mul_i32 s7, s3, s15
	s_load_dword s52, s[4:5], 0x0
	s_mul_hi_u32 s4, s3, s14
	s_add_i32 s5, s4, s7
	s_mul_i32 s4, s3, s14
	s_lshl_b64 s[4:5], s[4:5], 2
	s_add_u32 s4, s12, s4
	s_addc_u32 s5, s13, s5
	s_load_dword s33, s[4:5], 0x0
	s_waitcnt lgkmcnt(0)
	v_cmp_eq_f32_e64 s[4:5], s52, 0
	v_cmp_eq_f32_e64 s[6:7], s33, 1.0
	s_and_b64 s[4:5], s[4:5], s[6:7]
	s_and_b64 vcc, exec, s[4:5]
	s_cbranch_vccnz .LBB635_50
; %bb.2:
	s_load_dwordx2 s[14:15], s[0:1], 0x0
	s_mul_i32 s0, s3, s23
	s_mul_hi_u32 s1, s3, s22
	s_add_i32 s1, s1, s0
	s_mul_i32 s0, s3, s22
	s_lshl_b64 s[0:1], s[0:1], 2
	s_add_u32 s4, s16, s0
	s_addc_u32 s5, s17, s1
	s_lshl_b64 s[0:1], s[18:19], 2
	s_add_u32 s12, s4, s0
	s_addc_u32 s13, s5, s1
	v_and_b32_e32 v33, 0x3ff, v0
	v_bfe_u32 v34, v0, 10, 10
	v_cmp_neq_f32_e64 s[0:1], s52, 0
	v_lshl_add_u32 v32, v34, 5, v33
	s_and_b64 vcc, exec, s[0:1]
	s_cbranch_vccnz .LBB635_9
; %bb.3:
	s_movk_i32 s0, 0x80
	v_cmp_gt_u32_e32 vcc, s0, v32
	s_mov_b64 s[0:1], 0
	s_mov_b64 s[16:17], 0
                                        ; implicit-def: $vgpr1
                                        ; implicit-def: $vgpr2_vgpr3
	s_and_saveexec_b64 s[4:5], vcc
	s_cbranch_execz .LBB635_10
; %bb.4:
	v_lshl_or_b32 v0, s2, 7, v32
	v_mov_b32_e32 v1, 0
	s_waitcnt lgkmcnt(0)
	s_ashr_i32 s7, s14, 31
	s_mov_b32 s6, s14
	v_cmp_gt_i64_e32 vcc, s[6:7], v[0:1]
                                        ; implicit-def: $vgpr2_vgpr3
	s_and_saveexec_b64 s[6:7], vcc
	s_cbranch_execz .LBB635_8
; %bb.5:
	v_mad_u64_u32 v[2:3], s[18:19], v0, s20, 0
	v_mov_b32_e32 v4, v3
	v_cmp_eq_f32_e64 s[16:17], s33, 0
	v_mad_u64_u32 v[4:5], s[18:19], v0, s21, v[4:5]
	v_mov_b32_e32 v3, v4
	s_and_b64 vcc, exec, s[16:17]
	s_cbranch_vccnz .LBB635_7
; %bb.6:
	v_lshl_add_u64 v[0:1], v[2:3], 2, s[12:13]
	global_load_dword v0, v[0:1], off
	s_waitcnt vmcnt(0)
	v_mul_f32_e32 v1, s33, v0
.LBB635_7:
	s_mov_b64 s[16:17], exec
.LBB635_8:
	s_or_b64 exec, exec, s[6:7]
	s_and_b64 s[16:17], s[16:17], exec
	s_or_b64 exec, exec, s[4:5]
	s_and_b64 vcc, exec, s[0:1]
	s_cbranch_vccnz .LBB635_11
	s_branch .LBB635_48
.LBB635_9:
	s_mov_b64 s[16:17], 0
                                        ; implicit-def: $vgpr1
                                        ; implicit-def: $vgpr2_vgpr3
	s_cbranch_execnz .LBB635_11
	s_branch .LBB635_48
.LBB635_10:
	s_or_b64 exec, exec, s[4:5]
	s_and_b64 vcc, exec, s[0:1]
	s_cbranch_vccz .LBB635_48
.LBB635_11:
	s_mul_i32 s0, s3, s47
	s_mul_hi_u32 s1, s3, s46
	s_add_i32 s19, s1, s0
	s_mul_i32 s0, s3, s11
	s_mul_hi_u32 s1, s3, s10
	s_add_i32 s11, s1, s0
	s_waitcnt lgkmcnt(0)
	s_ashr_i32 s0, s15, 31
	s_lshr_b32 s0, s0, 26
	s_add_i32 s47, s15, s0
	s_mul_i32 s18, s3, s46
	s_lshl_b32 s46, s2, 7
	s_andn2_b32 s47, s47, 63
	v_lshlrev_b32_e32 v39, 2, v34
	s_mul_i32 s10, s3, s10
	v_add_u32_e32 v0, s46, v33
	v_cmp_gt_i32_e32 vcc, s47, v39
	v_mov_b32_e32 v35, 0
	v_mov_b32_e32 v36, 0
	;; [unrolled: 1-line block ×4, first 2 shown]
	s_and_saveexec_b64 s[22:23], vcc
	s_cbranch_execz .LBB635_23
; %bb.12:
	v_add_u32_e32 v2, 32, v0
	v_cmp_gt_i32_e64 s[0:1], s14, v2
	v_add_u32_e32 v2, 64, v0
	v_cmp_gt_i32_e64 s[2:3], s14, v2
	;; [unrolled: 2-line block ×3, first 2 shown]
	v_mad_u64_u32 v[2:3], s[6:7], s8, v34, 0
	v_mov_b32_e32 v4, v3
	v_ashrrev_i32_e32 v1, 31, v0
	v_mad_u64_u32 v[4:5], s[6:7], s9, v34, v[4:5]
	v_mov_b32_e32 v3, v4
	v_lshlrev_b64 v[4:5], 1, v[0:1]
	v_lshlrev_b32_e32 v1, 2, v34
	v_or_b32_e32 v11, 3, v1
	v_mad_u64_u32 v[6:7], s[28:29], s44, v11, 0
	v_mov_b32_e32 v8, v7
	v_mad_u64_u32 v[8:9], s[28:29], s45, v11, v[8:9]
	v_mov_b32_e32 v7, v8
	;; [unrolled: 2-line block ×5, first 2 shown]
	v_mad_u64_u32 v[12:13], s[34:35], s45, v34, v[12:13]
	v_or_b32_e32 v17, 2, v1
	v_mov_b32_e32 v11, v12
	v_mad_u64_u32 v[12:13], s[34:35], s44, v17, 0
	v_mov_b32_e32 v14, v13
	v_mad_u64_u32 v[14:15], s[34:35], s45, v17, v[14:15]
	;; [unrolled: 2-line block ×4, first 2 shown]
	v_mov_b32_e32 v15, v16
	v_mov_b64_e32 v[16:17], s[8:9]
	v_mad_u64_u32 v[16:17], s[34:35], s8, v1, v[16:17]
	s_lshl_b64 s[24:25], s[50:51], 1
	s_lshl_b64 s[6:7], s[10:11], 1
	v_mov_b32_e32 v18, v17
	s_add_u32 s6, s48, s6
	v_mad_u64_u32 v[18:19], s[34:35], s9, v1, v[18:19]
	s_addc_u32 s7, s49, s7
	s_lshl_b64 s[26:27], s[8:9], 7
	s_lshl_b64 s[28:29], s[18:19], 1
	;; [unrolled: 1-line block ×3, first 2 shown]
	v_mov_b32_e32 v17, v18
	v_mov_b64_e32 v[18:19], s[44:45]
	v_lshl_add_u64 v[2:3], v[2:3], 3, s[6:7]
	s_add_u32 s30, s40, s30
	v_lshl_add_u64 v[8:9], v[8:9], 1, s[6:7]
	v_lshl_add_u64 v[14:15], v[14:15], 1, s[6:7]
	;; [unrolled: 1-line block ×3, first 2 shown]
	v_mad_u64_u32 v[18:19], s[6:7], s44, v1, v[18:19]
	s_addc_u32 s31, s41, s31
	v_mov_b32_e32 v20, v19
	s_add_u32 s30, s30, s28
	v_mad_u64_u32 v[20:21], s[6:7], s45, v1, v[20:21]
	s_addc_u32 s31, s31, s29
	v_mov_b32_e32 v19, v20
	v_cmp_gt_i32_e32 vcc, s14, v0
	v_lshl_add_u64 v[6:7], v[6:7], 1, s[30:31]
	s_lshl_b64 s[28:29], s[44:45], 7
	v_lshl_add_u64 v[10:11], v[10:11], 3, s[30:31]
	v_lshl_add_u64 v[12:13], v[12:13], 1, s[30:31]
	;; [unrolled: 1-line block ×3, first 2 shown]
	s_mov_b64 s[30:31], 0
	v_mov_b32_e32 v35, 0
	v_mov_b32_e32 v36, 0
	v_mov_b32_e32 v37, 0
	v_mov_b32_e32 v38, 0
	s_branch .LBB635_17
.LBB635_13:                             ;   in Loop: Header=BB635_17 Depth=1
	s_or_b64 exec, exec, s[38:39]
	s_waitcnt vmcnt(3)
	v_lshlrev_b32_e32 v24, 16, v50
	v_fmac_f32_e32 v37, v22, v24
	s_waitcnt vmcnt(2)
	v_lshlrev_b32_e32 v24, 16, v49
	v_fmac_f32_e32 v37, v23, v24
	;; [unrolled: 3-line block ×4, first 2 shown]
.LBB635_14:                             ;   in Loop: Header=BB635_17 Depth=1
	s_or_b64 exec, exec, s[36:37]
	s_waitcnt vmcnt(3)
	v_lshlrev_b32_e32 v24, 16, v46
	v_fmac_f32_e32 v36, v22, v24
	s_waitcnt vmcnt(2)
	v_lshlrev_b32_e32 v24, 16, v45
	v_fmac_f32_e32 v36, v23, v24
	;; [unrolled: 3-line block ×4, first 2 shown]
.LBB635_15:                             ;   in Loop: Header=BB635_17 Depth=1
	s_or_b64 exec, exec, s[34:35]
	s_waitcnt vmcnt(3)
	v_lshlrev_b32_e32 v24, 16, v42
	v_fmac_f32_e32 v35, v22, v24
	s_waitcnt vmcnt(2)
	v_lshlrev_b32_e32 v22, 16, v41
	v_fmac_f32_e32 v35, v23, v22
	;; [unrolled: 3-line block ×4, first 2 shown]
.LBB635_16:                             ;   in Loop: Header=BB635_17 Depth=1
	s_or_b64 exec, exec, s[6:7]
	v_add_u32_e32 v39, 64, v39
	v_cmp_le_i32_e64 s[6:7], s47, v39
	v_lshl_add_u64 v[2:3], v[2:3], 0, s[26:27]
	v_lshl_add_u64 v[6:7], v[6:7], 0, s[28:29]
	;; [unrolled: 1-line block ×7, first 2 shown]
	s_or_b64 s[30:31], s[6:7], s[30:31]
	v_lshl_add_u64 v[18:19], v[18:19], 0, s[28:29]
	s_andn2_b64 exec, exec, s[30:31]
	s_cbranch_execz .LBB635_22
.LBB635_17:                             ; =>This Inner Loop Header: Depth=1
	s_and_saveexec_b64 s[6:7], vcc
	s_cbranch_execz .LBB635_16
; %bb.18:                               ;   in Loop: Header=BB635_17 Depth=1
	v_lshl_add_u64 v[20:21], v[2:3], 0, s[24:25]
	v_lshl_add_u64 v[22:23], v[16:17], 0, s[24:25]
	global_load_ushort v43, v[20:21], off
	global_load_ushort v44, v[22:23], off
	v_lshl_add_u64 v[20:21], v[14:15], 0, s[24:25]
	v_lshl_add_u64 v[22:23], v[8:9], 0, s[24:25]
	global_load_ushort v45, v[20:21], off
	global_load_ushort v46, v[22:23], off
	v_lshl_add_u64 v[28:29], v[10:11], 0, v[4:5]
	v_lshl_add_u64 v[30:31], v[18:19], 0, v[4:5]
	;; [unrolled: 1-line block ×4, first 2 shown]
	global_load_ushort v42, v[28:29], off
	global_load_ushort v41, v[30:31], off
	;; [unrolled: 1-line block ×4, first 2 shown]
	s_waitcnt vmcnt(7)
	v_lshlrev_b32_e32 v22, 16, v43
	s_waitcnt vmcnt(6)
	v_lshlrev_b32_e32 v23, 16, v44
	;; [unrolled: 2-line block ×4, first 2 shown]
	s_and_saveexec_b64 s[34:35], s[0:1]
	s_cbranch_execz .LBB635_15
; %bb.19:                               ;   in Loop: Header=BB635_17 Depth=1
	global_load_ushort v46, v[28:29], off offset:64
	global_load_ushort v45, v[30:31], off offset:64
	;; [unrolled: 1-line block ×4, first 2 shown]
	s_and_saveexec_b64 s[36:37], s[2:3]
	s_cbranch_execz .LBB635_14
; %bb.20:                               ;   in Loop: Header=BB635_17 Depth=1
	global_load_ushort v50, v[28:29], off offset:128
	global_load_ushort v49, v[30:31], off offset:128
	;; [unrolled: 1-line block ×4, first 2 shown]
	s_and_saveexec_b64 s[38:39], s[4:5]
	s_cbranch_execz .LBB635_13
; %bb.21:                               ;   in Loop: Header=BB635_17 Depth=1
	global_load_ushort v30, v[30:31], off offset:192
	s_nop 0
	global_load_ushort v28, v[28:29], off offset:192
	s_nop 0
	;; [unrolled: 2-line block ×3, first 2 shown]
	global_load_ushort v29, v[24:25], off offset:192
	s_waitcnt vmcnt(3)
	v_lshlrev_b32_e32 v25, 16, v30
	s_waitcnt vmcnt(2)
	v_lshlrev_b32_e32 v24, 16, v28
	v_pk_mul_f32 v[24:25], v[22:23], v[24:25]
	s_waitcnt vmcnt(1)
	v_lshlrev_b32_e32 v27, 16, v26
	s_waitcnt vmcnt(0)
	v_lshlrev_b32_e32 v26, 16, v29
	v_add_f32_e32 v24, v38, v24
	v_add_f32_e32 v28, v24, v25
	v_pk_mul_f32 v[24:25], v[20:21], v[26:27]
	s_nop 0
	v_add_f32_e32 v24, v28, v24
	v_add_f32_e32 v38, v24, v25
	s_branch .LBB635_13
.LBB635_22:
	s_or_b64 exec, exec, s[30:31]
.LBB635_23:
	s_or_b64 exec, exec, s[22:23]
	s_sub_i32 s0, s15, s47
	s_cmp_lt_i32 s0, 1
	s_cbranch_scc1 .LBB635_41
; %bb.24:
	v_cmp_gt_i32_e32 vcc, s15, v39
	v_mov_b32_e32 v10, 0
	v_or_b32_e32 v4, 1, v39
	v_mov_b32_e32 v11, 0
	v_mov_b32_e32 v12, 0
	;; [unrolled: 1-line block ×3, first 2 shown]
	s_and_saveexec_b64 s[2:3], vcc
	s_cbranch_execz .LBB635_32
; %bb.25:
	s_lshl_b64 s[0:1], s[10:11], 1
	s_add_u32 s4, s48, s0
	s_addc_u32 s5, s49, s1
	s_lshl_b64 s[0:1], s[50:51], 1
	s_add_u32 s6, s4, s0
	s_addc_u32 s7, s5, s1
	v_mad_u64_u32 v[2:3], s[0:1], v39, s8, 0
	v_mov_b32_e32 v6, v3
	v_mad_u64_u32 v[6:7], s[0:1], v39, s9, v[6:7]
	v_mov_b32_e32 v3, v6
	v_lshl_add_u64 v[2:3], v[2:3], 1, s[6:7]
	global_load_ushort v1, v[2:3], off
	v_cmp_gt_i32_e64 s[0:1], s15, v4
	v_mov_b32_e32 v12, 0
	v_mov_b32_e32 v11, 0
	;; [unrolled: 1-line block ×3, first 2 shown]
	s_and_saveexec_b64 s[4:5], s[0:1]
	s_cbranch_execz .LBB635_31
; %bb.26:
	v_mad_u64_u32 v[2:3], s[0:1], v4, s8, 0
	v_mov_b32_e32 v6, v3
	v_mad_u64_u32 v[6:7], s[0:1], v4, s9, v[6:7]
	v_mov_b32_e32 v3, v6
	v_lshl_add_u64 v[2:3], v[2:3], 1, s[6:7]
	global_load_ushort v2, v[2:3], off
	v_or_b32_e32 v3, 2, v39
	v_cmp_gt_i32_e64 s[0:1], s15, v3
	v_mov_b32_e32 v11, 0
	v_mov_b32_e32 v10, 0
	s_and_saveexec_b64 s[10:11], s[0:1]
	s_cbranch_execz .LBB635_30
; %bb.27:
	v_mad_u64_u32 v[6:7], s[0:1], v3, s8, 0
	v_mov_b32_e32 v8, v7
	v_mad_u64_u32 v[8:9], s[0:1], v3, s9, v[8:9]
	v_mov_b32_e32 v7, v8
	v_lshl_add_u64 v[6:7], v[6:7], 1, s[6:7]
	global_load_ushort v3, v[6:7], off
	v_or_b32_e32 v5, 3, v39
	v_cmp_gt_i32_e64 s[0:1], s15, v5
	v_mov_b32_e32 v10, 0
	s_and_saveexec_b64 s[22:23], s[0:1]
	s_cbranch_execz .LBB635_29
; %bb.28:
	v_mad_u64_u32 v[6:7], s[0:1], v5, s8, 0
	v_mov_b32_e32 v8, v7
	v_mad_u64_u32 v[8:9], s[0:1], v5, s9, v[8:9]
	v_mov_b32_e32 v7, v8
	v_lshl_add_u64 v[6:7], v[6:7], 1, s[6:7]
	global_load_ushort v5, v[6:7], off
	s_waitcnt vmcnt(0)
	v_lshlrev_b32_e32 v10, 16, v5
.LBB635_29:
	s_or_b64 exec, exec, s[22:23]
	s_waitcnt vmcnt(0)
	v_lshlrev_b32_e32 v11, 16, v3
.LBB635_30:
	s_or_b64 exec, exec, s[10:11]
	s_waitcnt vmcnt(0)
	v_lshlrev_b32_e32 v12, 16, v2
.LBB635_31:
	s_or_b64 exec, exec, s[4:5]
	s_waitcnt vmcnt(0)
	v_lshlrev_b32_e32 v13, 16, v1
.LBB635_32:
	s_or_b64 exec, exec, s[2:3]
	v_cmp_gt_i32_e64 s[0:1], s14, v0
	s_and_saveexec_b64 s[2:3], s[0:1]
	s_cbranch_execz .LBB635_40
; %bb.33:
	s_lshl_b64 s[0:1], s[18:19], 1
	s_add_u32 s4, s40, s0
	s_addc_u32 s5, s41, s1
	s_lshl_b64 s[0:1], s[42:43], 1
	s_add_u32 s0, s4, s0
	s_addc_u32 s1, s5, s1
	v_mad_u64_u32 v[2:3], s[4:5], v39, s44, 0
	v_mov_b32_e32 v6, v3
	v_mad_u64_u32 v[6:7], s[4:5], v39, s45, v[6:7]
	v_ashrrev_i32_e32 v1, 31, v0
	v_cndmask_b32_e32 v3, 0, v6, vcc
	v_mad_u64_u32 v[6:7], s[4:5], v4, s44, 0
	v_cndmask_b32_e32 v2, 0, v2, vcc
	v_lshlrev_b64 v[8:9], 1, v[0:1]
	v_mov_b32_e32 v14, v7
	v_cmp_gt_i32_e32 vcc, s15, v4
	v_or_b32_e32 v1, 2, v39
	v_mad_u64_u32 v[14:15], s[4:5], v4, s45, v[14:15]
	v_cndmask_b32_e32 v4, 0, v6, vcc
	v_mad_u64_u32 v[6:7], s[4:5], v1, s44, 0
	v_cndmask_b32_e32 v5, 0, v14, vcc
	v_mov_b32_e32 v14, v7
	v_mad_u64_u32 v[14:15], s[4:5], v1, s45, v[14:15]
	v_cmp_gt_i32_e32 vcc, s15, v1
	v_or_b32_e32 v1, 3, v39
	v_lshl_add_u64 v[2:3], v[2:3], 1, s[0:1]
	v_cndmask_b32_e32 v7, 0, v14, vcc
	v_mad_u64_u32 v[14:15], s[4:5], v1, s44, 0
	v_mov_b32_e32 v16, v15
	v_cndmask_b32_e32 v6, 0, v6, vcc
	v_mad_u64_u32 v[16:17], s[4:5], v1, s45, v[16:17]
	v_cmp_gt_i32_e32 vcc, s15, v1
	v_lshl_add_u64 v[2:3], v[2:3], 0, v[8:9]
	v_lshl_add_u64 v[4:5], v[4:5], 1, s[0:1]
	v_cndmask_b32_e32 v14, 0, v14, vcc
	v_cndmask_b32_e32 v15, 0, v16, vcc
	v_lshl_add_u64 v[6:7], v[6:7], 1, s[0:1]
	v_lshl_add_u64 v[14:15], v[14:15], 1, s[0:1]
	;; [unrolled: 1-line block ×5, first 2 shown]
	global_load_ushort v1, v[2:3], off
	global_load_ushort v14, v[4:5], off
	;; [unrolled: 1-line block ×4, first 2 shown]
	v_add_u32_e32 v17, 32, v0
	v_cmp_gt_i32_e32 vcc, s14, v17
	s_waitcnt vmcnt(3)
	v_lshlrev_b32_e32 v18, 16, v1
	s_waitcnt vmcnt(2)
	v_lshlrev_b32_e32 v14, 16, v14
	v_fmac_f32_e32 v35, v13, v18
	s_waitcnt vmcnt(1)
	v_lshlrev_b32_e32 v15, 16, v15
	v_fmac_f32_e32 v35, v12, v14
	s_waitcnt vmcnt(0)
	v_lshlrev_b32_e32 v1, 16, v16
	v_fmac_f32_e32 v35, v11, v15
	s_and_saveexec_b64 s[0:1], vcc
	s_cbranch_execz .LBB635_39
; %bb.34:
	global_load_ushort v14, v[2:3], off offset:64
	global_load_ushort v15, v[4:5], off offset:64
	global_load_ushort v16, v[6:7], off offset:64
	global_load_ushort v17, v[8:9], off offset:64
	v_add_u32_e32 v18, 64, v0
	v_cmp_gt_i32_e32 vcc, s14, v18
	s_waitcnt vmcnt(3)
	v_lshlrev_b32_e32 v19, 16, v14
	s_waitcnt vmcnt(2)
	v_lshlrev_b32_e32 v15, 16, v15
	v_fmac_f32_e32 v36, v13, v19
	s_waitcnt vmcnt(1)
	v_lshlrev_b32_e32 v16, 16, v16
	v_fmac_f32_e32 v36, v12, v15
	s_waitcnt vmcnt(0)
	v_lshlrev_b32_e32 v14, 16, v17
	v_fmac_f32_e32 v36, v11, v16
	s_and_saveexec_b64 s[4:5], vcc
	s_cbranch_execz .LBB635_38
; %bb.35:
	global_load_ushort v15, v[2:3], off offset:128
	global_load_ushort v16, v[4:5], off offset:128
	global_load_ushort v17, v[6:7], off offset:128
	global_load_ushort v18, v[8:9], off offset:128
	;; [unrolled: 20-line block ×3, first 2 shown]
	s_waitcnt vmcnt(3)
	v_lshlrev_b32_e32 v2, 16, v15
	s_waitcnt vmcnt(2)
	v_lshlrev_b32_e32 v3, 16, v16
	v_fmac_f32_e32 v38, v13, v2
	s_waitcnt vmcnt(1)
	v_lshlrev_b32_e32 v4, 16, v17
	v_fmac_f32_e32 v38, v12, v3
	v_fmac_f32_e32 v38, v11, v4
	s_waitcnt vmcnt(0)
	v_lshlrev_b32_e32 v2, 16, v18
	v_fmac_f32_e32 v38, v10, v2
.LBB635_37:
	s_or_b64 exec, exec, s[6:7]
	v_fmac_f32_e32 v37, v10, v0
.LBB635_38:
	s_or_b64 exec, exec, s[4:5]
	v_fmac_f32_e32 v36, v10, v14
.LBB635_39:
	s_or_b64 exec, exec, s[0:1]
	v_fmac_f32_e32 v35, v10, v1
.LBB635_40:
	s_or_b64 exec, exec, s[2:3]
.LBB635_41:
	v_lshlrev_b32_e32 v0, 7, v34
	s_movk_i32 s0, 0x80
	v_add_lshl_u32 v0, v0, v33, 2
	v_cmp_gt_u32_e32 vcc, s0, v32
	ds_write2_b32 v0, v35, v36 offset1:32
	ds_write2_b32 v0, v37, v38 offset0:64 offset1:96
	s_waitcnt lgkmcnt(0)
	s_barrier
	s_waitcnt lgkmcnt(0)
                                        ; implicit-def: $vgpr1
                                        ; implicit-def: $vgpr2_vgpr3
	s_and_saveexec_b64 s[0:1], vcc
	s_cbranch_execz .LBB635_47
; %bb.42:
	v_lshlrev_b32_e32 v10, 2, v32
	ds_read2st64_b32 v[0:1], v10 offset1:2
	ds_read2st64_b32 v[2:3], v10 offset0:4 offset1:6
	ds_read2st64_b32 v[4:5], v10 offset0:8 offset1:10
	;; [unrolled: 1-line block ×4, first 2 shown]
	s_waitcnt lgkmcnt(4)
	v_add_f32_e32 v0, v0, v1
	s_waitcnt lgkmcnt(3)
	v_add_f32_e32 v0, v2, v0
	v_add_f32_e32 v0, v3, v0
	s_waitcnt lgkmcnt(2)
	v_add_f32_e32 v0, v4, v0
	;; [unrolled: 3-line block ×3, first 2 shown]
	v_add_f32_e32 v2, v7, v0
	ds_read2st64_b32 v[0:1], v10 offset0:20 offset1:22
	s_waitcnt lgkmcnt(1)
	v_add_f32_e32 v4, v8, v2
	ds_read2st64_b32 v[2:3], v10 offset0:24 offset1:26
	v_add_f32_e32 v6, v9, v4
	ds_read2st64_b32 v[4:5], v10 offset0:28 offset1:30
	s_waitcnt lgkmcnt(2)
	v_add_f32_e32 v0, v0, v6
	v_add_f32_e32 v0, v1, v0
	s_waitcnt lgkmcnt(1)
	v_add_f32_e32 v0, v2, v0
	v_add_f32_e32 v0, v3, v0
	;; [unrolled: 3-line block ×3, first 2 shown]
	v_or_b32_e32 v0, s46, v32
	v_cmp_gt_i32_e32 vcc, s14, v0
	s_mov_b64 s[4:5], s[16:17]
	ds_write_b32 v10, v4
                                        ; implicit-def: $vgpr1
                                        ; implicit-def: $vgpr2_vgpr3
	s_and_saveexec_b64 s[2:3], vcc
	s_cbranch_execz .LBB635_46
; %bb.43:
	v_ashrrev_i32_e32 v2, 31, v0
	v_cmp_eq_f32_e64 s[4:5], s33, 0
	v_mul_f32_e32 v1, s52, v4
	v_mul_lo_u32 v4, v0, s21
	v_mul_lo_u32 v5, v2, s20
	v_mad_u64_u32 v[2:3], s[6:7], v0, s20, 0
	v_add3_u32 v3, v3, v4, v5
	s_and_b64 vcc, exec, s[4:5]
	s_cbranch_vccnz .LBB635_45
; %bb.44:
	v_lshl_add_u64 v[4:5], v[2:3], 2, s[12:13]
	global_load_dword v0, v[4:5], off
	s_waitcnt vmcnt(0)
	v_fmac_f32_e32 v1, s33, v0
.LBB635_45:
	s_or_b64 s[4:5], s[16:17], exec
.LBB635_46:
	s_or_b64 exec, exec, s[2:3]
	s_andn2_b64 s[2:3], s[16:17], exec
	s_and_b64 s[4:5], s[4:5], exec
	s_or_b64 s[16:17], s[2:3], s[4:5]
.LBB635_47:
	s_or_b64 exec, exec, s[0:1]
.LBB635_48:
	s_and_saveexec_b64 s[0:1], s[16:17]
	s_cbranch_execz .LBB635_50
; %bb.49:
	v_lshl_add_u64 v[2:3], v[2:3], 2, s[12:13]
	global_store_dword v[2:3], v1, off
.LBB635_50:
	s_endpgm
	.section	.rodata,"a",@progbits
	.p2align	6, 0x0
	.amdhsa_kernel _ZL20rocblas_gemvn_kernelILi32ELi16El16rocblas_bfloat16PKffEviiT3_lPKT2_lT1_lS6_lS7_lS3_lPT4_lS7_li
		.amdhsa_group_segment_fixed_size 8192
		.amdhsa_private_segment_fixed_size 0
		.amdhsa_kernarg_size 400
		.amdhsa_user_sgpr_count 2
		.amdhsa_user_sgpr_dispatch_ptr 0
		.amdhsa_user_sgpr_queue_ptr 0
		.amdhsa_user_sgpr_kernarg_segment_ptr 1
		.amdhsa_user_sgpr_dispatch_id 0
		.amdhsa_user_sgpr_kernarg_preload_length 0
		.amdhsa_user_sgpr_kernarg_preload_offset 0
		.amdhsa_user_sgpr_private_segment_size 0
		.amdhsa_uses_dynamic_stack 0
		.amdhsa_enable_private_segment 0
		.amdhsa_system_sgpr_workgroup_id_x 1
		.amdhsa_system_sgpr_workgroup_id_y 0
		.amdhsa_system_sgpr_workgroup_id_z 1
		.amdhsa_system_sgpr_workgroup_info 0
		.amdhsa_system_vgpr_workitem_id 1
		.amdhsa_next_free_vgpr 51
		.amdhsa_next_free_sgpr 53
		.amdhsa_accum_offset 52
		.amdhsa_reserve_vcc 1
		.amdhsa_float_round_mode_32 0
		.amdhsa_float_round_mode_16_64 0
		.amdhsa_float_denorm_mode_32 3
		.amdhsa_float_denorm_mode_16_64 3
		.amdhsa_dx10_clamp 1
		.amdhsa_ieee_mode 1
		.amdhsa_fp16_overflow 0
		.amdhsa_tg_split 0
		.amdhsa_exception_fp_ieee_invalid_op 0
		.amdhsa_exception_fp_denorm_src 0
		.amdhsa_exception_fp_ieee_div_zero 0
		.amdhsa_exception_fp_ieee_overflow 0
		.amdhsa_exception_fp_ieee_underflow 0
		.amdhsa_exception_fp_ieee_inexact 0
		.amdhsa_exception_int_div_zero 0
	.end_amdhsa_kernel
	.section	.text._ZL20rocblas_gemvn_kernelILi32ELi16El16rocblas_bfloat16PKffEviiT3_lPKT2_lT1_lS6_lS7_lS3_lPT4_lS7_li,"axG",@progbits,_ZL20rocblas_gemvn_kernelILi32ELi16El16rocblas_bfloat16PKffEviiT3_lPKT2_lT1_lS6_lS7_lS3_lPT4_lS7_li,comdat
.Lfunc_end635:
	.size	_ZL20rocblas_gemvn_kernelILi32ELi16El16rocblas_bfloat16PKffEviiT3_lPKT2_lT1_lS6_lS7_lS3_lPT4_lS7_li, .Lfunc_end635-_ZL20rocblas_gemvn_kernelILi32ELi16El16rocblas_bfloat16PKffEviiT3_lPKT2_lT1_lS6_lS7_lS3_lPT4_lS7_li
                                        ; -- End function
	.section	.AMDGPU.csdata,"",@progbits
; Kernel info:
; codeLenInByte = 2928
; NumSgprs: 59
; NumVgprs: 51
; NumAgprs: 0
; TotalNumVgprs: 51
; ScratchSize: 0
; MemoryBound: 0
; FloatMode: 240
; IeeeMode: 1
; LDSByteSize: 8192 bytes/workgroup (compile time only)
; SGPRBlocks: 7
; VGPRBlocks: 6
; NumSGPRsForWavesPerEU: 59
; NumVGPRsForWavesPerEU: 51
; AccumOffset: 52
; Occupancy: 8
; WaveLimiterHint : 0
; COMPUTE_PGM_RSRC2:SCRATCH_EN: 0
; COMPUTE_PGM_RSRC2:USER_SGPR: 2
; COMPUTE_PGM_RSRC2:TRAP_HANDLER: 0
; COMPUTE_PGM_RSRC2:TGID_X_EN: 1
; COMPUTE_PGM_RSRC2:TGID_Y_EN: 0
; COMPUTE_PGM_RSRC2:TGID_Z_EN: 1
; COMPUTE_PGM_RSRC2:TIDIG_COMP_CNT: 1
; COMPUTE_PGM_RSRC3_GFX90A:ACCUM_OFFSET: 12
; COMPUTE_PGM_RSRC3_GFX90A:TG_SPLIT: 0
	.section	.text._ZL20rocblas_gemvn_kernelILi32ELi16Ei16rocblas_bfloat16ffEviiT3_lPKT2_lT1_lS4_lS5_lS1_lPT4_lS5_li,"axG",@progbits,_ZL20rocblas_gemvn_kernelILi32ELi16Ei16rocblas_bfloat16ffEviiT3_lPKT2_lT1_lS4_lS5_lS1_lPT4_lS5_li,comdat
	.globl	_ZL20rocblas_gemvn_kernelILi32ELi16Ei16rocblas_bfloat16ffEviiT3_lPKT2_lT1_lS4_lS5_lS1_lPT4_lS5_li ; -- Begin function _ZL20rocblas_gemvn_kernelILi32ELi16Ei16rocblas_bfloat16ffEviiT3_lPKT2_lT1_lS4_lS5_lS1_lPT4_lS5_li
	.p2align	8
	.type	_ZL20rocblas_gemvn_kernelILi32ELi16Ei16rocblas_bfloat16ffEviiT3_lPKT2_lT1_lS4_lS5_lS1_lPT4_lS5_li,@function
_ZL20rocblas_gemvn_kernelILi32ELi16Ei16rocblas_bfloat16ffEviiT3_lPKT2_lT1_lS4_lS5_lS1_lPT4_lS5_li: ; @_ZL20rocblas_gemvn_kernelILi32ELi16Ei16rocblas_bfloat16ffEviiT3_lPKT2_lT1_lS4_lS5_lS1_lPT4_lS5_li
; %bb.0:
	s_load_dwordx2 s[4:5], s[0:1], 0x9c
	s_waitcnt lgkmcnt(0)
	s_lshr_b32 s6, s4, 16
	s_and_b32 s4, s4, 0xffff
	s_and_b32 s5, s5, 0xffff
	s_mul_i32 s4, s6, s4
	s_mul_i32 s4, s4, s5
	s_cmpk_lg_i32 s4, 0x200
	s_cbranch_scc1 .LBB636_50
; %bb.1:
	s_load_dwordx4 s[8:11], s[0:1], 0x0
	s_waitcnt lgkmcnt(0)
	s_load_dword s11, s[0:1], 0x58
	v_cmp_eq_f32_e64 s[4:5], s10, 0
	s_waitcnt lgkmcnt(0)
	v_cmp_eq_f32_e64 s[6:7], s11, 1.0
	s_and_b64 s[4:5], s[4:5], s[6:7]
	s_and_b64 vcc, exec, s[4:5]
	s_cbranch_vccnz .LBB636_50
; %bb.2:
	s_load_dwordx2 s[12:13], s[0:1], 0x80
	s_load_dwordx4 s[4:7], s[0:1], 0x68
	s_load_dword s30, s[0:1], 0x78
	v_and_b32_e32 v2, 0x3ff, v0
	v_bfe_u32 v18, v0, 10, 10
	s_waitcnt lgkmcnt(0)
	s_mul_i32 s13, s3, s13
	s_mul_hi_u32 s14, s3, s12
	s_mul_i32 s12, s3, s12
	s_add_i32 s13, s14, s13
	s_lshl_b64 s[12:13], s[12:13], 2
	s_add_u32 s12, s4, s12
	s_addc_u32 s13, s5, s13
	s_lshl_b64 s[4:5], s[6:7], 2
	s_add_u32 s12, s12, s4
	s_addc_u32 s13, s13, s5
	v_cmp_neq_f32_e64 s[4:5], s10, 0
	v_lshl_add_u32 v3, v18, 5, v2
	s_and_b64 vcc, exec, s[4:5]
	s_cbranch_vccnz .LBB636_9
; %bb.3:
	s_movk_i32 s4, 0x80
	v_cmp_gt_u32_e32 vcc, s4, v3
	s_mov_b64 s[4:5], 0
	s_mov_b64 s[14:15], 0
                                        ; implicit-def: $vgpr1
                                        ; implicit-def: $vgpr4_vgpr5
	s_and_saveexec_b64 s[6:7], vcc
	s_cbranch_execz .LBB636_10
; %bb.4:
	v_lshl_or_b32 v0, s2, 7, v3
	v_mov_b32_e32 v1, 0
	s_ashr_i32 s15, s8, 31
	s_mov_b32 s14, s8
	v_cmp_gt_i64_e32 vcc, s[14:15], v[0:1]
	s_mov_b64 s[16:17], 0
                                        ; implicit-def: $vgpr4_vgpr5
	s_and_saveexec_b64 s[14:15], vcc
	s_cbranch_execz .LBB636_8
; %bb.5:
	v_mad_u64_u32 v[4:5], s[18:19], s30, v0, 0
	s_ashr_i32 s20, s30, 31
	v_mov_b32_e32 v6, v5
	v_cmp_eq_f32_e64 s[16:17], s11, 0
	v_mad_u64_u32 v[6:7], s[18:19], s20, v0, v[6:7]
	v_mov_b32_e32 v5, v6
	s_and_b64 vcc, exec, s[16:17]
	s_cbranch_vccnz .LBB636_7
; %bb.6:
	v_lshl_add_u64 v[0:1], v[4:5], 2, s[12:13]
	global_load_dword v0, v[0:1], off
	s_waitcnt vmcnt(0)
	v_mul_f32_e32 v1, s11, v0
.LBB636_7:
	s_mov_b64 s[16:17], exec
.LBB636_8:
	s_or_b64 exec, exec, s[14:15]
	s_and_b64 s[14:15], s[16:17], exec
	s_or_b64 exec, exec, s[6:7]
	s_and_b64 vcc, exec, s[4:5]
	s_cbranch_vccnz .LBB636_11
	s_branch .LBB636_48
.LBB636_9:
	s_mov_b64 s[14:15], 0
                                        ; implicit-def: $vgpr1
                                        ; implicit-def: $vgpr4_vgpr5
	s_cbranch_execnz .LBB636_11
	s_branch .LBB636_48
.LBB636_10:
	s_or_b64 exec, exec, s[6:7]
	s_and_b64 vcc, exec, s[4:5]
	s_cbranch_vccz .LBB636_48
.LBB636_11:
	s_load_dwordx4 s[4:7], s[0:1], 0x30
	s_load_dwordx4 s[16:19], s[0:1], 0x18
	s_load_dword s33, s[0:1], 0x28
	s_load_dwordx2 s[20:21], s[0:1], 0x40
	s_load_dword s34, s[0:1], 0x48
	s_load_dwordx2 s[22:23], s[0:1], 0x50
	s_waitcnt lgkmcnt(0)
	s_mul_i32 s0, s3, s5
	s_mul_hi_u32 s1, s3, s4
	s_add_i32 s1, s1, s0
	s_mul_i32 s0, s3, s4
	s_lshl_b64 s[0:1], s[0:1], 1
	s_add_u32 s4, s16, s0
	s_addc_u32 s5, s17, s1
	s_lshl_b64 s[0:1], s[18:19], 1
	s_add_u32 s16, s4, s0
	s_addc_u32 s17, s5, s1
	s_mul_i32 s0, s3, s23
	s_mul_hi_u32 s1, s3, s22
	s_add_i32 s1, s1, s0
	s_mul_i32 s0, s3, s22
	s_lshl_b64 s[0:1], s[0:1], 1
	s_add_u32 s3, s6, s0
	s_addc_u32 s4, s7, s1
	s_lshl_b64 s[0:1], s[20:21], 1
	s_add_u32 s18, s3, s0
	s_addc_u32 s19, s4, s1
	s_ashr_i32 s0, s9, 31
	s_lshr_b32 s0, s0, 26
	s_add_i32 s35, s9, s0
	s_lshl_b32 s31, s2, 7
	s_andn2_b32 s35, s35, 63
	v_lshlrev_b32_e32 v24, 2, v18
	v_add_u32_e32 v23, s31, v2
	v_cmp_gt_i32_e32 vcc, s35, v24
	v_mov_b32_e32 v19, 0
	v_mov_b32_e32 v20, 0
	;; [unrolled: 1-line block ×4, first 2 shown]
	s_and_saveexec_b64 s[20:21], vcc
	s_cbranch_execz .LBB636_23
; %bb.12:
	v_add_u32_e32 v0, 32, v23
	v_cmp_gt_i32_e64 s[0:1], s8, v0
	v_add_u32_e32 v0, 64, v23
	v_cmp_gt_i32_e64 s[2:3], s8, v0
	;; [unrolled: 2-line block ×3, first 2 shown]
	v_mul_lo_u32 v0, s33, v24
	v_add_u32_e32 v6, 2, v24
	v_add_u32_e32 v7, 3, v24
	v_add3_u32 v25, v0, s33, v2
	v_mad_u64_u32 v[0:1], s[6:7], s33, v6, v[2:3]
	v_mad_u64_u32 v[4:5], s[6:7], s33, v7, v[2:3]
	v_mul_lo_u32 v1, v18, s33
	v_mul_lo_u32 v5, s34, v24
	;; [unrolled: 1-line block ×4, first 2 shown]
	v_cmp_gt_i32_e32 vcc, s8, v23
	s_lshl_b32 s36, s33, 6
	v_lshl_add_u32 v1, v1, 2, v2
	v_add_u32_e32 v5, s34, v5
	s_lshl_b32 s37, s34, 6
	v_mul_lo_u32 v27, s34, v7
	v_lshlrev_b32_e32 v28, 2, v6
	s_mov_b32 s38, 0
	s_mov_b64 s[22:23], 0
	v_mov_b32_e32 v19, 0
	v_mov_b32_e32 v20, 0
	;; [unrolled: 1-line block ×4, first 2 shown]
	s_branch .LBB636_17
.LBB636_13:                             ;   in Loop: Header=BB636_17 Depth=1
	s_or_b64 exec, exec, s[28:29]
	s_waitcnt vmcnt(3)
	v_lshlrev_b32_e32 v10, 16, v40
	v_fmac_f32_e32 v21, v8, v10
	s_waitcnt vmcnt(2)
	v_lshlrev_b32_e32 v10, 16, v39
	v_fmac_f32_e32 v21, v9, v10
	s_waitcnt vmcnt(1)
	v_lshlrev_b32_e32 v10, 16, v38
	v_fmac_f32_e32 v21, v6, v10
	s_waitcnt vmcnt(0)
	v_lshlrev_b32_e32 v10, 16, v37
	v_fmac_f32_e32 v21, v7, v10
.LBB636_14:                             ;   in Loop: Header=BB636_17 Depth=1
	s_or_b64 exec, exec, s[26:27]
	s_waitcnt vmcnt(3)
	v_lshlrev_b32_e32 v10, 16, v36
	v_fmac_f32_e32 v20, v8, v10
	s_waitcnt vmcnt(2)
	v_lshlrev_b32_e32 v10, 16, v35
	v_fmac_f32_e32 v20, v9, v10
	;; [unrolled: 3-line block ×4, first 2 shown]
.LBB636_15:                             ;   in Loop: Header=BB636_17 Depth=1
	s_or_b64 exec, exec, s[24:25]
	s_waitcnt vmcnt(3)
	v_lshlrev_b32_e32 v10, 16, v32
	v_fmac_f32_e32 v19, v8, v10
	s_waitcnt vmcnt(2)
	v_lshlrev_b32_e32 v8, 16, v31
	v_fmac_f32_e32 v19, v9, v8
	s_waitcnt vmcnt(1)
	v_lshlrev_b32_e32 v8, 16, v30
	v_fmac_f32_e32 v19, v6, v8
	s_waitcnt vmcnt(0)
	v_lshlrev_b32_e32 v6, 16, v29
	v_fmac_f32_e32 v19, v7, v6
.LBB636_16:                             ;   in Loop: Header=BB636_17 Depth=1
	s_or_b64 exec, exec, s[6:7]
	v_add_u32_e32 v24, 64, v24
	s_add_i32 s38, s38, s37
	v_cmp_le_i32_e64 s[6:7], s35, v24
	v_add_u32_e32 v25, s36, v25
	v_add_u32_e32 v0, s36, v0
	;; [unrolled: 1-line block ×3, first 2 shown]
	s_or_b64 s[22:23], s[6:7], s[22:23]
	v_add_u32_e32 v1, s36, v1
	s_andn2_b64 exec, exec, s[22:23]
	s_cbranch_execz .LBB636_22
.LBB636_17:                             ; =>This Inner Loop Header: Depth=1
	s_and_saveexec_b64 s[6:7], vcc
	s_cbranch_execz .LBB636_16
; %bb.18:                               ;   in Loop: Header=BB636_17 Depth=1
	v_add_u32_e32 v6, s38, v28
	v_ashrrev_i32_e32 v7, 31, v6
	v_add_u32_e32 v8, s38, v5
	v_add_u32_e32 v10, s38, v26
	;; [unrolled: 1-line block ×3, first 2 shown]
	v_lshl_add_u64 v[6:7], v[6:7], 1, s[18:19]
	v_ashrrev_i32_e32 v9, 31, v8
	v_ashrrev_i32_e32 v11, 31, v10
	;; [unrolled: 1-line block ×3, first 2 shown]
	v_lshl_add_u64 v[8:9], v[8:9], 1, s[18:19]
	v_lshl_add_u64 v[10:11], v[10:11], 1, s[18:19]
	v_lshl_add_u64 v[12:13], v[12:13], 1, s[18:19]
	global_load_ushort v33, v[6:7], off
	global_load_ushort v34, v[8:9], off
	;; [unrolled: 1-line block ×4, first 2 shown]
	v_add_u32_e32 v6, s31, v1
	v_ashrrev_i32_e32 v7, 31, v6
	v_lshl_add_u64 v[10:11], v[6:7], 1, s[16:17]
	v_add_u32_e32 v6, s31, v25
	v_ashrrev_i32_e32 v7, 31, v6
	v_lshl_add_u64 v[12:13], v[6:7], 1, s[16:17]
	;; [unrolled: 3-line block ×4, first 2 shown]
	global_load_ushort v32, v[10:11], off
	global_load_ushort v31, v[12:13], off
	;; [unrolled: 1-line block ×4, first 2 shown]
	s_waitcnt vmcnt(7)
	v_lshlrev_b32_e32 v8, 16, v33
	s_waitcnt vmcnt(6)
	v_lshlrev_b32_e32 v9, 16, v34
	;; [unrolled: 2-line block ×4, first 2 shown]
	s_and_saveexec_b64 s[24:25], s[0:1]
	s_cbranch_execz .LBB636_15
; %bb.19:                               ;   in Loop: Header=BB636_17 Depth=1
	global_load_ushort v36, v[10:11], off offset:64
	global_load_ushort v35, v[12:13], off offset:64
	global_load_ushort v34, v[14:15], off offset:64
	global_load_ushort v33, v[16:17], off offset:64
	s_and_saveexec_b64 s[26:27], s[2:3]
	s_cbranch_execz .LBB636_14
; %bb.20:                               ;   in Loop: Header=BB636_17 Depth=1
	global_load_ushort v40, v[10:11], off offset:128
	global_load_ushort v39, v[12:13], off offset:128
	global_load_ushort v38, v[14:15], off offset:128
	global_load_ushort v37, v[16:17], off offset:128
	;; [unrolled: 7-line block ×3, first 2 shown]
	s_waitcnt vmcnt(3)
	v_lshlrev_b32_e32 v11, 16, v41
	s_waitcnt vmcnt(2)
	v_lshlrev_b32_e32 v10, 16, v42
	v_pk_mul_f32 v[10:11], v[8:9], v[10:11]
	s_waitcnt vmcnt(1)
	v_lshlrev_b32_e32 v13, 16, v43
	s_waitcnt vmcnt(0)
	v_lshlrev_b32_e32 v12, 16, v44
	v_add_f32_e32 v10, v22, v10
	v_add_f32_e32 v14, v10, v11
	v_pk_mul_f32 v[10:11], v[6:7], v[12:13]
	s_nop 0
	v_add_f32_e32 v10, v14, v10
	v_add_f32_e32 v22, v10, v11
	s_branch .LBB636_13
.LBB636_22:
	s_or_b64 exec, exec, s[22:23]
.LBB636_23:
	s_or_b64 exec, exec, s[20:21]
	s_sub_i32 s0, s9, s35
	s_cmp_lt_i32 s0, 1
	s_cbranch_scc1 .LBB636_41
; %bb.24:
	v_cmp_gt_i32_e32 vcc, s9, v24
	v_mov_b32_e32 v10, 0
	v_or_b32_e32 v4, 1, v24
	v_mov_b32_e32 v11, 0
	v_mov_b32_e32 v12, 0
	v_mov_b32_e32 v13, 0
	s_and_saveexec_b64 s[2:3], vcc
	s_cbranch_execz .LBB636_32
; %bb.25:
	v_mul_lo_u32 v0, v24, s34
	v_ashrrev_i32_e32 v1, 31, v0
	v_lshl_add_u64 v[0:1], v[0:1], 1, s[18:19]
	global_load_ushort v0, v[0:1], off
	v_cmp_gt_i32_e64 s[0:1], s9, v4
	v_mov_b32_e32 v12, 0
	v_mov_b32_e32 v11, 0
	;; [unrolled: 1-line block ×3, first 2 shown]
	s_and_saveexec_b64 s[4:5], s[0:1]
	s_cbranch_execz .LBB636_31
; %bb.26:
	v_mul_lo_u32 v6, v4, s34
	v_ashrrev_i32_e32 v7, 31, v6
	v_lshl_add_u64 v[6:7], v[6:7], 1, s[18:19]
	global_load_ushort v1, v[6:7], off
	v_or_b32_e32 v5, 2, v24
	v_cmp_gt_i32_e64 s[0:1], s9, v5
	v_mov_b32_e32 v11, 0
	v_mov_b32_e32 v10, 0
	s_and_saveexec_b64 s[6:7], s[0:1]
	s_cbranch_execz .LBB636_30
; %bb.27:
	v_mul_lo_u32 v6, v5, s34
	v_ashrrev_i32_e32 v7, 31, v6
	v_lshl_add_u64 v[6:7], v[6:7], 1, s[18:19]
	global_load_ushort v5, v[6:7], off
	v_or_b32_e32 v6, 3, v24
	v_cmp_gt_i32_e64 s[0:1], s9, v6
	v_mov_b32_e32 v10, 0
	s_and_saveexec_b64 s[20:21], s[0:1]
	s_cbranch_execz .LBB636_29
; %bb.28:
	v_mul_lo_u32 v6, v6, s34
	v_ashrrev_i32_e32 v7, 31, v6
	v_lshl_add_u64 v[6:7], v[6:7], 1, s[18:19]
	global_load_ushort v6, v[6:7], off
	s_waitcnt vmcnt(0)
	v_lshlrev_b32_e32 v10, 16, v6
.LBB636_29:
	s_or_b64 exec, exec, s[20:21]
	s_waitcnt vmcnt(0)
	v_lshlrev_b32_e32 v11, 16, v5
.LBB636_30:
	s_or_b64 exec, exec, s[6:7]
	s_waitcnt vmcnt(0)
	v_lshlrev_b32_e32 v12, 16, v1
.LBB636_31:
	s_or_b64 exec, exec, s[4:5]
	s_waitcnt vmcnt(0)
	v_lshlrev_b32_e32 v13, 16, v0
.LBB636_32:
	s_or_b64 exec, exec, s[2:3]
	v_cmp_gt_i32_e64 s[0:1], s8, v23
	s_and_saveexec_b64 s[2:3], s[0:1]
	s_cbranch_execz .LBB636_40
; %bb.33:
	v_mul_lo_u32 v0, v24, s33
	v_cndmask_b32_e32 v0, 0, v0, vcc
	v_mul_lo_u32 v5, v4, s33
	v_cmp_gt_i32_e32 vcc, s9, v4
	v_or_b32_e32 v6, 2, v24
	v_add_u32_e32 v0, v0, v23
	v_cndmask_b32_e32 v4, 0, v5, vcc
	v_mul_lo_u32 v7, v6, s33
	v_cmp_gt_i32_e32 vcc, s9, v6
	v_or_b32_e32 v8, 3, v24
	v_ashrrev_i32_e32 v1, 31, v0
	v_add_u32_e32 v4, v4, v23
	v_cndmask_b32_e32 v6, 0, v7, vcc
	v_mul_lo_u32 v9, v8, s33
	v_cmp_gt_i32_e32 vcc, s9, v8
	v_lshl_add_u64 v[0:1], v[0:1], 1, s[16:17]
	v_ashrrev_i32_e32 v5, 31, v4
	v_add_u32_e32 v6, v6, v23
	v_cndmask_b32_e32 v8, 0, v9, vcc
	v_lshl_add_u64 v[4:5], v[4:5], 1, s[16:17]
	v_ashrrev_i32_e32 v7, 31, v6
	v_add_u32_e32 v8, v8, v23
	global_load_ushort v14, v[0:1], off
	global_load_ushort v15, v[4:5], off
	v_lshl_add_u64 v[6:7], v[6:7], 1, s[16:17]
	v_ashrrev_i32_e32 v9, 31, v8
	v_lshl_add_u64 v[8:9], v[8:9], 1, s[16:17]
	global_load_ushort v16, v[6:7], off
	global_load_ushort v17, v[8:9], off
	v_add_u32_e32 v24, 32, v23
	v_cmp_gt_i32_e32 vcc, s8, v24
	s_waitcnt vmcnt(3)
	v_lshlrev_b32_e32 v14, 16, v14
	s_waitcnt vmcnt(2)
	v_lshlrev_b32_e32 v15, 16, v15
	v_fmac_f32_e32 v19, v13, v14
	v_fmac_f32_e32 v19, v12, v15
	s_waitcnt vmcnt(1)
	v_lshlrev_b32_e32 v16, 16, v16
	s_waitcnt vmcnt(0)
	v_lshlrev_b32_e32 v14, 16, v17
	v_fmac_f32_e32 v19, v11, v16
	s_and_saveexec_b64 s[0:1], vcc
	s_cbranch_execz .LBB636_39
; %bb.34:
	global_load_ushort v15, v[0:1], off offset:64
	global_load_ushort v16, v[4:5], off offset:64
	;; [unrolled: 1-line block ×4, first 2 shown]
	v_add_u32_e32 v25, 64, v23
	v_cmp_gt_i32_e32 vcc, s8, v25
	s_waitcnt vmcnt(3)
	v_lshlrev_b32_e32 v26, 16, v15
	s_waitcnt vmcnt(2)
	v_lshlrev_b32_e32 v16, 16, v16
	v_fmac_f32_e32 v20, v13, v26
	s_waitcnt vmcnt(1)
	v_lshlrev_b32_e32 v17, 16, v17
	v_fmac_f32_e32 v20, v12, v16
	;; [unrolled: 3-line block ×3, first 2 shown]
	s_and_saveexec_b64 s[4:5], vcc
	s_cbranch_execz .LBB636_38
; %bb.35:
	global_load_ushort v16, v[0:1], off offset:128
	global_load_ushort v17, v[4:5], off offset:128
	;; [unrolled: 1-line block ×4, first 2 shown]
	v_add_u32_e32 v23, 0x60, v23
	v_cmp_gt_i32_e32 vcc, s8, v23
	s_waitcnt vmcnt(3)
	v_lshlrev_b32_e32 v26, 16, v16
	s_waitcnt vmcnt(2)
	v_lshlrev_b32_e32 v17, 16, v17
	v_fmac_f32_e32 v21, v13, v26
	s_waitcnt vmcnt(1)
	v_lshlrev_b32_e32 v24, 16, v24
	v_fmac_f32_e32 v21, v12, v17
	s_waitcnt vmcnt(0)
	v_lshlrev_b32_e32 v16, 16, v25
	v_fmac_f32_e32 v21, v11, v24
	s_and_saveexec_b64 s[6:7], vcc
	s_cbranch_execz .LBB636_37
; %bb.36:
	global_load_ushort v17, v[0:1], off offset:192
	global_load_ushort v23, v[4:5], off offset:192
	;; [unrolled: 1-line block ×4, first 2 shown]
	s_waitcnt vmcnt(3)
	v_lshlrev_b32_e32 v0, 16, v17
	s_waitcnt vmcnt(2)
	v_lshlrev_b32_e32 v1, 16, v23
	v_fmac_f32_e32 v22, v13, v0
	s_waitcnt vmcnt(1)
	v_lshlrev_b32_e32 v4, 16, v24
	v_fmac_f32_e32 v22, v12, v1
	v_fmac_f32_e32 v22, v11, v4
	s_waitcnt vmcnt(0)
	v_lshlrev_b32_e32 v0, 16, v25
	v_fmac_f32_e32 v22, v10, v0
.LBB636_37:
	s_or_b64 exec, exec, s[6:7]
	v_fmac_f32_e32 v21, v10, v16
.LBB636_38:
	s_or_b64 exec, exec, s[4:5]
	v_fmac_f32_e32 v20, v10, v15
.LBB636_39:
	s_or_b64 exec, exec, s[0:1]
	v_fmac_f32_e32 v19, v10, v14
.LBB636_40:
	s_or_b64 exec, exec, s[2:3]
.LBB636_41:
	v_lshlrev_b32_e32 v0, 7, v18
	s_movk_i32 s0, 0x80
	v_add_lshl_u32 v0, v0, v2, 2
	v_cmp_gt_u32_e32 vcc, s0, v3
	ds_write2_b32 v0, v19, v20 offset1:32
	ds_write2_b32 v0, v21, v22 offset0:64 offset1:96
	s_waitcnt lgkmcnt(0)
	s_barrier
	s_waitcnt lgkmcnt(0)
                                        ; implicit-def: $vgpr1
                                        ; implicit-def: $vgpr4_vgpr5
	s_and_saveexec_b64 s[0:1], vcc
	s_cbranch_execz .LBB636_47
; %bb.42:
	v_lshlrev_b32_e32 v2, 2, v3
	ds_read2st64_b32 v[0:1], v2 offset1:2
	ds_read2st64_b32 v[4:5], v2 offset0:4 offset1:6
	ds_read2st64_b32 v[6:7], v2 offset0:8 offset1:10
	;; [unrolled: 1-line block ×4, first 2 shown]
	s_waitcnt lgkmcnt(4)
	v_add_f32_e32 v0, v0, v1
	s_waitcnt lgkmcnt(3)
	v_add_f32_e32 v0, v4, v0
	v_add_f32_e32 v0, v5, v0
	s_waitcnt lgkmcnt(2)
	v_add_f32_e32 v0, v6, v0
	v_add_f32_e32 v0, v7, v0
	s_waitcnt lgkmcnt(1)
	v_add_f32_e32 v0, v8, v0
	v_add_f32_e32 v4, v9, v0
	ds_read2st64_b32 v[0:1], v2 offset0:20 offset1:22
	s_waitcnt lgkmcnt(1)
	v_add_f32_e32 v6, v10, v4
	ds_read2st64_b32 v[4:5], v2 offset0:24 offset1:26
	v_add_f32_e32 v8, v11, v6
	ds_read2st64_b32 v[6:7], v2 offset0:28 offset1:30
	s_waitcnt lgkmcnt(2)
	v_add_f32_e32 v0, v0, v8
	v_add_f32_e32 v0, v1, v0
	s_waitcnt lgkmcnt(1)
	v_add_f32_e32 v0, v4, v0
	v_add_f32_e32 v0, v5, v0
	;; [unrolled: 3-line block ×3, first 2 shown]
	ds_write_b32 v2, v0
	v_or_b32_e32 v2, s31, v3
	v_cmp_gt_i32_e32 vcc, s8, v2
	s_mov_b64 s[4:5], s[14:15]
                                        ; implicit-def: $vgpr1
                                        ; implicit-def: $vgpr4_vgpr5
	s_and_saveexec_b64 s[2:3], vcc
	s_cbranch_execz .LBB636_46
; %bb.43:
	v_cmp_eq_f32_e64 s[4:5], s11, 0
	v_mul_lo_u32 v4, v2, s30
	v_mul_f32_e32 v1, s10, v0
	v_ashrrev_i32_e32 v5, 31, v4
	s_and_b64 vcc, exec, s[4:5]
	s_cbranch_vccnz .LBB636_45
; %bb.44:
	v_lshl_add_u64 v[2:3], v[4:5], 2, s[12:13]
	global_load_dword v0, v[2:3], off
	s_waitcnt vmcnt(0)
	v_fmac_f32_e32 v1, s11, v0
.LBB636_45:
	s_or_b64 s[4:5], s[14:15], exec
.LBB636_46:
	s_or_b64 exec, exec, s[2:3]
	s_andn2_b64 s[2:3], s[14:15], exec
	s_and_b64 s[4:5], s[4:5], exec
	s_or_b64 s[14:15], s[2:3], s[4:5]
.LBB636_47:
	s_or_b64 exec, exec, s[0:1]
.LBB636_48:
	s_and_saveexec_b64 s[0:1], s[14:15]
	s_cbranch_execz .LBB636_50
; %bb.49:
	v_lshl_add_u64 v[2:3], v[4:5], 2, s[12:13]
	global_store_dword v[2:3], v1, off
.LBB636_50:
	s_endpgm
	.section	.rodata,"a",@progbits
	.p2align	6, 0x0
	.amdhsa_kernel _ZL20rocblas_gemvn_kernelILi32ELi16Ei16rocblas_bfloat16ffEviiT3_lPKT2_lT1_lS4_lS5_lS1_lPT4_lS5_li
		.amdhsa_group_segment_fixed_size 8192
		.amdhsa_private_segment_fixed_size 0
		.amdhsa_kernarg_size 400
		.amdhsa_user_sgpr_count 2
		.amdhsa_user_sgpr_dispatch_ptr 0
		.amdhsa_user_sgpr_queue_ptr 0
		.amdhsa_user_sgpr_kernarg_segment_ptr 1
		.amdhsa_user_sgpr_dispatch_id 0
		.amdhsa_user_sgpr_kernarg_preload_length 0
		.amdhsa_user_sgpr_kernarg_preload_offset 0
		.amdhsa_user_sgpr_private_segment_size 0
		.amdhsa_uses_dynamic_stack 0
		.amdhsa_enable_private_segment 0
		.amdhsa_system_sgpr_workgroup_id_x 1
		.amdhsa_system_sgpr_workgroup_id_y 0
		.amdhsa_system_sgpr_workgroup_id_z 1
		.amdhsa_system_sgpr_workgroup_info 0
		.amdhsa_system_vgpr_workitem_id 1
		.amdhsa_next_free_vgpr 45
		.amdhsa_next_free_sgpr 39
		.amdhsa_accum_offset 48
		.amdhsa_reserve_vcc 1
		.amdhsa_float_round_mode_32 0
		.amdhsa_float_round_mode_16_64 0
		.amdhsa_float_denorm_mode_32 3
		.amdhsa_float_denorm_mode_16_64 3
		.amdhsa_dx10_clamp 1
		.amdhsa_ieee_mode 1
		.amdhsa_fp16_overflow 0
		.amdhsa_tg_split 0
		.amdhsa_exception_fp_ieee_invalid_op 0
		.amdhsa_exception_fp_denorm_src 0
		.amdhsa_exception_fp_ieee_div_zero 0
		.amdhsa_exception_fp_ieee_overflow 0
		.amdhsa_exception_fp_ieee_underflow 0
		.amdhsa_exception_fp_ieee_inexact 0
		.amdhsa_exception_int_div_zero 0
	.end_amdhsa_kernel
	.section	.text._ZL20rocblas_gemvn_kernelILi32ELi16Ei16rocblas_bfloat16ffEviiT3_lPKT2_lT1_lS4_lS5_lS1_lPT4_lS5_li,"axG",@progbits,_ZL20rocblas_gemvn_kernelILi32ELi16Ei16rocblas_bfloat16ffEviiT3_lPKT2_lT1_lS4_lS5_lS1_lPT4_lS5_li,comdat
.Lfunc_end636:
	.size	_ZL20rocblas_gemvn_kernelILi32ELi16Ei16rocblas_bfloat16ffEviiT3_lPKT2_lT1_lS4_lS5_lS1_lPT4_lS5_li, .Lfunc_end636-_ZL20rocblas_gemvn_kernelILi32ELi16Ei16rocblas_bfloat16ffEviiT3_lPKT2_lT1_lS4_lS5_lS1_lPT4_lS5_li
                                        ; -- End function
	.section	.AMDGPU.csdata,"",@progbits
; Kernel info:
; codeLenInByte = 2560
; NumSgprs: 45
; NumVgprs: 45
; NumAgprs: 0
; TotalNumVgprs: 45
; ScratchSize: 0
; MemoryBound: 0
; FloatMode: 240
; IeeeMode: 1
; LDSByteSize: 8192 bytes/workgroup (compile time only)
; SGPRBlocks: 5
; VGPRBlocks: 5
; NumSGPRsForWavesPerEU: 45
; NumVGPRsForWavesPerEU: 45
; AccumOffset: 48
; Occupancy: 8
; WaveLimiterHint : 1
; COMPUTE_PGM_RSRC2:SCRATCH_EN: 0
; COMPUTE_PGM_RSRC2:USER_SGPR: 2
; COMPUTE_PGM_RSRC2:TRAP_HANDLER: 0
; COMPUTE_PGM_RSRC2:TGID_X_EN: 1
; COMPUTE_PGM_RSRC2:TGID_Y_EN: 0
; COMPUTE_PGM_RSRC2:TGID_Z_EN: 1
; COMPUTE_PGM_RSRC2:TIDIG_COMP_CNT: 1
; COMPUTE_PGM_RSRC3_GFX90A:ACCUM_OFFSET: 11
; COMPUTE_PGM_RSRC3_GFX90A:TG_SPLIT: 0
	.section	.text._ZL20rocblas_gemvn_kernelILi32ELi16El16rocblas_bfloat16ffEviiT3_lPKT2_lT1_lS4_lS5_lS1_lPT4_lS5_li,"axG",@progbits,_ZL20rocblas_gemvn_kernelILi32ELi16El16rocblas_bfloat16ffEviiT3_lPKT2_lT1_lS4_lS5_lS1_lPT4_lS5_li,comdat
	.globl	_ZL20rocblas_gemvn_kernelILi32ELi16El16rocblas_bfloat16ffEviiT3_lPKT2_lT1_lS4_lS5_lS1_lPT4_lS5_li ; -- Begin function _ZL20rocblas_gemvn_kernelILi32ELi16El16rocblas_bfloat16ffEviiT3_lPKT2_lT1_lS4_lS5_lS1_lPT4_lS5_li
	.p2align	8
	.type	_ZL20rocblas_gemvn_kernelILi32ELi16El16rocblas_bfloat16ffEviiT3_lPKT2_lT1_lS4_lS5_lS1_lPT4_lS5_li,@function
_ZL20rocblas_gemvn_kernelILi32ELi16El16rocblas_bfloat16ffEviiT3_lPKT2_lT1_lS4_lS5_lS1_lPT4_lS5_li: ; @_ZL20rocblas_gemvn_kernelILi32ELi16El16rocblas_bfloat16ffEviiT3_lPKT2_lT1_lS4_lS5_lS1_lPT4_lS5_li
; %bb.0:
	s_load_dwordx2 s[4:5], s[0:1], 0x9c
	s_waitcnt lgkmcnt(0)
	s_lshr_b32 s6, s4, 16
	s_and_b32 s4, s4, 0xffff
	s_and_b32 s5, s5, 0xffff
	s_mul_i32 s4, s6, s4
	s_mul_i32 s4, s4, s5
	s_cmpk_lg_i32 s4, 0x200
	s_cbranch_scc1 .LBB637_50
; %bb.1:
	s_load_dwordx4 s[28:31], s[0:1], 0x0
	s_waitcnt lgkmcnt(0)
	s_load_dword s31, s[0:1], 0x58
	v_cmp_eq_f32_e64 s[4:5], s30, 0
	s_waitcnt lgkmcnt(0)
	v_cmp_eq_f32_e64 s[6:7], s31, 1.0
	s_and_b64 s[4:5], s[4:5], s[6:7]
	s_and_b64 vcc, exec, s[4:5]
	s_cbranch_vccnz .LBB637_50
; %bb.2:
	s_load_dwordx8 s[20:27], s[0:1], 0x68
	v_and_b32_e32 v33, 0x3ff, v0
	v_bfe_u32 v34, v0, 10, 10
	v_lshl_add_u32 v32, v34, 5, v33
	s_waitcnt lgkmcnt(0)
	s_mul_i32 s5, s3, s27
	s_mul_hi_u32 s6, s3, s26
	s_mul_i32 s4, s3, s26
	s_add_i32 s5, s6, s5
	s_lshl_b64 s[4:5], s[4:5], 2
	s_add_u32 s6, s20, s4
	s_addc_u32 s7, s21, s5
	s_lshl_b64 s[4:5], s[22:23], 2
	s_add_u32 s26, s6, s4
	s_addc_u32 s27, s7, s5
	v_cmp_neq_f32_e64 s[4:5], s30, 0
	s_and_b64 vcc, exec, s[4:5]
	s_cbranch_vccnz .LBB637_9
; %bb.3:
	s_movk_i32 s4, 0x80
	v_cmp_gt_u32_e32 vcc, s4, v32
	s_mov_b64 s[4:5], 0
	s_mov_b64 s[34:35], 0
                                        ; implicit-def: $vgpr1
                                        ; implicit-def: $vgpr2_vgpr3
	s_and_saveexec_b64 s[6:7], vcc
	s_cbranch_execz .LBB637_10
; %bb.4:
	v_lshl_or_b32 v0, s2, 7, v32
	v_mov_b32_e32 v1, 0
	s_ashr_i32 s9, s28, 31
	s_mov_b32 s8, s28
	v_cmp_gt_i64_e32 vcc, s[8:9], v[0:1]
	s_mov_b64 s[10:11], 0
                                        ; implicit-def: $vgpr2_vgpr3
	s_and_saveexec_b64 s[8:9], vcc
	s_cbranch_execz .LBB637_8
; %bb.5:
	v_mad_u64_u32 v[2:3], s[12:13], v0, s24, 0
	v_mov_b32_e32 v4, v3
	v_cmp_eq_f32_e64 s[10:11], s31, 0
	v_mad_u64_u32 v[4:5], s[12:13], v0, s25, v[4:5]
	v_mov_b32_e32 v3, v4
	s_and_b64 vcc, exec, s[10:11]
	s_cbranch_vccnz .LBB637_7
; %bb.6:
	v_lshl_add_u64 v[0:1], v[2:3], 2, s[26:27]
	global_load_dword v0, v[0:1], off
	s_waitcnt vmcnt(0)
	v_mul_f32_e32 v1, s31, v0
.LBB637_7:
	s_mov_b64 s[10:11], exec
.LBB637_8:
	s_or_b64 exec, exec, s[8:9]
	s_and_b64 s[34:35], s[10:11], exec
	s_or_b64 exec, exec, s[6:7]
	s_and_b64 vcc, exec, s[4:5]
	s_cbranch_vccnz .LBB637_11
	s_branch .LBB637_48
.LBB637_9:
	s_mov_b64 s[34:35], 0
                                        ; implicit-def: $vgpr1
                                        ; implicit-def: $vgpr2_vgpr3
	s_cbranch_execnz .LBB637_11
	s_branch .LBB637_48
.LBB637_10:
	s_or_b64 exec, exec, s[6:7]
	s_and_b64 vcc, exec, s[4:5]
	s_cbranch_vccz .LBB637_48
.LBB637_11:
	s_load_dwordx16 s[8:23], s[0:1], 0x18
	s_lshl_b32 s33, s2, 7
	v_lshlrev_b32_e32 v39, 2, v34
	v_add_u32_e32 v0, s33, v33
	v_mov_b32_e32 v35, 0
	s_waitcnt lgkmcnt(0)
	s_mul_i32 s0, s3, s15
	s_mul_hi_u32 s1, s3, s14
	s_add_i32 s15, s1, s0
	s_ashr_i32 s0, s29, 31
	s_lshr_b32 s0, s0, 26
	s_add_i32 s52, s29, s0
	s_mul_i32 s4, s3, s23
	s_mul_hi_u32 s5, s3, s22
	s_andn2_b32 s52, s52, 63
	s_mul_i32 s14, s3, s14
	s_add_i32 s23, s5, s4
	s_mul_i32 s22, s3, s22
	v_cmp_gt_i32_e32 vcc, s52, v39
	v_mov_b32_e32 v36, 0
	v_mov_b32_e32 v37, 0
	;; [unrolled: 1-line block ×3, first 2 shown]
	s_and_saveexec_b64 s[36:37], vcc
	s_cbranch_execz .LBB637_23
; %bb.12:
	v_add_u32_e32 v2, 32, v0
	v_cmp_gt_i32_e64 s[0:1], s28, v2
	v_add_u32_e32 v2, 64, v0
	v_cmp_gt_i32_e64 s[2:3], s28, v2
	;; [unrolled: 2-line block ×3, first 2 shown]
	v_mad_u64_u32 v[2:3], s[6:7], s20, v34, 0
	v_mov_b32_e32 v4, v3
	v_ashrrev_i32_e32 v1, 31, v0
	v_mad_u64_u32 v[4:5], s[6:7], s21, v34, v[4:5]
	v_mov_b32_e32 v3, v4
	v_lshlrev_b64 v[4:5], 1, v[0:1]
	v_lshlrev_b32_e32 v1, 2, v34
	v_or_b32_e32 v11, 3, v1
	v_mad_u64_u32 v[6:7], s[42:43], s12, v11, 0
	v_mov_b32_e32 v8, v7
	v_mad_u64_u32 v[8:9], s[42:43], s13, v11, v[8:9]
	v_mov_b32_e32 v7, v8
	;; [unrolled: 2-line block ×5, first 2 shown]
	v_mad_u64_u32 v[12:13], s[46:47], s13, v34, v[12:13]
	v_or_b32_e32 v17, 2, v1
	v_mov_b32_e32 v11, v12
	v_mad_u64_u32 v[12:13], s[46:47], s12, v17, 0
	v_mov_b32_e32 v14, v13
	v_mad_u64_u32 v[14:15], s[46:47], s13, v17, v[14:15]
	;; [unrolled: 2-line block ×4, first 2 shown]
	v_mov_b32_e32 v15, v16
	v_mov_b64_e32 v[16:17], s[20:21]
	v_mad_u64_u32 v[16:17], s[46:47], s20, v1, v[16:17]
	s_lshl_b64 s[38:39], s[18:19], 1
	s_lshl_b64 s[6:7], s[22:23], 1
	v_mov_b32_e32 v18, v17
	s_add_u32 s6, s16, s6
	v_mad_u64_u32 v[18:19], s[46:47], s21, v1, v[18:19]
	s_addc_u32 s7, s17, s7
	s_lshl_b64 s[40:41], s[20:21], 7
	s_lshl_b64 s[42:43], s[14:15], 1
	;; [unrolled: 1-line block ×3, first 2 shown]
	v_mov_b32_e32 v17, v18
	v_mov_b64_e32 v[18:19], s[12:13]
	v_lshl_add_u64 v[2:3], v[2:3], 3, s[6:7]
	s_add_u32 s44, s8, s44
	v_lshl_add_u64 v[8:9], v[8:9], 1, s[6:7]
	v_lshl_add_u64 v[14:15], v[14:15], 1, s[6:7]
	;; [unrolled: 1-line block ×3, first 2 shown]
	v_mad_u64_u32 v[18:19], s[6:7], s12, v1, v[18:19]
	s_addc_u32 s45, s9, s45
	v_mov_b32_e32 v20, v19
	s_add_u32 s44, s44, s42
	v_mad_u64_u32 v[20:21], s[6:7], s13, v1, v[20:21]
	s_addc_u32 s45, s45, s43
	v_mov_b32_e32 v19, v20
	v_cmp_gt_i32_e32 vcc, s28, v0
	v_lshl_add_u64 v[6:7], v[6:7], 1, s[44:45]
	s_lshl_b64 s[42:43], s[12:13], 7
	v_lshl_add_u64 v[10:11], v[10:11], 3, s[44:45]
	v_lshl_add_u64 v[12:13], v[12:13], 1, s[44:45]
	;; [unrolled: 1-line block ×3, first 2 shown]
	s_mov_b64 s[44:45], 0
	v_mov_b32_e32 v35, 0
	v_mov_b32_e32 v36, 0
	;; [unrolled: 1-line block ×4, first 2 shown]
	s_branch .LBB637_17
.LBB637_13:                             ;   in Loop: Header=BB637_17 Depth=1
	s_or_b64 exec, exec, s[50:51]
	s_waitcnt vmcnt(3)
	v_lshlrev_b32_e32 v24, 16, v50
	v_fmac_f32_e32 v37, v22, v24
	s_waitcnt vmcnt(2)
	v_lshlrev_b32_e32 v24, 16, v49
	v_fmac_f32_e32 v37, v23, v24
	;; [unrolled: 3-line block ×4, first 2 shown]
.LBB637_14:                             ;   in Loop: Header=BB637_17 Depth=1
	s_or_b64 exec, exec, s[48:49]
	s_waitcnt vmcnt(3)
	v_lshlrev_b32_e32 v24, 16, v46
	v_fmac_f32_e32 v36, v22, v24
	s_waitcnt vmcnt(2)
	v_lshlrev_b32_e32 v24, 16, v45
	v_fmac_f32_e32 v36, v23, v24
	;; [unrolled: 3-line block ×4, first 2 shown]
.LBB637_15:                             ;   in Loop: Header=BB637_17 Depth=1
	s_or_b64 exec, exec, s[46:47]
	s_waitcnt vmcnt(3)
	v_lshlrev_b32_e32 v24, 16, v42
	v_fmac_f32_e32 v35, v22, v24
	s_waitcnt vmcnt(2)
	v_lshlrev_b32_e32 v22, 16, v41
	v_fmac_f32_e32 v35, v23, v22
	;; [unrolled: 3-line block ×4, first 2 shown]
.LBB637_16:                             ;   in Loop: Header=BB637_17 Depth=1
	s_or_b64 exec, exec, s[6:7]
	v_add_u32_e32 v39, 64, v39
	v_cmp_le_i32_e64 s[6:7], s52, v39
	v_lshl_add_u64 v[2:3], v[2:3], 0, s[40:41]
	v_lshl_add_u64 v[6:7], v[6:7], 0, s[42:43]
	;; [unrolled: 1-line block ×7, first 2 shown]
	s_or_b64 s[44:45], s[6:7], s[44:45]
	v_lshl_add_u64 v[18:19], v[18:19], 0, s[42:43]
	s_andn2_b64 exec, exec, s[44:45]
	s_cbranch_execz .LBB637_22
.LBB637_17:                             ; =>This Inner Loop Header: Depth=1
	s_and_saveexec_b64 s[6:7], vcc
	s_cbranch_execz .LBB637_16
; %bb.18:                               ;   in Loop: Header=BB637_17 Depth=1
	v_lshl_add_u64 v[20:21], v[2:3], 0, s[38:39]
	v_lshl_add_u64 v[22:23], v[16:17], 0, s[38:39]
	global_load_ushort v43, v[20:21], off
	global_load_ushort v44, v[22:23], off
	v_lshl_add_u64 v[20:21], v[14:15], 0, s[38:39]
	v_lshl_add_u64 v[22:23], v[8:9], 0, s[38:39]
	global_load_ushort v45, v[20:21], off
	global_load_ushort v46, v[22:23], off
	v_lshl_add_u64 v[28:29], v[10:11], 0, v[4:5]
	v_lshl_add_u64 v[30:31], v[18:19], 0, v[4:5]
	;; [unrolled: 1-line block ×4, first 2 shown]
	global_load_ushort v42, v[28:29], off
	global_load_ushort v41, v[30:31], off
	;; [unrolled: 1-line block ×4, first 2 shown]
	s_waitcnt vmcnt(7)
	v_lshlrev_b32_e32 v22, 16, v43
	s_waitcnt vmcnt(6)
	v_lshlrev_b32_e32 v23, 16, v44
	;; [unrolled: 2-line block ×4, first 2 shown]
	s_and_saveexec_b64 s[46:47], s[0:1]
	s_cbranch_execz .LBB637_15
; %bb.19:                               ;   in Loop: Header=BB637_17 Depth=1
	global_load_ushort v46, v[28:29], off offset:64
	global_load_ushort v45, v[30:31], off offset:64
	;; [unrolled: 1-line block ×4, first 2 shown]
	s_and_saveexec_b64 s[48:49], s[2:3]
	s_cbranch_execz .LBB637_14
; %bb.20:                               ;   in Loop: Header=BB637_17 Depth=1
	global_load_ushort v50, v[28:29], off offset:128
	global_load_ushort v49, v[30:31], off offset:128
	;; [unrolled: 1-line block ×4, first 2 shown]
	s_and_saveexec_b64 s[50:51], s[4:5]
	s_cbranch_execz .LBB637_13
; %bb.21:                               ;   in Loop: Header=BB637_17 Depth=1
	global_load_ushort v30, v[30:31], off offset:192
	s_nop 0
	global_load_ushort v28, v[28:29], off offset:192
	s_nop 0
	;; [unrolled: 2-line block ×3, first 2 shown]
	global_load_ushort v29, v[24:25], off offset:192
	s_waitcnt vmcnt(3)
	v_lshlrev_b32_e32 v25, 16, v30
	s_waitcnt vmcnt(2)
	v_lshlrev_b32_e32 v24, 16, v28
	v_pk_mul_f32 v[24:25], v[22:23], v[24:25]
	s_waitcnt vmcnt(1)
	v_lshlrev_b32_e32 v27, 16, v26
	s_waitcnt vmcnt(0)
	v_lshlrev_b32_e32 v26, 16, v29
	v_add_f32_e32 v24, v38, v24
	v_add_f32_e32 v28, v24, v25
	v_pk_mul_f32 v[24:25], v[20:21], v[26:27]
	s_nop 0
	v_add_f32_e32 v24, v28, v24
	v_add_f32_e32 v38, v24, v25
	s_branch .LBB637_13
.LBB637_22:
	s_or_b64 exec, exec, s[44:45]
.LBB637_23:
	s_or_b64 exec, exec, s[36:37]
	s_sub_i32 s0, s29, s52
	s_cmp_lt_i32 s0, 1
	s_cbranch_scc1 .LBB637_41
; %bb.24:
	v_cmp_gt_i32_e32 vcc, s29, v39
	v_mov_b32_e32 v10, 0
	v_or_b32_e32 v4, 1, v39
	v_mov_b32_e32 v11, 0
	v_mov_b32_e32 v12, 0
	;; [unrolled: 1-line block ×3, first 2 shown]
	s_and_saveexec_b64 s[2:3], vcc
	s_cbranch_execz .LBB637_32
; %bb.25:
	s_lshl_b64 s[0:1], s[22:23], 1
	s_add_u32 s4, s16, s0
	s_addc_u32 s5, s17, s1
	s_lshl_b64 s[0:1], s[18:19], 1
	s_add_u32 s6, s4, s0
	s_addc_u32 s7, s5, s1
	v_mad_u64_u32 v[2:3], s[0:1], v39, s20, 0
	v_mov_b32_e32 v6, v3
	v_mad_u64_u32 v[6:7], s[0:1], v39, s21, v[6:7]
	v_mov_b32_e32 v3, v6
	v_lshl_add_u64 v[2:3], v[2:3], 1, s[6:7]
	global_load_ushort v1, v[2:3], off
	v_cmp_gt_i32_e64 s[0:1], s29, v4
	v_mov_b32_e32 v12, 0
	v_mov_b32_e32 v11, 0
	;; [unrolled: 1-line block ×3, first 2 shown]
	s_and_saveexec_b64 s[4:5], s[0:1]
	s_cbranch_execz .LBB637_31
; %bb.26:
	v_mad_u64_u32 v[2:3], s[0:1], v4, s20, 0
	v_mov_b32_e32 v6, v3
	v_mad_u64_u32 v[6:7], s[0:1], v4, s21, v[6:7]
	v_mov_b32_e32 v3, v6
	v_lshl_add_u64 v[2:3], v[2:3], 1, s[6:7]
	global_load_ushort v2, v[2:3], off
	v_or_b32_e32 v3, 2, v39
	v_cmp_gt_i32_e64 s[0:1], s29, v3
	v_mov_b32_e32 v11, 0
	v_mov_b32_e32 v10, 0
	s_and_saveexec_b64 s[16:17], s[0:1]
	s_cbranch_execz .LBB637_30
; %bb.27:
	v_mad_u64_u32 v[6:7], s[0:1], v3, s20, 0
	v_mov_b32_e32 v8, v7
	v_mad_u64_u32 v[8:9], s[0:1], v3, s21, v[8:9]
	v_mov_b32_e32 v7, v8
	v_lshl_add_u64 v[6:7], v[6:7], 1, s[6:7]
	global_load_ushort v3, v[6:7], off
	v_or_b32_e32 v5, 3, v39
	v_cmp_gt_i32_e64 s[0:1], s29, v5
	v_mov_b32_e32 v10, 0
	s_and_saveexec_b64 s[18:19], s[0:1]
	s_cbranch_execz .LBB637_29
; %bb.28:
	v_mad_u64_u32 v[6:7], s[0:1], v5, s20, 0
	v_mov_b32_e32 v8, v7
	v_mad_u64_u32 v[8:9], s[0:1], v5, s21, v[8:9]
	v_mov_b32_e32 v7, v8
	v_lshl_add_u64 v[6:7], v[6:7], 1, s[6:7]
	global_load_ushort v5, v[6:7], off
	s_waitcnt vmcnt(0)
	v_lshlrev_b32_e32 v10, 16, v5
.LBB637_29:
	s_or_b64 exec, exec, s[18:19]
	s_waitcnt vmcnt(0)
	v_lshlrev_b32_e32 v11, 16, v3
.LBB637_30:
	s_or_b64 exec, exec, s[16:17]
	s_waitcnt vmcnt(0)
	v_lshlrev_b32_e32 v12, 16, v2
.LBB637_31:
	s_or_b64 exec, exec, s[4:5]
	s_waitcnt vmcnt(0)
	v_lshlrev_b32_e32 v13, 16, v1
.LBB637_32:
	s_or_b64 exec, exec, s[2:3]
	v_cmp_gt_i32_e64 s[0:1], s28, v0
	s_and_saveexec_b64 s[2:3], s[0:1]
	s_cbranch_execz .LBB637_40
; %bb.33:
	s_lshl_b64 s[0:1], s[14:15], 1
	s_add_u32 s4, s8, s0
	s_addc_u32 s5, s9, s1
	s_lshl_b64 s[0:1], s[10:11], 1
	s_add_u32 s0, s4, s0
	s_addc_u32 s1, s5, s1
	v_mad_u64_u32 v[2:3], s[4:5], v39, s12, 0
	v_mov_b32_e32 v6, v3
	v_mad_u64_u32 v[6:7], s[4:5], v39, s13, v[6:7]
	v_ashrrev_i32_e32 v1, 31, v0
	v_cndmask_b32_e32 v3, 0, v6, vcc
	v_mad_u64_u32 v[6:7], s[4:5], v4, s12, 0
	v_cndmask_b32_e32 v2, 0, v2, vcc
	v_lshlrev_b64 v[8:9], 1, v[0:1]
	v_mov_b32_e32 v14, v7
	v_cmp_gt_i32_e32 vcc, s29, v4
	v_or_b32_e32 v1, 2, v39
	v_mad_u64_u32 v[14:15], s[4:5], v4, s13, v[14:15]
	v_cndmask_b32_e32 v4, 0, v6, vcc
	v_mad_u64_u32 v[6:7], s[4:5], v1, s12, 0
	v_cndmask_b32_e32 v5, 0, v14, vcc
	v_mov_b32_e32 v14, v7
	v_mad_u64_u32 v[14:15], s[4:5], v1, s13, v[14:15]
	v_cmp_gt_i32_e32 vcc, s29, v1
	v_or_b32_e32 v1, 3, v39
	v_lshl_add_u64 v[2:3], v[2:3], 1, s[0:1]
	v_cndmask_b32_e32 v7, 0, v14, vcc
	v_mad_u64_u32 v[14:15], s[4:5], v1, s12, 0
	v_mov_b32_e32 v16, v15
	v_cndmask_b32_e32 v6, 0, v6, vcc
	v_mad_u64_u32 v[16:17], s[4:5], v1, s13, v[16:17]
	v_cmp_gt_i32_e32 vcc, s29, v1
	v_lshl_add_u64 v[2:3], v[2:3], 0, v[8:9]
	v_lshl_add_u64 v[4:5], v[4:5], 1, s[0:1]
	v_cndmask_b32_e32 v14, 0, v14, vcc
	v_cndmask_b32_e32 v15, 0, v16, vcc
	v_lshl_add_u64 v[6:7], v[6:7], 1, s[0:1]
	v_lshl_add_u64 v[14:15], v[14:15], 1, s[0:1]
	;; [unrolled: 1-line block ×5, first 2 shown]
	global_load_ushort v1, v[2:3], off
	global_load_ushort v14, v[4:5], off
	;; [unrolled: 1-line block ×4, first 2 shown]
	v_add_u32_e32 v17, 32, v0
	v_cmp_gt_i32_e32 vcc, s28, v17
	s_waitcnt vmcnt(3)
	v_lshlrev_b32_e32 v18, 16, v1
	s_waitcnt vmcnt(2)
	v_lshlrev_b32_e32 v14, 16, v14
	v_fmac_f32_e32 v35, v13, v18
	s_waitcnt vmcnt(1)
	v_lshlrev_b32_e32 v15, 16, v15
	v_fmac_f32_e32 v35, v12, v14
	s_waitcnt vmcnt(0)
	v_lshlrev_b32_e32 v1, 16, v16
	v_fmac_f32_e32 v35, v11, v15
	s_and_saveexec_b64 s[0:1], vcc
	s_cbranch_execz .LBB637_39
; %bb.34:
	global_load_ushort v14, v[2:3], off offset:64
	global_load_ushort v15, v[4:5], off offset:64
	global_load_ushort v16, v[6:7], off offset:64
	global_load_ushort v17, v[8:9], off offset:64
	v_add_u32_e32 v18, 64, v0
	v_cmp_gt_i32_e32 vcc, s28, v18
	s_waitcnt vmcnt(3)
	v_lshlrev_b32_e32 v19, 16, v14
	s_waitcnt vmcnt(2)
	v_lshlrev_b32_e32 v15, 16, v15
	v_fmac_f32_e32 v36, v13, v19
	s_waitcnt vmcnt(1)
	v_lshlrev_b32_e32 v16, 16, v16
	v_fmac_f32_e32 v36, v12, v15
	s_waitcnt vmcnt(0)
	v_lshlrev_b32_e32 v14, 16, v17
	v_fmac_f32_e32 v36, v11, v16
	s_and_saveexec_b64 s[4:5], vcc
	s_cbranch_execz .LBB637_38
; %bb.35:
	global_load_ushort v15, v[2:3], off offset:128
	global_load_ushort v16, v[4:5], off offset:128
	global_load_ushort v17, v[6:7], off offset:128
	global_load_ushort v18, v[8:9], off offset:128
	;; [unrolled: 20-line block ×3, first 2 shown]
	s_waitcnt vmcnt(3)
	v_lshlrev_b32_e32 v2, 16, v15
	s_waitcnt vmcnt(2)
	v_lshlrev_b32_e32 v3, 16, v16
	v_fmac_f32_e32 v38, v13, v2
	s_waitcnt vmcnt(1)
	v_lshlrev_b32_e32 v4, 16, v17
	v_fmac_f32_e32 v38, v12, v3
	v_fmac_f32_e32 v38, v11, v4
	s_waitcnt vmcnt(0)
	v_lshlrev_b32_e32 v2, 16, v18
	v_fmac_f32_e32 v38, v10, v2
.LBB637_37:
	s_or_b64 exec, exec, s[6:7]
	v_fmac_f32_e32 v37, v10, v0
.LBB637_38:
	s_or_b64 exec, exec, s[4:5]
	v_fmac_f32_e32 v36, v10, v14
.LBB637_39:
	s_or_b64 exec, exec, s[0:1]
	v_fmac_f32_e32 v35, v10, v1
.LBB637_40:
	s_or_b64 exec, exec, s[2:3]
.LBB637_41:
	v_lshlrev_b32_e32 v0, 7, v34
	s_movk_i32 s0, 0x80
	v_add_lshl_u32 v0, v0, v33, 2
	v_cmp_gt_u32_e32 vcc, s0, v32
	ds_write2_b32 v0, v35, v36 offset1:32
	ds_write2_b32 v0, v37, v38 offset0:64 offset1:96
	s_waitcnt lgkmcnt(0)
	s_barrier
	s_waitcnt lgkmcnt(0)
                                        ; implicit-def: $vgpr1
                                        ; implicit-def: $vgpr2_vgpr3
	s_and_saveexec_b64 s[0:1], vcc
	s_cbranch_execz .LBB637_47
; %bb.42:
	v_lshlrev_b32_e32 v10, 2, v32
	ds_read2st64_b32 v[0:1], v10 offset1:2
	ds_read2st64_b32 v[2:3], v10 offset0:4 offset1:6
	ds_read2st64_b32 v[4:5], v10 offset0:8 offset1:10
	;; [unrolled: 1-line block ×4, first 2 shown]
	s_waitcnt lgkmcnt(4)
	v_add_f32_e32 v0, v0, v1
	s_waitcnt lgkmcnt(3)
	v_add_f32_e32 v0, v2, v0
	v_add_f32_e32 v0, v3, v0
	s_waitcnt lgkmcnt(2)
	v_add_f32_e32 v0, v4, v0
	;; [unrolled: 3-line block ×3, first 2 shown]
	v_add_f32_e32 v2, v7, v0
	ds_read2st64_b32 v[0:1], v10 offset0:20 offset1:22
	s_waitcnt lgkmcnt(1)
	v_add_f32_e32 v4, v8, v2
	ds_read2st64_b32 v[2:3], v10 offset0:24 offset1:26
	v_add_f32_e32 v6, v9, v4
	ds_read2st64_b32 v[4:5], v10 offset0:28 offset1:30
	s_waitcnt lgkmcnt(2)
	v_add_f32_e32 v0, v0, v6
	v_add_f32_e32 v0, v1, v0
	s_waitcnt lgkmcnt(1)
	v_add_f32_e32 v0, v2, v0
	v_add_f32_e32 v0, v3, v0
	;; [unrolled: 3-line block ×3, first 2 shown]
	v_or_b32_e32 v0, s33, v32
	v_cmp_gt_i32_e32 vcc, s28, v0
	s_mov_b64 s[4:5], s[34:35]
	ds_write_b32 v10, v4
                                        ; implicit-def: $vgpr1
                                        ; implicit-def: $vgpr2_vgpr3
	s_and_saveexec_b64 s[2:3], vcc
	s_cbranch_execz .LBB637_46
; %bb.43:
	v_ashrrev_i32_e32 v2, 31, v0
	v_cmp_eq_f32_e64 s[4:5], s31, 0
	v_mul_f32_e32 v1, s30, v4
	v_mul_lo_u32 v4, v0, s25
	v_mul_lo_u32 v5, v2, s24
	v_mad_u64_u32 v[2:3], s[6:7], v0, s24, 0
	v_add3_u32 v3, v3, v4, v5
	s_and_b64 vcc, exec, s[4:5]
	s_cbranch_vccnz .LBB637_45
; %bb.44:
	v_lshl_add_u64 v[4:5], v[2:3], 2, s[26:27]
	global_load_dword v0, v[4:5], off
	s_waitcnt vmcnt(0)
	v_fmac_f32_e32 v1, s31, v0
.LBB637_45:
	s_or_b64 s[4:5], s[34:35], exec
.LBB637_46:
	s_or_b64 exec, exec, s[2:3]
	s_andn2_b64 s[2:3], s[34:35], exec
	s_and_b64 s[4:5], s[4:5], exec
	s_or_b64 s[34:35], s[2:3], s[4:5]
.LBB637_47:
	s_or_b64 exec, exec, s[0:1]
.LBB637_48:
	s_and_saveexec_b64 s[0:1], s[34:35]
	s_cbranch_execz .LBB637_50
; %bb.49:
	v_lshl_add_u64 v[2:3], v[2:3], 2, s[26:27]
	global_store_dword v[2:3], v1, off
.LBB637_50:
	s_endpgm
	.section	.rodata,"a",@progbits
	.p2align	6, 0x0
	.amdhsa_kernel _ZL20rocblas_gemvn_kernelILi32ELi16El16rocblas_bfloat16ffEviiT3_lPKT2_lT1_lS4_lS5_lS1_lPT4_lS5_li
		.amdhsa_group_segment_fixed_size 8192
		.amdhsa_private_segment_fixed_size 0
		.amdhsa_kernarg_size 400
		.amdhsa_user_sgpr_count 2
		.amdhsa_user_sgpr_dispatch_ptr 0
		.amdhsa_user_sgpr_queue_ptr 0
		.amdhsa_user_sgpr_kernarg_segment_ptr 1
		.amdhsa_user_sgpr_dispatch_id 0
		.amdhsa_user_sgpr_kernarg_preload_length 0
		.amdhsa_user_sgpr_kernarg_preload_offset 0
		.amdhsa_user_sgpr_private_segment_size 0
		.amdhsa_uses_dynamic_stack 0
		.amdhsa_enable_private_segment 0
		.amdhsa_system_sgpr_workgroup_id_x 1
		.amdhsa_system_sgpr_workgroup_id_y 0
		.amdhsa_system_sgpr_workgroup_id_z 1
		.amdhsa_system_sgpr_workgroup_info 0
		.amdhsa_system_vgpr_workitem_id 1
		.amdhsa_next_free_vgpr 51
		.amdhsa_next_free_sgpr 53
		.amdhsa_accum_offset 52
		.amdhsa_reserve_vcc 1
		.amdhsa_float_round_mode_32 0
		.amdhsa_float_round_mode_16_64 0
		.amdhsa_float_denorm_mode_32 3
		.amdhsa_float_denorm_mode_16_64 3
		.amdhsa_dx10_clamp 1
		.amdhsa_ieee_mode 1
		.amdhsa_fp16_overflow 0
		.amdhsa_tg_split 0
		.amdhsa_exception_fp_ieee_invalid_op 0
		.amdhsa_exception_fp_denorm_src 0
		.amdhsa_exception_fp_ieee_div_zero 0
		.amdhsa_exception_fp_ieee_overflow 0
		.amdhsa_exception_fp_ieee_underflow 0
		.amdhsa_exception_fp_ieee_inexact 0
		.amdhsa_exception_int_div_zero 0
	.end_amdhsa_kernel
	.section	.text._ZL20rocblas_gemvn_kernelILi32ELi16El16rocblas_bfloat16ffEviiT3_lPKT2_lT1_lS4_lS5_lS1_lPT4_lS5_li,"axG",@progbits,_ZL20rocblas_gemvn_kernelILi32ELi16El16rocblas_bfloat16ffEviiT3_lPKT2_lT1_lS4_lS5_lS1_lPT4_lS5_li,comdat
.Lfunc_end637:
	.size	_ZL20rocblas_gemvn_kernelILi32ELi16El16rocblas_bfloat16ffEviiT3_lPKT2_lT1_lS4_lS5_lS1_lPT4_lS5_li, .Lfunc_end637-_ZL20rocblas_gemvn_kernelILi32ELi16El16rocblas_bfloat16ffEviiT3_lPKT2_lT1_lS4_lS5_lS1_lPT4_lS5_li
                                        ; -- End function
	.section	.AMDGPU.csdata,"",@progbits
; Kernel info:
; codeLenInByte = 2868
; NumSgprs: 59
; NumVgprs: 51
; NumAgprs: 0
; TotalNumVgprs: 51
; ScratchSize: 0
; MemoryBound: 0
; FloatMode: 240
; IeeeMode: 1
; LDSByteSize: 8192 bytes/workgroup (compile time only)
; SGPRBlocks: 7
; VGPRBlocks: 6
; NumSGPRsForWavesPerEU: 59
; NumVGPRsForWavesPerEU: 51
; AccumOffset: 52
; Occupancy: 8
; WaveLimiterHint : 1
; COMPUTE_PGM_RSRC2:SCRATCH_EN: 0
; COMPUTE_PGM_RSRC2:USER_SGPR: 2
; COMPUTE_PGM_RSRC2:TRAP_HANDLER: 0
; COMPUTE_PGM_RSRC2:TGID_X_EN: 1
; COMPUTE_PGM_RSRC2:TGID_Y_EN: 0
; COMPUTE_PGM_RSRC2:TGID_Z_EN: 1
; COMPUTE_PGM_RSRC2:TIDIG_COMP_CNT: 1
; COMPUTE_PGM_RSRC3_GFX90A:ACCUM_OFFSET: 12
; COMPUTE_PGM_RSRC3_GFX90A:TG_SPLIT: 0
	.section	.text._ZL20rocblas_gemvn_kernelILi64ELi16Ei16rocblas_bfloat16PKffEviiT3_lPKT2_lT1_lS6_lS7_lS3_lPT4_lS7_li,"axG",@progbits,_ZL20rocblas_gemvn_kernelILi64ELi16Ei16rocblas_bfloat16PKffEviiT3_lPKT2_lT1_lS6_lS7_lS3_lPT4_lS7_li,comdat
	.globl	_ZL20rocblas_gemvn_kernelILi64ELi16Ei16rocblas_bfloat16PKffEviiT3_lPKT2_lT1_lS6_lS7_lS3_lPT4_lS7_li ; -- Begin function _ZL20rocblas_gemvn_kernelILi64ELi16Ei16rocblas_bfloat16PKffEviiT3_lPKT2_lT1_lS6_lS7_lS3_lPT4_lS7_li
	.p2align	8
	.type	_ZL20rocblas_gemvn_kernelILi64ELi16Ei16rocblas_bfloat16PKffEviiT3_lPKT2_lT1_lS6_lS7_lS3_lPT4_lS7_li,@function
_ZL20rocblas_gemvn_kernelILi64ELi16Ei16rocblas_bfloat16PKffEviiT3_lPKT2_lT1_lS6_lS7_lS3_lPT4_lS7_li: ; @_ZL20rocblas_gemvn_kernelILi64ELi16Ei16rocblas_bfloat16PKffEviiT3_lPKT2_lT1_lS6_lS7_lS3_lPT4_lS7_li
; %bb.0:
	s_load_dwordx2 s[4:5], s[0:1], 0x9c
	s_waitcnt lgkmcnt(0)
	s_lshr_b32 s6, s4, 16
	s_and_b32 s4, s4, 0xffff
	s_and_b32 s5, s5, 0xffff
	s_mul_i32 s4, s6, s4
	s_mul_i32 s4, s4, s5
	s_cmpk_lg_i32 s4, 0x400
	s_cbranch_scc1 .LBB638_50
; %bb.1:
	s_load_dwordx8 s[12:19], s[0:1], 0x8
	s_load_dwordx8 s[4:11], s[0:1], 0x50
	s_waitcnt lgkmcnt(0)
	s_mul_i32 s15, s3, s15
	s_mul_hi_u32 s20, s3, s14
	s_mul_i32 s14, s3, s14
	s_add_i32 s15, s20, s15
	s_lshl_b64 s[14:15], s[14:15], 2
	s_add_u32 s12, s12, s14
	s_addc_u32 s13, s13, s15
	s_mul_i32 s9, s3, s9
	s_load_dword s29, s[12:13], 0x0
	s_mul_hi_u32 s12, s3, s8
	s_add_i32 s9, s12, s9
	s_mul_i32 s8, s3, s8
	s_lshl_b64 s[8:9], s[8:9], 2
	s_add_u32 s6, s6, s8
	s_addc_u32 s7, s7, s9
	s_load_dword s28, s[6:7], 0x0
	s_waitcnt lgkmcnt(0)
	v_cmp_eq_f32_e64 s[6:7], s29, 0
	v_cmp_eq_f32_e64 s[8:9], s28, 1.0
	s_and_b64 s[6:7], s[6:7], s[8:9]
	s_and_b64 vcc, exec, s[6:7]
	s_cbranch_vccnz .LBB638_50
; %bb.2:
	s_load_dwordx2 s[6:7], s[0:1], 0x80
	s_load_dword s30, s[0:1], 0x78
	s_load_dwordx2 s[8:9], s[0:1], 0x70
	s_load_dwordx2 s[12:13], s[0:1], 0x0
	v_and_b32_e32 v2, 0x3ff, v0
	s_waitcnt lgkmcnt(0)
	s_mul_i32 s7, s3, s7
	s_mul_hi_u32 s14, s3, s6
	s_add_i32 s7, s14, s7
	s_mul_i32 s6, s3, s6
	s_lshl_b64 s[6:7], s[6:7], 2
	s_add_u32 s10, s10, s6
	s_addc_u32 s11, s11, s7
	s_lshl_b64 s[6:7], s[8:9], 2
	s_add_u32 s8, s10, s6
	s_addc_u32 s9, s11, s7
	v_bfe_u32 v18, v0, 10, 10
	v_cmp_neq_f32_e64 s[6:7], s29, 0
	v_lshl_add_u32 v3, v18, 6, v2
	s_and_b64 vcc, exec, s[6:7]
	s_cbranch_vccnz .LBB638_9
; %bb.3:
	s_movk_i32 s6, 0x100
	v_cmp_gt_u32_e32 vcc, s6, v3
	s_mov_b64 s[6:7], 0
	s_mov_b64 s[10:11], 0
                                        ; implicit-def: $vgpr1
                                        ; implicit-def: $vgpr4_vgpr5
	s_and_saveexec_b64 s[14:15], vcc
	s_cbranch_execz .LBB638_10
; %bb.4:
	v_lshl_or_b32 v0, s2, 8, v3
	v_mov_b32_e32 v1, 0
	s_ashr_i32 s11, s12, 31
	s_mov_b32 s10, s12
	v_cmp_gt_i64_e32 vcc, s[10:11], v[0:1]
	s_mov_b64 s[20:21], 0
                                        ; implicit-def: $vgpr4_vgpr5
	s_and_saveexec_b64 s[10:11], vcc
	s_cbranch_execz .LBB638_8
; %bb.5:
	v_mad_u64_u32 v[4:5], s[22:23], s30, v0, 0
	s_ashr_i32 s24, s30, 31
	v_mov_b32_e32 v6, v5
	v_cmp_eq_f32_e64 s[20:21], s28, 0
	v_mad_u64_u32 v[6:7], s[22:23], s24, v0, v[6:7]
	v_mov_b32_e32 v5, v6
	s_and_b64 vcc, exec, s[20:21]
	s_cbranch_vccnz .LBB638_7
; %bb.6:
	v_lshl_add_u64 v[0:1], v[4:5], 2, s[8:9]
	global_load_dword v0, v[0:1], off
	s_waitcnt vmcnt(0)
	v_mul_f32_e32 v1, s28, v0
.LBB638_7:
	s_mov_b64 s[20:21], exec
.LBB638_8:
	s_or_b64 exec, exec, s[10:11]
	s_and_b64 s[10:11], s[20:21], exec
	s_or_b64 exec, exec, s[14:15]
	s_and_b64 vcc, exec, s[6:7]
	s_cbranch_vccnz .LBB638_11
	s_branch .LBB638_48
.LBB638_9:
	s_mov_b64 s[10:11], 0
                                        ; implicit-def: $vgpr1
                                        ; implicit-def: $vgpr4_vgpr5
	s_cbranch_execnz .LBB638_11
	s_branch .LBB638_48
.LBB638_10:
	s_or_b64 exec, exec, s[14:15]
	s_and_b64 vcc, exec, s[6:7]
	s_cbranch_vccz .LBB638_48
.LBB638_11:
	s_load_dwordx4 s[20:23], s[0:1], 0x30
	s_load_dword s33, s[0:1], 0x28
	s_load_dwordx2 s[6:7], s[0:1], 0x40
	s_load_dword s34, s[0:1], 0x48
	v_lshlrev_b32_e32 v24, 2, v18
	s_waitcnt lgkmcnt(0)
	s_mul_i32 s0, s3, s21
	s_mul_hi_u32 s1, s3, s20
	s_add_i32 s1, s1, s0
	s_mul_i32 s0, s3, s20
	s_lshl_b64 s[0:1], s[0:1], 1
	s_add_u32 s14, s16, s0
	s_addc_u32 s15, s17, s1
	s_lshl_b64 s[0:1], s[18:19], 1
	s_add_u32 s14, s14, s0
	s_addc_u32 s15, s15, s1
	s_mul_i32 s0, s3, s5
	s_mul_hi_u32 s1, s3, s4
	s_add_i32 s1, s1, s0
	s_mul_i32 s0, s3, s4
	s_lshl_b64 s[0:1], s[0:1], 1
	s_add_u32 s3, s22, s0
	s_addc_u32 s4, s23, s1
	s_lshl_b64 s[0:1], s[6:7], 1
	s_add_u32 s16, s3, s0
	s_addc_u32 s17, s4, s1
	s_ashr_i32 s0, s13, 31
	s_lshr_b32 s0, s0, 26
	s_add_i32 s35, s13, s0
	s_lshl_b32 s31, s2, 8
	s_andn2_b32 s35, s35, 63
	v_add_u32_e32 v23, s31, v2
	v_cmp_gt_i32_e32 vcc, s35, v24
	v_mov_b32_e32 v19, 0
	v_mov_b32_e32 v20, 0
	;; [unrolled: 1-line block ×4, first 2 shown]
	s_and_saveexec_b64 s[18:19], vcc
	s_cbranch_execz .LBB638_23
; %bb.12:
	v_add_u32_e32 v0, 64, v23
	v_cmp_gt_i32_e64 s[0:1], s12, v0
	v_add_u32_e32 v0, 0x80, v23
	v_cmp_gt_i32_e64 s[2:3], s12, v0
	;; [unrolled: 2-line block ×3, first 2 shown]
	v_mul_lo_u32 v0, s33, v24
	v_add_u32_e32 v6, 2, v24
	v_add_u32_e32 v7, 3, v24
	v_add3_u32 v25, v0, s33, v2
	v_mad_u64_u32 v[0:1], s[6:7], s33, v6, v[2:3]
	v_mad_u64_u32 v[4:5], s[6:7], s33, v7, v[2:3]
	v_mul_lo_u32 v1, v18, s33
	v_mul_lo_u32 v5, s34, v24
	;; [unrolled: 1-line block ×4, first 2 shown]
	v_cmp_gt_i32_e32 vcc, s12, v23
	s_lshl_b32 s36, s33, 6
	v_lshl_add_u32 v1, v1, 2, v2
	v_add_u32_e32 v5, s34, v5
	s_lshl_b32 s37, s34, 6
	v_mul_lo_u32 v27, s34, v7
	v_lshlrev_b32_e32 v28, 2, v6
	s_mov_b32 s38, 0
	s_mov_b64 s[20:21], 0
	v_mov_b32_e32 v19, 0
	v_mov_b32_e32 v20, 0
	;; [unrolled: 1-line block ×4, first 2 shown]
	s_branch .LBB638_17
.LBB638_13:                             ;   in Loop: Header=BB638_17 Depth=1
	s_or_b64 exec, exec, s[26:27]
	s_waitcnt vmcnt(3)
	v_lshlrev_b32_e32 v10, 16, v40
	v_fmac_f32_e32 v21, v8, v10
	s_waitcnt vmcnt(2)
	v_lshlrev_b32_e32 v10, 16, v39
	v_fmac_f32_e32 v21, v9, v10
	s_waitcnt vmcnt(1)
	v_lshlrev_b32_e32 v10, 16, v38
	v_fmac_f32_e32 v21, v6, v10
	s_waitcnt vmcnt(0)
	v_lshlrev_b32_e32 v10, 16, v37
	v_fmac_f32_e32 v21, v7, v10
.LBB638_14:                             ;   in Loop: Header=BB638_17 Depth=1
	s_or_b64 exec, exec, s[24:25]
	s_waitcnt vmcnt(3)
	v_lshlrev_b32_e32 v10, 16, v36
	v_fmac_f32_e32 v20, v8, v10
	s_waitcnt vmcnt(2)
	v_lshlrev_b32_e32 v10, 16, v35
	v_fmac_f32_e32 v20, v9, v10
	;; [unrolled: 3-line block ×4, first 2 shown]
.LBB638_15:                             ;   in Loop: Header=BB638_17 Depth=1
	s_or_b64 exec, exec, s[22:23]
	s_waitcnt vmcnt(3)
	v_lshlrev_b32_e32 v10, 16, v32
	v_fmac_f32_e32 v19, v8, v10
	s_waitcnt vmcnt(2)
	v_lshlrev_b32_e32 v8, 16, v31
	v_fmac_f32_e32 v19, v9, v8
	s_waitcnt vmcnt(1)
	v_lshlrev_b32_e32 v8, 16, v30
	v_fmac_f32_e32 v19, v6, v8
	s_waitcnt vmcnt(0)
	v_lshlrev_b32_e32 v6, 16, v29
	v_fmac_f32_e32 v19, v7, v6
.LBB638_16:                             ;   in Loop: Header=BB638_17 Depth=1
	s_or_b64 exec, exec, s[6:7]
	v_add_u32_e32 v24, 64, v24
	s_add_i32 s38, s38, s37
	v_cmp_le_i32_e64 s[6:7], s35, v24
	v_add_u32_e32 v25, s36, v25
	v_add_u32_e32 v0, s36, v0
	v_add_u32_e32 v4, s36, v4
	s_or_b64 s[20:21], s[6:7], s[20:21]
	v_add_u32_e32 v1, s36, v1
	s_andn2_b64 exec, exec, s[20:21]
	s_cbranch_execz .LBB638_22
.LBB638_17:                             ; =>This Inner Loop Header: Depth=1
	s_and_saveexec_b64 s[6:7], vcc
	s_cbranch_execz .LBB638_16
; %bb.18:                               ;   in Loop: Header=BB638_17 Depth=1
	v_add_u32_e32 v6, s38, v28
	v_ashrrev_i32_e32 v7, 31, v6
	v_add_u32_e32 v8, s38, v5
	v_add_u32_e32 v10, s38, v26
	;; [unrolled: 1-line block ×3, first 2 shown]
	v_lshl_add_u64 v[6:7], v[6:7], 1, s[16:17]
	v_ashrrev_i32_e32 v9, 31, v8
	v_ashrrev_i32_e32 v11, 31, v10
	;; [unrolled: 1-line block ×3, first 2 shown]
	v_lshl_add_u64 v[8:9], v[8:9], 1, s[16:17]
	v_lshl_add_u64 v[10:11], v[10:11], 1, s[16:17]
	;; [unrolled: 1-line block ×3, first 2 shown]
	global_load_ushort v33, v[6:7], off
	global_load_ushort v34, v[8:9], off
	;; [unrolled: 1-line block ×4, first 2 shown]
	v_add_u32_e32 v6, s31, v1
	v_ashrrev_i32_e32 v7, 31, v6
	v_lshl_add_u64 v[10:11], v[6:7], 1, s[14:15]
	v_add_u32_e32 v6, s31, v25
	v_ashrrev_i32_e32 v7, 31, v6
	v_lshl_add_u64 v[12:13], v[6:7], 1, s[14:15]
	;; [unrolled: 3-line block ×4, first 2 shown]
	global_load_ushort v32, v[10:11], off
	global_load_ushort v31, v[12:13], off
	global_load_ushort v30, v[14:15], off
	global_load_ushort v29, v[16:17], off
	s_waitcnt vmcnt(7)
	v_lshlrev_b32_e32 v8, 16, v33
	s_waitcnt vmcnt(6)
	v_lshlrev_b32_e32 v9, 16, v34
	;; [unrolled: 2-line block ×4, first 2 shown]
	s_and_saveexec_b64 s[22:23], s[0:1]
	s_cbranch_execz .LBB638_15
; %bb.19:                               ;   in Loop: Header=BB638_17 Depth=1
	global_load_ushort v36, v[10:11], off offset:128
	global_load_ushort v35, v[12:13], off offset:128
	global_load_ushort v34, v[14:15], off offset:128
	global_load_ushort v33, v[16:17], off offset:128
	s_and_saveexec_b64 s[24:25], s[2:3]
	s_cbranch_execz .LBB638_14
; %bb.20:                               ;   in Loop: Header=BB638_17 Depth=1
	global_load_ushort v40, v[10:11], off offset:256
	global_load_ushort v39, v[12:13], off offset:256
	global_load_ushort v38, v[14:15], off offset:256
	global_load_ushort v37, v[16:17], off offset:256
	;; [unrolled: 7-line block ×3, first 2 shown]
	s_waitcnt vmcnt(3)
	v_lshlrev_b32_e32 v11, 16, v41
	s_waitcnt vmcnt(2)
	v_lshlrev_b32_e32 v10, 16, v42
	v_pk_mul_f32 v[10:11], v[8:9], v[10:11]
	s_waitcnt vmcnt(1)
	v_lshlrev_b32_e32 v13, 16, v43
	s_waitcnt vmcnt(0)
	v_lshlrev_b32_e32 v12, 16, v44
	v_add_f32_e32 v10, v22, v10
	v_add_f32_e32 v14, v10, v11
	v_pk_mul_f32 v[10:11], v[6:7], v[12:13]
	s_nop 0
	v_add_f32_e32 v10, v14, v10
	v_add_f32_e32 v22, v10, v11
	s_branch .LBB638_13
.LBB638_22:
	s_or_b64 exec, exec, s[20:21]
.LBB638_23:
	s_or_b64 exec, exec, s[18:19]
	s_sub_i32 s0, s13, s35
	s_cmp_lt_i32 s0, 1
	s_cbranch_scc1 .LBB638_41
; %bb.24:
	v_cmp_gt_i32_e32 vcc, s13, v24
	v_mov_b32_e32 v10, 0
	v_or_b32_e32 v4, 1, v24
	v_mov_b32_e32 v11, 0
	v_mov_b32_e32 v12, 0
	;; [unrolled: 1-line block ×3, first 2 shown]
	s_and_saveexec_b64 s[2:3], vcc
	s_cbranch_execz .LBB638_32
; %bb.25:
	v_mul_lo_u32 v0, v24, s34
	v_ashrrev_i32_e32 v1, 31, v0
	v_lshl_add_u64 v[0:1], v[0:1], 1, s[16:17]
	global_load_ushort v0, v[0:1], off
	v_cmp_gt_i32_e64 s[0:1], s13, v4
	v_mov_b32_e32 v12, 0
	v_mov_b32_e32 v11, 0
	v_mov_b32_e32 v10, 0
	s_and_saveexec_b64 s[4:5], s[0:1]
	s_cbranch_execz .LBB638_31
; %bb.26:
	v_mul_lo_u32 v6, v4, s34
	v_ashrrev_i32_e32 v7, 31, v6
	v_lshl_add_u64 v[6:7], v[6:7], 1, s[16:17]
	global_load_ushort v1, v[6:7], off
	v_or_b32_e32 v5, 2, v24
	v_cmp_gt_i32_e64 s[0:1], s13, v5
	v_mov_b32_e32 v11, 0
	v_mov_b32_e32 v10, 0
	s_and_saveexec_b64 s[6:7], s[0:1]
	s_cbranch_execz .LBB638_30
; %bb.27:
	v_mul_lo_u32 v6, v5, s34
	v_ashrrev_i32_e32 v7, 31, v6
	v_lshl_add_u64 v[6:7], v[6:7], 1, s[16:17]
	global_load_ushort v5, v[6:7], off
	v_or_b32_e32 v6, 3, v24
	v_cmp_gt_i32_e64 s[0:1], s13, v6
	v_mov_b32_e32 v10, 0
	s_and_saveexec_b64 s[18:19], s[0:1]
	s_cbranch_execz .LBB638_29
; %bb.28:
	v_mul_lo_u32 v6, v6, s34
	v_ashrrev_i32_e32 v7, 31, v6
	v_lshl_add_u64 v[6:7], v[6:7], 1, s[16:17]
	global_load_ushort v6, v[6:7], off
	s_waitcnt vmcnt(0)
	v_lshlrev_b32_e32 v10, 16, v6
.LBB638_29:
	s_or_b64 exec, exec, s[18:19]
	s_waitcnt vmcnt(0)
	v_lshlrev_b32_e32 v11, 16, v5
.LBB638_30:
	s_or_b64 exec, exec, s[6:7]
	s_waitcnt vmcnt(0)
	v_lshlrev_b32_e32 v12, 16, v1
.LBB638_31:
	s_or_b64 exec, exec, s[4:5]
	s_waitcnt vmcnt(0)
	v_lshlrev_b32_e32 v13, 16, v0
.LBB638_32:
	s_or_b64 exec, exec, s[2:3]
	v_cmp_gt_i32_e64 s[0:1], s12, v23
	s_and_saveexec_b64 s[2:3], s[0:1]
	s_cbranch_execz .LBB638_40
; %bb.33:
	v_mul_lo_u32 v0, v24, s33
	v_cndmask_b32_e32 v0, 0, v0, vcc
	v_mul_lo_u32 v5, v4, s33
	v_cmp_gt_i32_e32 vcc, s13, v4
	v_or_b32_e32 v6, 2, v24
	v_add_u32_e32 v0, v0, v23
	v_cndmask_b32_e32 v4, 0, v5, vcc
	v_mul_lo_u32 v7, v6, s33
	v_cmp_gt_i32_e32 vcc, s13, v6
	v_or_b32_e32 v8, 3, v24
	v_ashrrev_i32_e32 v1, 31, v0
	v_add_u32_e32 v4, v4, v23
	v_cndmask_b32_e32 v6, 0, v7, vcc
	v_mul_lo_u32 v9, v8, s33
	v_cmp_gt_i32_e32 vcc, s13, v8
	v_lshl_add_u64 v[0:1], v[0:1], 1, s[14:15]
	v_ashrrev_i32_e32 v5, 31, v4
	v_add_u32_e32 v6, v6, v23
	v_cndmask_b32_e32 v8, 0, v9, vcc
	v_lshl_add_u64 v[4:5], v[4:5], 1, s[14:15]
	v_ashrrev_i32_e32 v7, 31, v6
	v_add_u32_e32 v8, v8, v23
	global_load_ushort v14, v[0:1], off
	global_load_ushort v15, v[4:5], off
	v_lshl_add_u64 v[6:7], v[6:7], 1, s[14:15]
	v_ashrrev_i32_e32 v9, 31, v8
	v_lshl_add_u64 v[8:9], v[8:9], 1, s[14:15]
	global_load_ushort v16, v[6:7], off
	global_load_ushort v17, v[8:9], off
	v_add_u32_e32 v24, 64, v23
	v_cmp_gt_i32_e32 vcc, s12, v24
	s_waitcnt vmcnt(3)
	v_lshlrev_b32_e32 v14, 16, v14
	s_waitcnt vmcnt(2)
	v_lshlrev_b32_e32 v15, 16, v15
	v_fmac_f32_e32 v19, v13, v14
	v_fmac_f32_e32 v19, v12, v15
	s_waitcnt vmcnt(1)
	v_lshlrev_b32_e32 v16, 16, v16
	s_waitcnt vmcnt(0)
	v_lshlrev_b32_e32 v14, 16, v17
	v_fmac_f32_e32 v19, v11, v16
	s_and_saveexec_b64 s[0:1], vcc
	s_cbranch_execz .LBB638_39
; %bb.34:
	global_load_ushort v15, v[0:1], off offset:128
	global_load_ushort v16, v[4:5], off offset:128
	;; [unrolled: 1-line block ×4, first 2 shown]
	v_add_u32_e32 v25, 0x80, v23
	v_cmp_gt_i32_e32 vcc, s12, v25
	s_waitcnt vmcnt(3)
	v_lshlrev_b32_e32 v26, 16, v15
	s_waitcnt vmcnt(2)
	v_lshlrev_b32_e32 v16, 16, v16
	v_fmac_f32_e32 v20, v13, v26
	s_waitcnt vmcnt(1)
	v_lshlrev_b32_e32 v17, 16, v17
	v_fmac_f32_e32 v20, v12, v16
	;; [unrolled: 3-line block ×3, first 2 shown]
	s_and_saveexec_b64 s[4:5], vcc
	s_cbranch_execz .LBB638_38
; %bb.35:
	global_load_ushort v16, v[0:1], off offset:256
	global_load_ushort v17, v[4:5], off offset:256
	;; [unrolled: 1-line block ×4, first 2 shown]
	v_add_u32_e32 v23, 0xc0, v23
	v_cmp_gt_i32_e32 vcc, s12, v23
	s_waitcnt vmcnt(3)
	v_lshlrev_b32_e32 v26, 16, v16
	s_waitcnt vmcnt(2)
	v_lshlrev_b32_e32 v17, 16, v17
	v_fmac_f32_e32 v21, v13, v26
	s_waitcnt vmcnt(1)
	v_lshlrev_b32_e32 v24, 16, v24
	v_fmac_f32_e32 v21, v12, v17
	;; [unrolled: 3-line block ×3, first 2 shown]
	s_and_saveexec_b64 s[6:7], vcc
	s_cbranch_execz .LBB638_37
; %bb.36:
	global_load_ushort v17, v[0:1], off offset:384
	global_load_ushort v23, v[4:5], off offset:384
	global_load_ushort v24, v[6:7], off offset:384
	global_load_ushort v25, v[8:9], off offset:384
	s_waitcnt vmcnt(3)
	v_lshlrev_b32_e32 v0, 16, v17
	s_waitcnt vmcnt(2)
	v_lshlrev_b32_e32 v1, 16, v23
	v_fmac_f32_e32 v22, v13, v0
	s_waitcnt vmcnt(1)
	v_lshlrev_b32_e32 v4, 16, v24
	v_fmac_f32_e32 v22, v12, v1
	v_fmac_f32_e32 v22, v11, v4
	s_waitcnt vmcnt(0)
	v_lshlrev_b32_e32 v0, 16, v25
	v_fmac_f32_e32 v22, v10, v0
.LBB638_37:
	s_or_b64 exec, exec, s[6:7]
	v_fmac_f32_e32 v21, v10, v16
.LBB638_38:
	s_or_b64 exec, exec, s[4:5]
	v_fmac_f32_e32 v20, v10, v15
.LBB638_39:
	s_or_b64 exec, exec, s[0:1]
	v_fmac_f32_e32 v19, v10, v14
.LBB638_40:
	s_or_b64 exec, exec, s[2:3]
.LBB638_41:
	v_lshlrev_b32_e32 v0, 8, v18
	s_movk_i32 s0, 0x100
	v_add_lshl_u32 v0, v0, v2, 2
	v_cmp_gt_u32_e32 vcc, s0, v3
	ds_write2st64_b32 v0, v19, v20 offset1:1
	ds_write2st64_b32 v0, v21, v22 offset0:2 offset1:3
	s_waitcnt lgkmcnt(0)
	s_barrier
	s_waitcnt lgkmcnt(0)
                                        ; implicit-def: $vgpr1
                                        ; implicit-def: $vgpr4_vgpr5
	s_and_saveexec_b64 s[0:1], vcc
	s_cbranch_execz .LBB638_47
; %bb.42:
	v_lshlrev_b32_e32 v2, 2, v3
	ds_read2st64_b32 v[0:1], v2 offset1:4
	ds_read2st64_b32 v[4:5], v2 offset0:8 offset1:12
	ds_read2st64_b32 v[6:7], v2 offset0:16 offset1:20
	;; [unrolled: 1-line block ×4, first 2 shown]
	s_waitcnt lgkmcnt(4)
	v_add_f32_e32 v0, v0, v1
	s_waitcnt lgkmcnt(3)
	v_add_f32_e32 v0, v4, v0
	v_add_f32_e32 v0, v5, v0
	s_waitcnt lgkmcnt(2)
	v_add_f32_e32 v0, v6, v0
	;; [unrolled: 3-line block ×3, first 2 shown]
	v_add_f32_e32 v4, v9, v0
	ds_read2st64_b32 v[0:1], v2 offset0:40 offset1:44
	s_waitcnt lgkmcnt(1)
	v_add_f32_e32 v6, v10, v4
	ds_read2st64_b32 v[4:5], v2 offset0:48 offset1:52
	v_add_f32_e32 v8, v11, v6
	ds_read2st64_b32 v[6:7], v2 offset0:56 offset1:60
	s_waitcnt lgkmcnt(2)
	v_add_f32_e32 v0, v0, v8
	v_add_f32_e32 v0, v1, v0
	s_waitcnt lgkmcnt(1)
	v_add_f32_e32 v0, v4, v0
	v_add_f32_e32 v0, v5, v0
	;; [unrolled: 3-line block ×3, first 2 shown]
	ds_write_b32 v2, v0
	v_or_b32_e32 v2, s31, v3
	v_cmp_gt_i32_e32 vcc, s12, v2
	s_mov_b64 s[4:5], s[10:11]
                                        ; implicit-def: $vgpr1
                                        ; implicit-def: $vgpr4_vgpr5
	s_and_saveexec_b64 s[2:3], vcc
	s_cbranch_execz .LBB638_46
; %bb.43:
	v_cmp_eq_f32_e64 s[4:5], s28, 0
	v_mul_lo_u32 v4, v2, s30
	v_mul_f32_e32 v1, s29, v0
	v_ashrrev_i32_e32 v5, 31, v4
	s_and_b64 vcc, exec, s[4:5]
	s_cbranch_vccnz .LBB638_45
; %bb.44:
	v_lshl_add_u64 v[2:3], v[4:5], 2, s[8:9]
	global_load_dword v0, v[2:3], off
	s_waitcnt vmcnt(0)
	v_fmac_f32_e32 v1, s28, v0
.LBB638_45:
	s_or_b64 s[4:5], s[10:11], exec
.LBB638_46:
	s_or_b64 exec, exec, s[2:3]
	s_andn2_b64 s[2:3], s[10:11], exec
	s_and_b64 s[4:5], s[4:5], exec
	s_or_b64 s[10:11], s[2:3], s[4:5]
.LBB638_47:
	s_or_b64 exec, exec, s[0:1]
.LBB638_48:
	s_and_saveexec_b64 s[0:1], s[10:11]
	s_cbranch_execz .LBB638_50
; %bb.49:
	v_lshl_add_u64 v[2:3], v[4:5], 2, s[8:9]
	global_store_dword v[2:3], v1, off
.LBB638_50:
	s_endpgm
	.section	.rodata,"a",@progbits
	.p2align	6, 0x0
	.amdhsa_kernel _ZL20rocblas_gemvn_kernelILi64ELi16Ei16rocblas_bfloat16PKffEviiT3_lPKT2_lT1_lS6_lS7_lS3_lPT4_lS7_li
		.amdhsa_group_segment_fixed_size 16384
		.amdhsa_private_segment_fixed_size 0
		.amdhsa_kernarg_size 400
		.amdhsa_user_sgpr_count 2
		.amdhsa_user_sgpr_dispatch_ptr 0
		.amdhsa_user_sgpr_queue_ptr 0
		.amdhsa_user_sgpr_kernarg_segment_ptr 1
		.amdhsa_user_sgpr_dispatch_id 0
		.amdhsa_user_sgpr_kernarg_preload_length 0
		.amdhsa_user_sgpr_kernarg_preload_offset 0
		.amdhsa_user_sgpr_private_segment_size 0
		.amdhsa_uses_dynamic_stack 0
		.amdhsa_enable_private_segment 0
		.amdhsa_system_sgpr_workgroup_id_x 1
		.amdhsa_system_sgpr_workgroup_id_y 0
		.amdhsa_system_sgpr_workgroup_id_z 1
		.amdhsa_system_sgpr_workgroup_info 0
		.amdhsa_system_vgpr_workitem_id 1
		.amdhsa_next_free_vgpr 45
		.amdhsa_next_free_sgpr 39
		.amdhsa_accum_offset 48
		.amdhsa_reserve_vcc 1
		.amdhsa_float_round_mode_32 0
		.amdhsa_float_round_mode_16_64 0
		.amdhsa_float_denorm_mode_32 3
		.amdhsa_float_denorm_mode_16_64 3
		.amdhsa_dx10_clamp 1
		.amdhsa_ieee_mode 1
		.amdhsa_fp16_overflow 0
		.amdhsa_tg_split 0
		.amdhsa_exception_fp_ieee_invalid_op 0
		.amdhsa_exception_fp_denorm_src 0
		.amdhsa_exception_fp_ieee_div_zero 0
		.amdhsa_exception_fp_ieee_overflow 0
		.amdhsa_exception_fp_ieee_underflow 0
		.amdhsa_exception_fp_ieee_inexact 0
		.amdhsa_exception_int_div_zero 0
	.end_amdhsa_kernel
	.section	.text._ZL20rocblas_gemvn_kernelILi64ELi16Ei16rocblas_bfloat16PKffEviiT3_lPKT2_lT1_lS6_lS7_lS3_lPT4_lS7_li,"axG",@progbits,_ZL20rocblas_gemvn_kernelILi64ELi16Ei16rocblas_bfloat16PKffEviiT3_lPKT2_lT1_lS6_lS7_lS3_lPT4_lS7_li,comdat
.Lfunc_end638:
	.size	_ZL20rocblas_gemvn_kernelILi64ELi16Ei16rocblas_bfloat16PKffEviiT3_lPKT2_lT1_lS6_lS7_lS3_lPT4_lS7_li, .Lfunc_end638-_ZL20rocblas_gemvn_kernelILi64ELi16Ei16rocblas_bfloat16PKffEviiT3_lPKT2_lT1_lS6_lS7_lS3_lPT4_lS7_li
                                        ; -- End function
	.section	.AMDGPU.csdata,"",@progbits
; Kernel info:
; codeLenInByte = 2632
; NumSgprs: 45
; NumVgprs: 45
; NumAgprs: 0
; TotalNumVgprs: 45
; ScratchSize: 0
; MemoryBound: 0
; FloatMode: 240
; IeeeMode: 1
; LDSByteSize: 16384 bytes/workgroup (compile time only)
; SGPRBlocks: 5
; VGPRBlocks: 5
; NumSGPRsForWavesPerEU: 45
; NumVGPRsForWavesPerEU: 45
; AccumOffset: 48
; Occupancy: 8
; WaveLimiterHint : 1
; COMPUTE_PGM_RSRC2:SCRATCH_EN: 0
; COMPUTE_PGM_RSRC2:USER_SGPR: 2
; COMPUTE_PGM_RSRC2:TRAP_HANDLER: 0
; COMPUTE_PGM_RSRC2:TGID_X_EN: 1
; COMPUTE_PGM_RSRC2:TGID_Y_EN: 0
; COMPUTE_PGM_RSRC2:TGID_Z_EN: 1
; COMPUTE_PGM_RSRC2:TIDIG_COMP_CNT: 1
; COMPUTE_PGM_RSRC3_GFX90A:ACCUM_OFFSET: 11
; COMPUTE_PGM_RSRC3_GFX90A:TG_SPLIT: 0
	.section	.text._ZL20rocblas_gemvn_kernelILi64ELi16El16rocblas_bfloat16PKffEviiT3_lPKT2_lT1_lS6_lS7_lS3_lPT4_lS7_li,"axG",@progbits,_ZL20rocblas_gemvn_kernelILi64ELi16El16rocblas_bfloat16PKffEviiT3_lPKT2_lT1_lS6_lS7_lS3_lPT4_lS7_li,comdat
	.globl	_ZL20rocblas_gemvn_kernelILi64ELi16El16rocblas_bfloat16PKffEviiT3_lPKT2_lT1_lS6_lS7_lS3_lPT4_lS7_li ; -- Begin function _ZL20rocblas_gemvn_kernelILi64ELi16El16rocblas_bfloat16PKffEviiT3_lPKT2_lT1_lS6_lS7_lS3_lPT4_lS7_li
	.p2align	8
	.type	_ZL20rocblas_gemvn_kernelILi64ELi16El16rocblas_bfloat16PKffEviiT3_lPKT2_lT1_lS6_lS7_lS3_lPT4_lS7_li,@function
_ZL20rocblas_gemvn_kernelILi64ELi16El16rocblas_bfloat16PKffEviiT3_lPKT2_lT1_lS6_lS7_lS3_lPT4_lS7_li: ; @_ZL20rocblas_gemvn_kernelILi64ELi16El16rocblas_bfloat16PKffEviiT3_lPKT2_lT1_lS6_lS7_lS3_lPT4_lS7_li
; %bb.0:
	s_load_dwordx2 s[4:5], s[0:1], 0x9c
	s_waitcnt lgkmcnt(0)
	s_lshr_b32 s6, s4, 16
	s_and_b32 s4, s4, 0xffff
	s_and_b32 s5, s5, 0xffff
	s_mul_i32 s4, s6, s4
	s_mul_i32 s4, s4, s5
	s_cmpk_lg_i32 s4, 0x400
	s_cbranch_scc1 .LBB639_50
; %bb.1:
	s_load_dwordx16 s[36:51], s[0:1], 0x8
	s_load_dwordx16 s[8:23], s[0:1], 0x48
	s_waitcnt lgkmcnt(0)
	s_mul_i32 s5, s3, s39
	s_mul_hi_u32 s6, s3, s38
	s_mul_i32 s4, s3, s38
	s_add_i32 s5, s6, s5
	s_lshl_b64 s[4:5], s[4:5], 2
	s_add_u32 s4, s36, s4
	s_addc_u32 s5, s37, s5
	s_mul_i32 s7, s3, s15
	s_load_dword s52, s[4:5], 0x0
	s_mul_hi_u32 s4, s3, s14
	s_add_i32 s5, s4, s7
	s_mul_i32 s4, s3, s14
	s_lshl_b64 s[4:5], s[4:5], 2
	s_add_u32 s4, s12, s4
	s_addc_u32 s5, s13, s5
	s_load_dword s33, s[4:5], 0x0
	s_waitcnt lgkmcnt(0)
	v_cmp_eq_f32_e64 s[4:5], s52, 0
	v_cmp_eq_f32_e64 s[6:7], s33, 1.0
	s_and_b64 s[4:5], s[4:5], s[6:7]
	s_and_b64 vcc, exec, s[4:5]
	s_cbranch_vccnz .LBB639_50
; %bb.2:
	s_load_dwordx2 s[14:15], s[0:1], 0x0
	s_mul_i32 s0, s3, s23
	s_mul_hi_u32 s1, s3, s22
	s_add_i32 s1, s1, s0
	s_mul_i32 s0, s3, s22
	s_lshl_b64 s[0:1], s[0:1], 2
	s_add_u32 s4, s16, s0
	s_addc_u32 s5, s17, s1
	s_lshl_b64 s[0:1], s[18:19], 2
	s_add_u32 s12, s4, s0
	s_addc_u32 s13, s5, s1
	v_and_b32_e32 v33, 0x3ff, v0
	v_bfe_u32 v34, v0, 10, 10
	v_cmp_neq_f32_e64 s[0:1], s52, 0
	v_lshl_add_u32 v32, v34, 6, v33
	s_and_b64 vcc, exec, s[0:1]
	s_cbranch_vccnz .LBB639_9
; %bb.3:
	s_movk_i32 s0, 0x100
	v_cmp_gt_u32_e32 vcc, s0, v32
	s_mov_b64 s[0:1], 0
	s_mov_b64 s[16:17], 0
                                        ; implicit-def: $vgpr1
                                        ; implicit-def: $vgpr2_vgpr3
	s_and_saveexec_b64 s[4:5], vcc
	s_cbranch_execz .LBB639_10
; %bb.4:
	v_lshl_or_b32 v0, s2, 8, v32
	v_mov_b32_e32 v1, 0
	s_waitcnt lgkmcnt(0)
	s_ashr_i32 s7, s14, 31
	s_mov_b32 s6, s14
	v_cmp_gt_i64_e32 vcc, s[6:7], v[0:1]
                                        ; implicit-def: $vgpr2_vgpr3
	s_and_saveexec_b64 s[6:7], vcc
	s_cbranch_execz .LBB639_8
; %bb.5:
	v_mad_u64_u32 v[2:3], s[18:19], v0, s20, 0
	v_mov_b32_e32 v4, v3
	v_cmp_eq_f32_e64 s[16:17], s33, 0
	v_mad_u64_u32 v[4:5], s[18:19], v0, s21, v[4:5]
	v_mov_b32_e32 v3, v4
	s_and_b64 vcc, exec, s[16:17]
	s_cbranch_vccnz .LBB639_7
; %bb.6:
	v_lshl_add_u64 v[0:1], v[2:3], 2, s[12:13]
	global_load_dword v0, v[0:1], off
	s_waitcnt vmcnt(0)
	v_mul_f32_e32 v1, s33, v0
.LBB639_7:
	s_mov_b64 s[16:17], exec
.LBB639_8:
	s_or_b64 exec, exec, s[6:7]
	s_and_b64 s[16:17], s[16:17], exec
	s_or_b64 exec, exec, s[4:5]
	s_and_b64 vcc, exec, s[0:1]
	s_cbranch_vccnz .LBB639_11
	s_branch .LBB639_48
.LBB639_9:
	s_mov_b64 s[16:17], 0
                                        ; implicit-def: $vgpr1
                                        ; implicit-def: $vgpr2_vgpr3
	s_cbranch_execnz .LBB639_11
	s_branch .LBB639_48
.LBB639_10:
	s_or_b64 exec, exec, s[4:5]
	s_and_b64 vcc, exec, s[0:1]
	s_cbranch_vccz .LBB639_48
.LBB639_11:
	s_mul_i32 s0, s3, s47
	s_mul_hi_u32 s1, s3, s46
	s_add_i32 s19, s1, s0
	s_mul_i32 s0, s3, s11
	s_mul_hi_u32 s1, s3, s10
	s_add_i32 s11, s1, s0
	s_waitcnt lgkmcnt(0)
	s_ashr_i32 s0, s15, 31
	s_lshr_b32 s0, s0, 26
	s_add_i32 s47, s15, s0
	s_mul_i32 s18, s3, s46
	s_lshl_b32 s46, s2, 8
	s_andn2_b32 s47, s47, 63
	v_lshlrev_b32_e32 v39, 2, v34
	s_mul_i32 s10, s3, s10
	v_add_u32_e32 v0, s46, v33
	v_cmp_gt_i32_e32 vcc, s47, v39
	v_mov_b32_e32 v35, 0
	v_mov_b32_e32 v36, 0
	;; [unrolled: 1-line block ×4, first 2 shown]
	s_and_saveexec_b64 s[22:23], vcc
	s_cbranch_execz .LBB639_23
; %bb.12:
	v_add_u32_e32 v2, 64, v0
	v_cmp_gt_i32_e64 s[0:1], s14, v2
	v_add_u32_e32 v2, 0x80, v0
	v_cmp_gt_i32_e64 s[2:3], s14, v2
	;; [unrolled: 2-line block ×3, first 2 shown]
	v_mad_u64_u32 v[2:3], s[6:7], s8, v34, 0
	v_mov_b32_e32 v4, v3
	v_ashrrev_i32_e32 v1, 31, v0
	v_mad_u64_u32 v[4:5], s[6:7], s9, v34, v[4:5]
	v_mov_b32_e32 v3, v4
	v_lshlrev_b64 v[4:5], 1, v[0:1]
	v_lshlrev_b32_e32 v1, 2, v34
	v_or_b32_e32 v11, 3, v1
	v_mad_u64_u32 v[6:7], s[28:29], s44, v11, 0
	v_mov_b32_e32 v8, v7
	v_mad_u64_u32 v[8:9], s[28:29], s45, v11, v[8:9]
	v_mov_b32_e32 v7, v8
	;; [unrolled: 2-line block ×5, first 2 shown]
	v_mad_u64_u32 v[12:13], s[34:35], s45, v34, v[12:13]
	v_or_b32_e32 v17, 2, v1
	v_mov_b32_e32 v11, v12
	v_mad_u64_u32 v[12:13], s[34:35], s44, v17, 0
	v_mov_b32_e32 v14, v13
	v_mad_u64_u32 v[14:15], s[34:35], s45, v17, v[14:15]
	;; [unrolled: 2-line block ×4, first 2 shown]
	v_mov_b32_e32 v15, v16
	v_mov_b64_e32 v[16:17], s[8:9]
	v_mad_u64_u32 v[16:17], s[34:35], s8, v1, v[16:17]
	s_lshl_b64 s[24:25], s[50:51], 1
	s_lshl_b64 s[6:7], s[10:11], 1
	v_mov_b32_e32 v18, v17
	s_add_u32 s6, s48, s6
	v_mad_u64_u32 v[18:19], s[34:35], s9, v1, v[18:19]
	s_addc_u32 s7, s49, s7
	s_lshl_b64 s[26:27], s[8:9], 7
	s_lshl_b64 s[28:29], s[18:19], 1
	;; [unrolled: 1-line block ×3, first 2 shown]
	v_mov_b32_e32 v17, v18
	v_mov_b64_e32 v[18:19], s[44:45]
	v_lshl_add_u64 v[2:3], v[2:3], 3, s[6:7]
	s_add_u32 s30, s40, s30
	v_lshl_add_u64 v[8:9], v[8:9], 1, s[6:7]
	v_lshl_add_u64 v[14:15], v[14:15], 1, s[6:7]
	;; [unrolled: 1-line block ×3, first 2 shown]
	v_mad_u64_u32 v[18:19], s[6:7], s44, v1, v[18:19]
	s_addc_u32 s31, s41, s31
	v_mov_b32_e32 v20, v19
	s_add_u32 s30, s30, s28
	v_mad_u64_u32 v[20:21], s[6:7], s45, v1, v[20:21]
	s_addc_u32 s31, s31, s29
	v_mov_b32_e32 v19, v20
	v_cmp_gt_i32_e32 vcc, s14, v0
	v_lshl_add_u64 v[6:7], v[6:7], 1, s[30:31]
	s_lshl_b64 s[28:29], s[44:45], 7
	v_lshl_add_u64 v[10:11], v[10:11], 3, s[30:31]
	v_lshl_add_u64 v[12:13], v[12:13], 1, s[30:31]
	;; [unrolled: 1-line block ×3, first 2 shown]
	s_mov_b64 s[30:31], 0
	v_mov_b32_e32 v35, 0
	v_mov_b32_e32 v36, 0
	;; [unrolled: 1-line block ×4, first 2 shown]
	s_branch .LBB639_17
.LBB639_13:                             ;   in Loop: Header=BB639_17 Depth=1
	s_or_b64 exec, exec, s[38:39]
	s_waitcnt vmcnt(3)
	v_lshlrev_b32_e32 v24, 16, v50
	v_fmac_f32_e32 v37, v22, v24
	s_waitcnt vmcnt(2)
	v_lshlrev_b32_e32 v24, 16, v49
	v_fmac_f32_e32 v37, v23, v24
	;; [unrolled: 3-line block ×4, first 2 shown]
.LBB639_14:                             ;   in Loop: Header=BB639_17 Depth=1
	s_or_b64 exec, exec, s[36:37]
	s_waitcnt vmcnt(3)
	v_lshlrev_b32_e32 v24, 16, v46
	v_fmac_f32_e32 v36, v22, v24
	s_waitcnt vmcnt(2)
	v_lshlrev_b32_e32 v24, 16, v45
	v_fmac_f32_e32 v36, v23, v24
	;; [unrolled: 3-line block ×4, first 2 shown]
.LBB639_15:                             ;   in Loop: Header=BB639_17 Depth=1
	s_or_b64 exec, exec, s[34:35]
	s_waitcnt vmcnt(3)
	v_lshlrev_b32_e32 v24, 16, v42
	v_fmac_f32_e32 v35, v22, v24
	s_waitcnt vmcnt(2)
	v_lshlrev_b32_e32 v22, 16, v41
	v_fmac_f32_e32 v35, v23, v22
	;; [unrolled: 3-line block ×4, first 2 shown]
.LBB639_16:                             ;   in Loop: Header=BB639_17 Depth=1
	s_or_b64 exec, exec, s[6:7]
	v_add_u32_e32 v39, 64, v39
	v_cmp_le_i32_e64 s[6:7], s47, v39
	v_lshl_add_u64 v[2:3], v[2:3], 0, s[26:27]
	v_lshl_add_u64 v[6:7], v[6:7], 0, s[28:29]
	;; [unrolled: 1-line block ×7, first 2 shown]
	s_or_b64 s[30:31], s[6:7], s[30:31]
	v_lshl_add_u64 v[18:19], v[18:19], 0, s[28:29]
	s_andn2_b64 exec, exec, s[30:31]
	s_cbranch_execz .LBB639_22
.LBB639_17:                             ; =>This Inner Loop Header: Depth=1
	s_and_saveexec_b64 s[6:7], vcc
	s_cbranch_execz .LBB639_16
; %bb.18:                               ;   in Loop: Header=BB639_17 Depth=1
	v_lshl_add_u64 v[20:21], v[2:3], 0, s[24:25]
	v_lshl_add_u64 v[22:23], v[16:17], 0, s[24:25]
	global_load_ushort v43, v[20:21], off
	global_load_ushort v44, v[22:23], off
	v_lshl_add_u64 v[20:21], v[14:15], 0, s[24:25]
	v_lshl_add_u64 v[22:23], v[8:9], 0, s[24:25]
	global_load_ushort v45, v[20:21], off
	global_load_ushort v46, v[22:23], off
	v_lshl_add_u64 v[28:29], v[10:11], 0, v[4:5]
	v_lshl_add_u64 v[30:31], v[18:19], 0, v[4:5]
	;; [unrolled: 1-line block ×4, first 2 shown]
	global_load_ushort v42, v[28:29], off
	global_load_ushort v41, v[30:31], off
	;; [unrolled: 1-line block ×4, first 2 shown]
	s_waitcnt vmcnt(7)
	v_lshlrev_b32_e32 v22, 16, v43
	s_waitcnt vmcnt(6)
	v_lshlrev_b32_e32 v23, 16, v44
	;; [unrolled: 2-line block ×4, first 2 shown]
	s_and_saveexec_b64 s[34:35], s[0:1]
	s_cbranch_execz .LBB639_15
; %bb.19:                               ;   in Loop: Header=BB639_17 Depth=1
	global_load_ushort v46, v[28:29], off offset:128
	global_load_ushort v45, v[30:31], off offset:128
	;; [unrolled: 1-line block ×4, first 2 shown]
	s_and_saveexec_b64 s[36:37], s[2:3]
	s_cbranch_execz .LBB639_14
; %bb.20:                               ;   in Loop: Header=BB639_17 Depth=1
	global_load_ushort v50, v[28:29], off offset:256
	global_load_ushort v49, v[30:31], off offset:256
	;; [unrolled: 1-line block ×4, first 2 shown]
	s_and_saveexec_b64 s[38:39], s[4:5]
	s_cbranch_execz .LBB639_13
; %bb.21:                               ;   in Loop: Header=BB639_17 Depth=1
	global_load_ushort v30, v[30:31], off offset:384
	s_nop 0
	global_load_ushort v28, v[28:29], off offset:384
	s_nop 0
	global_load_ushort v26, v[26:27], off offset:384
	s_nop 0
	global_load_ushort v29, v[24:25], off offset:384
	s_waitcnt vmcnt(3)
	v_lshlrev_b32_e32 v25, 16, v30
	s_waitcnt vmcnt(2)
	v_lshlrev_b32_e32 v24, 16, v28
	v_pk_mul_f32 v[24:25], v[22:23], v[24:25]
	s_waitcnt vmcnt(1)
	v_lshlrev_b32_e32 v27, 16, v26
	s_waitcnt vmcnt(0)
	v_lshlrev_b32_e32 v26, 16, v29
	v_add_f32_e32 v24, v38, v24
	v_add_f32_e32 v28, v24, v25
	v_pk_mul_f32 v[24:25], v[20:21], v[26:27]
	s_nop 0
	v_add_f32_e32 v24, v28, v24
	v_add_f32_e32 v38, v24, v25
	s_branch .LBB639_13
.LBB639_22:
	s_or_b64 exec, exec, s[30:31]
.LBB639_23:
	s_or_b64 exec, exec, s[22:23]
	s_sub_i32 s0, s15, s47
	s_cmp_lt_i32 s0, 1
	s_cbranch_scc1 .LBB639_41
; %bb.24:
	v_cmp_gt_i32_e32 vcc, s15, v39
	v_mov_b32_e32 v10, 0
	v_or_b32_e32 v4, 1, v39
	v_mov_b32_e32 v11, 0
	v_mov_b32_e32 v12, 0
	;; [unrolled: 1-line block ×3, first 2 shown]
	s_and_saveexec_b64 s[2:3], vcc
	s_cbranch_execz .LBB639_32
; %bb.25:
	s_lshl_b64 s[0:1], s[10:11], 1
	s_add_u32 s4, s48, s0
	s_addc_u32 s5, s49, s1
	s_lshl_b64 s[0:1], s[50:51], 1
	s_add_u32 s6, s4, s0
	s_addc_u32 s7, s5, s1
	v_mad_u64_u32 v[2:3], s[0:1], v39, s8, 0
	v_mov_b32_e32 v6, v3
	v_mad_u64_u32 v[6:7], s[0:1], v39, s9, v[6:7]
	v_mov_b32_e32 v3, v6
	v_lshl_add_u64 v[2:3], v[2:3], 1, s[6:7]
	global_load_ushort v1, v[2:3], off
	v_cmp_gt_i32_e64 s[0:1], s15, v4
	v_mov_b32_e32 v12, 0
	v_mov_b32_e32 v11, 0
	;; [unrolled: 1-line block ×3, first 2 shown]
	s_and_saveexec_b64 s[4:5], s[0:1]
	s_cbranch_execz .LBB639_31
; %bb.26:
	v_mad_u64_u32 v[2:3], s[0:1], v4, s8, 0
	v_mov_b32_e32 v6, v3
	v_mad_u64_u32 v[6:7], s[0:1], v4, s9, v[6:7]
	v_mov_b32_e32 v3, v6
	v_lshl_add_u64 v[2:3], v[2:3], 1, s[6:7]
	global_load_ushort v2, v[2:3], off
	v_or_b32_e32 v3, 2, v39
	v_cmp_gt_i32_e64 s[0:1], s15, v3
	v_mov_b32_e32 v11, 0
	v_mov_b32_e32 v10, 0
	s_and_saveexec_b64 s[10:11], s[0:1]
	s_cbranch_execz .LBB639_30
; %bb.27:
	v_mad_u64_u32 v[6:7], s[0:1], v3, s8, 0
	v_mov_b32_e32 v8, v7
	v_mad_u64_u32 v[8:9], s[0:1], v3, s9, v[8:9]
	v_mov_b32_e32 v7, v8
	v_lshl_add_u64 v[6:7], v[6:7], 1, s[6:7]
	global_load_ushort v3, v[6:7], off
	v_or_b32_e32 v5, 3, v39
	v_cmp_gt_i32_e64 s[0:1], s15, v5
	v_mov_b32_e32 v10, 0
	s_and_saveexec_b64 s[22:23], s[0:1]
	s_cbranch_execz .LBB639_29
; %bb.28:
	v_mad_u64_u32 v[6:7], s[0:1], v5, s8, 0
	v_mov_b32_e32 v8, v7
	v_mad_u64_u32 v[8:9], s[0:1], v5, s9, v[8:9]
	v_mov_b32_e32 v7, v8
	v_lshl_add_u64 v[6:7], v[6:7], 1, s[6:7]
	global_load_ushort v5, v[6:7], off
	s_waitcnt vmcnt(0)
	v_lshlrev_b32_e32 v10, 16, v5
.LBB639_29:
	s_or_b64 exec, exec, s[22:23]
	s_waitcnt vmcnt(0)
	v_lshlrev_b32_e32 v11, 16, v3
.LBB639_30:
	s_or_b64 exec, exec, s[10:11]
	s_waitcnt vmcnt(0)
	v_lshlrev_b32_e32 v12, 16, v2
.LBB639_31:
	s_or_b64 exec, exec, s[4:5]
	s_waitcnt vmcnt(0)
	v_lshlrev_b32_e32 v13, 16, v1
.LBB639_32:
	s_or_b64 exec, exec, s[2:3]
	v_cmp_gt_i32_e64 s[0:1], s14, v0
	s_and_saveexec_b64 s[2:3], s[0:1]
	s_cbranch_execz .LBB639_40
; %bb.33:
	s_lshl_b64 s[0:1], s[18:19], 1
	s_add_u32 s4, s40, s0
	s_addc_u32 s5, s41, s1
	s_lshl_b64 s[0:1], s[42:43], 1
	s_add_u32 s0, s4, s0
	s_addc_u32 s1, s5, s1
	v_mad_u64_u32 v[2:3], s[4:5], v39, s44, 0
	v_mov_b32_e32 v6, v3
	v_mad_u64_u32 v[6:7], s[4:5], v39, s45, v[6:7]
	v_ashrrev_i32_e32 v1, 31, v0
	v_cndmask_b32_e32 v3, 0, v6, vcc
	v_mad_u64_u32 v[6:7], s[4:5], v4, s44, 0
	v_cndmask_b32_e32 v2, 0, v2, vcc
	v_lshlrev_b64 v[8:9], 1, v[0:1]
	v_mov_b32_e32 v14, v7
	v_cmp_gt_i32_e32 vcc, s15, v4
	v_or_b32_e32 v1, 2, v39
	v_mad_u64_u32 v[14:15], s[4:5], v4, s45, v[14:15]
	v_cndmask_b32_e32 v4, 0, v6, vcc
	v_mad_u64_u32 v[6:7], s[4:5], v1, s44, 0
	v_cndmask_b32_e32 v5, 0, v14, vcc
	v_mov_b32_e32 v14, v7
	v_mad_u64_u32 v[14:15], s[4:5], v1, s45, v[14:15]
	v_cmp_gt_i32_e32 vcc, s15, v1
	v_or_b32_e32 v1, 3, v39
	v_lshl_add_u64 v[2:3], v[2:3], 1, s[0:1]
	v_cndmask_b32_e32 v7, 0, v14, vcc
	v_mad_u64_u32 v[14:15], s[4:5], v1, s44, 0
	v_mov_b32_e32 v16, v15
	v_cndmask_b32_e32 v6, 0, v6, vcc
	v_mad_u64_u32 v[16:17], s[4:5], v1, s45, v[16:17]
	v_cmp_gt_i32_e32 vcc, s15, v1
	v_lshl_add_u64 v[2:3], v[2:3], 0, v[8:9]
	v_lshl_add_u64 v[4:5], v[4:5], 1, s[0:1]
	v_cndmask_b32_e32 v14, 0, v14, vcc
	v_cndmask_b32_e32 v15, 0, v16, vcc
	v_lshl_add_u64 v[6:7], v[6:7], 1, s[0:1]
	v_lshl_add_u64 v[14:15], v[14:15], 1, s[0:1]
	;; [unrolled: 1-line block ×5, first 2 shown]
	global_load_ushort v1, v[2:3], off
	global_load_ushort v14, v[4:5], off
	;; [unrolled: 1-line block ×4, first 2 shown]
	v_add_u32_e32 v17, 64, v0
	v_cmp_gt_i32_e32 vcc, s14, v17
	s_waitcnt vmcnt(3)
	v_lshlrev_b32_e32 v18, 16, v1
	s_waitcnt vmcnt(2)
	v_lshlrev_b32_e32 v14, 16, v14
	v_fmac_f32_e32 v35, v13, v18
	s_waitcnt vmcnt(1)
	v_lshlrev_b32_e32 v15, 16, v15
	v_fmac_f32_e32 v35, v12, v14
	s_waitcnt vmcnt(0)
	v_lshlrev_b32_e32 v1, 16, v16
	v_fmac_f32_e32 v35, v11, v15
	s_and_saveexec_b64 s[0:1], vcc
	s_cbranch_execz .LBB639_39
; %bb.34:
	global_load_ushort v14, v[2:3], off offset:128
	global_load_ushort v15, v[4:5], off offset:128
	global_load_ushort v16, v[6:7], off offset:128
	global_load_ushort v17, v[8:9], off offset:128
	v_add_u32_e32 v18, 0x80, v0
	v_cmp_gt_i32_e32 vcc, s14, v18
	s_waitcnt vmcnt(3)
	v_lshlrev_b32_e32 v19, 16, v14
	s_waitcnt vmcnt(2)
	v_lshlrev_b32_e32 v15, 16, v15
	v_fmac_f32_e32 v36, v13, v19
	s_waitcnt vmcnt(1)
	v_lshlrev_b32_e32 v16, 16, v16
	v_fmac_f32_e32 v36, v12, v15
	s_waitcnt vmcnt(0)
	v_lshlrev_b32_e32 v14, 16, v17
	v_fmac_f32_e32 v36, v11, v16
	s_and_saveexec_b64 s[4:5], vcc
	s_cbranch_execz .LBB639_38
; %bb.35:
	global_load_ushort v15, v[2:3], off offset:256
	global_load_ushort v16, v[4:5], off offset:256
	global_load_ushort v17, v[6:7], off offset:256
	global_load_ushort v18, v[8:9], off offset:256
	;; [unrolled: 20-line block ×3, first 2 shown]
	s_waitcnt vmcnt(3)
	v_lshlrev_b32_e32 v2, 16, v15
	s_waitcnt vmcnt(2)
	v_lshlrev_b32_e32 v3, 16, v16
	v_fmac_f32_e32 v38, v13, v2
	s_waitcnt vmcnt(1)
	v_lshlrev_b32_e32 v4, 16, v17
	v_fmac_f32_e32 v38, v12, v3
	v_fmac_f32_e32 v38, v11, v4
	s_waitcnt vmcnt(0)
	v_lshlrev_b32_e32 v2, 16, v18
	v_fmac_f32_e32 v38, v10, v2
.LBB639_37:
	s_or_b64 exec, exec, s[6:7]
	v_fmac_f32_e32 v37, v10, v0
.LBB639_38:
	s_or_b64 exec, exec, s[4:5]
	v_fmac_f32_e32 v36, v10, v14
.LBB639_39:
	s_or_b64 exec, exec, s[0:1]
	v_fmac_f32_e32 v35, v10, v1
.LBB639_40:
	s_or_b64 exec, exec, s[2:3]
.LBB639_41:
	v_lshlrev_b32_e32 v0, 8, v34
	s_movk_i32 s0, 0x100
	v_add_lshl_u32 v0, v0, v33, 2
	v_cmp_gt_u32_e32 vcc, s0, v32
	ds_write2st64_b32 v0, v35, v36 offset1:1
	ds_write2st64_b32 v0, v37, v38 offset0:2 offset1:3
	s_waitcnt lgkmcnt(0)
	s_barrier
	s_waitcnt lgkmcnt(0)
                                        ; implicit-def: $vgpr1
                                        ; implicit-def: $vgpr2_vgpr3
	s_and_saveexec_b64 s[0:1], vcc
	s_cbranch_execz .LBB639_47
; %bb.42:
	v_lshlrev_b32_e32 v10, 2, v32
	ds_read2st64_b32 v[0:1], v10 offset1:4
	ds_read2st64_b32 v[2:3], v10 offset0:8 offset1:12
	ds_read2st64_b32 v[4:5], v10 offset0:16 offset1:20
	;; [unrolled: 1-line block ×4, first 2 shown]
	s_waitcnt lgkmcnt(4)
	v_add_f32_e32 v0, v0, v1
	s_waitcnt lgkmcnt(3)
	v_add_f32_e32 v0, v2, v0
	v_add_f32_e32 v0, v3, v0
	s_waitcnt lgkmcnt(2)
	v_add_f32_e32 v0, v4, v0
	;; [unrolled: 3-line block ×3, first 2 shown]
	v_add_f32_e32 v2, v7, v0
	ds_read2st64_b32 v[0:1], v10 offset0:40 offset1:44
	s_waitcnt lgkmcnt(1)
	v_add_f32_e32 v4, v8, v2
	ds_read2st64_b32 v[2:3], v10 offset0:48 offset1:52
	v_add_f32_e32 v6, v9, v4
	ds_read2st64_b32 v[4:5], v10 offset0:56 offset1:60
	s_waitcnt lgkmcnt(2)
	v_add_f32_e32 v0, v0, v6
	v_add_f32_e32 v0, v1, v0
	s_waitcnt lgkmcnt(1)
	v_add_f32_e32 v0, v2, v0
	v_add_f32_e32 v0, v3, v0
	;; [unrolled: 3-line block ×3, first 2 shown]
	v_or_b32_e32 v0, s46, v32
	v_cmp_gt_i32_e32 vcc, s14, v0
	s_mov_b64 s[4:5], s[16:17]
	ds_write_b32 v10, v4
                                        ; implicit-def: $vgpr1
                                        ; implicit-def: $vgpr2_vgpr3
	s_and_saveexec_b64 s[2:3], vcc
	s_cbranch_execz .LBB639_46
; %bb.43:
	v_ashrrev_i32_e32 v2, 31, v0
	v_cmp_eq_f32_e64 s[4:5], s33, 0
	v_mul_f32_e32 v1, s52, v4
	v_mul_lo_u32 v4, v0, s21
	v_mul_lo_u32 v5, v2, s20
	v_mad_u64_u32 v[2:3], s[6:7], v0, s20, 0
	v_add3_u32 v3, v3, v4, v5
	s_and_b64 vcc, exec, s[4:5]
	s_cbranch_vccnz .LBB639_45
; %bb.44:
	v_lshl_add_u64 v[4:5], v[2:3], 2, s[12:13]
	global_load_dword v0, v[4:5], off
	s_waitcnt vmcnt(0)
	v_fmac_f32_e32 v1, s33, v0
.LBB639_45:
	s_or_b64 s[4:5], s[16:17], exec
.LBB639_46:
	s_or_b64 exec, exec, s[2:3]
	s_andn2_b64 s[2:3], s[16:17], exec
	s_and_b64 s[4:5], s[4:5], exec
	s_or_b64 s[16:17], s[2:3], s[4:5]
.LBB639_47:
	s_or_b64 exec, exec, s[0:1]
.LBB639_48:
	s_and_saveexec_b64 s[0:1], s[16:17]
	s_cbranch_execz .LBB639_50
; %bb.49:
	v_lshl_add_u64 v[2:3], v[2:3], 2, s[12:13]
	global_store_dword v[2:3], v1, off
.LBB639_50:
	s_endpgm
	.section	.rodata,"a",@progbits
	.p2align	6, 0x0
	.amdhsa_kernel _ZL20rocblas_gemvn_kernelILi64ELi16El16rocblas_bfloat16PKffEviiT3_lPKT2_lT1_lS6_lS7_lS3_lPT4_lS7_li
		.amdhsa_group_segment_fixed_size 16384
		.amdhsa_private_segment_fixed_size 0
		.amdhsa_kernarg_size 400
		.amdhsa_user_sgpr_count 2
		.amdhsa_user_sgpr_dispatch_ptr 0
		.amdhsa_user_sgpr_queue_ptr 0
		.amdhsa_user_sgpr_kernarg_segment_ptr 1
		.amdhsa_user_sgpr_dispatch_id 0
		.amdhsa_user_sgpr_kernarg_preload_length 0
		.amdhsa_user_sgpr_kernarg_preload_offset 0
		.amdhsa_user_sgpr_private_segment_size 0
		.amdhsa_uses_dynamic_stack 0
		.amdhsa_enable_private_segment 0
		.amdhsa_system_sgpr_workgroup_id_x 1
		.amdhsa_system_sgpr_workgroup_id_y 0
		.amdhsa_system_sgpr_workgroup_id_z 1
		.amdhsa_system_sgpr_workgroup_info 0
		.amdhsa_system_vgpr_workitem_id 1
		.amdhsa_next_free_vgpr 51
		.amdhsa_next_free_sgpr 53
		.amdhsa_accum_offset 52
		.amdhsa_reserve_vcc 1
		.amdhsa_float_round_mode_32 0
		.amdhsa_float_round_mode_16_64 0
		.amdhsa_float_denorm_mode_32 3
		.amdhsa_float_denorm_mode_16_64 3
		.amdhsa_dx10_clamp 1
		.amdhsa_ieee_mode 1
		.amdhsa_fp16_overflow 0
		.amdhsa_tg_split 0
		.amdhsa_exception_fp_ieee_invalid_op 0
		.amdhsa_exception_fp_denorm_src 0
		.amdhsa_exception_fp_ieee_div_zero 0
		.amdhsa_exception_fp_ieee_overflow 0
		.amdhsa_exception_fp_ieee_underflow 0
		.amdhsa_exception_fp_ieee_inexact 0
		.amdhsa_exception_int_div_zero 0
	.end_amdhsa_kernel
	.section	.text._ZL20rocblas_gemvn_kernelILi64ELi16El16rocblas_bfloat16PKffEviiT3_lPKT2_lT1_lS6_lS7_lS3_lPT4_lS7_li,"axG",@progbits,_ZL20rocblas_gemvn_kernelILi64ELi16El16rocblas_bfloat16PKffEviiT3_lPKT2_lT1_lS6_lS7_lS3_lPT4_lS7_li,comdat
.Lfunc_end639:
	.size	_ZL20rocblas_gemvn_kernelILi64ELi16El16rocblas_bfloat16PKffEviiT3_lPKT2_lT1_lS6_lS7_lS3_lPT4_lS7_li, .Lfunc_end639-_ZL20rocblas_gemvn_kernelILi64ELi16El16rocblas_bfloat16PKffEviiT3_lPKT2_lT1_lS6_lS7_lS3_lPT4_lS7_li
                                        ; -- End function
	.section	.AMDGPU.csdata,"",@progbits
; Kernel info:
; codeLenInByte = 2936
; NumSgprs: 59
; NumVgprs: 51
; NumAgprs: 0
; TotalNumVgprs: 51
; ScratchSize: 0
; MemoryBound: 0
; FloatMode: 240
; IeeeMode: 1
; LDSByteSize: 16384 bytes/workgroup (compile time only)
; SGPRBlocks: 7
; VGPRBlocks: 6
; NumSGPRsForWavesPerEU: 59
; NumVGPRsForWavesPerEU: 51
; AccumOffset: 52
; Occupancy: 8
; WaveLimiterHint : 0
; COMPUTE_PGM_RSRC2:SCRATCH_EN: 0
; COMPUTE_PGM_RSRC2:USER_SGPR: 2
; COMPUTE_PGM_RSRC2:TRAP_HANDLER: 0
; COMPUTE_PGM_RSRC2:TGID_X_EN: 1
; COMPUTE_PGM_RSRC2:TGID_Y_EN: 0
; COMPUTE_PGM_RSRC2:TGID_Z_EN: 1
; COMPUTE_PGM_RSRC2:TIDIG_COMP_CNT: 1
; COMPUTE_PGM_RSRC3_GFX90A:ACCUM_OFFSET: 12
; COMPUTE_PGM_RSRC3_GFX90A:TG_SPLIT: 0
	.section	.text._ZL20rocblas_gemvn_kernelILi64ELi16Ei16rocblas_bfloat16ffEviiT3_lPKT2_lT1_lS4_lS5_lS1_lPT4_lS5_li,"axG",@progbits,_ZL20rocblas_gemvn_kernelILi64ELi16Ei16rocblas_bfloat16ffEviiT3_lPKT2_lT1_lS4_lS5_lS1_lPT4_lS5_li,comdat
	.globl	_ZL20rocblas_gemvn_kernelILi64ELi16Ei16rocblas_bfloat16ffEviiT3_lPKT2_lT1_lS4_lS5_lS1_lPT4_lS5_li ; -- Begin function _ZL20rocblas_gemvn_kernelILi64ELi16Ei16rocblas_bfloat16ffEviiT3_lPKT2_lT1_lS4_lS5_lS1_lPT4_lS5_li
	.p2align	8
	.type	_ZL20rocblas_gemvn_kernelILi64ELi16Ei16rocblas_bfloat16ffEviiT3_lPKT2_lT1_lS4_lS5_lS1_lPT4_lS5_li,@function
_ZL20rocblas_gemvn_kernelILi64ELi16Ei16rocblas_bfloat16ffEviiT3_lPKT2_lT1_lS4_lS5_lS1_lPT4_lS5_li: ; @_ZL20rocblas_gemvn_kernelILi64ELi16Ei16rocblas_bfloat16ffEviiT3_lPKT2_lT1_lS4_lS5_lS1_lPT4_lS5_li
; %bb.0:
	s_load_dwordx2 s[4:5], s[0:1], 0x9c
	s_waitcnt lgkmcnt(0)
	s_lshr_b32 s6, s4, 16
	s_and_b32 s4, s4, 0xffff
	s_and_b32 s5, s5, 0xffff
	s_mul_i32 s4, s6, s4
	s_mul_i32 s4, s4, s5
	s_cmpk_lg_i32 s4, 0x400
	s_cbranch_scc1 .LBB640_50
; %bb.1:
	s_load_dwordx4 s[8:11], s[0:1], 0x0
	s_waitcnt lgkmcnt(0)
	s_load_dword s11, s[0:1], 0x58
	v_cmp_eq_f32_e64 s[4:5], s10, 0
	s_waitcnt lgkmcnt(0)
	v_cmp_eq_f32_e64 s[6:7], s11, 1.0
	s_and_b64 s[4:5], s[4:5], s[6:7]
	s_and_b64 vcc, exec, s[4:5]
	s_cbranch_vccnz .LBB640_50
; %bb.2:
	s_load_dwordx2 s[12:13], s[0:1], 0x80
	s_load_dwordx4 s[4:7], s[0:1], 0x68
	s_load_dword s30, s[0:1], 0x78
	v_and_b32_e32 v2, 0x3ff, v0
	v_bfe_u32 v18, v0, 10, 10
	s_waitcnt lgkmcnt(0)
	s_mul_i32 s13, s3, s13
	s_mul_hi_u32 s14, s3, s12
	s_mul_i32 s12, s3, s12
	s_add_i32 s13, s14, s13
	s_lshl_b64 s[12:13], s[12:13], 2
	s_add_u32 s12, s4, s12
	s_addc_u32 s13, s5, s13
	s_lshl_b64 s[4:5], s[6:7], 2
	s_add_u32 s12, s12, s4
	s_addc_u32 s13, s13, s5
	v_cmp_neq_f32_e64 s[4:5], s10, 0
	v_lshl_add_u32 v3, v18, 6, v2
	s_and_b64 vcc, exec, s[4:5]
	s_cbranch_vccnz .LBB640_9
; %bb.3:
	s_movk_i32 s4, 0x100
	v_cmp_gt_u32_e32 vcc, s4, v3
	s_mov_b64 s[4:5], 0
	s_mov_b64 s[14:15], 0
                                        ; implicit-def: $vgpr1
                                        ; implicit-def: $vgpr4_vgpr5
	s_and_saveexec_b64 s[6:7], vcc
	s_cbranch_execz .LBB640_10
; %bb.4:
	v_lshl_or_b32 v0, s2, 8, v3
	v_mov_b32_e32 v1, 0
	s_ashr_i32 s15, s8, 31
	s_mov_b32 s14, s8
	v_cmp_gt_i64_e32 vcc, s[14:15], v[0:1]
	s_mov_b64 s[16:17], 0
                                        ; implicit-def: $vgpr4_vgpr5
	s_and_saveexec_b64 s[14:15], vcc
	s_cbranch_execz .LBB640_8
; %bb.5:
	v_mad_u64_u32 v[4:5], s[18:19], s30, v0, 0
	s_ashr_i32 s20, s30, 31
	v_mov_b32_e32 v6, v5
	v_cmp_eq_f32_e64 s[16:17], s11, 0
	v_mad_u64_u32 v[6:7], s[18:19], s20, v0, v[6:7]
	v_mov_b32_e32 v5, v6
	s_and_b64 vcc, exec, s[16:17]
	s_cbranch_vccnz .LBB640_7
; %bb.6:
	v_lshl_add_u64 v[0:1], v[4:5], 2, s[12:13]
	global_load_dword v0, v[0:1], off
	s_waitcnt vmcnt(0)
	v_mul_f32_e32 v1, s11, v0
.LBB640_7:
	s_mov_b64 s[16:17], exec
.LBB640_8:
	s_or_b64 exec, exec, s[14:15]
	s_and_b64 s[14:15], s[16:17], exec
	s_or_b64 exec, exec, s[6:7]
	s_and_b64 vcc, exec, s[4:5]
	s_cbranch_vccnz .LBB640_11
	s_branch .LBB640_48
.LBB640_9:
	s_mov_b64 s[14:15], 0
                                        ; implicit-def: $vgpr1
                                        ; implicit-def: $vgpr4_vgpr5
	s_cbranch_execnz .LBB640_11
	s_branch .LBB640_48
.LBB640_10:
	s_or_b64 exec, exec, s[6:7]
	s_and_b64 vcc, exec, s[4:5]
	s_cbranch_vccz .LBB640_48
.LBB640_11:
	s_load_dwordx4 s[4:7], s[0:1], 0x30
	s_load_dwordx4 s[16:19], s[0:1], 0x18
	s_load_dword s33, s[0:1], 0x28
	s_load_dwordx2 s[20:21], s[0:1], 0x40
	s_load_dword s34, s[0:1], 0x48
	s_load_dwordx2 s[22:23], s[0:1], 0x50
	s_waitcnt lgkmcnt(0)
	s_mul_i32 s0, s3, s5
	s_mul_hi_u32 s1, s3, s4
	s_add_i32 s1, s1, s0
	s_mul_i32 s0, s3, s4
	s_lshl_b64 s[0:1], s[0:1], 1
	s_add_u32 s4, s16, s0
	s_addc_u32 s5, s17, s1
	s_lshl_b64 s[0:1], s[18:19], 1
	s_add_u32 s16, s4, s0
	s_addc_u32 s17, s5, s1
	s_mul_i32 s0, s3, s23
	s_mul_hi_u32 s1, s3, s22
	s_add_i32 s1, s1, s0
	s_mul_i32 s0, s3, s22
	s_lshl_b64 s[0:1], s[0:1], 1
	s_add_u32 s3, s6, s0
	s_addc_u32 s4, s7, s1
	s_lshl_b64 s[0:1], s[20:21], 1
	s_add_u32 s18, s3, s0
	s_addc_u32 s19, s4, s1
	s_ashr_i32 s0, s9, 31
	s_lshr_b32 s0, s0, 26
	s_add_i32 s35, s9, s0
	s_lshl_b32 s31, s2, 8
	s_andn2_b32 s35, s35, 63
	v_lshlrev_b32_e32 v24, 2, v18
	v_add_u32_e32 v23, s31, v2
	v_cmp_gt_i32_e32 vcc, s35, v24
	v_mov_b32_e32 v19, 0
	v_mov_b32_e32 v20, 0
	;; [unrolled: 1-line block ×4, first 2 shown]
	s_and_saveexec_b64 s[20:21], vcc
	s_cbranch_execz .LBB640_23
; %bb.12:
	v_add_u32_e32 v0, 64, v23
	v_cmp_gt_i32_e64 s[0:1], s8, v0
	v_add_u32_e32 v0, 0x80, v23
	v_cmp_gt_i32_e64 s[2:3], s8, v0
	;; [unrolled: 2-line block ×3, first 2 shown]
	v_mul_lo_u32 v0, s33, v24
	v_add_u32_e32 v6, 2, v24
	v_add_u32_e32 v7, 3, v24
	v_add3_u32 v25, v0, s33, v2
	v_mad_u64_u32 v[0:1], s[6:7], s33, v6, v[2:3]
	v_mad_u64_u32 v[4:5], s[6:7], s33, v7, v[2:3]
	v_mul_lo_u32 v1, v18, s33
	v_mul_lo_u32 v5, s34, v24
	;; [unrolled: 1-line block ×4, first 2 shown]
	v_cmp_gt_i32_e32 vcc, s8, v23
	s_lshl_b32 s36, s33, 6
	v_lshl_add_u32 v1, v1, 2, v2
	v_add_u32_e32 v5, s34, v5
	s_lshl_b32 s37, s34, 6
	v_mul_lo_u32 v27, s34, v7
	v_lshlrev_b32_e32 v28, 2, v6
	s_mov_b32 s38, 0
	s_mov_b64 s[22:23], 0
	v_mov_b32_e32 v19, 0
	v_mov_b32_e32 v20, 0
	;; [unrolled: 1-line block ×4, first 2 shown]
	s_branch .LBB640_17
.LBB640_13:                             ;   in Loop: Header=BB640_17 Depth=1
	s_or_b64 exec, exec, s[28:29]
	s_waitcnt vmcnt(3)
	v_lshlrev_b32_e32 v10, 16, v40
	v_fmac_f32_e32 v21, v8, v10
	s_waitcnt vmcnt(2)
	v_lshlrev_b32_e32 v10, 16, v39
	v_fmac_f32_e32 v21, v9, v10
	;; [unrolled: 3-line block ×4, first 2 shown]
.LBB640_14:                             ;   in Loop: Header=BB640_17 Depth=1
	s_or_b64 exec, exec, s[26:27]
	s_waitcnt vmcnt(3)
	v_lshlrev_b32_e32 v10, 16, v36
	v_fmac_f32_e32 v20, v8, v10
	s_waitcnt vmcnt(2)
	v_lshlrev_b32_e32 v10, 16, v35
	v_fmac_f32_e32 v20, v9, v10
	;; [unrolled: 3-line block ×4, first 2 shown]
.LBB640_15:                             ;   in Loop: Header=BB640_17 Depth=1
	s_or_b64 exec, exec, s[24:25]
	s_waitcnt vmcnt(3)
	v_lshlrev_b32_e32 v10, 16, v32
	v_fmac_f32_e32 v19, v8, v10
	s_waitcnt vmcnt(2)
	v_lshlrev_b32_e32 v8, 16, v31
	v_fmac_f32_e32 v19, v9, v8
	;; [unrolled: 3-line block ×4, first 2 shown]
.LBB640_16:                             ;   in Loop: Header=BB640_17 Depth=1
	s_or_b64 exec, exec, s[6:7]
	v_add_u32_e32 v24, 64, v24
	s_add_i32 s38, s38, s37
	v_cmp_le_i32_e64 s[6:7], s35, v24
	v_add_u32_e32 v25, s36, v25
	v_add_u32_e32 v0, s36, v0
	;; [unrolled: 1-line block ×3, first 2 shown]
	s_or_b64 s[22:23], s[6:7], s[22:23]
	v_add_u32_e32 v1, s36, v1
	s_andn2_b64 exec, exec, s[22:23]
	s_cbranch_execz .LBB640_22
.LBB640_17:                             ; =>This Inner Loop Header: Depth=1
	s_and_saveexec_b64 s[6:7], vcc
	s_cbranch_execz .LBB640_16
; %bb.18:                               ;   in Loop: Header=BB640_17 Depth=1
	v_add_u32_e32 v6, s38, v28
	v_ashrrev_i32_e32 v7, 31, v6
	v_add_u32_e32 v8, s38, v5
	v_add_u32_e32 v10, s38, v26
	v_add_u32_e32 v12, s38, v27
	v_lshl_add_u64 v[6:7], v[6:7], 1, s[18:19]
	v_ashrrev_i32_e32 v9, 31, v8
	v_ashrrev_i32_e32 v11, 31, v10
	;; [unrolled: 1-line block ×3, first 2 shown]
	v_lshl_add_u64 v[8:9], v[8:9], 1, s[18:19]
	v_lshl_add_u64 v[10:11], v[10:11], 1, s[18:19]
	;; [unrolled: 1-line block ×3, first 2 shown]
	global_load_ushort v33, v[6:7], off
	global_load_ushort v34, v[8:9], off
	;; [unrolled: 1-line block ×4, first 2 shown]
	v_add_u32_e32 v6, s31, v1
	v_ashrrev_i32_e32 v7, 31, v6
	v_lshl_add_u64 v[10:11], v[6:7], 1, s[16:17]
	v_add_u32_e32 v6, s31, v25
	v_ashrrev_i32_e32 v7, 31, v6
	v_lshl_add_u64 v[12:13], v[6:7], 1, s[16:17]
	;; [unrolled: 3-line block ×4, first 2 shown]
	global_load_ushort v32, v[10:11], off
	global_load_ushort v31, v[12:13], off
	;; [unrolled: 1-line block ×4, first 2 shown]
	s_waitcnt vmcnt(7)
	v_lshlrev_b32_e32 v8, 16, v33
	s_waitcnt vmcnt(6)
	v_lshlrev_b32_e32 v9, 16, v34
	;; [unrolled: 2-line block ×4, first 2 shown]
	s_and_saveexec_b64 s[24:25], s[0:1]
	s_cbranch_execz .LBB640_15
; %bb.19:                               ;   in Loop: Header=BB640_17 Depth=1
	global_load_ushort v36, v[10:11], off offset:128
	global_load_ushort v35, v[12:13], off offset:128
	global_load_ushort v34, v[14:15], off offset:128
	global_load_ushort v33, v[16:17], off offset:128
	s_and_saveexec_b64 s[26:27], s[2:3]
	s_cbranch_execz .LBB640_14
; %bb.20:                               ;   in Loop: Header=BB640_17 Depth=1
	global_load_ushort v40, v[10:11], off offset:256
	global_load_ushort v39, v[12:13], off offset:256
	global_load_ushort v38, v[14:15], off offset:256
	global_load_ushort v37, v[16:17], off offset:256
	;; [unrolled: 7-line block ×3, first 2 shown]
	s_waitcnt vmcnt(3)
	v_lshlrev_b32_e32 v11, 16, v41
	s_waitcnt vmcnt(2)
	v_lshlrev_b32_e32 v10, 16, v42
	v_pk_mul_f32 v[10:11], v[8:9], v[10:11]
	s_waitcnt vmcnt(1)
	v_lshlrev_b32_e32 v13, 16, v43
	s_waitcnt vmcnt(0)
	v_lshlrev_b32_e32 v12, 16, v44
	v_add_f32_e32 v10, v22, v10
	v_add_f32_e32 v14, v10, v11
	v_pk_mul_f32 v[10:11], v[6:7], v[12:13]
	s_nop 0
	v_add_f32_e32 v10, v14, v10
	v_add_f32_e32 v22, v10, v11
	s_branch .LBB640_13
.LBB640_22:
	s_or_b64 exec, exec, s[22:23]
.LBB640_23:
	s_or_b64 exec, exec, s[20:21]
	s_sub_i32 s0, s9, s35
	s_cmp_lt_i32 s0, 1
	s_cbranch_scc1 .LBB640_41
; %bb.24:
	v_cmp_gt_i32_e32 vcc, s9, v24
	v_mov_b32_e32 v10, 0
	v_or_b32_e32 v4, 1, v24
	v_mov_b32_e32 v11, 0
	v_mov_b32_e32 v12, 0
	v_mov_b32_e32 v13, 0
	s_and_saveexec_b64 s[2:3], vcc
	s_cbranch_execz .LBB640_32
; %bb.25:
	v_mul_lo_u32 v0, v24, s34
	v_ashrrev_i32_e32 v1, 31, v0
	v_lshl_add_u64 v[0:1], v[0:1], 1, s[18:19]
	global_load_ushort v0, v[0:1], off
	v_cmp_gt_i32_e64 s[0:1], s9, v4
	v_mov_b32_e32 v12, 0
	v_mov_b32_e32 v11, 0
	;; [unrolled: 1-line block ×3, first 2 shown]
	s_and_saveexec_b64 s[4:5], s[0:1]
	s_cbranch_execz .LBB640_31
; %bb.26:
	v_mul_lo_u32 v6, v4, s34
	v_ashrrev_i32_e32 v7, 31, v6
	v_lshl_add_u64 v[6:7], v[6:7], 1, s[18:19]
	global_load_ushort v1, v[6:7], off
	v_or_b32_e32 v5, 2, v24
	v_cmp_gt_i32_e64 s[0:1], s9, v5
	v_mov_b32_e32 v11, 0
	v_mov_b32_e32 v10, 0
	s_and_saveexec_b64 s[6:7], s[0:1]
	s_cbranch_execz .LBB640_30
; %bb.27:
	v_mul_lo_u32 v6, v5, s34
	v_ashrrev_i32_e32 v7, 31, v6
	v_lshl_add_u64 v[6:7], v[6:7], 1, s[18:19]
	global_load_ushort v5, v[6:7], off
	v_or_b32_e32 v6, 3, v24
	v_cmp_gt_i32_e64 s[0:1], s9, v6
	v_mov_b32_e32 v10, 0
	s_and_saveexec_b64 s[20:21], s[0:1]
	s_cbranch_execz .LBB640_29
; %bb.28:
	v_mul_lo_u32 v6, v6, s34
	v_ashrrev_i32_e32 v7, 31, v6
	v_lshl_add_u64 v[6:7], v[6:7], 1, s[18:19]
	global_load_ushort v6, v[6:7], off
	s_waitcnt vmcnt(0)
	v_lshlrev_b32_e32 v10, 16, v6
.LBB640_29:
	s_or_b64 exec, exec, s[20:21]
	s_waitcnt vmcnt(0)
	v_lshlrev_b32_e32 v11, 16, v5
.LBB640_30:
	s_or_b64 exec, exec, s[6:7]
	s_waitcnt vmcnt(0)
	v_lshlrev_b32_e32 v12, 16, v1
.LBB640_31:
	s_or_b64 exec, exec, s[4:5]
	s_waitcnt vmcnt(0)
	v_lshlrev_b32_e32 v13, 16, v0
.LBB640_32:
	s_or_b64 exec, exec, s[2:3]
	v_cmp_gt_i32_e64 s[0:1], s8, v23
	s_and_saveexec_b64 s[2:3], s[0:1]
	s_cbranch_execz .LBB640_40
; %bb.33:
	v_mul_lo_u32 v0, v24, s33
	v_cndmask_b32_e32 v0, 0, v0, vcc
	v_mul_lo_u32 v5, v4, s33
	v_cmp_gt_i32_e32 vcc, s9, v4
	v_or_b32_e32 v6, 2, v24
	v_add_u32_e32 v0, v0, v23
	v_cndmask_b32_e32 v4, 0, v5, vcc
	v_mul_lo_u32 v7, v6, s33
	v_cmp_gt_i32_e32 vcc, s9, v6
	v_or_b32_e32 v8, 3, v24
	v_ashrrev_i32_e32 v1, 31, v0
	v_add_u32_e32 v4, v4, v23
	v_cndmask_b32_e32 v6, 0, v7, vcc
	v_mul_lo_u32 v9, v8, s33
	v_cmp_gt_i32_e32 vcc, s9, v8
	v_lshl_add_u64 v[0:1], v[0:1], 1, s[16:17]
	v_ashrrev_i32_e32 v5, 31, v4
	v_add_u32_e32 v6, v6, v23
	v_cndmask_b32_e32 v8, 0, v9, vcc
	v_lshl_add_u64 v[4:5], v[4:5], 1, s[16:17]
	v_ashrrev_i32_e32 v7, 31, v6
	v_add_u32_e32 v8, v8, v23
	global_load_ushort v14, v[0:1], off
	global_load_ushort v15, v[4:5], off
	v_lshl_add_u64 v[6:7], v[6:7], 1, s[16:17]
	v_ashrrev_i32_e32 v9, 31, v8
	v_lshl_add_u64 v[8:9], v[8:9], 1, s[16:17]
	global_load_ushort v16, v[6:7], off
	global_load_ushort v17, v[8:9], off
	v_add_u32_e32 v24, 64, v23
	v_cmp_gt_i32_e32 vcc, s8, v24
	s_waitcnt vmcnt(3)
	v_lshlrev_b32_e32 v14, 16, v14
	s_waitcnt vmcnt(2)
	v_lshlrev_b32_e32 v15, 16, v15
	v_fmac_f32_e32 v19, v13, v14
	v_fmac_f32_e32 v19, v12, v15
	s_waitcnt vmcnt(1)
	v_lshlrev_b32_e32 v16, 16, v16
	s_waitcnt vmcnt(0)
	v_lshlrev_b32_e32 v14, 16, v17
	v_fmac_f32_e32 v19, v11, v16
	s_and_saveexec_b64 s[0:1], vcc
	s_cbranch_execz .LBB640_39
; %bb.34:
	global_load_ushort v15, v[0:1], off offset:128
	global_load_ushort v16, v[4:5], off offset:128
	;; [unrolled: 1-line block ×4, first 2 shown]
	v_add_u32_e32 v25, 0x80, v23
	v_cmp_gt_i32_e32 vcc, s8, v25
	s_waitcnt vmcnt(3)
	v_lshlrev_b32_e32 v26, 16, v15
	s_waitcnt vmcnt(2)
	v_lshlrev_b32_e32 v16, 16, v16
	v_fmac_f32_e32 v20, v13, v26
	s_waitcnt vmcnt(1)
	v_lshlrev_b32_e32 v17, 16, v17
	v_fmac_f32_e32 v20, v12, v16
	;; [unrolled: 3-line block ×3, first 2 shown]
	s_and_saveexec_b64 s[4:5], vcc
	s_cbranch_execz .LBB640_38
; %bb.35:
	global_load_ushort v16, v[0:1], off offset:256
	global_load_ushort v17, v[4:5], off offset:256
	;; [unrolled: 1-line block ×4, first 2 shown]
	v_add_u32_e32 v23, 0xc0, v23
	v_cmp_gt_i32_e32 vcc, s8, v23
	s_waitcnt vmcnt(3)
	v_lshlrev_b32_e32 v26, 16, v16
	s_waitcnt vmcnt(2)
	v_lshlrev_b32_e32 v17, 16, v17
	v_fmac_f32_e32 v21, v13, v26
	s_waitcnt vmcnt(1)
	v_lshlrev_b32_e32 v24, 16, v24
	v_fmac_f32_e32 v21, v12, v17
	;; [unrolled: 3-line block ×3, first 2 shown]
	s_and_saveexec_b64 s[6:7], vcc
	s_cbranch_execz .LBB640_37
; %bb.36:
	global_load_ushort v17, v[0:1], off offset:384
	global_load_ushort v23, v[4:5], off offset:384
	global_load_ushort v24, v[6:7], off offset:384
	global_load_ushort v25, v[8:9], off offset:384
	s_waitcnt vmcnt(3)
	v_lshlrev_b32_e32 v0, 16, v17
	s_waitcnt vmcnt(2)
	v_lshlrev_b32_e32 v1, 16, v23
	v_fmac_f32_e32 v22, v13, v0
	s_waitcnt vmcnt(1)
	v_lshlrev_b32_e32 v4, 16, v24
	v_fmac_f32_e32 v22, v12, v1
	v_fmac_f32_e32 v22, v11, v4
	s_waitcnt vmcnt(0)
	v_lshlrev_b32_e32 v0, 16, v25
	v_fmac_f32_e32 v22, v10, v0
.LBB640_37:
	s_or_b64 exec, exec, s[6:7]
	v_fmac_f32_e32 v21, v10, v16
.LBB640_38:
	s_or_b64 exec, exec, s[4:5]
	v_fmac_f32_e32 v20, v10, v15
.LBB640_39:
	s_or_b64 exec, exec, s[0:1]
	v_fmac_f32_e32 v19, v10, v14
.LBB640_40:
	s_or_b64 exec, exec, s[2:3]
.LBB640_41:
	v_lshlrev_b32_e32 v0, 8, v18
	s_movk_i32 s0, 0x100
	v_add_lshl_u32 v0, v0, v2, 2
	v_cmp_gt_u32_e32 vcc, s0, v3
	ds_write2st64_b32 v0, v19, v20 offset1:1
	ds_write2st64_b32 v0, v21, v22 offset0:2 offset1:3
	s_waitcnt lgkmcnt(0)
	s_barrier
	s_waitcnt lgkmcnt(0)
                                        ; implicit-def: $vgpr1
                                        ; implicit-def: $vgpr4_vgpr5
	s_and_saveexec_b64 s[0:1], vcc
	s_cbranch_execz .LBB640_47
; %bb.42:
	v_lshlrev_b32_e32 v2, 2, v3
	ds_read2st64_b32 v[0:1], v2 offset1:4
	ds_read2st64_b32 v[4:5], v2 offset0:8 offset1:12
	ds_read2st64_b32 v[6:7], v2 offset0:16 offset1:20
	ds_read2st64_b32 v[8:9], v2 offset0:24 offset1:28
	ds_read2st64_b32 v[10:11], v2 offset0:32 offset1:36
	s_waitcnt lgkmcnt(4)
	v_add_f32_e32 v0, v0, v1
	s_waitcnt lgkmcnt(3)
	v_add_f32_e32 v0, v4, v0
	v_add_f32_e32 v0, v5, v0
	s_waitcnt lgkmcnt(2)
	v_add_f32_e32 v0, v6, v0
	;; [unrolled: 3-line block ×3, first 2 shown]
	v_add_f32_e32 v4, v9, v0
	ds_read2st64_b32 v[0:1], v2 offset0:40 offset1:44
	s_waitcnt lgkmcnt(1)
	v_add_f32_e32 v6, v10, v4
	ds_read2st64_b32 v[4:5], v2 offset0:48 offset1:52
	v_add_f32_e32 v8, v11, v6
	ds_read2st64_b32 v[6:7], v2 offset0:56 offset1:60
	s_waitcnt lgkmcnt(2)
	v_add_f32_e32 v0, v0, v8
	v_add_f32_e32 v0, v1, v0
	s_waitcnt lgkmcnt(1)
	v_add_f32_e32 v0, v4, v0
	v_add_f32_e32 v0, v5, v0
	;; [unrolled: 3-line block ×3, first 2 shown]
	ds_write_b32 v2, v0
	v_or_b32_e32 v2, s31, v3
	v_cmp_gt_i32_e32 vcc, s8, v2
	s_mov_b64 s[4:5], s[14:15]
                                        ; implicit-def: $vgpr1
                                        ; implicit-def: $vgpr4_vgpr5
	s_and_saveexec_b64 s[2:3], vcc
	s_cbranch_execz .LBB640_46
; %bb.43:
	v_cmp_eq_f32_e64 s[4:5], s11, 0
	v_mul_lo_u32 v4, v2, s30
	v_mul_f32_e32 v1, s10, v0
	v_ashrrev_i32_e32 v5, 31, v4
	s_and_b64 vcc, exec, s[4:5]
	s_cbranch_vccnz .LBB640_45
; %bb.44:
	v_lshl_add_u64 v[2:3], v[4:5], 2, s[12:13]
	global_load_dword v0, v[2:3], off
	s_waitcnt vmcnt(0)
	v_fmac_f32_e32 v1, s11, v0
.LBB640_45:
	s_or_b64 s[4:5], s[14:15], exec
.LBB640_46:
	s_or_b64 exec, exec, s[2:3]
	s_andn2_b64 s[2:3], s[14:15], exec
	s_and_b64 s[4:5], s[4:5], exec
	s_or_b64 s[14:15], s[2:3], s[4:5]
.LBB640_47:
	s_or_b64 exec, exec, s[0:1]
.LBB640_48:
	s_and_saveexec_b64 s[0:1], s[14:15]
	s_cbranch_execz .LBB640_50
; %bb.49:
	v_lshl_add_u64 v[2:3], v[4:5], 2, s[12:13]
	global_store_dword v[2:3], v1, off
.LBB640_50:
	s_endpgm
	.section	.rodata,"a",@progbits
	.p2align	6, 0x0
	.amdhsa_kernel _ZL20rocblas_gemvn_kernelILi64ELi16Ei16rocblas_bfloat16ffEviiT3_lPKT2_lT1_lS4_lS5_lS1_lPT4_lS5_li
		.amdhsa_group_segment_fixed_size 16384
		.amdhsa_private_segment_fixed_size 0
		.amdhsa_kernarg_size 400
		.amdhsa_user_sgpr_count 2
		.amdhsa_user_sgpr_dispatch_ptr 0
		.amdhsa_user_sgpr_queue_ptr 0
		.amdhsa_user_sgpr_kernarg_segment_ptr 1
		.amdhsa_user_sgpr_dispatch_id 0
		.amdhsa_user_sgpr_kernarg_preload_length 0
		.amdhsa_user_sgpr_kernarg_preload_offset 0
		.amdhsa_user_sgpr_private_segment_size 0
		.amdhsa_uses_dynamic_stack 0
		.amdhsa_enable_private_segment 0
		.amdhsa_system_sgpr_workgroup_id_x 1
		.amdhsa_system_sgpr_workgroup_id_y 0
		.amdhsa_system_sgpr_workgroup_id_z 1
		.amdhsa_system_sgpr_workgroup_info 0
		.amdhsa_system_vgpr_workitem_id 1
		.amdhsa_next_free_vgpr 45
		.amdhsa_next_free_sgpr 39
		.amdhsa_accum_offset 48
		.amdhsa_reserve_vcc 1
		.amdhsa_float_round_mode_32 0
		.amdhsa_float_round_mode_16_64 0
		.amdhsa_float_denorm_mode_32 3
		.amdhsa_float_denorm_mode_16_64 3
		.amdhsa_dx10_clamp 1
		.amdhsa_ieee_mode 1
		.amdhsa_fp16_overflow 0
		.amdhsa_tg_split 0
		.amdhsa_exception_fp_ieee_invalid_op 0
		.amdhsa_exception_fp_denorm_src 0
		.amdhsa_exception_fp_ieee_div_zero 0
		.amdhsa_exception_fp_ieee_overflow 0
		.amdhsa_exception_fp_ieee_underflow 0
		.amdhsa_exception_fp_ieee_inexact 0
		.amdhsa_exception_int_div_zero 0
	.end_amdhsa_kernel
	.section	.text._ZL20rocblas_gemvn_kernelILi64ELi16Ei16rocblas_bfloat16ffEviiT3_lPKT2_lT1_lS4_lS5_lS1_lPT4_lS5_li,"axG",@progbits,_ZL20rocblas_gemvn_kernelILi64ELi16Ei16rocblas_bfloat16ffEviiT3_lPKT2_lT1_lS4_lS5_lS1_lPT4_lS5_li,comdat
.Lfunc_end640:
	.size	_ZL20rocblas_gemvn_kernelILi64ELi16Ei16rocblas_bfloat16ffEviiT3_lPKT2_lT1_lS4_lS5_lS1_lPT4_lS5_li, .Lfunc_end640-_ZL20rocblas_gemvn_kernelILi64ELi16Ei16rocblas_bfloat16ffEviiT3_lPKT2_lT1_lS4_lS5_lS1_lPT4_lS5_li
                                        ; -- End function
	.section	.AMDGPU.csdata,"",@progbits
; Kernel info:
; codeLenInByte = 2568
; NumSgprs: 45
; NumVgprs: 45
; NumAgprs: 0
; TotalNumVgprs: 45
; ScratchSize: 0
; MemoryBound: 0
; FloatMode: 240
; IeeeMode: 1
; LDSByteSize: 16384 bytes/workgroup (compile time only)
; SGPRBlocks: 5
; VGPRBlocks: 5
; NumSGPRsForWavesPerEU: 45
; NumVGPRsForWavesPerEU: 45
; AccumOffset: 48
; Occupancy: 8
; WaveLimiterHint : 1
; COMPUTE_PGM_RSRC2:SCRATCH_EN: 0
; COMPUTE_PGM_RSRC2:USER_SGPR: 2
; COMPUTE_PGM_RSRC2:TRAP_HANDLER: 0
; COMPUTE_PGM_RSRC2:TGID_X_EN: 1
; COMPUTE_PGM_RSRC2:TGID_Y_EN: 0
; COMPUTE_PGM_RSRC2:TGID_Z_EN: 1
; COMPUTE_PGM_RSRC2:TIDIG_COMP_CNT: 1
; COMPUTE_PGM_RSRC3_GFX90A:ACCUM_OFFSET: 11
; COMPUTE_PGM_RSRC3_GFX90A:TG_SPLIT: 0
	.section	.text._ZL20rocblas_gemvn_kernelILi64ELi16El16rocblas_bfloat16ffEviiT3_lPKT2_lT1_lS4_lS5_lS1_lPT4_lS5_li,"axG",@progbits,_ZL20rocblas_gemvn_kernelILi64ELi16El16rocblas_bfloat16ffEviiT3_lPKT2_lT1_lS4_lS5_lS1_lPT4_lS5_li,comdat
	.globl	_ZL20rocblas_gemvn_kernelILi64ELi16El16rocblas_bfloat16ffEviiT3_lPKT2_lT1_lS4_lS5_lS1_lPT4_lS5_li ; -- Begin function _ZL20rocblas_gemvn_kernelILi64ELi16El16rocblas_bfloat16ffEviiT3_lPKT2_lT1_lS4_lS5_lS1_lPT4_lS5_li
	.p2align	8
	.type	_ZL20rocblas_gemvn_kernelILi64ELi16El16rocblas_bfloat16ffEviiT3_lPKT2_lT1_lS4_lS5_lS1_lPT4_lS5_li,@function
_ZL20rocblas_gemvn_kernelILi64ELi16El16rocblas_bfloat16ffEviiT3_lPKT2_lT1_lS4_lS5_lS1_lPT4_lS5_li: ; @_ZL20rocblas_gemvn_kernelILi64ELi16El16rocblas_bfloat16ffEviiT3_lPKT2_lT1_lS4_lS5_lS1_lPT4_lS5_li
; %bb.0:
	s_load_dwordx2 s[4:5], s[0:1], 0x9c
	s_waitcnt lgkmcnt(0)
	s_lshr_b32 s6, s4, 16
	s_and_b32 s4, s4, 0xffff
	s_and_b32 s5, s5, 0xffff
	s_mul_i32 s4, s6, s4
	s_mul_i32 s4, s4, s5
	s_cmpk_lg_i32 s4, 0x400
	s_cbranch_scc1 .LBB641_50
; %bb.1:
	s_load_dwordx4 s[28:31], s[0:1], 0x0
	s_waitcnt lgkmcnt(0)
	s_load_dword s31, s[0:1], 0x58
	v_cmp_eq_f32_e64 s[4:5], s30, 0
	s_waitcnt lgkmcnt(0)
	v_cmp_eq_f32_e64 s[6:7], s31, 1.0
	s_and_b64 s[4:5], s[4:5], s[6:7]
	s_and_b64 vcc, exec, s[4:5]
	s_cbranch_vccnz .LBB641_50
; %bb.2:
	s_load_dwordx8 s[20:27], s[0:1], 0x68
	v_and_b32_e32 v33, 0x3ff, v0
	v_bfe_u32 v34, v0, 10, 10
	v_lshl_add_u32 v32, v34, 6, v33
	s_waitcnt lgkmcnt(0)
	s_mul_i32 s5, s3, s27
	s_mul_hi_u32 s6, s3, s26
	s_mul_i32 s4, s3, s26
	s_add_i32 s5, s6, s5
	s_lshl_b64 s[4:5], s[4:5], 2
	s_add_u32 s6, s20, s4
	s_addc_u32 s7, s21, s5
	s_lshl_b64 s[4:5], s[22:23], 2
	s_add_u32 s26, s6, s4
	s_addc_u32 s27, s7, s5
	v_cmp_neq_f32_e64 s[4:5], s30, 0
	s_and_b64 vcc, exec, s[4:5]
	s_cbranch_vccnz .LBB641_9
; %bb.3:
	s_movk_i32 s4, 0x100
	v_cmp_gt_u32_e32 vcc, s4, v32
	s_mov_b64 s[4:5], 0
	s_mov_b64 s[34:35], 0
                                        ; implicit-def: $vgpr1
                                        ; implicit-def: $vgpr2_vgpr3
	s_and_saveexec_b64 s[6:7], vcc
	s_cbranch_execz .LBB641_10
; %bb.4:
	v_lshl_or_b32 v0, s2, 8, v32
	v_mov_b32_e32 v1, 0
	s_ashr_i32 s9, s28, 31
	s_mov_b32 s8, s28
	v_cmp_gt_i64_e32 vcc, s[8:9], v[0:1]
	s_mov_b64 s[10:11], 0
                                        ; implicit-def: $vgpr2_vgpr3
	s_and_saveexec_b64 s[8:9], vcc
	s_cbranch_execz .LBB641_8
; %bb.5:
	v_mad_u64_u32 v[2:3], s[12:13], v0, s24, 0
	v_mov_b32_e32 v4, v3
	v_cmp_eq_f32_e64 s[10:11], s31, 0
	v_mad_u64_u32 v[4:5], s[12:13], v0, s25, v[4:5]
	v_mov_b32_e32 v3, v4
	s_and_b64 vcc, exec, s[10:11]
	s_cbranch_vccnz .LBB641_7
; %bb.6:
	v_lshl_add_u64 v[0:1], v[2:3], 2, s[26:27]
	global_load_dword v0, v[0:1], off
	s_waitcnt vmcnt(0)
	v_mul_f32_e32 v1, s31, v0
.LBB641_7:
	s_mov_b64 s[10:11], exec
.LBB641_8:
	s_or_b64 exec, exec, s[8:9]
	s_and_b64 s[34:35], s[10:11], exec
	s_or_b64 exec, exec, s[6:7]
	s_and_b64 vcc, exec, s[4:5]
	s_cbranch_vccnz .LBB641_11
	s_branch .LBB641_48
.LBB641_9:
	s_mov_b64 s[34:35], 0
                                        ; implicit-def: $vgpr1
                                        ; implicit-def: $vgpr2_vgpr3
	s_cbranch_execnz .LBB641_11
	s_branch .LBB641_48
.LBB641_10:
	s_or_b64 exec, exec, s[6:7]
	s_and_b64 vcc, exec, s[4:5]
	s_cbranch_vccz .LBB641_48
.LBB641_11:
	s_load_dwordx16 s[8:23], s[0:1], 0x18
	s_lshl_b32 s33, s2, 8
	v_lshlrev_b32_e32 v39, 2, v34
	v_add_u32_e32 v0, s33, v33
	v_mov_b32_e32 v35, 0
	s_waitcnt lgkmcnt(0)
	s_mul_i32 s0, s3, s15
	s_mul_hi_u32 s1, s3, s14
	s_add_i32 s15, s1, s0
	s_ashr_i32 s0, s29, 31
	s_lshr_b32 s0, s0, 26
	s_add_i32 s52, s29, s0
	s_mul_i32 s4, s3, s23
	s_mul_hi_u32 s5, s3, s22
	s_andn2_b32 s52, s52, 63
	s_mul_i32 s14, s3, s14
	s_add_i32 s23, s5, s4
	s_mul_i32 s22, s3, s22
	v_cmp_gt_i32_e32 vcc, s52, v39
	v_mov_b32_e32 v36, 0
	v_mov_b32_e32 v37, 0
	;; [unrolled: 1-line block ×3, first 2 shown]
	s_and_saveexec_b64 s[36:37], vcc
	s_cbranch_execz .LBB641_23
; %bb.12:
	v_add_u32_e32 v2, 64, v0
	v_cmp_gt_i32_e64 s[0:1], s28, v2
	v_add_u32_e32 v2, 0x80, v0
	v_cmp_gt_i32_e64 s[2:3], s28, v2
	;; [unrolled: 2-line block ×3, first 2 shown]
	v_mad_u64_u32 v[2:3], s[6:7], s20, v34, 0
	v_mov_b32_e32 v4, v3
	v_ashrrev_i32_e32 v1, 31, v0
	v_mad_u64_u32 v[4:5], s[6:7], s21, v34, v[4:5]
	v_mov_b32_e32 v3, v4
	v_lshlrev_b64 v[4:5], 1, v[0:1]
	v_lshlrev_b32_e32 v1, 2, v34
	v_or_b32_e32 v11, 3, v1
	v_mad_u64_u32 v[6:7], s[42:43], s12, v11, 0
	v_mov_b32_e32 v8, v7
	v_mad_u64_u32 v[8:9], s[42:43], s13, v11, v[8:9]
	v_mov_b32_e32 v7, v8
	v_mad_u64_u32 v[8:9], s[46:47], s20, v11, 0
	v_mov_b32_e32 v10, v9
	v_mad_u64_u32 v[10:11], s[46:47], s21, v11, v[10:11]
	v_mov_b32_e32 v9, v10
	v_mad_u64_u32 v[10:11], s[46:47], s12, v34, 0
	v_mov_b32_e32 v12, v11
	v_mad_u64_u32 v[12:13], s[46:47], s13, v34, v[12:13]
	v_or_b32_e32 v17, 2, v1
	v_mov_b32_e32 v11, v12
	v_mad_u64_u32 v[12:13], s[46:47], s12, v17, 0
	v_mov_b32_e32 v14, v13
	v_mad_u64_u32 v[14:15], s[46:47], s13, v17, v[14:15]
	;; [unrolled: 2-line block ×4, first 2 shown]
	v_mov_b32_e32 v15, v16
	v_mov_b64_e32 v[16:17], s[20:21]
	v_mad_u64_u32 v[16:17], s[46:47], s20, v1, v[16:17]
	s_lshl_b64 s[38:39], s[18:19], 1
	s_lshl_b64 s[6:7], s[22:23], 1
	v_mov_b32_e32 v18, v17
	s_add_u32 s6, s16, s6
	v_mad_u64_u32 v[18:19], s[46:47], s21, v1, v[18:19]
	s_addc_u32 s7, s17, s7
	s_lshl_b64 s[40:41], s[20:21], 7
	s_lshl_b64 s[42:43], s[14:15], 1
	s_lshl_b64 s[44:45], s[10:11], 1
	v_mov_b32_e32 v17, v18
	v_mov_b64_e32 v[18:19], s[12:13]
	v_lshl_add_u64 v[2:3], v[2:3], 3, s[6:7]
	s_add_u32 s44, s8, s44
	v_lshl_add_u64 v[8:9], v[8:9], 1, s[6:7]
	v_lshl_add_u64 v[14:15], v[14:15], 1, s[6:7]
	v_lshl_add_u64 v[16:17], v[16:17], 1, s[6:7]
	v_mad_u64_u32 v[18:19], s[6:7], s12, v1, v[18:19]
	s_addc_u32 s45, s9, s45
	v_mov_b32_e32 v20, v19
	s_add_u32 s44, s44, s42
	v_mad_u64_u32 v[20:21], s[6:7], s13, v1, v[20:21]
	s_addc_u32 s45, s45, s43
	v_mov_b32_e32 v19, v20
	v_cmp_gt_i32_e32 vcc, s28, v0
	v_lshl_add_u64 v[6:7], v[6:7], 1, s[44:45]
	s_lshl_b64 s[42:43], s[12:13], 7
	v_lshl_add_u64 v[10:11], v[10:11], 3, s[44:45]
	v_lshl_add_u64 v[12:13], v[12:13], 1, s[44:45]
	;; [unrolled: 1-line block ×3, first 2 shown]
	s_mov_b64 s[44:45], 0
	v_mov_b32_e32 v35, 0
	v_mov_b32_e32 v36, 0
	v_mov_b32_e32 v37, 0
	v_mov_b32_e32 v38, 0
	s_branch .LBB641_17
.LBB641_13:                             ;   in Loop: Header=BB641_17 Depth=1
	s_or_b64 exec, exec, s[50:51]
	s_waitcnt vmcnt(3)
	v_lshlrev_b32_e32 v24, 16, v50
	v_fmac_f32_e32 v37, v22, v24
	s_waitcnt vmcnt(2)
	v_lshlrev_b32_e32 v24, 16, v49
	v_fmac_f32_e32 v37, v23, v24
	;; [unrolled: 3-line block ×4, first 2 shown]
.LBB641_14:                             ;   in Loop: Header=BB641_17 Depth=1
	s_or_b64 exec, exec, s[48:49]
	s_waitcnt vmcnt(3)
	v_lshlrev_b32_e32 v24, 16, v46
	v_fmac_f32_e32 v36, v22, v24
	s_waitcnt vmcnt(2)
	v_lshlrev_b32_e32 v24, 16, v45
	v_fmac_f32_e32 v36, v23, v24
	;; [unrolled: 3-line block ×4, first 2 shown]
.LBB641_15:                             ;   in Loop: Header=BB641_17 Depth=1
	s_or_b64 exec, exec, s[46:47]
	s_waitcnt vmcnt(3)
	v_lshlrev_b32_e32 v24, 16, v42
	v_fmac_f32_e32 v35, v22, v24
	s_waitcnt vmcnt(2)
	v_lshlrev_b32_e32 v22, 16, v41
	v_fmac_f32_e32 v35, v23, v22
	;; [unrolled: 3-line block ×4, first 2 shown]
.LBB641_16:                             ;   in Loop: Header=BB641_17 Depth=1
	s_or_b64 exec, exec, s[6:7]
	v_add_u32_e32 v39, 64, v39
	v_cmp_le_i32_e64 s[6:7], s52, v39
	v_lshl_add_u64 v[2:3], v[2:3], 0, s[40:41]
	v_lshl_add_u64 v[6:7], v[6:7], 0, s[42:43]
	;; [unrolled: 1-line block ×7, first 2 shown]
	s_or_b64 s[44:45], s[6:7], s[44:45]
	v_lshl_add_u64 v[18:19], v[18:19], 0, s[42:43]
	s_andn2_b64 exec, exec, s[44:45]
	s_cbranch_execz .LBB641_22
.LBB641_17:                             ; =>This Inner Loop Header: Depth=1
	s_and_saveexec_b64 s[6:7], vcc
	s_cbranch_execz .LBB641_16
; %bb.18:                               ;   in Loop: Header=BB641_17 Depth=1
	v_lshl_add_u64 v[20:21], v[2:3], 0, s[38:39]
	v_lshl_add_u64 v[22:23], v[16:17], 0, s[38:39]
	global_load_ushort v43, v[20:21], off
	global_load_ushort v44, v[22:23], off
	v_lshl_add_u64 v[20:21], v[14:15], 0, s[38:39]
	v_lshl_add_u64 v[22:23], v[8:9], 0, s[38:39]
	global_load_ushort v45, v[20:21], off
	global_load_ushort v46, v[22:23], off
	v_lshl_add_u64 v[28:29], v[10:11], 0, v[4:5]
	v_lshl_add_u64 v[30:31], v[18:19], 0, v[4:5]
	;; [unrolled: 1-line block ×4, first 2 shown]
	global_load_ushort v42, v[28:29], off
	global_load_ushort v41, v[30:31], off
	;; [unrolled: 1-line block ×4, first 2 shown]
	s_waitcnt vmcnt(7)
	v_lshlrev_b32_e32 v22, 16, v43
	s_waitcnt vmcnt(6)
	v_lshlrev_b32_e32 v23, 16, v44
	;; [unrolled: 2-line block ×4, first 2 shown]
	s_and_saveexec_b64 s[46:47], s[0:1]
	s_cbranch_execz .LBB641_15
; %bb.19:                               ;   in Loop: Header=BB641_17 Depth=1
	global_load_ushort v46, v[28:29], off offset:128
	global_load_ushort v45, v[30:31], off offset:128
	;; [unrolled: 1-line block ×4, first 2 shown]
	s_and_saveexec_b64 s[48:49], s[2:3]
	s_cbranch_execz .LBB641_14
; %bb.20:                               ;   in Loop: Header=BB641_17 Depth=1
	global_load_ushort v50, v[28:29], off offset:256
	global_load_ushort v49, v[30:31], off offset:256
	;; [unrolled: 1-line block ×4, first 2 shown]
	s_and_saveexec_b64 s[50:51], s[4:5]
	s_cbranch_execz .LBB641_13
; %bb.21:                               ;   in Loop: Header=BB641_17 Depth=1
	global_load_ushort v30, v[30:31], off offset:384
	s_nop 0
	global_load_ushort v28, v[28:29], off offset:384
	s_nop 0
	global_load_ushort v26, v[26:27], off offset:384
	s_nop 0
	global_load_ushort v29, v[24:25], off offset:384
	s_waitcnt vmcnt(3)
	v_lshlrev_b32_e32 v25, 16, v30
	s_waitcnt vmcnt(2)
	v_lshlrev_b32_e32 v24, 16, v28
	v_pk_mul_f32 v[24:25], v[22:23], v[24:25]
	s_waitcnt vmcnt(1)
	v_lshlrev_b32_e32 v27, 16, v26
	s_waitcnt vmcnt(0)
	v_lshlrev_b32_e32 v26, 16, v29
	v_add_f32_e32 v24, v38, v24
	v_add_f32_e32 v28, v24, v25
	v_pk_mul_f32 v[24:25], v[20:21], v[26:27]
	s_nop 0
	v_add_f32_e32 v24, v28, v24
	v_add_f32_e32 v38, v24, v25
	s_branch .LBB641_13
.LBB641_22:
	s_or_b64 exec, exec, s[44:45]
.LBB641_23:
	s_or_b64 exec, exec, s[36:37]
	s_sub_i32 s0, s29, s52
	s_cmp_lt_i32 s0, 1
	s_cbranch_scc1 .LBB641_41
; %bb.24:
	v_cmp_gt_i32_e32 vcc, s29, v39
	v_mov_b32_e32 v10, 0
	v_or_b32_e32 v4, 1, v39
	v_mov_b32_e32 v11, 0
	v_mov_b32_e32 v12, 0
	;; [unrolled: 1-line block ×3, first 2 shown]
	s_and_saveexec_b64 s[2:3], vcc
	s_cbranch_execz .LBB641_32
; %bb.25:
	s_lshl_b64 s[0:1], s[22:23], 1
	s_add_u32 s4, s16, s0
	s_addc_u32 s5, s17, s1
	s_lshl_b64 s[0:1], s[18:19], 1
	s_add_u32 s6, s4, s0
	s_addc_u32 s7, s5, s1
	v_mad_u64_u32 v[2:3], s[0:1], v39, s20, 0
	v_mov_b32_e32 v6, v3
	v_mad_u64_u32 v[6:7], s[0:1], v39, s21, v[6:7]
	v_mov_b32_e32 v3, v6
	v_lshl_add_u64 v[2:3], v[2:3], 1, s[6:7]
	global_load_ushort v1, v[2:3], off
	v_cmp_gt_i32_e64 s[0:1], s29, v4
	v_mov_b32_e32 v12, 0
	v_mov_b32_e32 v11, 0
	;; [unrolled: 1-line block ×3, first 2 shown]
	s_and_saveexec_b64 s[4:5], s[0:1]
	s_cbranch_execz .LBB641_31
; %bb.26:
	v_mad_u64_u32 v[2:3], s[0:1], v4, s20, 0
	v_mov_b32_e32 v6, v3
	v_mad_u64_u32 v[6:7], s[0:1], v4, s21, v[6:7]
	v_mov_b32_e32 v3, v6
	v_lshl_add_u64 v[2:3], v[2:3], 1, s[6:7]
	global_load_ushort v2, v[2:3], off
	v_or_b32_e32 v3, 2, v39
	v_cmp_gt_i32_e64 s[0:1], s29, v3
	v_mov_b32_e32 v11, 0
	v_mov_b32_e32 v10, 0
	s_and_saveexec_b64 s[16:17], s[0:1]
	s_cbranch_execz .LBB641_30
; %bb.27:
	v_mad_u64_u32 v[6:7], s[0:1], v3, s20, 0
	v_mov_b32_e32 v8, v7
	v_mad_u64_u32 v[8:9], s[0:1], v3, s21, v[8:9]
	v_mov_b32_e32 v7, v8
	v_lshl_add_u64 v[6:7], v[6:7], 1, s[6:7]
	global_load_ushort v3, v[6:7], off
	v_or_b32_e32 v5, 3, v39
	v_cmp_gt_i32_e64 s[0:1], s29, v5
	v_mov_b32_e32 v10, 0
	s_and_saveexec_b64 s[18:19], s[0:1]
	s_cbranch_execz .LBB641_29
; %bb.28:
	v_mad_u64_u32 v[6:7], s[0:1], v5, s20, 0
	v_mov_b32_e32 v8, v7
	v_mad_u64_u32 v[8:9], s[0:1], v5, s21, v[8:9]
	v_mov_b32_e32 v7, v8
	v_lshl_add_u64 v[6:7], v[6:7], 1, s[6:7]
	global_load_ushort v5, v[6:7], off
	s_waitcnt vmcnt(0)
	v_lshlrev_b32_e32 v10, 16, v5
.LBB641_29:
	s_or_b64 exec, exec, s[18:19]
	s_waitcnt vmcnt(0)
	v_lshlrev_b32_e32 v11, 16, v3
.LBB641_30:
	s_or_b64 exec, exec, s[16:17]
	s_waitcnt vmcnt(0)
	v_lshlrev_b32_e32 v12, 16, v2
.LBB641_31:
	s_or_b64 exec, exec, s[4:5]
	s_waitcnt vmcnt(0)
	v_lshlrev_b32_e32 v13, 16, v1
.LBB641_32:
	s_or_b64 exec, exec, s[2:3]
	v_cmp_gt_i32_e64 s[0:1], s28, v0
	s_and_saveexec_b64 s[2:3], s[0:1]
	s_cbranch_execz .LBB641_40
; %bb.33:
	s_lshl_b64 s[0:1], s[14:15], 1
	s_add_u32 s4, s8, s0
	s_addc_u32 s5, s9, s1
	s_lshl_b64 s[0:1], s[10:11], 1
	s_add_u32 s0, s4, s0
	s_addc_u32 s1, s5, s1
	v_mad_u64_u32 v[2:3], s[4:5], v39, s12, 0
	v_mov_b32_e32 v6, v3
	v_mad_u64_u32 v[6:7], s[4:5], v39, s13, v[6:7]
	v_ashrrev_i32_e32 v1, 31, v0
	v_cndmask_b32_e32 v3, 0, v6, vcc
	v_mad_u64_u32 v[6:7], s[4:5], v4, s12, 0
	v_cndmask_b32_e32 v2, 0, v2, vcc
	v_lshlrev_b64 v[8:9], 1, v[0:1]
	v_mov_b32_e32 v14, v7
	v_cmp_gt_i32_e32 vcc, s29, v4
	v_or_b32_e32 v1, 2, v39
	v_mad_u64_u32 v[14:15], s[4:5], v4, s13, v[14:15]
	v_cndmask_b32_e32 v4, 0, v6, vcc
	v_mad_u64_u32 v[6:7], s[4:5], v1, s12, 0
	v_cndmask_b32_e32 v5, 0, v14, vcc
	v_mov_b32_e32 v14, v7
	v_mad_u64_u32 v[14:15], s[4:5], v1, s13, v[14:15]
	v_cmp_gt_i32_e32 vcc, s29, v1
	v_or_b32_e32 v1, 3, v39
	v_lshl_add_u64 v[2:3], v[2:3], 1, s[0:1]
	v_cndmask_b32_e32 v7, 0, v14, vcc
	v_mad_u64_u32 v[14:15], s[4:5], v1, s12, 0
	v_mov_b32_e32 v16, v15
	v_cndmask_b32_e32 v6, 0, v6, vcc
	v_mad_u64_u32 v[16:17], s[4:5], v1, s13, v[16:17]
	v_cmp_gt_i32_e32 vcc, s29, v1
	v_lshl_add_u64 v[2:3], v[2:3], 0, v[8:9]
	v_lshl_add_u64 v[4:5], v[4:5], 1, s[0:1]
	v_cndmask_b32_e32 v14, 0, v14, vcc
	v_cndmask_b32_e32 v15, 0, v16, vcc
	v_lshl_add_u64 v[6:7], v[6:7], 1, s[0:1]
	v_lshl_add_u64 v[14:15], v[14:15], 1, s[0:1]
	;; [unrolled: 1-line block ×5, first 2 shown]
	global_load_ushort v1, v[2:3], off
	global_load_ushort v14, v[4:5], off
	;; [unrolled: 1-line block ×4, first 2 shown]
	v_add_u32_e32 v17, 64, v0
	v_cmp_gt_i32_e32 vcc, s28, v17
	s_waitcnt vmcnt(3)
	v_lshlrev_b32_e32 v18, 16, v1
	s_waitcnt vmcnt(2)
	v_lshlrev_b32_e32 v14, 16, v14
	v_fmac_f32_e32 v35, v13, v18
	s_waitcnt vmcnt(1)
	v_lshlrev_b32_e32 v15, 16, v15
	v_fmac_f32_e32 v35, v12, v14
	s_waitcnt vmcnt(0)
	v_lshlrev_b32_e32 v1, 16, v16
	v_fmac_f32_e32 v35, v11, v15
	s_and_saveexec_b64 s[0:1], vcc
	s_cbranch_execz .LBB641_39
; %bb.34:
	global_load_ushort v14, v[2:3], off offset:128
	global_load_ushort v15, v[4:5], off offset:128
	global_load_ushort v16, v[6:7], off offset:128
	global_load_ushort v17, v[8:9], off offset:128
	v_add_u32_e32 v18, 0x80, v0
	v_cmp_gt_i32_e32 vcc, s28, v18
	s_waitcnt vmcnt(3)
	v_lshlrev_b32_e32 v19, 16, v14
	s_waitcnt vmcnt(2)
	v_lshlrev_b32_e32 v15, 16, v15
	v_fmac_f32_e32 v36, v13, v19
	s_waitcnt vmcnt(1)
	v_lshlrev_b32_e32 v16, 16, v16
	v_fmac_f32_e32 v36, v12, v15
	s_waitcnt vmcnt(0)
	v_lshlrev_b32_e32 v14, 16, v17
	v_fmac_f32_e32 v36, v11, v16
	s_and_saveexec_b64 s[4:5], vcc
	s_cbranch_execz .LBB641_38
; %bb.35:
	global_load_ushort v15, v[2:3], off offset:256
	global_load_ushort v16, v[4:5], off offset:256
	global_load_ushort v17, v[6:7], off offset:256
	global_load_ushort v18, v[8:9], off offset:256
	;; [unrolled: 20-line block ×3, first 2 shown]
	s_waitcnt vmcnt(3)
	v_lshlrev_b32_e32 v2, 16, v15
	s_waitcnt vmcnt(2)
	v_lshlrev_b32_e32 v3, 16, v16
	v_fmac_f32_e32 v38, v13, v2
	s_waitcnt vmcnt(1)
	v_lshlrev_b32_e32 v4, 16, v17
	v_fmac_f32_e32 v38, v12, v3
	v_fmac_f32_e32 v38, v11, v4
	s_waitcnt vmcnt(0)
	v_lshlrev_b32_e32 v2, 16, v18
	v_fmac_f32_e32 v38, v10, v2
.LBB641_37:
	s_or_b64 exec, exec, s[6:7]
	v_fmac_f32_e32 v37, v10, v0
.LBB641_38:
	s_or_b64 exec, exec, s[4:5]
	v_fmac_f32_e32 v36, v10, v14
.LBB641_39:
	s_or_b64 exec, exec, s[0:1]
	v_fmac_f32_e32 v35, v10, v1
.LBB641_40:
	s_or_b64 exec, exec, s[2:3]
.LBB641_41:
	v_lshlrev_b32_e32 v0, 8, v34
	s_movk_i32 s0, 0x100
	v_add_lshl_u32 v0, v0, v33, 2
	v_cmp_gt_u32_e32 vcc, s0, v32
	ds_write2st64_b32 v0, v35, v36 offset1:1
	ds_write2st64_b32 v0, v37, v38 offset0:2 offset1:3
	s_waitcnt lgkmcnt(0)
	s_barrier
	s_waitcnt lgkmcnt(0)
                                        ; implicit-def: $vgpr1
                                        ; implicit-def: $vgpr2_vgpr3
	s_and_saveexec_b64 s[0:1], vcc
	s_cbranch_execz .LBB641_47
; %bb.42:
	v_lshlrev_b32_e32 v10, 2, v32
	ds_read2st64_b32 v[0:1], v10 offset1:4
	ds_read2st64_b32 v[2:3], v10 offset0:8 offset1:12
	ds_read2st64_b32 v[4:5], v10 offset0:16 offset1:20
	;; [unrolled: 1-line block ×4, first 2 shown]
	s_waitcnt lgkmcnt(4)
	v_add_f32_e32 v0, v0, v1
	s_waitcnt lgkmcnt(3)
	v_add_f32_e32 v0, v2, v0
	v_add_f32_e32 v0, v3, v0
	s_waitcnt lgkmcnt(2)
	v_add_f32_e32 v0, v4, v0
	;; [unrolled: 3-line block ×3, first 2 shown]
	v_add_f32_e32 v2, v7, v0
	ds_read2st64_b32 v[0:1], v10 offset0:40 offset1:44
	s_waitcnt lgkmcnt(1)
	v_add_f32_e32 v4, v8, v2
	ds_read2st64_b32 v[2:3], v10 offset0:48 offset1:52
	v_add_f32_e32 v6, v9, v4
	ds_read2st64_b32 v[4:5], v10 offset0:56 offset1:60
	s_waitcnt lgkmcnt(2)
	v_add_f32_e32 v0, v0, v6
	v_add_f32_e32 v0, v1, v0
	s_waitcnt lgkmcnt(1)
	v_add_f32_e32 v0, v2, v0
	v_add_f32_e32 v0, v3, v0
	;; [unrolled: 3-line block ×3, first 2 shown]
	v_or_b32_e32 v0, s33, v32
	v_cmp_gt_i32_e32 vcc, s28, v0
	s_mov_b64 s[4:5], s[34:35]
	ds_write_b32 v10, v4
                                        ; implicit-def: $vgpr1
                                        ; implicit-def: $vgpr2_vgpr3
	s_and_saveexec_b64 s[2:3], vcc
	s_cbranch_execz .LBB641_46
; %bb.43:
	v_ashrrev_i32_e32 v2, 31, v0
	v_cmp_eq_f32_e64 s[4:5], s31, 0
	v_mul_f32_e32 v1, s30, v4
	v_mul_lo_u32 v4, v0, s25
	v_mul_lo_u32 v5, v2, s24
	v_mad_u64_u32 v[2:3], s[6:7], v0, s24, 0
	v_add3_u32 v3, v3, v4, v5
	s_and_b64 vcc, exec, s[4:5]
	s_cbranch_vccnz .LBB641_45
; %bb.44:
	v_lshl_add_u64 v[4:5], v[2:3], 2, s[26:27]
	global_load_dword v0, v[4:5], off
	s_waitcnt vmcnt(0)
	v_fmac_f32_e32 v1, s31, v0
.LBB641_45:
	s_or_b64 s[4:5], s[34:35], exec
.LBB641_46:
	s_or_b64 exec, exec, s[2:3]
	s_andn2_b64 s[2:3], s[34:35], exec
	s_and_b64 s[4:5], s[4:5], exec
	s_or_b64 s[34:35], s[2:3], s[4:5]
.LBB641_47:
	s_or_b64 exec, exec, s[0:1]
.LBB641_48:
	s_and_saveexec_b64 s[0:1], s[34:35]
	s_cbranch_execz .LBB641_50
; %bb.49:
	v_lshl_add_u64 v[2:3], v[2:3], 2, s[26:27]
	global_store_dword v[2:3], v1, off
.LBB641_50:
	s_endpgm
	.section	.rodata,"a",@progbits
	.p2align	6, 0x0
	.amdhsa_kernel _ZL20rocblas_gemvn_kernelILi64ELi16El16rocblas_bfloat16ffEviiT3_lPKT2_lT1_lS4_lS5_lS1_lPT4_lS5_li
		.amdhsa_group_segment_fixed_size 16384
		.amdhsa_private_segment_fixed_size 0
		.amdhsa_kernarg_size 400
		.amdhsa_user_sgpr_count 2
		.amdhsa_user_sgpr_dispatch_ptr 0
		.amdhsa_user_sgpr_queue_ptr 0
		.amdhsa_user_sgpr_kernarg_segment_ptr 1
		.amdhsa_user_sgpr_dispatch_id 0
		.amdhsa_user_sgpr_kernarg_preload_length 0
		.amdhsa_user_sgpr_kernarg_preload_offset 0
		.amdhsa_user_sgpr_private_segment_size 0
		.amdhsa_uses_dynamic_stack 0
		.amdhsa_enable_private_segment 0
		.amdhsa_system_sgpr_workgroup_id_x 1
		.amdhsa_system_sgpr_workgroup_id_y 0
		.amdhsa_system_sgpr_workgroup_id_z 1
		.amdhsa_system_sgpr_workgroup_info 0
		.amdhsa_system_vgpr_workitem_id 1
		.amdhsa_next_free_vgpr 51
		.amdhsa_next_free_sgpr 53
		.amdhsa_accum_offset 52
		.amdhsa_reserve_vcc 1
		.amdhsa_float_round_mode_32 0
		.amdhsa_float_round_mode_16_64 0
		.amdhsa_float_denorm_mode_32 3
		.amdhsa_float_denorm_mode_16_64 3
		.amdhsa_dx10_clamp 1
		.amdhsa_ieee_mode 1
		.amdhsa_fp16_overflow 0
		.amdhsa_tg_split 0
		.amdhsa_exception_fp_ieee_invalid_op 0
		.amdhsa_exception_fp_denorm_src 0
		.amdhsa_exception_fp_ieee_div_zero 0
		.amdhsa_exception_fp_ieee_overflow 0
		.amdhsa_exception_fp_ieee_underflow 0
		.amdhsa_exception_fp_ieee_inexact 0
		.amdhsa_exception_int_div_zero 0
	.end_amdhsa_kernel
	.section	.text._ZL20rocblas_gemvn_kernelILi64ELi16El16rocblas_bfloat16ffEviiT3_lPKT2_lT1_lS4_lS5_lS1_lPT4_lS5_li,"axG",@progbits,_ZL20rocblas_gemvn_kernelILi64ELi16El16rocblas_bfloat16ffEviiT3_lPKT2_lT1_lS4_lS5_lS1_lPT4_lS5_li,comdat
.Lfunc_end641:
	.size	_ZL20rocblas_gemvn_kernelILi64ELi16El16rocblas_bfloat16ffEviiT3_lPKT2_lT1_lS4_lS5_lS1_lPT4_lS5_li, .Lfunc_end641-_ZL20rocblas_gemvn_kernelILi64ELi16El16rocblas_bfloat16ffEviiT3_lPKT2_lT1_lS4_lS5_lS1_lPT4_lS5_li
                                        ; -- End function
	.section	.AMDGPU.csdata,"",@progbits
; Kernel info:
; codeLenInByte = 2876
; NumSgprs: 59
; NumVgprs: 51
; NumAgprs: 0
; TotalNumVgprs: 51
; ScratchSize: 0
; MemoryBound: 0
; FloatMode: 240
; IeeeMode: 1
; LDSByteSize: 16384 bytes/workgroup (compile time only)
; SGPRBlocks: 7
; VGPRBlocks: 6
; NumSGPRsForWavesPerEU: 59
; NumVGPRsForWavesPerEU: 51
; AccumOffset: 52
; Occupancy: 8
; WaveLimiterHint : 1
; COMPUTE_PGM_RSRC2:SCRATCH_EN: 0
; COMPUTE_PGM_RSRC2:USER_SGPR: 2
; COMPUTE_PGM_RSRC2:TRAP_HANDLER: 0
; COMPUTE_PGM_RSRC2:TGID_X_EN: 1
; COMPUTE_PGM_RSRC2:TGID_Y_EN: 0
; COMPUTE_PGM_RSRC2:TGID_Z_EN: 1
; COMPUTE_PGM_RSRC2:TIDIG_COMP_CNT: 1
; COMPUTE_PGM_RSRC3_GFX90A:ACCUM_OFFSET: 12
; COMPUTE_PGM_RSRC3_GFX90A:TG_SPLIT: 0
	.section	.text._ZL22rocblas_gemvtsm_kernelILb0ELi256E16rocblas_bfloat16PKffEviiT2_lPKT1_lilS6_lilS3_lPT3_lil,"axG",@progbits,_ZL22rocblas_gemvtsm_kernelILb0ELi256E16rocblas_bfloat16PKffEviiT2_lPKT1_lilS6_lilS3_lPT3_lil,comdat
	.globl	_ZL22rocblas_gemvtsm_kernelILb0ELi256E16rocblas_bfloat16PKffEviiT2_lPKT1_lilS6_lilS3_lPT3_lil ; -- Begin function _ZL22rocblas_gemvtsm_kernelILb0ELi256E16rocblas_bfloat16PKffEviiT2_lPKT1_lilS6_lilS3_lPT3_lil
	.p2align	8
	.type	_ZL22rocblas_gemvtsm_kernelILb0ELi256E16rocblas_bfloat16PKffEviiT2_lPKT1_lilS6_lilS3_lPT3_lil,@function
_ZL22rocblas_gemvtsm_kernelILb0ELi256E16rocblas_bfloat16PKffEviiT2_lPKT1_lilS6_lilS3_lPT3_lil: ; @_ZL22rocblas_gemvtsm_kernelILb0ELi256E16rocblas_bfloat16PKffEviiT2_lPKT1_lilS6_lilS3_lPT3_lil
; %bb.0:
	s_load_dwordx8 s[4:11], s[0:1], 0x8
	s_load_dwordx8 s[12:19], s[0:1], 0x50
	s_waitcnt lgkmcnt(0)
	s_mul_i32 s3, s2, s7
	s_mul_hi_u32 s7, s2, s6
	s_add_i32 s7, s7, s3
	s_mul_i32 s6, s2, s6
	s_lshl_b64 s[6:7], s[6:7], 2
	s_add_u32 s4, s4, s6
	s_addc_u32 s5, s5, s7
	s_load_dword s3, s[4:5], 0x0
	s_mul_i32 s4, s2, s17
	s_mul_hi_u32 s5, s2, s16
	s_add_i32 s5, s5, s4
	s_mul_i32 s4, s2, s16
	s_lshl_b64 s[4:5], s[4:5], 2
	s_add_u32 s4, s14, s4
	s_addc_u32 s5, s15, s5
	s_load_dword s28, s[4:5], 0x0
	s_waitcnt lgkmcnt(0)
	v_cmp_eq_f32_e64 s[4:5], s3, 0
	v_cmp_eq_f32_e64 s[6:7], s28, 1.0
	s_and_b64 s[4:5], s[4:5], s[6:7]
	s_and_b64 vcc, exec, s[4:5]
	s_cbranch_vccnz .LBB642_58
; %bb.1:
	s_load_dwordx2 s[4:5], s[0:1], 0x80
	s_load_dword s14, s[0:1], 0x78
	s_load_dwordx2 s[20:21], s[0:1], 0x70
	s_load_dwordx2 s[16:17], s[0:1], 0x0
	s_waitcnt lgkmcnt(0)
	s_mul_i32 s5, s2, s5
	s_mul_hi_u32 s6, s2, s4
	s_add_i32 s23, s6, s5
	s_mul_i32 s22, s2, s4
	v_cmp_neq_f32_e64 s[4:5], s3, 0
	s_and_b64 vcc, exec, s[4:5]
	s_cbranch_vccnz .LBB642_9
; %bb.2:
	s_cmp_gt_i32 s17, 0
	s_cselect_b64 s[6:7], -1, 0
	v_cmp_neq_f32_e64 s[4:5], s28, 0
	v_cndmask_b32_e64 v1, 0, 1, s[6:7]
	s_and_b64 vcc, exec, s[4:5]
	v_cmp_ne_u32_e64 s[4:5], 1, v1
	s_cbranch_vccnz .LBB642_10
; %bb.3:
	s_and_b64 vcc, exec, s[4:5]
	s_cbranch_vccnz .LBB642_8
; %bb.4:
	v_mad_i64_i32 v[2:3], s[24:25], s14, v0, 0
	s_ashr_i32 s15, s14, 31
	s_lshl_b64 s[6:7], s[22:23], 2
	s_lshl_b64 s[24:25], s[20:21], 2
	s_add_u32 s24, s18, s24
	s_addc_u32 s25, s19, s25
	s_add_u32 s6, s24, s6
	s_addc_u32 s7, s25, s7
	v_lshl_add_u64 v[2:3], v[2:3], 2, s[6:7]
	s_lshl_b64 s[6:7], s[14:15], 10
	s_mov_b32 s15, 0
	v_mov_b32_e32 v1, 0
	s_branch .LBB642_6
.LBB642_5:                              ;   in Loop: Header=BB642_6 Depth=1
	s_or_b64 exec, exec, s[24:25]
	s_addk_i32 s15, 0x100
	s_cmp_ge_i32 s15, s17
	v_lshl_add_u64 v[2:3], v[2:3], 0, s[6:7]
	s_cbranch_scc1 .LBB642_8
.LBB642_6:                              ; =>This Inner Loop Header: Depth=1
	v_add_u32_e32 v4, s15, v0
	v_cmp_gt_i32_e32 vcc, s17, v4
	s_and_saveexec_b64 s[24:25], vcc
	s_cbranch_execz .LBB642_5
; %bb.7:                                ;   in Loop: Header=BB642_6 Depth=1
	global_store_dword v[2:3], v1, off
	s_branch .LBB642_5
.LBB642_8:
	s_cbranch_execz .LBB642_11
	s_branch .LBB642_16
.LBB642_9:
	s_branch .LBB642_17
.LBB642_10:
.LBB642_11:
	s_and_b64 vcc, exec, s[4:5]
	s_cbranch_vccnz .LBB642_16
; %bb.12:
	v_mad_i64_i32 v[2:3], s[6:7], s14, v0, 0
	s_ashr_i32 s15, s14, 31
	s_lshl_b64 s[4:5], s[22:23], 2
	s_lshl_b64 s[6:7], s[20:21], 2
	s_add_u32 s6, s18, s6
	s_addc_u32 s7, s19, s7
	s_add_u32 s4, s6, s4
	s_addc_u32 s5, s7, s5
	v_lshl_add_u64 v[2:3], v[2:3], 2, s[4:5]
	s_lshl_b64 s[4:5], s[14:15], 10
	s_mov_b32 s15, 0
	s_branch .LBB642_14
.LBB642_13:                             ;   in Loop: Header=BB642_14 Depth=1
	s_or_b64 exec, exec, s[6:7]
	s_addk_i32 s15, 0x100
	s_cmp_ge_i32 s15, s17
	v_lshl_add_u64 v[2:3], v[2:3], 0, s[4:5]
	s_cbranch_scc1 .LBB642_16
.LBB642_14:                             ; =>This Inner Loop Header: Depth=1
	v_add_u32_e32 v1, s15, v0
	v_cmp_gt_i32_e32 vcc, s17, v1
	s_and_saveexec_b64 s[6:7], vcc
	s_cbranch_execz .LBB642_13
; %bb.15:                               ;   in Loop: Header=BB642_14 Depth=1
	global_load_dword v1, v[2:3], off
	s_waitcnt vmcnt(0)
	v_mul_f32_e32 v1, s28, v1
	global_store_dword v[2:3], v1, off
	s_branch .LBB642_13
.LBB642_16:
	s_cbranch_execnz .LBB642_58
.LBB642_17:
	s_load_dwordx4 s[4:7], s[0:1], 0x30
	s_load_dwordx2 s[26:27], s[0:1], 0x40
	v_cmp_gt_i32_e32 vcc, s16, v0
	s_and_saveexec_b64 s[24:25], vcc
	s_cbranch_execz .LBB642_23
; %bb.18:
	s_mul_i32 s13, s2, s13
	s_mul_hi_u32 s15, s2, s12
	s_add_i32 s13, s15, s13
	s_mul_i32 s12, s2, s12
	s_load_dword s15, s[0:1], 0x48
	s_lshl_b64 s[12:13], s[12:13], 1
	s_waitcnt lgkmcnt(0)
	s_add_u32 s12, s6, s12
	s_addc_u32 s13, s7, s13
	s_lshl_b64 s[6:7], s[26:27], 1
	s_add_u32 s6, s12, s6
	s_addc_u32 s7, s13, s7
	v_mad_i64_i32 v[2:3], s[12:13], s15, v0, 0
	v_lshl_add_u64 v[2:3], v[2:3], 1, s[6:7]
	global_load_ushort v1, v[2:3], off
	s_waitcnt vmcnt(0)
	v_lshlrev_b32_e32 v1, 16, v1
	v_mul_f32_e32 v1, s3, v1
	s_mov_b32 s3, 0x7f800000
	v_and_b32_e32 v2, 0x7f800000, v1
	v_cmp_ne_u32_e32 vcc, s3, v2
                                        ; implicit-def: $vgpr2
	s_and_saveexec_b64 s[6:7], vcc
	s_xor_b64 s[6:7], exec, s[6:7]
; %bb.19:
	v_bfe_u32 v2, v1, 16, 1
	s_movk_i32 s3, 0x7fff
	v_add3_u32 v2, v1, v2, s3
                                        ; implicit-def: $vgpr1
; %bb.20:
	s_andn2_saveexec_b64 s[6:7], s[6:7]
; %bb.21:
	v_mov_b32_e32 v2, 0
	v_or_b32_e32 v3, 0x10000, v1
	v_cmp_eq_u32_sdwa vcc, v1, v2 src0_sel:WORD_0 src1_sel:DWORD
	s_nop 1
	v_cndmask_b32_e32 v2, v3, v1, vcc
; %bb.22:
	s_or_b64 exec, exec, s[6:7]
	v_and_b32_e32 v1, 0xffff0000, v2
	v_lshlrev_b32_e32 v2, 2, v0
	ds_write_b32 v2, v1
.LBB642_23:
	s_or_b64 exec, exec, s[24:25]
	s_cmp_lt_i32 s17, 1
	s_waitcnt lgkmcnt(0)
	s_barrier
	s_cbranch_scc1 .LBB642_58
; %bb.24:
	s_load_dword s0, s[0:1], 0x28
	s_lshl_b64 s[6:7], s[22:23], 2
	s_add_u32 s3, s18, s6
	s_addc_u32 s1, s19, s7
	s_lshl_b64 s[6:7], s[20:21], 2
	s_add_u32 s6, s3, s6
	s_addc_u32 s7, s1, s7
	s_waitcnt lgkmcnt(0)
	s_ashr_i32 s1, s0, 31
	s_ashr_i32 s15, s14, 31
	s_cmp_gt_i32 s16, 0
	s_cselect_b64 s[20:21], -1, 0
	s_and_b32 s22, s16, 3
	s_cmp_gt_u32 s16, 3
	s_cselect_b64 s[24:25], -1, 0
	s_and_b32 s16, s16, 0x7ffffffc
	s_cmp_lg_u32 s22, 0
	s_mul_i32 s3, s5, s2
	s_mul_hi_u32 s5, s4, s2
	s_cselect_b64 s[18:19], -1, 0
	s_add_i32 s3, s5, s3
	s_mul_i32 s2, s4, s2
	v_mad_i64_i32 v[2:3], s[4:5], s0, v0, 0
	s_lshl_b64 s[2:3], s[2:3], 1
	s_lshl_b64 s[4:5], s[10:11], 1
	s_add_u32 s4, s8, s4
	s_addc_u32 s5, s9, s5
	s_add_u32 s2, s4, s2
	s_addc_u32 s3, s5, s3
	s_lshl_b64 s[8:9], s[0:1], 9
	v_cmp_neq_f32_e64 s[0:1], s28, 0
	v_lshl_add_u64 v[2:3], v[2:3], 1, s[2:3]
	v_cndmask_b32_e64 v6, 0, 1, s[24:25]
	v_cndmask_b32_e64 v1, 0, 1, s[0:1]
	v_cmp_ne_u32_e64 s[0:1], 1, v1
	v_cndmask_b32_e64 v1, 0, 1, s[20:21]
	s_mov_b32 s13, 0
	v_lshl_add_u64 v[4:5], v[2:3], 0, 4
	v_cmp_ne_u32_e64 s[2:3], 1, v6
	s_mov_b32 s23, 0x7f800000
	s_movk_i32 s24, 0x7fff
	v_cmp_ne_u32_e64 s[4:5], 1, v1
	v_mov_b32_e32 v1, 0
	s_mov_b32 s25, 0
	s_branch .LBB642_27
.LBB642_25:                             ;   in Loop: Header=BB642_27 Depth=1
	global_store_dword v[6:7], v10, off
.LBB642_26:                             ;   in Loop: Header=BB642_27 Depth=1
	s_or_b64 exec, exec, s[10:11]
	s_addk_i32 s25, 0x100
	v_lshl_add_u64 v[4:5], v[4:5], 0, s[8:9]
	s_cmp_ge_i32 s25, s17
	v_lshl_add_u64 v[2:3], v[2:3], 0, s[8:9]
	s_cbranch_scc1 .LBB642_58
.LBB642_27:                             ; =>This Loop Header: Depth=1
                                        ;     Child Loop BB642_34 Depth 2
                                        ;     Child Loop BB642_54 Depth 2
	v_add_u32_e32 v6, s25, v0
	v_cmp_gt_i32_e32 vcc, s17, v6
	s_and_saveexec_b64 s[10:11], vcc
	s_cbranch_execz .LBB642_26
; %bb.28:                               ;   in Loop: Header=BB642_27 Depth=1
	v_mad_u64_u32 v[8:9], s[20:21], v6, s14, 0
	v_mov_b32_e32 v10, v9
	v_mad_u64_u32 v[6:7], s[20:21], v6, s15, v[10:11]
	v_mov_b32_e32 v9, v6
	s_and_b64 vcc, exec, s[0:1]
	v_lshl_add_u64 v[6:7], v[8:9], 2, s[6:7]
	s_cbranch_vccnz .LBB642_30
; %bb.29:                               ;   in Loop: Header=BB642_27 Depth=1
	global_load_dword v8, v[6:7], off
	s_waitcnt vmcnt(0)
	v_mul_f32_e32 v10, s28, v8
	s_and_b64 vcc, exec, s[4:5]
	s_cbranch_vccz .LBB642_31
	s_branch .LBB642_25
.LBB642_30:                             ;   in Loop: Header=BB642_27 Depth=1
	v_mov_b32_e32 v10, 0
	s_and_b64 vcc, exec, s[4:5]
	s_cbranch_vccnz .LBB642_25
.LBB642_31:                             ;   in Loop: Header=BB642_27 Depth=1
	s_mov_b32 s12, 0
	s_and_b64 vcc, exec, s[2:3]
	s_cbranch_vccnz .LBB642_51
; %bb.32:                               ;   in Loop: Header=BB642_27 Depth=1
	s_mov_b32 s26, 0
	v_mov_b64_e32 v[8:9], v[4:5]
	s_branch .LBB642_34
.LBB642_33:                             ;   in Loop: Header=BB642_34 Depth=2
	s_or_b64 exec, exec, s[20:21]
	v_and_b32_e32 v11, 0xffff0000, v11
	v_add_f32_e32 v10, v10, v11
	v_and_b32_e32 v11, 0xffff0000, v12
	v_add_f32_e32 v10, v10, v11
	;; [unrolled: 2-line block ×3, first 2 shown]
	v_and_b32_e32 v11, 0xffff0000, v14
	s_add_i32 s26, s26, 4
	s_add_i32 s12, s12, 16
	v_add_f32_e32 v10, v10, v11
	s_cmp_eq_u32 s16, s26
	v_lshl_add_u64 v[8:9], v[8:9], 0, 8
	s_cbranch_scc1 .LBB642_50
.LBB642_34:                             ;   Parent Loop BB642_27 Depth=1
                                        ; =>  This Inner Loop Header: Depth=2
	global_load_ushort v11, v[8:9], off offset:-4
	v_mov_b32_e32 v12, s12
	ds_read_b32 v12, v12
	s_waitcnt vmcnt(0)
	v_lshlrev_b32_e32 v11, 16, v11
	s_waitcnt lgkmcnt(0)
	v_mul_f32_e32 v12, v12, v11
	v_and_b32_e32 v11, 0x7f800000, v12
	v_cmp_ne_u32_e32 vcc, s23, v11
                                        ; implicit-def: $vgpr11
	s_and_saveexec_b64 s[20:21], vcc
	s_xor_b64 s[20:21], exec, s[20:21]
; %bb.35:                               ;   in Loop: Header=BB642_34 Depth=2
	v_bfe_u32 v11, v12, 16, 1
	v_add3_u32 v11, v12, v11, s24
                                        ; implicit-def: $vgpr12
; %bb.36:                               ;   in Loop: Header=BB642_34 Depth=2
	s_andn2_saveexec_b64 s[20:21], s[20:21]
; %bb.37:                               ;   in Loop: Header=BB642_34 Depth=2
	v_or_b32_e32 v11, 0x10000, v12
	v_cmp_eq_u32_sdwa vcc, v12, v1 src0_sel:WORD_0 src1_sel:DWORD
	s_nop 1
	v_cndmask_b32_e32 v11, v11, v12, vcc
; %bb.38:                               ;   in Loop: Header=BB642_34 Depth=2
	s_or_b64 exec, exec, s[20:21]
	global_load_ushort v12, v[8:9], off offset:-2
	v_mov_b32_e32 v13, s12
	ds_read_b32 v13, v13 offset:4
	s_waitcnt vmcnt(0)
	v_lshlrev_b32_e32 v12, 16, v12
	s_waitcnt lgkmcnt(0)
	v_mul_f32_e32 v13, v13, v12
	v_and_b32_e32 v12, 0x7f800000, v13
	v_cmp_ne_u32_e32 vcc, s23, v12
                                        ; implicit-def: $vgpr12
	s_and_saveexec_b64 s[20:21], vcc
	s_xor_b64 s[20:21], exec, s[20:21]
; %bb.39:                               ;   in Loop: Header=BB642_34 Depth=2
	v_bfe_u32 v12, v13, 16, 1
	v_add3_u32 v12, v13, v12, s24
                                        ; implicit-def: $vgpr13
; %bb.40:                               ;   in Loop: Header=BB642_34 Depth=2
	s_andn2_saveexec_b64 s[20:21], s[20:21]
; %bb.41:                               ;   in Loop: Header=BB642_34 Depth=2
	v_or_b32_e32 v12, 0x10000, v13
	v_cmp_eq_u32_sdwa vcc, v13, v1 src0_sel:WORD_0 src1_sel:DWORD
	s_nop 1
	v_cndmask_b32_e32 v12, v12, v13, vcc
; %bb.42:                               ;   in Loop: Header=BB642_34 Depth=2
	s_or_b64 exec, exec, s[20:21]
	global_load_ushort v13, v[8:9], off
	v_mov_b32_e32 v14, s12
	ds_read_b32 v14, v14 offset:8
	s_waitcnt vmcnt(0)
	v_lshlrev_b32_e32 v13, 16, v13
	s_waitcnt lgkmcnt(0)
	v_mul_f32_e32 v14, v14, v13
	v_and_b32_e32 v13, 0x7f800000, v14
	v_cmp_ne_u32_e32 vcc, s23, v13
                                        ; implicit-def: $vgpr13
	s_and_saveexec_b64 s[20:21], vcc
	s_xor_b64 s[20:21], exec, s[20:21]
; %bb.43:                               ;   in Loop: Header=BB642_34 Depth=2
	v_bfe_u32 v13, v14, 16, 1
	v_add3_u32 v13, v14, v13, s24
                                        ; implicit-def: $vgpr14
; %bb.44:                               ;   in Loop: Header=BB642_34 Depth=2
	s_andn2_saveexec_b64 s[20:21], s[20:21]
; %bb.45:                               ;   in Loop: Header=BB642_34 Depth=2
	v_or_b32_e32 v13, 0x10000, v14
	v_cmp_eq_u32_sdwa vcc, v14, v1 src0_sel:WORD_0 src1_sel:DWORD
	s_nop 1
	v_cndmask_b32_e32 v13, v13, v14, vcc
; %bb.46:                               ;   in Loop: Header=BB642_34 Depth=2
	s_or_b64 exec, exec, s[20:21]
	global_load_ushort v14, v[8:9], off offset:2
	v_mov_b32_e32 v15, s12
	ds_read_b32 v15, v15 offset:12
	s_waitcnt vmcnt(0)
	v_lshlrev_b32_e32 v14, 16, v14
	s_waitcnt lgkmcnt(0)
	v_mul_f32_e32 v15, v15, v14
	v_and_b32_e32 v14, 0x7f800000, v15
	v_cmp_ne_u32_e32 vcc, s23, v14
                                        ; implicit-def: $vgpr14
	s_and_saveexec_b64 s[20:21], vcc
	s_xor_b64 s[20:21], exec, s[20:21]
; %bb.47:                               ;   in Loop: Header=BB642_34 Depth=2
	v_bfe_u32 v14, v15, 16, 1
	v_add3_u32 v14, v15, v14, s24
                                        ; implicit-def: $vgpr15
; %bb.48:                               ;   in Loop: Header=BB642_34 Depth=2
	s_andn2_saveexec_b64 s[20:21], s[20:21]
	s_cbranch_execz .LBB642_33
; %bb.49:                               ;   in Loop: Header=BB642_34 Depth=2
	v_or_b32_e32 v14, 0x10000, v15
	v_cmp_eq_u32_sdwa vcc, v15, v1 src0_sel:WORD_0 src1_sel:DWORD
	s_nop 1
	v_cndmask_b32_e32 v14, v14, v15, vcc
	s_branch .LBB642_33
.LBB642_50:                             ;   in Loop: Header=BB642_27 Depth=1
	s_mov_b32 s12, s16
.LBB642_51:                             ;   in Loop: Header=BB642_27 Depth=1
	s_andn2_b64 vcc, exec, s[18:19]
	s_cbranch_vccnz .LBB642_25
; %bb.52:                               ;   in Loop: Header=BB642_27 Depth=1
	s_lshl_b32 s26, s12, 2
	s_lshl_b32 s12, s12, 1
	v_lshl_add_u64 v[8:9], v[2:3], 0, s[12:13]
	s_mov_b32 s12, s22
	s_branch .LBB642_54
.LBB642_53:                             ;   in Loop: Header=BB642_54 Depth=2
	s_or_b64 exec, exec, s[20:21]
	v_and_b32_e32 v11, 0xffff0000, v12
	s_add_i32 s26, s26, 4
	s_add_i32 s12, s12, -1
	v_add_f32_e32 v10, v10, v11
	s_cmp_lg_u32 s12, 0
	v_lshl_add_u64 v[8:9], v[8:9], 0, 2
	s_cbranch_scc0 .LBB642_25
.LBB642_54:                             ;   Parent Loop BB642_27 Depth=1
                                        ; =>  This Inner Loop Header: Depth=2
	global_load_ushort v11, v[8:9], off
	v_mov_b32_e32 v12, s26
	ds_read_b32 v12, v12
	s_waitcnt vmcnt(0)
	v_lshlrev_b32_e32 v11, 16, v11
	s_waitcnt lgkmcnt(0)
	v_mul_f32_e32 v11, v12, v11
	v_and_b32_e32 v12, 0x7f800000, v11
	v_cmp_ne_u32_e32 vcc, s23, v12
                                        ; implicit-def: $vgpr12
	s_and_saveexec_b64 s[20:21], vcc
	s_xor_b64 s[20:21], exec, s[20:21]
; %bb.55:                               ;   in Loop: Header=BB642_54 Depth=2
	v_bfe_u32 v12, v11, 16, 1
	v_add3_u32 v12, v11, v12, s24
                                        ; implicit-def: $vgpr11
; %bb.56:                               ;   in Loop: Header=BB642_54 Depth=2
	s_andn2_saveexec_b64 s[20:21], s[20:21]
	s_cbranch_execz .LBB642_53
; %bb.57:                               ;   in Loop: Header=BB642_54 Depth=2
	v_or_b32_e32 v12, 0x10000, v11
	v_cmp_eq_u32_sdwa vcc, v11, v1 src0_sel:WORD_0 src1_sel:DWORD
	s_nop 1
	v_cndmask_b32_e32 v12, v12, v11, vcc
	s_branch .LBB642_53
.LBB642_58:
	s_endpgm
	.section	.rodata,"a",@progbits
	.p2align	6, 0x0
	.amdhsa_kernel _ZL22rocblas_gemvtsm_kernelILb0ELi256E16rocblas_bfloat16PKffEviiT2_lPKT1_lilS6_lilS3_lPT3_lil
		.amdhsa_group_segment_fixed_size 256
		.amdhsa_private_segment_fixed_size 0
		.amdhsa_kernarg_size 136
		.amdhsa_user_sgpr_count 2
		.amdhsa_user_sgpr_dispatch_ptr 0
		.amdhsa_user_sgpr_queue_ptr 0
		.amdhsa_user_sgpr_kernarg_segment_ptr 1
		.amdhsa_user_sgpr_dispatch_id 0
		.amdhsa_user_sgpr_kernarg_preload_length 0
		.amdhsa_user_sgpr_kernarg_preload_offset 0
		.amdhsa_user_sgpr_private_segment_size 0
		.amdhsa_uses_dynamic_stack 0
		.amdhsa_enable_private_segment 0
		.amdhsa_system_sgpr_workgroup_id_x 1
		.amdhsa_system_sgpr_workgroup_id_y 0
		.amdhsa_system_sgpr_workgroup_id_z 0
		.amdhsa_system_sgpr_workgroup_info 0
		.amdhsa_system_vgpr_workitem_id 0
		.amdhsa_next_free_vgpr 16
		.amdhsa_next_free_sgpr 29
		.amdhsa_accum_offset 16
		.amdhsa_reserve_vcc 1
		.amdhsa_float_round_mode_32 0
		.amdhsa_float_round_mode_16_64 0
		.amdhsa_float_denorm_mode_32 3
		.amdhsa_float_denorm_mode_16_64 3
		.amdhsa_dx10_clamp 1
		.amdhsa_ieee_mode 1
		.amdhsa_fp16_overflow 0
		.amdhsa_tg_split 0
		.amdhsa_exception_fp_ieee_invalid_op 0
		.amdhsa_exception_fp_denorm_src 0
		.amdhsa_exception_fp_ieee_div_zero 0
		.amdhsa_exception_fp_ieee_overflow 0
		.amdhsa_exception_fp_ieee_underflow 0
		.amdhsa_exception_fp_ieee_inexact 0
		.amdhsa_exception_int_div_zero 0
	.end_amdhsa_kernel
	.section	.text._ZL22rocblas_gemvtsm_kernelILb0ELi256E16rocblas_bfloat16PKffEviiT2_lPKT1_lilS6_lilS3_lPT3_lil,"axG",@progbits,_ZL22rocblas_gemvtsm_kernelILb0ELi256E16rocblas_bfloat16PKffEviiT2_lPKT1_lilS6_lilS3_lPT3_lil,comdat
.Lfunc_end642:
	.size	_ZL22rocblas_gemvtsm_kernelILb0ELi256E16rocblas_bfloat16PKffEviiT2_lPKT1_lilS6_lilS3_lPT3_lil, .Lfunc_end642-_ZL22rocblas_gemvtsm_kernelILb0ELi256E16rocblas_bfloat16PKffEviiT2_lPKT1_lilS6_lilS3_lPT3_lil
                                        ; -- End function
	.section	.AMDGPU.csdata,"",@progbits
; Kernel info:
; codeLenInByte = 1816
; NumSgprs: 35
; NumVgprs: 16
; NumAgprs: 0
; TotalNumVgprs: 16
; ScratchSize: 0
; MemoryBound: 0
; FloatMode: 240
; IeeeMode: 1
; LDSByteSize: 256 bytes/workgroup (compile time only)
; SGPRBlocks: 4
; VGPRBlocks: 1
; NumSGPRsForWavesPerEU: 35
; NumVGPRsForWavesPerEU: 16
; AccumOffset: 16
; Occupancy: 8
; WaveLimiterHint : 1
; COMPUTE_PGM_RSRC2:SCRATCH_EN: 0
; COMPUTE_PGM_RSRC2:USER_SGPR: 2
; COMPUTE_PGM_RSRC2:TRAP_HANDLER: 0
; COMPUTE_PGM_RSRC2:TGID_X_EN: 1
; COMPUTE_PGM_RSRC2:TGID_Y_EN: 0
; COMPUTE_PGM_RSRC2:TGID_Z_EN: 0
; COMPUTE_PGM_RSRC2:TIDIG_COMP_CNT: 0
; COMPUTE_PGM_RSRC3_GFX90A:ACCUM_OFFSET: 3
; COMPUTE_PGM_RSRC3_GFX90A:TG_SPLIT: 0
	.section	.text._ZL22rocblas_gemvtsm_kernelILb0ELi256E16rocblas_bfloat16ffEviiT2_lPKT1_lilS4_lilS1_lPT3_lil,"axG",@progbits,_ZL22rocblas_gemvtsm_kernelILb0ELi256E16rocblas_bfloat16ffEviiT2_lPKT1_lilS4_lilS1_lPT3_lil,comdat
	.globl	_ZL22rocblas_gemvtsm_kernelILb0ELi256E16rocblas_bfloat16ffEviiT2_lPKT1_lilS4_lilS1_lPT3_lil ; -- Begin function _ZL22rocblas_gemvtsm_kernelILb0ELi256E16rocblas_bfloat16ffEviiT2_lPKT1_lilS4_lilS1_lPT3_lil
	.p2align	8
	.type	_ZL22rocblas_gemvtsm_kernelILb0ELi256E16rocblas_bfloat16ffEviiT2_lPKT1_lilS4_lilS1_lPT3_lil,@function
_ZL22rocblas_gemvtsm_kernelILb0ELi256E16rocblas_bfloat16ffEviiT2_lPKT1_lilS4_lilS1_lPT3_lil: ; @_ZL22rocblas_gemvtsm_kernelILb0ELi256E16rocblas_bfloat16ffEviiT2_lPKT1_lilS4_lilS1_lPT3_lil
; %bb.0:
	s_load_dwordx4 s[8:11], s[0:1], 0x0
	s_load_dword s24, s[0:1], 0x58
	s_waitcnt lgkmcnt(0)
	v_cmp_eq_f32_e64 s[4:5], s10, 0
	v_cmp_eq_f32_e64 s[6:7], s24, 1.0
	s_and_b64 s[4:5], s[4:5], s[6:7]
	s_and_b64 vcc, exec, s[4:5]
	s_cbranch_vccnz .LBB643_58
; %bb.1:
	s_load_dwordx2 s[4:5], s[0:1], 0x80
	s_load_dwordx4 s[12:15], s[0:1], 0x68
	s_load_dword s16, s[0:1], 0x78
	s_waitcnt lgkmcnt(0)
	s_mul_i32 s3, s2, s5
	s_mul_hi_u32 s5, s2, s4
	s_mul_i32 s18, s2, s4
	s_add_i32 s19, s5, s3
	v_cmp_neq_f32_e64 s[4:5], s10, 0
	s_and_b64 vcc, exec, s[4:5]
	s_cbranch_vccnz .LBB643_9
; %bb.2:
	s_cmp_gt_i32 s9, 0
	s_cselect_b64 s[6:7], -1, 0
	v_cmp_neq_f32_e64 s[4:5], s24, 0
	v_cndmask_b32_e64 v1, 0, 1, s[6:7]
	s_and_b64 vcc, exec, s[4:5]
	v_cmp_ne_u32_e64 s[4:5], 1, v1
	s_cbranch_vccnz .LBB643_10
; %bb.3:
	s_and_b64 vcc, exec, s[4:5]
	s_cbranch_vccnz .LBB643_8
; %bb.4:
	v_mad_i64_i32 v[2:3], s[20:21], s16, v0, 0
	s_ashr_i32 s17, s16, 31
	s_lshl_b64 s[6:7], s[18:19], 2
	s_lshl_b64 s[20:21], s[14:15], 2
	s_add_u32 s3, s12, s20
	s_addc_u32 s11, s13, s21
	s_add_u32 s6, s3, s6
	s_addc_u32 s7, s11, s7
	v_lshl_add_u64 v[2:3], v[2:3], 2, s[6:7]
	s_lshl_b64 s[6:7], s[16:17], 10
	s_mov_b32 s3, 0
	v_mov_b32_e32 v1, 0
	s_branch .LBB643_6
.LBB643_5:                              ;   in Loop: Header=BB643_6 Depth=1
	s_or_b64 exec, exec, s[20:21]
	s_addk_i32 s3, 0x100
	s_cmp_ge_i32 s3, s9
	v_lshl_add_u64 v[2:3], v[2:3], 0, s[6:7]
	s_cbranch_scc1 .LBB643_8
.LBB643_6:                              ; =>This Inner Loop Header: Depth=1
	v_add_u32_e32 v4, s3, v0
	v_cmp_gt_i32_e32 vcc, s9, v4
	s_and_saveexec_b64 s[20:21], vcc
	s_cbranch_execz .LBB643_5
; %bb.7:                                ;   in Loop: Header=BB643_6 Depth=1
	global_store_dword v[2:3], v1, off
	s_branch .LBB643_5
.LBB643_8:
	s_cbranch_execz .LBB643_11
	s_branch .LBB643_16
.LBB643_9:
	s_branch .LBB643_17
.LBB643_10:
.LBB643_11:
	s_and_b64 vcc, exec, s[4:5]
	s_cbranch_vccnz .LBB643_16
; %bb.12:
	v_mad_i64_i32 v[2:3], s[6:7], s16, v0, 0
	s_ashr_i32 s17, s16, 31
	s_lshl_b64 s[4:5], s[18:19], 2
	s_lshl_b64 s[6:7], s[14:15], 2
	s_add_u32 s3, s12, s6
	s_addc_u32 s6, s13, s7
	s_add_u32 s4, s3, s4
	s_addc_u32 s5, s6, s5
	v_lshl_add_u64 v[2:3], v[2:3], 2, s[4:5]
	s_lshl_b64 s[4:5], s[16:17], 10
	s_mov_b32 s3, 0
	s_branch .LBB643_14
.LBB643_13:                             ;   in Loop: Header=BB643_14 Depth=1
	s_or_b64 exec, exec, s[6:7]
	s_addk_i32 s3, 0x100
	s_cmp_ge_i32 s3, s9
	v_lshl_add_u64 v[2:3], v[2:3], 0, s[4:5]
	s_cbranch_scc1 .LBB643_16
.LBB643_14:                             ; =>This Inner Loop Header: Depth=1
	v_add_u32_e32 v1, s3, v0
	v_cmp_gt_i32_e32 vcc, s9, v1
	s_and_saveexec_b64 s[6:7], vcc
	s_cbranch_execz .LBB643_13
; %bb.15:                               ;   in Loop: Header=BB643_14 Depth=1
	global_load_dword v1, v[2:3], off
	s_waitcnt vmcnt(0)
	v_mul_f32_e32 v1, s24, v1
	global_store_dword v[2:3], v1, off
	s_branch .LBB643_13
.LBB643_16:
	s_cbranch_execnz .LBB643_58
.LBB643_17:
	s_load_dwordx4 s[4:7], s[0:1], 0x30
	s_load_dwordx2 s[22:23], s[0:1], 0x40
	v_cmp_gt_i32_e32 vcc, s8, v0
	s_and_saveexec_b64 s[20:21], vcc
	s_cbranch_execz .LBB643_23
; %bb.18:
	s_load_dwordx2 s[26:27], s[0:1], 0x50
	s_load_dword s3, s[0:1], 0x48
	s_waitcnt lgkmcnt(0)
	s_mul_i32 s11, s2, s27
	s_mul_hi_u32 s17, s2, s26
	s_mul_i32 s26, s2, s26
	s_add_i32 s27, s17, s11
	s_lshl_b64 s[26:27], s[26:27], 1
	s_add_u32 s11, s6, s26
	s_addc_u32 s17, s7, s27
	s_lshl_b64 s[6:7], s[22:23], 1
	s_add_u32 s6, s11, s6
	s_addc_u32 s7, s17, s7
	v_mad_i64_i32 v[2:3], s[22:23], s3, v0, 0
	v_lshl_add_u64 v[2:3], v[2:3], 1, s[6:7]
	global_load_ushort v1, v[2:3], off
	s_mov_b32 s3, 0x7f800000
	s_waitcnt vmcnt(0)
	v_lshlrev_b32_e32 v1, 16, v1
	v_mul_f32_e32 v1, s10, v1
	v_and_b32_e32 v2, 0x7f800000, v1
	v_cmp_ne_u32_e32 vcc, s3, v2
                                        ; implicit-def: $vgpr2
	s_and_saveexec_b64 s[6:7], vcc
	s_xor_b64 s[6:7], exec, s[6:7]
; %bb.19:
	v_bfe_u32 v2, v1, 16, 1
	s_movk_i32 s3, 0x7fff
	v_add3_u32 v2, v1, v2, s3
                                        ; implicit-def: $vgpr1
; %bb.20:
	s_andn2_saveexec_b64 s[6:7], s[6:7]
; %bb.21:
	v_mov_b32_e32 v2, 0
	v_or_b32_e32 v3, 0x10000, v1
	v_cmp_eq_u32_sdwa vcc, v1, v2 src0_sel:WORD_0 src1_sel:DWORD
	s_nop 1
	v_cndmask_b32_e32 v2, v3, v1, vcc
; %bb.22:
	s_or_b64 exec, exec, s[6:7]
	v_and_b32_e32 v1, 0xffff0000, v2
	v_lshlrev_b32_e32 v2, 2, v0
	ds_write_b32 v2, v1
.LBB643_23:
	s_or_b64 exec, exec, s[20:21]
	s_cmp_lt_i32 s9, 1
	s_waitcnt lgkmcnt(0)
	s_barrier
	s_cbranch_scc1 .LBB643_58
; %bb.24:
	s_lshl_b64 s[6:7], s[18:19], 2
	s_add_u32 s3, s12, s6
	s_load_dwordx4 s[28:31], s[0:1], 0x18
	s_load_dword s6, s[0:1], 0x28
	s_addc_u32 s7, s13, s7
	s_lshl_b64 s[0:1], s[14:15], 2
	s_add_u32 s10, s3, s0
	s_addc_u32 s11, s7, s1
	s_waitcnt lgkmcnt(0)
	s_ashr_i32 s7, s6, 31
	s_ashr_i32 s17, s16, 31
	s_cmp_gt_i32 s8, 0
	s_cselect_b64 s[18:19], -1, 0
	s_and_b32 s22, s8, 3
	s_cmp_gt_u32 s8, 3
	s_cselect_b64 s[20:21], -1, 0
	s_and_b32 s8, s8, 0x7ffffffc
	s_cmp_lg_u32 s22, 0
	s_mul_i32 s0, s5, s2
	s_mul_hi_u32 s1, s4, s2
	s_cselect_b64 s[26:27], -1, 0
	s_add_i32 s1, s1, s0
	s_mul_i32 s0, s4, s2
	v_mad_i64_i32 v[2:3], s[2:3], s6, v0, 0
	s_lshl_b64 s[0:1], s[0:1], 1
	s_lshl_b64 s[2:3], s[30:31], 1
	s_add_u32 s2, s28, s2
	s_addc_u32 s3, s29, s3
	s_add_u32 s0, s2, s0
	s_addc_u32 s1, s3, s1
	v_lshl_add_u64 v[2:3], v[2:3], 1, s[0:1]
	v_cmp_neq_f32_e64 s[0:1], s24, 0
	v_cndmask_b32_e64 v6, 0, 1, s[26:27]
	s_mov_b32 s13, 0
	v_cndmask_b32_e64 v1, 0, 1, s[0:1]
	v_cmp_ne_u32_e64 s[0:1], 1, v1
	v_cndmask_b32_e64 v1, 0, 1, s[18:19]
	v_cmp_ne_u32_e64 s[2:3], 1, v1
	v_cndmask_b32_e64 v1, 0, 1, s[20:21]
	v_lshl_add_u64 v[4:5], v[2:3], 0, 4
	s_lshl_b64 s[14:15], s[6:7], 9
	v_cmp_ne_u32_e64 s[4:5], 1, v1
	s_mov_b32 s23, 0x7f800000
	s_movk_i32 s25, 0x7fff
	v_mov_b32_e32 v1, 0
	v_cmp_ne_u32_e64 s[6:7], 1, v6
	s_mov_b32 s26, 0
	s_branch .LBB643_27
.LBB643_25:                             ;   in Loop: Header=BB643_27 Depth=1
	global_store_dword v[6:7], v10, off
.LBB643_26:                             ;   in Loop: Header=BB643_27 Depth=1
	s_or_b64 exec, exec, s[18:19]
	s_addk_i32 s26, 0x100
	v_lshl_add_u64 v[4:5], v[4:5], 0, s[14:15]
	s_cmp_ge_i32 s26, s9
	v_lshl_add_u64 v[2:3], v[2:3], 0, s[14:15]
	s_cbranch_scc1 .LBB643_58
.LBB643_27:                             ; =>This Loop Header: Depth=1
                                        ;     Child Loop BB643_34 Depth 2
                                        ;     Child Loop BB643_54 Depth 2
	v_add_u32_e32 v6, s26, v0
	v_cmp_gt_i32_e32 vcc, s9, v6
	s_and_saveexec_b64 s[18:19], vcc
	s_cbranch_execz .LBB643_26
; %bb.28:                               ;   in Loop: Header=BB643_27 Depth=1
	v_mad_u64_u32 v[8:9], s[20:21], v6, s16, 0
	v_mov_b32_e32 v10, v9
	v_mad_u64_u32 v[6:7], s[20:21], v6, s17, v[10:11]
	v_mov_b32_e32 v9, v6
	s_and_b64 vcc, exec, s[0:1]
	v_lshl_add_u64 v[6:7], v[8:9], 2, s[10:11]
	s_cbranch_vccnz .LBB643_30
; %bb.29:                               ;   in Loop: Header=BB643_27 Depth=1
	global_load_dword v8, v[6:7], off
	s_waitcnt vmcnt(0)
	v_mul_f32_e32 v10, s24, v8
	s_and_b64 vcc, exec, s[2:3]
	s_cbranch_vccz .LBB643_31
	s_branch .LBB643_25
.LBB643_30:                             ;   in Loop: Header=BB643_27 Depth=1
	v_mov_b32_e32 v10, 0
	s_and_b64 vcc, exec, s[2:3]
	s_cbranch_vccnz .LBB643_25
.LBB643_31:                             ;   in Loop: Header=BB643_27 Depth=1
	s_mov_b32 s12, 0
	s_and_b64 vcc, exec, s[4:5]
	s_cbranch_vccnz .LBB643_51
; %bb.32:                               ;   in Loop: Header=BB643_27 Depth=1
	s_mov_b32 s27, 0
	v_mov_b64_e32 v[8:9], v[4:5]
	s_branch .LBB643_34
.LBB643_33:                             ;   in Loop: Header=BB643_34 Depth=2
	s_or_b64 exec, exec, s[20:21]
	v_and_b32_e32 v11, 0xffff0000, v11
	v_add_f32_e32 v10, v10, v11
	v_and_b32_e32 v11, 0xffff0000, v12
	v_add_f32_e32 v10, v10, v11
	;; [unrolled: 2-line block ×3, first 2 shown]
	v_and_b32_e32 v11, 0xffff0000, v14
	s_add_i32 s27, s27, 4
	s_add_i32 s12, s12, 16
	v_add_f32_e32 v10, v10, v11
	s_cmp_eq_u32 s8, s27
	v_lshl_add_u64 v[8:9], v[8:9], 0, 8
	s_cbranch_scc1 .LBB643_50
.LBB643_34:                             ;   Parent Loop BB643_27 Depth=1
                                        ; =>  This Inner Loop Header: Depth=2
	global_load_ushort v11, v[8:9], off offset:-4
	v_mov_b32_e32 v12, s12
	ds_read_b32 v12, v12
	s_waitcnt vmcnt(0)
	v_lshlrev_b32_e32 v11, 16, v11
	s_waitcnt lgkmcnt(0)
	v_mul_f32_e32 v12, v12, v11
	v_and_b32_e32 v11, 0x7f800000, v12
	v_cmp_ne_u32_e32 vcc, s23, v11
                                        ; implicit-def: $vgpr11
	s_and_saveexec_b64 s[20:21], vcc
	s_xor_b64 s[20:21], exec, s[20:21]
; %bb.35:                               ;   in Loop: Header=BB643_34 Depth=2
	v_bfe_u32 v11, v12, 16, 1
	v_add3_u32 v11, v12, v11, s25
                                        ; implicit-def: $vgpr12
; %bb.36:                               ;   in Loop: Header=BB643_34 Depth=2
	s_andn2_saveexec_b64 s[20:21], s[20:21]
; %bb.37:                               ;   in Loop: Header=BB643_34 Depth=2
	v_or_b32_e32 v11, 0x10000, v12
	v_cmp_eq_u32_sdwa vcc, v12, v1 src0_sel:WORD_0 src1_sel:DWORD
	s_nop 1
	v_cndmask_b32_e32 v11, v11, v12, vcc
; %bb.38:                               ;   in Loop: Header=BB643_34 Depth=2
	s_or_b64 exec, exec, s[20:21]
	global_load_ushort v12, v[8:9], off offset:-2
	v_mov_b32_e32 v13, s12
	ds_read_b32 v13, v13 offset:4
	s_waitcnt vmcnt(0)
	v_lshlrev_b32_e32 v12, 16, v12
	s_waitcnt lgkmcnt(0)
	v_mul_f32_e32 v13, v13, v12
	v_and_b32_e32 v12, 0x7f800000, v13
	v_cmp_ne_u32_e32 vcc, s23, v12
                                        ; implicit-def: $vgpr12
	s_and_saveexec_b64 s[20:21], vcc
	s_xor_b64 s[20:21], exec, s[20:21]
; %bb.39:                               ;   in Loop: Header=BB643_34 Depth=2
	v_bfe_u32 v12, v13, 16, 1
	v_add3_u32 v12, v13, v12, s25
                                        ; implicit-def: $vgpr13
; %bb.40:                               ;   in Loop: Header=BB643_34 Depth=2
	s_andn2_saveexec_b64 s[20:21], s[20:21]
; %bb.41:                               ;   in Loop: Header=BB643_34 Depth=2
	v_or_b32_e32 v12, 0x10000, v13
	v_cmp_eq_u32_sdwa vcc, v13, v1 src0_sel:WORD_0 src1_sel:DWORD
	s_nop 1
	v_cndmask_b32_e32 v12, v12, v13, vcc
; %bb.42:                               ;   in Loop: Header=BB643_34 Depth=2
	s_or_b64 exec, exec, s[20:21]
	global_load_ushort v13, v[8:9], off
	v_mov_b32_e32 v14, s12
	ds_read_b32 v14, v14 offset:8
	s_waitcnt vmcnt(0)
	v_lshlrev_b32_e32 v13, 16, v13
	s_waitcnt lgkmcnt(0)
	v_mul_f32_e32 v14, v14, v13
	v_and_b32_e32 v13, 0x7f800000, v14
	v_cmp_ne_u32_e32 vcc, s23, v13
                                        ; implicit-def: $vgpr13
	s_and_saveexec_b64 s[20:21], vcc
	s_xor_b64 s[20:21], exec, s[20:21]
; %bb.43:                               ;   in Loop: Header=BB643_34 Depth=2
	v_bfe_u32 v13, v14, 16, 1
	v_add3_u32 v13, v14, v13, s25
                                        ; implicit-def: $vgpr14
; %bb.44:                               ;   in Loop: Header=BB643_34 Depth=2
	s_andn2_saveexec_b64 s[20:21], s[20:21]
; %bb.45:                               ;   in Loop: Header=BB643_34 Depth=2
	v_or_b32_e32 v13, 0x10000, v14
	v_cmp_eq_u32_sdwa vcc, v14, v1 src0_sel:WORD_0 src1_sel:DWORD
	s_nop 1
	v_cndmask_b32_e32 v13, v13, v14, vcc
; %bb.46:                               ;   in Loop: Header=BB643_34 Depth=2
	s_or_b64 exec, exec, s[20:21]
	global_load_ushort v14, v[8:9], off offset:2
	v_mov_b32_e32 v15, s12
	ds_read_b32 v15, v15 offset:12
	s_waitcnt vmcnt(0)
	v_lshlrev_b32_e32 v14, 16, v14
	s_waitcnt lgkmcnt(0)
	v_mul_f32_e32 v15, v15, v14
	v_and_b32_e32 v14, 0x7f800000, v15
	v_cmp_ne_u32_e32 vcc, s23, v14
                                        ; implicit-def: $vgpr14
	s_and_saveexec_b64 s[20:21], vcc
	s_xor_b64 s[20:21], exec, s[20:21]
; %bb.47:                               ;   in Loop: Header=BB643_34 Depth=2
	v_bfe_u32 v14, v15, 16, 1
	v_add3_u32 v14, v15, v14, s25
                                        ; implicit-def: $vgpr15
; %bb.48:                               ;   in Loop: Header=BB643_34 Depth=2
	s_andn2_saveexec_b64 s[20:21], s[20:21]
	s_cbranch_execz .LBB643_33
; %bb.49:                               ;   in Loop: Header=BB643_34 Depth=2
	v_or_b32_e32 v14, 0x10000, v15
	v_cmp_eq_u32_sdwa vcc, v15, v1 src0_sel:WORD_0 src1_sel:DWORD
	s_nop 1
	v_cndmask_b32_e32 v14, v14, v15, vcc
	s_branch .LBB643_33
.LBB643_50:                             ;   in Loop: Header=BB643_27 Depth=1
	s_mov_b32 s12, s8
.LBB643_51:                             ;   in Loop: Header=BB643_27 Depth=1
	s_and_b64 vcc, exec, s[6:7]
	s_cbranch_vccnz .LBB643_25
; %bb.52:                               ;   in Loop: Header=BB643_27 Depth=1
	s_lshl_b32 s27, s12, 2
	s_lshl_b32 s12, s12, 1
	v_lshl_add_u64 v[8:9], v[2:3], 0, s[12:13]
	s_mov_b32 s12, s22
	s_branch .LBB643_54
.LBB643_53:                             ;   in Loop: Header=BB643_54 Depth=2
	s_or_b64 exec, exec, s[20:21]
	v_and_b32_e32 v11, 0xffff0000, v12
	s_add_i32 s27, s27, 4
	s_add_i32 s12, s12, -1
	v_add_f32_e32 v10, v10, v11
	s_cmp_lg_u32 s12, 0
	v_lshl_add_u64 v[8:9], v[8:9], 0, 2
	s_cbranch_scc0 .LBB643_25
.LBB643_54:                             ;   Parent Loop BB643_27 Depth=1
                                        ; =>  This Inner Loop Header: Depth=2
	global_load_ushort v11, v[8:9], off
	v_mov_b32_e32 v12, s27
	ds_read_b32 v12, v12
	s_waitcnt vmcnt(0)
	v_lshlrev_b32_e32 v11, 16, v11
	s_waitcnt lgkmcnt(0)
	v_mul_f32_e32 v11, v12, v11
	v_and_b32_e32 v12, 0x7f800000, v11
	v_cmp_ne_u32_e32 vcc, s23, v12
                                        ; implicit-def: $vgpr12
	s_and_saveexec_b64 s[20:21], vcc
	s_xor_b64 s[20:21], exec, s[20:21]
; %bb.55:                               ;   in Loop: Header=BB643_54 Depth=2
	v_bfe_u32 v12, v11, 16, 1
	v_add3_u32 v12, v11, v12, s25
                                        ; implicit-def: $vgpr11
; %bb.56:                               ;   in Loop: Header=BB643_54 Depth=2
	s_andn2_saveexec_b64 s[20:21], s[20:21]
	s_cbranch_execz .LBB643_53
; %bb.57:                               ;   in Loop: Header=BB643_54 Depth=2
	v_or_b32_e32 v12, 0x10000, v11
	v_cmp_eq_u32_sdwa vcc, v11, v1 src0_sel:WORD_0 src1_sel:DWORD
	s_nop 1
	v_cndmask_b32_e32 v12, v12, v11, vcc
	s_branch .LBB643_53
.LBB643_58:
	s_endpgm
	.section	.rodata,"a",@progbits
	.p2align	6, 0x0
	.amdhsa_kernel _ZL22rocblas_gemvtsm_kernelILb0ELi256E16rocblas_bfloat16ffEviiT2_lPKT1_lilS4_lilS1_lPT3_lil
		.amdhsa_group_segment_fixed_size 256
		.amdhsa_private_segment_fixed_size 0
		.amdhsa_kernarg_size 136
		.amdhsa_user_sgpr_count 2
		.amdhsa_user_sgpr_dispatch_ptr 0
		.amdhsa_user_sgpr_queue_ptr 0
		.amdhsa_user_sgpr_kernarg_segment_ptr 1
		.amdhsa_user_sgpr_dispatch_id 0
		.amdhsa_user_sgpr_kernarg_preload_length 0
		.amdhsa_user_sgpr_kernarg_preload_offset 0
		.amdhsa_user_sgpr_private_segment_size 0
		.amdhsa_uses_dynamic_stack 0
		.amdhsa_enable_private_segment 0
		.amdhsa_system_sgpr_workgroup_id_x 1
		.amdhsa_system_sgpr_workgroup_id_y 0
		.amdhsa_system_sgpr_workgroup_id_z 0
		.amdhsa_system_sgpr_workgroup_info 0
		.amdhsa_system_vgpr_workitem_id 0
		.amdhsa_next_free_vgpr 16
		.amdhsa_next_free_sgpr 32
		.amdhsa_accum_offset 16
		.amdhsa_reserve_vcc 1
		.amdhsa_float_round_mode_32 0
		.amdhsa_float_round_mode_16_64 0
		.amdhsa_float_denorm_mode_32 3
		.amdhsa_float_denorm_mode_16_64 3
		.amdhsa_dx10_clamp 1
		.amdhsa_ieee_mode 1
		.amdhsa_fp16_overflow 0
		.amdhsa_tg_split 0
		.amdhsa_exception_fp_ieee_invalid_op 0
		.amdhsa_exception_fp_denorm_src 0
		.amdhsa_exception_fp_ieee_div_zero 0
		.amdhsa_exception_fp_ieee_overflow 0
		.amdhsa_exception_fp_ieee_underflow 0
		.amdhsa_exception_fp_ieee_inexact 0
		.amdhsa_exception_int_div_zero 0
	.end_amdhsa_kernel
	.section	.text._ZL22rocblas_gemvtsm_kernelILb0ELi256E16rocblas_bfloat16ffEviiT2_lPKT1_lilS4_lilS1_lPT3_lil,"axG",@progbits,_ZL22rocblas_gemvtsm_kernelILb0ELi256E16rocblas_bfloat16ffEviiT2_lPKT1_lilS4_lilS1_lPT3_lil,comdat
.Lfunc_end643:
	.size	_ZL22rocblas_gemvtsm_kernelILb0ELi256E16rocblas_bfloat16ffEviiT2_lPKT1_lilS4_lilS1_lPT3_lil, .Lfunc_end643-_ZL22rocblas_gemvtsm_kernelILb0ELi256E16rocblas_bfloat16ffEviiT2_lPKT1_lilS4_lilS1_lPT3_lil
                                        ; -- End function
	.section	.AMDGPU.csdata,"",@progbits
; Kernel info:
; codeLenInByte = 1764
; NumSgprs: 38
; NumVgprs: 16
; NumAgprs: 0
; TotalNumVgprs: 16
; ScratchSize: 0
; MemoryBound: 0
; FloatMode: 240
; IeeeMode: 1
; LDSByteSize: 256 bytes/workgroup (compile time only)
; SGPRBlocks: 4
; VGPRBlocks: 1
; NumSGPRsForWavesPerEU: 38
; NumVGPRsForWavesPerEU: 16
; AccumOffset: 16
; Occupancy: 8
; WaveLimiterHint : 1
; COMPUTE_PGM_RSRC2:SCRATCH_EN: 0
; COMPUTE_PGM_RSRC2:USER_SGPR: 2
; COMPUTE_PGM_RSRC2:TRAP_HANDLER: 0
; COMPUTE_PGM_RSRC2:TGID_X_EN: 1
; COMPUTE_PGM_RSRC2:TGID_Y_EN: 0
; COMPUTE_PGM_RSRC2:TGID_Z_EN: 0
; COMPUTE_PGM_RSRC2:TIDIG_COMP_CNT: 0
; COMPUTE_PGM_RSRC3_GFX90A:ACCUM_OFFSET: 3
; COMPUTE_PGM_RSRC3_GFX90A:TG_SPLIT: 0
	.section	.text._ZL32rocblas_gemvt_warp_reduce_kernelILb0ELi256Ei16rocblas_bfloat16PKffEviiT3_lPKT2_lT1_lS6_lS7_lS3_lPT4_lS7_li,"axG",@progbits,_ZL32rocblas_gemvt_warp_reduce_kernelILb0ELi256Ei16rocblas_bfloat16PKffEviiT3_lPKT2_lT1_lS6_lS7_lS3_lPT4_lS7_li,comdat
	.globl	_ZL32rocblas_gemvt_warp_reduce_kernelILb0ELi256Ei16rocblas_bfloat16PKffEviiT3_lPKT2_lT1_lS6_lS7_lS3_lPT4_lS7_li ; -- Begin function _ZL32rocblas_gemvt_warp_reduce_kernelILb0ELi256Ei16rocblas_bfloat16PKffEviiT3_lPKT2_lT1_lS6_lS7_lS3_lPT4_lS7_li
	.p2align	8
	.type	_ZL32rocblas_gemvt_warp_reduce_kernelILb0ELi256Ei16rocblas_bfloat16PKffEviiT3_lPKT2_lT1_lS6_lS7_lS3_lPT4_lS7_li,@function
_ZL32rocblas_gemvt_warp_reduce_kernelILb0ELi256Ei16rocblas_bfloat16PKffEviiT3_lPKT2_lT1_lS6_lS7_lS3_lPT4_lS7_li: ; @_ZL32rocblas_gemvt_warp_reduce_kernelILb0ELi256Ei16rocblas_bfloat16PKffEviiT3_lPKT2_lT1_lS6_lS7_lS3_lPT4_lS7_li
; %bb.0:
	s_load_dwordx8 s[4:11], s[0:1], 0x8
	s_load_dwordx8 s[12:19], s[0:1], 0x50
	s_waitcnt lgkmcnt(0)
	s_mul_i32 s7, s3, s7
	s_mul_hi_u32 s20, s3, s6
	s_add_i32 s7, s20, s7
	s_mul_i32 s6, s3, s6
	s_lshl_b64 s[6:7], s[6:7], 2
	s_add_u32 s4, s4, s6
	s_addc_u32 s5, s5, s7
	s_load_dword s23, s[4:5], 0x0
	s_mul_i32 s4, s3, s17
	s_mul_hi_u32 s5, s3, s16
	s_add_i32 s5, s5, s4
	s_mul_i32 s4, s3, s16
	s_lshl_b64 s[4:5], s[4:5], 2
	s_add_u32 s4, s14, s4
	s_addc_u32 s5, s15, s5
	s_load_dword s22, s[4:5], 0x0
	s_waitcnt lgkmcnt(0)
	v_cmp_eq_f32_e64 s[4:5], s23, 0
	v_cmp_eq_f32_e64 s[6:7], s22, 1.0
	s_and_b64 s[4:5], s[4:5], s[6:7]
	s_and_b64 vcc, exec, s[4:5]
	s_cbranch_vccnz .LBB644_37
; %bb.1:
	s_load_dwordx2 s[4:5], s[0:1], 0x80
	s_load_dwordx2 s[6:7], s[0:1], 0x70
	s_load_dword s24, s[0:1], 0x78
	s_waitcnt lgkmcnt(0)
	s_mul_i32 s5, s3, s5
	s_mul_hi_u32 s14, s3, s4
	s_mul_i32 s4, s3, s4
	s_add_i32 s5, s14, s5
	s_lshl_b64 s[4:5], s[4:5], 2
	s_add_u32 s14, s18, s4
	s_addc_u32 s15, s19, s5
	s_lshl_b64 s[4:5], s[6:7], 2
	s_add_u32 s20, s14, s4
	s_addc_u32 s21, s15, s5
	v_cmp_neq_f32_e64 s[4:5], s23, 0
	s_and_b64 vcc, exec, s[4:5]
	v_cmp_eq_u32_e64 s[4:5], 0, v0
	s_cbranch_vccnz .LBB644_6
; %bb.2:
	s_mov_b64 s[16:17], 0
	s_mov_b64 s[6:7], 0
                                        ; implicit-def: $vgpr1
                                        ; implicit-def: $sgpr14_sgpr15
	s_and_saveexec_b64 s[18:19], s[4:5]
	s_cbranch_execz .LBB644_7
; %bb.3:
	v_cmp_eq_f32_e64 s[4:5], s22, 0
	s_mul_i32 s14, s2, s24
	v_mov_b32_e32 v1, 0
	s_ashr_i32 s15, s14, 31
	s_and_b64 vcc, exec, s[4:5]
	s_cbranch_vccnz .LBB644_5
; %bb.4:
	s_lshl_b64 s[4:5], s[14:15], 2
	s_add_u32 s4, s20, s4
	s_addc_u32 s5, s21, s5
	s_load_dword s4, s[4:5], 0x0
	s_waitcnt lgkmcnt(0)
	v_mov_b32_e32 v1, s4
	v_mul_f32_e32 v1, s22, v1
.LBB644_5:
	s_mov_b64 s[6:7], exec
	s_or_b64 exec, exec, s[18:19]
	s_and_b64 vcc, exec, s[16:17]
	s_cbranch_vccnz .LBB644_8
	s_branch .LBB644_35
.LBB644_6:
	s_mov_b64 s[6:7], 0
                                        ; implicit-def: $vgpr1
                                        ; implicit-def: $sgpr14_sgpr15
	s_cbranch_execnz .LBB644_8
	s_branch .LBB644_35
.LBB644_7:
	s_or_b64 exec, exec, s[18:19]
	s_and_b64 vcc, exec, s[16:17]
	s_cbranch_vccz .LBB644_35
.LBB644_8:
	s_load_dword s16, s[0:1], 0x0
	s_load_dword s14, s[0:1], 0x28
	s_load_dwordx4 s[28:31], s[0:1], 0x30
	s_load_dwordx2 s[4:5], s[0:1], 0x40
	s_mul_i32 s13, s3, s13
	s_mul_hi_u32 s15, s3, s12
	s_add_i32 s13, s15, s13
	s_mul_i32 s12, s3, s12
	s_lshl_b64 s[12:13], s[12:13], 1
	s_waitcnt lgkmcnt(0)
	s_add_u32 s12, s30, s12
	s_addc_u32 s13, s31, s13
	s_lshl_b64 s[4:5], s[4:5], 1
	s_add_u32 s4, s12, s4
	s_load_dword s17, s[0:1], 0x48
	s_mul_i32 s0, s3, s29
	s_mul_hi_u32 s1, s3, s28
	s_addc_u32 s5, s13, s5
	s_add_i32 s1, s1, s0
	s_mul_i32 s0, s3, s28
	s_lshl_b64 s[0:1], s[0:1], 1
	s_add_u32 s3, s8, s0
	s_addc_u32 s8, s9, s1
	s_lshl_b64 s[0:1], s[10:11], 1
	s_add_u32 s3, s3, s0
	s_mul_i32 s0, s2, s14
	s_addc_u32 s8, s8, s1
	s_ashr_i32 s1, s0, 31
	v_cmp_gt_i32_e32 vcc, s16, v0
	s_lshl_b64 s[0:1], s[0:1], 1
	s_add_u32 s0, s0, s3
	v_cndmask_b32_e32 v1, 0, v0, vcc
	v_lshlrev_b32_e32 v2, 1, v1
	v_mov_b32_e32 v3, 0
	s_addc_u32 s1, s1, s8
	v_lshl_add_u64 v[4:5], s[0:1], 0, v[2:3]
	s_ashr_i32 s0, s16, 31
	s_lshr_b32 s0, s0, 24
	s_add_i32 s0, s16, s0
	s_and_b32 s0, s0, 0xffffff00
	v_cmp_gt_i32_e32 vcc, s0, v0
	s_and_saveexec_b64 s[8:9], vcc
	s_cbranch_execz .LBB644_16
; %bb.9:
	s_waitcnt lgkmcnt(0)
	v_mul_lo_u32 v6, v0, s17
	s_lshl_b32 s1, s17, 8
	s_mov_b64 s[10:11], 0
	v_mov_b32_e32 v1, 0
	s_mov_b32 s3, 0x7f800000
	s_movk_i32 s18, 0x7fff
	s_mov_b64 s[12:13], 0x200
	v_mov_b64_e32 v[8:9], v[4:5]
	v_mov_b32_e32 v2, v0
	v_mov_b32_e32 v3, 0
	s_branch .LBB644_11
.LBB644_10:                             ;   in Loop: Header=BB644_11 Depth=1
	s_or_b64 exec, exec, s[14:15]
	v_add_u32_e32 v2, 0x100, v2
	v_and_b32_e32 v7, 0xffff0000, v7
	v_cmp_le_i32_e32 vcc, s0, v2
	v_add_f32_e32 v3, v3, v7
	v_lshl_add_u64 v[8:9], v[8:9], 0, s[12:13]
	s_or_b64 s[10:11], vcc, s[10:11]
	v_add_u32_e32 v6, s1, v6
	s_andn2_b64 exec, exec, s[10:11]
	s_cbranch_execz .LBB644_15
.LBB644_11:                             ; =>This Inner Loop Header: Depth=1
	v_ashrrev_i32_e32 v7, 31, v6
	v_lshl_add_u64 v[10:11], v[6:7], 1, s[4:5]
	global_load_ushort v7, v[10:11], off
	global_load_ushort v12, v[8:9], off
	s_waitcnt vmcnt(1)
	v_lshlrev_b32_e32 v10, 16, v7
	s_waitcnt vmcnt(0)
	v_lshlrev_b32_e32 v12, 16, v12
	v_pk_mul_f32 v[10:11], v[10:11], v[12:13] op_sel_hi:[0,1]
	v_and_b32_e32 v7, 0x7f800000, v10
	v_cmp_ne_u32_e32 vcc, s3, v7
                                        ; implicit-def: $vgpr7
	s_and_saveexec_b64 s[14:15], vcc
	s_xor_b64 s[14:15], exec, s[14:15]
; %bb.12:                               ;   in Loop: Header=BB644_11 Depth=1
	v_bfe_u32 v7, v10, 16, 1
	v_add3_u32 v7, v10, v7, s18
                                        ; implicit-def: $vgpr10_vgpr11
; %bb.13:                               ;   in Loop: Header=BB644_11 Depth=1
	s_andn2_saveexec_b64 s[14:15], s[14:15]
	s_cbranch_execz .LBB644_10
; %bb.14:                               ;   in Loop: Header=BB644_11 Depth=1
	v_or_b32_e32 v7, 0x10000, v10
	v_cmp_eq_u32_sdwa vcc, v10, v1 src0_sel:WORD_0 src1_sel:DWORD
	s_nop 1
	v_cndmask_b32_e32 v7, v7, v10, vcc
	s_branch .LBB644_10
.LBB644_15:
	s_or_b64 exec, exec, s[10:11]
.LBB644_16:
	s_or_b64 exec, exec, s[8:9]
	v_add_u32_e32 v1, s0, v0
	v_cmp_gt_i32_e32 vcc, s16, v1
	s_and_saveexec_b64 s[8:9], vcc
	s_cbranch_execz .LBB644_22
; %bb.17:
	s_ashr_i32 s1, s0, 31
	s_waitcnt lgkmcnt(0)
	v_mul_lo_u32 v6, v1, s17
	v_lshl_add_u64 v[4:5], s[0:1], 1, v[4:5]
	v_ashrrev_i32_e32 v7, 31, v6
	v_lshl_add_u64 v[6:7], v[6:7], 1, s[4:5]
	global_load_ushort v1, v[4:5], off
	global_load_ushort v8, v[6:7], off
	s_mov_b32 s0, 0x7f800000
	s_waitcnt vmcnt(1)
	v_lshlrev_b32_e32 v2, 16, v1
	s_waitcnt vmcnt(0)
	v_lshlrev_b32_e32 v4, 16, v8
	v_pk_mul_f32 v[4:5], v[4:5], v[2:3] op_sel_hi:[0,1]
	v_and_b32_e32 v1, 0x7f800000, v4
	v_cmp_ne_u32_e32 vcc, s0, v1
                                        ; implicit-def: $vgpr1
	s_and_saveexec_b64 s[0:1], vcc
	s_xor_b64 s[0:1], exec, s[0:1]
; %bb.18:
	v_bfe_u32 v1, v4, 16, 1
	s_movk_i32 s3, 0x7fff
	v_add3_u32 v1, v4, v1, s3
                                        ; implicit-def: $vgpr4_vgpr5
; %bb.19:
	s_andn2_saveexec_b64 s[0:1], s[0:1]
; %bb.20:
	v_mov_b32_e32 v1, 0
	v_or_b32_e32 v2, 0x10000, v4
	v_cmp_eq_u32_sdwa vcc, v4, v1 src0_sel:WORD_0 src1_sel:DWORD
	s_nop 1
	v_cndmask_b32_e32 v1, v2, v4, vcc
; %bb.21:
	s_or_b64 exec, exec, s[0:1]
	v_and_b32_e32 v1, 0xffff0000, v1
	v_add_f32_e32 v3, v3, v1
.LBB644_22:
	s_or_b64 exec, exec, s[8:9]
	v_and_b32_e32 v2, 63, v0
	v_cmp_gt_u32_e32 vcc, 64, v0
	v_lshlrev_b32_e32 v1, 2, v2
	s_and_saveexec_b64 s[0:1], vcc
	s_cbranch_execz .LBB644_24
; %bb.23:
	v_mov_b32_e32 v4, 0
	ds_write_b32 v1, v4
.LBB644_24:
	s_or_b64 exec, exec, s[0:1]
	v_mbcnt_lo_u32_b32 v4, -1, 0
	v_mbcnt_hi_u32_b32 v4, -1, v4
	v_and_b32_e32 v5, 63, v4
	v_cmp_gt_u32_e64 s[0:1], 32, v5
	s_waitcnt lgkmcnt(0)
	s_barrier
	v_cndmask_b32_e64 v6, 0, 1, s[0:1]
	v_lshlrev_b32_e32 v6, 5, v6
	v_add_lshl_u32 v6, v6, v4, 2
	ds_bpermute_b32 v6, v6, v3
	v_cmp_gt_u32_e64 s[0:1], 48, v5
	s_waitcnt lgkmcnt(0)
	v_add_f32_e32 v3, v3, v6
	v_cndmask_b32_e64 v7, 0, 1, s[0:1]
	v_lshlrev_b32_e32 v7, 4, v7
	v_add_lshl_u32 v6, v7, v4, 2
	ds_bpermute_b32 v6, v6, v3
	v_cmp_gt_u32_e64 s[0:1], 56, v5
	s_waitcnt lgkmcnt(0)
	v_add_f32_e32 v3, v3, v6
	;; [unrolled: 7-line block ×4, first 2 shown]
	v_cndmask_b32_e64 v7, 0, 1, s[0:1]
	v_lshlrev_b32_e32 v7, 1, v7
	v_add_lshl_u32 v3, v7, v4, 2
	ds_bpermute_b32 v7, v3, v6
	v_cmp_ne_u32_e64 s[0:1], 63, v5
	s_waitcnt lgkmcnt(0)
	v_add_f32_e32 v5, v6, v7
	v_addc_co_u32_e64 v4, s[0:1], 0, v4, s[0:1]
	v_lshlrev_b32_e32 v4, 2, v4
	ds_bpermute_b32 v6, v4, v5
	v_cmp_eq_u32_e64 s[0:1], 0, v2
	s_and_saveexec_b64 s[4:5], s[0:1]
	s_cbranch_execz .LBB644_26
; %bb.25:
	v_lshrrev_b32_e32 v2, 4, v0
	v_and_b32_e32 v2, 12, v2
	s_waitcnt lgkmcnt(0)
	v_add_f32_e32 v5, v5, v6
	ds_write_b32 v2, v5
.LBB644_26:
	s_or_b64 exec, exec, s[4:5]
	v_cmp_gt_u32_e64 s[0:1], 4, v0
	v_mov_b32_e32 v2, 0
	s_waitcnt lgkmcnt(0)
	s_barrier
	s_and_saveexec_b64 s[4:5], s[0:1]
	s_cbranch_execz .LBB644_28
; %bb.27:
	ds_read_b32 v2, v1
	s_or_b64 exec, exec, s[4:5]
	s_and_saveexec_b64 s[0:1], vcc
	s_cbranch_execz .LBB644_30
	s_branch .LBB644_29
.LBB644_28:
	s_or_b64 exec, exec, s[4:5]
	s_and_saveexec_b64 s[0:1], vcc
	s_cbranch_execz .LBB644_30
.LBB644_29:
	s_waitcnt lgkmcnt(0)
	ds_bpermute_b32 v1, v3, v2
	s_waitcnt lgkmcnt(0)
	v_add_f32_e32 v1, v2, v1
	ds_bpermute_b32 v2, v4, v1
	s_waitcnt lgkmcnt(0)
	v_add_f32_e32 v2, v1, v2
.LBB644_30:
	s_or_b64 exec, exec, s[0:1]
	v_cmp_eq_u32_e32 vcc, 0, v0
                                        ; implicit-def: $vgpr1
                                        ; implicit-def: $sgpr14_sgpr15
	s_and_saveexec_b64 s[0:1], vcc
	s_cbranch_execz .LBB644_34
; %bb.31:
	v_cmp_eq_f32_e64 s[4:5], s22, 0
	s_mul_i32 s14, s2, s24
	s_waitcnt lgkmcnt(0)
	v_mul_f32_e32 v1, s23, v2
	s_ashr_i32 s15, s14, 31
	s_and_b64 vcc, exec, s[4:5]
	s_cbranch_vccnz .LBB644_33
; %bb.32:
	s_lshl_b64 s[2:3], s[14:15], 2
	s_add_u32 s2, s20, s2
	s_addc_u32 s3, s21, s3
	s_load_dword s2, s[2:3], 0x0
	s_waitcnt lgkmcnt(0)
	v_mov_b32_e32 v0, s2
	v_fmac_f32_e32 v1, s22, v0
.LBB644_33:
	s_or_b64 s[6:7], s[6:7], exec
.LBB644_34:
	s_or_b64 exec, exec, s[0:1]
.LBB644_35:
	s_and_saveexec_b64 s[0:1], s[6:7]
	s_cbranch_execz .LBB644_37
; %bb.36:
	s_lshl_b64 s[0:1], s[14:15], 2
	s_add_u32 s0, s20, s0
	s_addc_u32 s1, s21, s1
	v_mov_b32_e32 v0, 0
	global_store_dword v0, v1, s[0:1]
.LBB644_37:
	s_endpgm
	.section	.rodata,"a",@progbits
	.p2align	6, 0x0
	.amdhsa_kernel _ZL32rocblas_gemvt_warp_reduce_kernelILb0ELi256Ei16rocblas_bfloat16PKffEviiT3_lPKT2_lT1_lS6_lS7_lS3_lPT4_lS7_li
		.amdhsa_group_segment_fixed_size 256
		.amdhsa_private_segment_fixed_size 0
		.amdhsa_kernarg_size 140
		.amdhsa_user_sgpr_count 2
		.amdhsa_user_sgpr_dispatch_ptr 0
		.amdhsa_user_sgpr_queue_ptr 0
		.amdhsa_user_sgpr_kernarg_segment_ptr 1
		.amdhsa_user_sgpr_dispatch_id 0
		.amdhsa_user_sgpr_kernarg_preload_length 0
		.amdhsa_user_sgpr_kernarg_preload_offset 0
		.amdhsa_user_sgpr_private_segment_size 0
		.amdhsa_uses_dynamic_stack 0
		.amdhsa_enable_private_segment 0
		.amdhsa_system_sgpr_workgroup_id_x 1
		.amdhsa_system_sgpr_workgroup_id_y 0
		.amdhsa_system_sgpr_workgroup_id_z 1
		.amdhsa_system_sgpr_workgroup_info 0
		.amdhsa_system_vgpr_workitem_id 0
		.amdhsa_next_free_vgpr 14
		.amdhsa_next_free_sgpr 32
		.amdhsa_accum_offset 16
		.amdhsa_reserve_vcc 1
		.amdhsa_float_round_mode_32 0
		.amdhsa_float_round_mode_16_64 0
		.amdhsa_float_denorm_mode_32 3
		.amdhsa_float_denorm_mode_16_64 3
		.amdhsa_dx10_clamp 1
		.amdhsa_ieee_mode 1
		.amdhsa_fp16_overflow 0
		.amdhsa_tg_split 0
		.amdhsa_exception_fp_ieee_invalid_op 0
		.amdhsa_exception_fp_denorm_src 0
		.amdhsa_exception_fp_ieee_div_zero 0
		.amdhsa_exception_fp_ieee_overflow 0
		.amdhsa_exception_fp_ieee_underflow 0
		.amdhsa_exception_fp_ieee_inexact 0
		.amdhsa_exception_int_div_zero 0
	.end_amdhsa_kernel
	.section	.text._ZL32rocblas_gemvt_warp_reduce_kernelILb0ELi256Ei16rocblas_bfloat16PKffEviiT3_lPKT2_lT1_lS6_lS7_lS3_lPT4_lS7_li,"axG",@progbits,_ZL32rocblas_gemvt_warp_reduce_kernelILb0ELi256Ei16rocblas_bfloat16PKffEviiT3_lPKT2_lT1_lS6_lS7_lS3_lPT4_lS7_li,comdat
.Lfunc_end644:
	.size	_ZL32rocblas_gemvt_warp_reduce_kernelILb0ELi256Ei16rocblas_bfloat16PKffEviiT3_lPKT2_lT1_lS6_lS7_lS3_lPT4_lS7_li, .Lfunc_end644-_ZL32rocblas_gemvt_warp_reduce_kernelILb0ELi256Ei16rocblas_bfloat16PKffEviiT3_lPKT2_lT1_lS6_lS7_lS3_lPT4_lS7_li
                                        ; -- End function
	.section	.AMDGPU.csdata,"",@progbits
; Kernel info:
; codeLenInByte = 1552
; NumSgprs: 38
; NumVgprs: 14
; NumAgprs: 0
; TotalNumVgprs: 14
; ScratchSize: 0
; MemoryBound: 0
; FloatMode: 240
; IeeeMode: 1
; LDSByteSize: 256 bytes/workgroup (compile time only)
; SGPRBlocks: 4
; VGPRBlocks: 1
; NumSGPRsForWavesPerEU: 38
; NumVGPRsForWavesPerEU: 14
; AccumOffset: 16
; Occupancy: 8
; WaveLimiterHint : 1
; COMPUTE_PGM_RSRC2:SCRATCH_EN: 0
; COMPUTE_PGM_RSRC2:USER_SGPR: 2
; COMPUTE_PGM_RSRC2:TRAP_HANDLER: 0
; COMPUTE_PGM_RSRC2:TGID_X_EN: 1
; COMPUTE_PGM_RSRC2:TGID_Y_EN: 0
; COMPUTE_PGM_RSRC2:TGID_Z_EN: 1
; COMPUTE_PGM_RSRC2:TIDIG_COMP_CNT: 0
; COMPUTE_PGM_RSRC3_GFX90A:ACCUM_OFFSET: 3
; COMPUTE_PGM_RSRC3_GFX90A:TG_SPLIT: 0
	.section	.text._ZL32rocblas_gemvt_warp_reduce_kernelILb0ELi256El16rocblas_bfloat16PKffEviiT3_lPKT2_lT1_lS6_lS7_lS3_lPT4_lS7_li,"axG",@progbits,_ZL32rocblas_gemvt_warp_reduce_kernelILb0ELi256El16rocblas_bfloat16PKffEviiT3_lPKT2_lT1_lS6_lS7_lS3_lPT4_lS7_li,comdat
	.globl	_ZL32rocblas_gemvt_warp_reduce_kernelILb0ELi256El16rocblas_bfloat16PKffEviiT3_lPKT2_lT1_lS6_lS7_lS3_lPT4_lS7_li ; -- Begin function _ZL32rocblas_gemvt_warp_reduce_kernelILb0ELi256El16rocblas_bfloat16PKffEviiT3_lPKT2_lT1_lS6_lS7_lS3_lPT4_lS7_li
	.p2align	8
	.type	_ZL32rocblas_gemvt_warp_reduce_kernelILb0ELi256El16rocblas_bfloat16PKffEviiT3_lPKT2_lT1_lS6_lS7_lS3_lPT4_lS7_li,@function
_ZL32rocblas_gemvt_warp_reduce_kernelILb0ELi256El16rocblas_bfloat16PKffEviiT3_lPKT2_lT1_lS6_lS7_lS3_lPT4_lS7_li: ; @_ZL32rocblas_gemvt_warp_reduce_kernelILb0ELi256El16rocblas_bfloat16PKffEviiT3_lPKT2_lT1_lS6_lS7_lS3_lPT4_lS7_li
; %bb.0:
	s_load_dwordx16 s[36:51], s[0:1], 0x8
	s_load_dwordx16 s[8:23], s[0:1], 0x48
	s_waitcnt lgkmcnt(0)
	s_mul_i32 s4, s3, s39
	s_mul_hi_u32 s5, s3, s38
	s_add_i32 s5, s5, s4
	s_mul_i32 s4, s3, s38
	s_lshl_b64 s[4:5], s[4:5], 2
	s_add_u32 s4, s36, s4
	s_addc_u32 s5, s37, s5
	s_load_dword s25, s[4:5], 0x0
	s_mul_i32 s4, s3, s15
	s_mul_hi_u32 s5, s3, s14
	s_add_i32 s5, s5, s4
	s_mul_i32 s4, s3, s14
	s_lshl_b64 s[4:5], s[4:5], 2
	s_add_u32 s4, s12, s4
	s_addc_u32 s5, s13, s5
	s_load_dword s24, s[4:5], 0x0
	s_waitcnt lgkmcnt(0)
	v_cmp_eq_f32_e64 s[4:5], s25, 0
	v_cmp_eq_f32_e64 s[6:7], s24, 1.0
	s_and_b64 s[4:5], s[4:5], s[6:7]
	s_and_b64 vcc, exec, s[4:5]
	s_cbranch_vccnz .LBB645_37
; %bb.1:
	s_mul_i32 s4, s3, s23
	s_mul_hi_u32 s5, s3, s22
	s_add_i32 s5, s5, s4
	s_mul_i32 s4, s3, s22
	s_lshl_b64 s[4:5], s[4:5], 2
	s_add_u32 s6, s16, s4
	s_addc_u32 s7, s17, s5
	s_lshl_b64 s[4:5], s[18:19], 2
	s_add_u32 s22, s6, s4
	s_addc_u32 s23, s7, s5
	v_cmp_neq_f32_e64 s[4:5], s25, 0
	s_and_b64 vcc, exec, s[4:5]
	v_cmp_eq_u32_e64 s[4:5], 0, v0
	s_cbranch_vccnz .LBB645_6
; %bb.2:
	s_mov_b64 s[14:15], 0
	s_mov_b64 s[6:7], 0
                                        ; implicit-def: $vgpr1
                                        ; implicit-def: $sgpr12_sgpr13
	s_and_saveexec_b64 s[16:17], s[4:5]
	s_cbranch_execz .LBB645_7
; %bb.3:
	s_ashr_i32 s6, s2, 31
	s_mul_i32 s7, s2, s21
	s_mul_hi_u32 s12, s2, s20
	v_cmp_eq_f32_e64 s[4:5], s24, 0
	s_add_i32 s7, s12, s7
	s_mul_i32 s6, s6, s20
	v_mov_b32_e32 v1, 0
	s_add_i32 s13, s7, s6
	s_mul_i32 s12, s2, s20
	s_and_b64 vcc, exec, s[4:5]
	s_cbranch_vccnz .LBB645_5
; %bb.4:
	s_lshl_b64 s[4:5], s[12:13], 2
	s_add_u32 s4, s22, s4
	s_addc_u32 s5, s23, s5
	s_load_dword s4, s[4:5], 0x0
	s_waitcnt lgkmcnt(0)
	v_mov_b32_e32 v1, s4
	v_mul_f32_e32 v1, s24, v1
.LBB645_5:
	s_mov_b64 s[6:7], exec
	s_or_b64 exec, exec, s[16:17]
	s_and_b64 vcc, exec, s[14:15]
	s_cbranch_vccnz .LBB645_8
	s_branch .LBB645_35
.LBB645_6:
	s_mov_b64 s[6:7], 0
                                        ; implicit-def: $vgpr1
                                        ; implicit-def: $sgpr12_sgpr13
	s_cbranch_execnz .LBB645_8
	s_branch .LBB645_35
.LBB645_7:
	s_or_b64 exec, exec, s[16:17]
	s_and_b64 vcc, exec, s[14:15]
	s_cbranch_vccz .LBB645_35
.LBB645_8:
	s_mul_i32 s4, s3, s11
	s_mul_hi_u32 s5, s3, s10
	s_add_i32 s5, s5, s4
	s_mul_i32 s4, s3, s10
	s_load_dword s1, s[0:1], 0x0
	s_mul_i32 s0, s3, s47
	s_mul_hi_u32 s10, s3, s46
	s_add_i32 s11, s10, s0
	s_mul_i32 s10, s3, s46
	s_lshl_b64 s[10:11], s[10:11], 1
	s_add_u32 s0, s40, s10
	s_addc_u32 s3, s41, s11
	s_lshl_b64 s[10:11], s[42:43], 1
	s_add_u32 s0, s0, s10
	s_addc_u32 s12, s3, s11
	s_ashr_i32 s3, s2, 31
	s_mul_i32 s10, s2, s45
	s_mul_hi_u32 s11, s2, s44
	s_add_i32 s10, s11, s10
	s_mul_i32 s11, s3, s44
	s_add_i32 s11, s10, s11
	s_mul_i32 s10, s2, s44
	s_lshl_b64 s[10:11], s[10:11], 1
	s_add_u32 s10, s10, s0
	s_addc_u32 s11, s11, s12
	s_waitcnt lgkmcnt(0)
	s_ashr_i32 s0, s1, 31
	v_cmp_gt_i32_e32 vcc, s1, v0
	s_lshr_b32 s0, s0, 24
	s_add_i32 s0, s1, s0
	v_cndmask_b32_e32 v1, 0, v0, vcc
	v_lshlrev_b32_e32 v2, 1, v1
	v_mov_b32_e32 v3, 0
	s_and_b32 s0, s0, 0xffffff00
	v_lshl_add_u64 v[4:5], s[10:11], 0, v[2:3]
	v_cmp_gt_i32_e32 vcc, s0, v0
	s_and_saveexec_b64 s[10:11], vcc
	s_cbranch_execz .LBB645_16
; %bb.9:
	v_mad_u64_u32 v[2:3], s[14:15], s8, v0, 0
	v_mov_b32_e32 v6, v3
	v_mad_u64_u32 v[6:7], s[14:15], s9, v0, v[6:7]
	s_lshl_b64 s[12:13], s[4:5], 1
	s_lshl_b64 s[14:15], s[50:51], 1
	s_add_u32 s14, s48, s14
	s_addc_u32 s15, s49, s15
	s_add_u32 s12, s14, s12
	v_mov_b32_e32 v3, v6
	s_addc_u32 s13, s15, s13
	v_lshl_add_u64 v[6:7], v[2:3], 1, s[12:13]
	s_lshl_b64 s[14:15], s[8:9], 9
	s_mov_b64 s[12:13], 0
	v_mov_b32_e32 v1, 0
	s_mov_b32 s26, 0x7f800000
	s_movk_i32 s27, 0x7fff
	s_mov_b64 s[16:17], 0x200
	v_mov_b64_e32 v[8:9], v[4:5]
	v_mov_b32_e32 v2, v0
	v_mov_b32_e32 v3, 0
	s_branch .LBB645_11
.LBB645_10:                             ;   in Loop: Header=BB645_11 Depth=1
	s_or_b64 exec, exec, s[18:19]
	v_add_u32_e32 v2, 0x100, v2
	v_and_b32_e32 v10, 0xffff0000, v12
	v_cmp_le_i32_e32 vcc, s0, v2
	v_add_f32_e32 v3, v3, v10
	v_lshl_add_u64 v[8:9], v[8:9], 0, s[16:17]
	s_or_b64 s[12:13], vcc, s[12:13]
	v_lshl_add_u64 v[6:7], v[6:7], 0, s[14:15]
	s_andn2_b64 exec, exec, s[12:13]
	s_cbranch_execz .LBB645_15
.LBB645_11:                             ; =>This Inner Loop Header: Depth=1
	global_load_ushort v10, v[6:7], off
	global_load_ushort v11, v[8:9], off
	s_waitcnt vmcnt(1)
	v_lshlrev_b32_e32 v10, 16, v10
	s_waitcnt vmcnt(0)
	v_lshlrev_b32_e32 v12, 16, v11
	v_pk_mul_f32 v[10:11], v[10:11], v[12:13] op_sel_hi:[0,1]
	v_and_b32_e32 v11, 0x7f800000, v10
	v_cmp_ne_u32_e32 vcc, s26, v11
                                        ; implicit-def: $vgpr12
	s_and_saveexec_b64 s[18:19], vcc
	s_xor_b64 s[18:19], exec, s[18:19]
; %bb.12:                               ;   in Loop: Header=BB645_11 Depth=1
	v_bfe_u32 v11, v10, 16, 1
	v_add3_u32 v12, v10, v11, s27
                                        ; implicit-def: $vgpr10_vgpr11
; %bb.13:                               ;   in Loop: Header=BB645_11 Depth=1
	s_andn2_saveexec_b64 s[18:19], s[18:19]
	s_cbranch_execz .LBB645_10
; %bb.14:                               ;   in Loop: Header=BB645_11 Depth=1
	v_or_b32_e32 v11, 0x10000, v10
	v_cmp_eq_u32_sdwa vcc, v10, v1 src0_sel:WORD_0 src1_sel:DWORD
	s_nop 1
	v_cndmask_b32_e32 v12, v11, v10, vcc
	s_branch .LBB645_10
.LBB645_15:
	s_or_b64 exec, exec, s[12:13]
.LBB645_16:
	s_or_b64 exec, exec, s[10:11]
	v_add_u32_e32 v1, s0, v0
	v_cmp_gt_i32_e32 vcc, s1, v1
	s_and_saveexec_b64 s[10:11], vcc
	s_cbranch_execz .LBB645_22
; %bb.17:
	s_lshl_b64 s[4:5], s[4:5], 1
	s_add_u32 s1, s48, s4
	s_addc_u32 s12, s49, s5
	s_lshl_b64 s[4:5], s[50:51], 1
	s_add_u32 s4, s1, s4
	s_addc_u32 s5, s12, s5
	s_ashr_i32 s1, s0, 31
	v_ashrrev_i32_e32 v2, 31, v1
	v_lshl_add_u64 v[4:5], s[0:1], 1, v[4:5]
	v_mul_lo_u32 v8, v1, s9
	v_mul_lo_u32 v2, v2, s8
	v_mad_u64_u32 v[6:7], s[0:1], v1, s8, 0
	v_add3_u32 v7, v7, v8, v2
	v_lshl_add_u64 v[6:7], v[6:7], 1, s[4:5]
	global_load_ushort v1, v[6:7], off
	global_load_ushort v8, v[4:5], off
	s_mov_b32 s0, 0x7f800000
	s_waitcnt vmcnt(1)
	v_lshlrev_b32_e32 v2, 16, v1
	s_waitcnt vmcnt(0)
	v_lshlrev_b32_e32 v4, 16, v8
	v_pk_mul_f32 v[4:5], v[2:3], v[4:5] op_sel_hi:[0,1]
	v_and_b32_e32 v1, 0x7f800000, v4
	v_cmp_ne_u32_e32 vcc, s0, v1
                                        ; implicit-def: $vgpr1
	s_and_saveexec_b64 s[0:1], vcc
	s_xor_b64 s[0:1], exec, s[0:1]
; %bb.18:
	v_bfe_u32 v1, v4, 16, 1
	s_movk_i32 s4, 0x7fff
	v_add3_u32 v1, v4, v1, s4
                                        ; implicit-def: $vgpr4_vgpr5
; %bb.19:
	s_andn2_saveexec_b64 s[0:1], s[0:1]
; %bb.20:
	v_mov_b32_e32 v1, 0
	v_or_b32_e32 v2, 0x10000, v4
	v_cmp_eq_u32_sdwa vcc, v4, v1 src0_sel:WORD_0 src1_sel:DWORD
	s_nop 1
	v_cndmask_b32_e32 v1, v2, v4, vcc
; %bb.21:
	s_or_b64 exec, exec, s[0:1]
	v_and_b32_e32 v1, 0xffff0000, v1
	v_add_f32_e32 v3, v3, v1
.LBB645_22:
	s_or_b64 exec, exec, s[10:11]
	v_and_b32_e32 v2, 63, v0
	v_cmp_gt_u32_e32 vcc, 64, v0
	v_lshlrev_b32_e32 v1, 2, v2
	s_and_saveexec_b64 s[0:1], vcc
	s_cbranch_execz .LBB645_24
; %bb.23:
	v_mov_b32_e32 v4, 0
	ds_write_b32 v1, v4
.LBB645_24:
	s_or_b64 exec, exec, s[0:1]
	v_mbcnt_lo_u32_b32 v4, -1, 0
	v_mbcnt_hi_u32_b32 v4, -1, v4
	v_and_b32_e32 v5, 63, v4
	v_cmp_gt_u32_e64 s[0:1], 32, v5
	s_waitcnt lgkmcnt(0)
	s_barrier
	v_cndmask_b32_e64 v6, 0, 1, s[0:1]
	v_lshlrev_b32_e32 v6, 5, v6
	v_add_lshl_u32 v6, v6, v4, 2
	ds_bpermute_b32 v6, v6, v3
	v_cmp_gt_u32_e64 s[0:1], 48, v5
	s_waitcnt lgkmcnt(0)
	v_add_f32_e32 v3, v3, v6
	v_cndmask_b32_e64 v7, 0, 1, s[0:1]
	v_lshlrev_b32_e32 v7, 4, v7
	v_add_lshl_u32 v6, v7, v4, 2
	ds_bpermute_b32 v6, v6, v3
	v_cmp_gt_u32_e64 s[0:1], 56, v5
	s_waitcnt lgkmcnt(0)
	v_add_f32_e32 v3, v3, v6
	;; [unrolled: 7-line block ×4, first 2 shown]
	v_cndmask_b32_e64 v7, 0, 1, s[0:1]
	v_lshlrev_b32_e32 v7, 1, v7
	v_add_lshl_u32 v3, v7, v4, 2
	ds_bpermute_b32 v7, v3, v6
	v_cmp_ne_u32_e64 s[0:1], 63, v5
	s_waitcnt lgkmcnt(0)
	v_add_f32_e32 v5, v6, v7
	v_addc_co_u32_e64 v4, s[0:1], 0, v4, s[0:1]
	v_lshlrev_b32_e32 v4, 2, v4
	ds_bpermute_b32 v6, v4, v5
	v_cmp_eq_u32_e64 s[0:1], 0, v2
	s_and_saveexec_b64 s[4:5], s[0:1]
	s_cbranch_execz .LBB645_26
; %bb.25:
	v_lshrrev_b32_e32 v2, 4, v0
	v_and_b32_e32 v2, 12, v2
	s_waitcnt lgkmcnt(0)
	v_add_f32_e32 v5, v5, v6
	ds_write_b32 v2, v5
.LBB645_26:
	s_or_b64 exec, exec, s[4:5]
	v_cmp_gt_u32_e64 s[0:1], 4, v0
	v_mov_b32_e32 v2, 0
	s_waitcnt lgkmcnt(0)
	s_barrier
	s_and_saveexec_b64 s[4:5], s[0:1]
	s_cbranch_execz .LBB645_28
; %bb.27:
	ds_read_b32 v2, v1
	s_or_b64 exec, exec, s[4:5]
	s_and_saveexec_b64 s[0:1], vcc
	s_cbranch_execz .LBB645_30
	s_branch .LBB645_29
.LBB645_28:
	s_or_b64 exec, exec, s[4:5]
	s_and_saveexec_b64 s[0:1], vcc
	s_cbranch_execz .LBB645_30
.LBB645_29:
	s_waitcnt lgkmcnt(0)
	ds_bpermute_b32 v1, v3, v2
	s_waitcnt lgkmcnt(0)
	v_add_f32_e32 v1, v2, v1
	ds_bpermute_b32 v2, v4, v1
	s_waitcnt lgkmcnt(0)
	v_add_f32_e32 v2, v1, v2
.LBB645_30:
	s_or_b64 exec, exec, s[0:1]
	v_cmp_eq_u32_e32 vcc, 0, v0
                                        ; implicit-def: $vgpr1
                                        ; implicit-def: $sgpr12_sgpr13
	s_and_saveexec_b64 s[0:1], vcc
	s_cbranch_execz .LBB645_34
; %bb.31:
	s_mul_i32 s8, s2, s21
	s_mul_hi_u32 s9, s2, s20
	v_cmp_eq_f32_e64 s[4:5], s24, 0
	s_add_i32 s8, s9, s8
	s_mul_i32 s3, s3, s20
	s_waitcnt lgkmcnt(0)
	v_mul_f32_e32 v1, s25, v2
	s_add_i32 s13, s8, s3
	s_mul_i32 s12, s2, s20
	s_and_b64 vcc, exec, s[4:5]
	s_cbranch_vccnz .LBB645_33
; %bb.32:
	s_lshl_b64 s[2:3], s[12:13], 2
	s_add_u32 s2, s22, s2
	s_addc_u32 s3, s23, s3
	s_load_dword s2, s[2:3], 0x0
	s_waitcnt lgkmcnt(0)
	v_mov_b32_e32 v0, s2
	v_fmac_f32_e32 v1, s24, v0
.LBB645_33:
	s_or_b64 s[6:7], s[6:7], exec
.LBB645_34:
	s_or_b64 exec, exec, s[0:1]
.LBB645_35:
	s_and_saveexec_b64 s[0:1], s[6:7]
	s_cbranch_execz .LBB645_37
; %bb.36:
	s_lshl_b64 s[0:1], s[12:13], 2
	s_add_u32 s0, s22, s0
	s_addc_u32 s1, s23, s1
	v_mov_b32_e32 v0, 0
	global_store_dword v0, v1, s[0:1]
.LBB645_37:
	s_endpgm
	.section	.rodata,"a",@progbits
	.p2align	6, 0x0
	.amdhsa_kernel _ZL32rocblas_gemvt_warp_reduce_kernelILb0ELi256El16rocblas_bfloat16PKffEviiT3_lPKT2_lT1_lS6_lS7_lS3_lPT4_lS7_li
		.amdhsa_group_segment_fixed_size 256
		.amdhsa_private_segment_fixed_size 0
		.amdhsa_kernarg_size 140
		.amdhsa_user_sgpr_count 2
		.amdhsa_user_sgpr_dispatch_ptr 0
		.amdhsa_user_sgpr_queue_ptr 0
		.amdhsa_user_sgpr_kernarg_segment_ptr 1
		.amdhsa_user_sgpr_dispatch_id 0
		.amdhsa_user_sgpr_kernarg_preload_length 0
		.amdhsa_user_sgpr_kernarg_preload_offset 0
		.amdhsa_user_sgpr_private_segment_size 0
		.amdhsa_uses_dynamic_stack 0
		.amdhsa_enable_private_segment 0
		.amdhsa_system_sgpr_workgroup_id_x 1
		.amdhsa_system_sgpr_workgroup_id_y 0
		.amdhsa_system_sgpr_workgroup_id_z 1
		.amdhsa_system_sgpr_workgroup_info 0
		.amdhsa_system_vgpr_workitem_id 0
		.amdhsa_next_free_vgpr 14
		.amdhsa_next_free_sgpr 52
		.amdhsa_accum_offset 16
		.amdhsa_reserve_vcc 1
		.amdhsa_float_round_mode_32 0
		.amdhsa_float_round_mode_16_64 0
		.amdhsa_float_denorm_mode_32 3
		.amdhsa_float_denorm_mode_16_64 3
		.amdhsa_dx10_clamp 1
		.amdhsa_ieee_mode 1
		.amdhsa_fp16_overflow 0
		.amdhsa_tg_split 0
		.amdhsa_exception_fp_ieee_invalid_op 0
		.amdhsa_exception_fp_denorm_src 0
		.amdhsa_exception_fp_ieee_div_zero 0
		.amdhsa_exception_fp_ieee_overflow 0
		.amdhsa_exception_fp_ieee_underflow 0
		.amdhsa_exception_fp_ieee_inexact 0
		.amdhsa_exception_int_div_zero 0
	.end_amdhsa_kernel
	.section	.text._ZL32rocblas_gemvt_warp_reduce_kernelILb0ELi256El16rocblas_bfloat16PKffEviiT3_lPKT2_lT1_lS6_lS7_lS3_lPT4_lS7_li,"axG",@progbits,_ZL32rocblas_gemvt_warp_reduce_kernelILb0ELi256El16rocblas_bfloat16PKffEviiT3_lPKT2_lT1_lS6_lS7_lS3_lPT4_lS7_li,comdat
.Lfunc_end645:
	.size	_ZL32rocblas_gemvt_warp_reduce_kernelILb0ELi256El16rocblas_bfloat16PKffEviiT3_lPKT2_lT1_lS6_lS7_lS3_lPT4_lS7_li, .Lfunc_end645-_ZL32rocblas_gemvt_warp_reduce_kernelILb0ELi256El16rocblas_bfloat16PKffEviiT3_lPKT2_lT1_lS6_lS7_lS3_lPT4_lS7_li
                                        ; -- End function
	.section	.AMDGPU.csdata,"",@progbits
; Kernel info:
; codeLenInByte = 1604
; NumSgprs: 58
; NumVgprs: 14
; NumAgprs: 0
; TotalNumVgprs: 14
; ScratchSize: 0
; MemoryBound: 0
; FloatMode: 240
; IeeeMode: 1
; LDSByteSize: 256 bytes/workgroup (compile time only)
; SGPRBlocks: 7
; VGPRBlocks: 1
; NumSGPRsForWavesPerEU: 58
; NumVGPRsForWavesPerEU: 14
; AccumOffset: 16
; Occupancy: 8
; WaveLimiterHint : 0
; COMPUTE_PGM_RSRC2:SCRATCH_EN: 0
; COMPUTE_PGM_RSRC2:USER_SGPR: 2
; COMPUTE_PGM_RSRC2:TRAP_HANDLER: 0
; COMPUTE_PGM_RSRC2:TGID_X_EN: 1
; COMPUTE_PGM_RSRC2:TGID_Y_EN: 0
; COMPUTE_PGM_RSRC2:TGID_Z_EN: 1
; COMPUTE_PGM_RSRC2:TIDIG_COMP_CNT: 0
; COMPUTE_PGM_RSRC3_GFX90A:ACCUM_OFFSET: 3
; COMPUTE_PGM_RSRC3_GFX90A:TG_SPLIT: 0
	.section	.text._ZL32rocblas_gemvt_warp_reduce_kernelILb0ELi256Ei16rocblas_bfloat16ffEviiT3_lPKT2_lT1_lS4_lS5_lS1_lPT4_lS5_li,"axG",@progbits,_ZL32rocblas_gemvt_warp_reduce_kernelILb0ELi256Ei16rocblas_bfloat16ffEviiT3_lPKT2_lT1_lS4_lS5_lS1_lPT4_lS5_li,comdat
	.globl	_ZL32rocblas_gemvt_warp_reduce_kernelILb0ELi256Ei16rocblas_bfloat16ffEviiT3_lPKT2_lT1_lS4_lS5_lS1_lPT4_lS5_li ; -- Begin function _ZL32rocblas_gemvt_warp_reduce_kernelILb0ELi256Ei16rocblas_bfloat16ffEviiT3_lPKT2_lT1_lS4_lS5_lS1_lPT4_lS5_li
	.p2align	8
	.type	_ZL32rocblas_gemvt_warp_reduce_kernelILb0ELi256Ei16rocblas_bfloat16ffEviiT3_lPKT2_lT1_lS4_lS5_lS1_lPT4_lS5_li,@function
_ZL32rocblas_gemvt_warp_reduce_kernelILb0ELi256Ei16rocblas_bfloat16ffEviiT3_lPKT2_lT1_lS4_lS5_lS1_lPT4_lS5_li: ; @_ZL32rocblas_gemvt_warp_reduce_kernelILb0ELi256Ei16rocblas_bfloat16ffEviiT3_lPKT2_lT1_lS4_lS5_lS1_lPT4_lS5_li
; %bb.0:
	s_load_dword s19, s[0:1], 0x8
	s_load_dword s18, s[0:1], 0x58
	s_waitcnt lgkmcnt(0)
	v_cmp_eq_f32_e64 s[4:5], s19, 0
	v_cmp_eq_f32_e64 s[6:7], s18, 1.0
	s_and_b64 s[4:5], s[4:5], s[6:7]
	s_and_b64 vcc, exec, s[4:5]
	s_cbranch_vccnz .LBB646_37
; %bb.1:
	s_load_dwordx2 s[8:9], s[0:1], 0x80
	s_load_dwordx4 s[4:7], s[0:1], 0x68
	s_load_dword s20, s[0:1], 0x78
	s_waitcnt lgkmcnt(0)
	s_mul_i32 s9, s3, s9
	s_mul_hi_u32 s10, s3, s8
	s_mul_i32 s8, s3, s8
	s_add_i32 s9, s10, s9
	s_lshl_b64 s[8:9], s[8:9], 2
	s_add_u32 s8, s4, s8
	s_addc_u32 s9, s5, s9
	s_lshl_b64 s[4:5], s[6:7], 2
	s_add_u32 s16, s8, s4
	s_addc_u32 s17, s9, s5
	v_cmp_neq_f32_e64 s[4:5], s19, 0
	s_and_b64 vcc, exec, s[4:5]
	v_cmp_eq_u32_e64 s[4:5], 0, v0
	s_cbranch_vccnz .LBB646_6
; %bb.2:
	s_mov_b64 s[10:11], 0
	s_mov_b64 s[6:7], 0
                                        ; implicit-def: $vgpr1
                                        ; implicit-def: $sgpr8_sgpr9
	s_and_saveexec_b64 s[12:13], s[4:5]
	s_cbranch_execz .LBB646_7
; %bb.3:
	v_cmp_eq_f32_e64 s[4:5], s18, 0
	s_mul_i32 s8, s2, s20
	v_mov_b32_e32 v1, 0
	s_ashr_i32 s9, s8, 31
	s_and_b64 vcc, exec, s[4:5]
	s_cbranch_vccnz .LBB646_5
; %bb.4:
	s_lshl_b64 s[4:5], s[8:9], 2
	s_add_u32 s4, s16, s4
	s_addc_u32 s5, s17, s5
	s_load_dword s4, s[4:5], 0x0
	v_mov_b32_e32 v1, s18
	s_waitcnt lgkmcnt(0)
	v_mul_f32_e32 v1, s4, v1
.LBB646_5:
	s_mov_b64 s[6:7], exec
	s_or_b64 exec, exec, s[12:13]
	s_and_b64 vcc, exec, s[10:11]
	s_cbranch_vccnz .LBB646_8
	s_branch .LBB646_35
.LBB646_6:
	s_mov_b64 s[6:7], 0
                                        ; implicit-def: $vgpr1
                                        ; implicit-def: $sgpr8_sgpr9
	s_cbranch_execnz .LBB646_8
	s_branch .LBB646_35
.LBB646_7:
	s_or_b64 exec, exec, s[12:13]
	s_and_b64 vcc, exec, s[10:11]
	s_cbranch_vccz .LBB646_35
.LBB646_8:
	s_load_dwordx2 s[22:23], s[0:1], 0x50
	s_load_dword s5, s[0:1], 0x0
	s_load_dwordx4 s[8:11], s[0:1], 0x18
	s_load_dword s4, s[0:1], 0x28
	s_load_dwordx4 s[12:15], s[0:1], 0x30
	s_load_dwordx2 s[24:25], s[0:1], 0x40
	s_load_dword s21, s[0:1], 0x48
	s_waitcnt lgkmcnt(0)
	s_mul_i32 s0, s3, s23
	s_mul_hi_u32 s1, s3, s22
	s_add_i32 s1, s1, s0
	s_mul_i32 s0, s3, s22
	s_lshl_b64 s[0:1], s[0:1], 1
	s_add_u32 s14, s14, s0
	s_addc_u32 s15, s15, s1
	s_lshl_b64 s[0:1], s[24:25], 1
	s_add_u32 s0, s14, s0
	s_mul_i32 s13, s3, s13
	s_mul_hi_u32 s14, s3, s12
	s_addc_u32 s1, s15, s1
	s_add_i32 s13, s14, s13
	s_mul_i32 s12, s3, s12
	s_lshl_b64 s[12:13], s[12:13], 1
	s_add_u32 s3, s8, s12
	s_addc_u32 s12, s9, s13
	s_lshl_b64 s[8:9], s[10:11], 1
	s_add_u32 s3, s3, s8
	s_mul_i32 s8, s2, s4
	s_addc_u32 s10, s12, s9
	s_ashr_i32 s9, s8, 31
	s_lshl_b64 s[8:9], s[8:9], 1
	s_add_u32 s8, s8, s3
	s_addc_u32 s9, s9, s10
	s_ashr_i32 s3, s5, 31
	v_cmp_gt_i32_e32 vcc, s5, v0
	s_lshr_b32 s3, s3, 24
	s_add_i32 s3, s5, s3
	v_cndmask_b32_e32 v1, 0, v0, vcc
	v_lshlrev_b32_e32 v2, 1, v1
	v_mov_b32_e32 v3, 0
	s_and_b32 s4, s3, 0xffffff00
	v_lshl_add_u64 v[4:5], s[8:9], 0, v[2:3]
	v_cmp_gt_i32_e32 vcc, s4, v0
	s_and_saveexec_b64 s[8:9], vcc
	s_cbranch_execz .LBB646_16
; %bb.9:
	v_mul_lo_u32 v6, v0, s21
	s_lshl_b32 s3, s21, 8
	s_mov_b64 s[10:11], 0
	v_mov_b32_e32 v1, 0
	s_mov_b32 s22, 0x7f800000
	s_movk_i32 s23, 0x7fff
	s_mov_b64 s[12:13], 0x200
	v_mov_b64_e32 v[8:9], v[4:5]
	v_mov_b32_e32 v2, v0
	v_mov_b32_e32 v3, 0
	s_branch .LBB646_11
.LBB646_10:                             ;   in Loop: Header=BB646_11 Depth=1
	s_or_b64 exec, exec, s[14:15]
	v_add_u32_e32 v2, 0x100, v2
	v_and_b32_e32 v7, 0xffff0000, v7
	v_cmp_le_i32_e32 vcc, s4, v2
	v_add_f32_e32 v3, v3, v7
	v_lshl_add_u64 v[8:9], v[8:9], 0, s[12:13]
	s_or_b64 s[10:11], vcc, s[10:11]
	v_add_u32_e32 v6, s3, v6
	s_andn2_b64 exec, exec, s[10:11]
	s_cbranch_execz .LBB646_15
.LBB646_11:                             ; =>This Inner Loop Header: Depth=1
	v_ashrrev_i32_e32 v7, 31, v6
	v_lshl_add_u64 v[10:11], v[6:7], 1, s[0:1]
	global_load_ushort v7, v[10:11], off
	global_load_ushort v12, v[8:9], off
	s_waitcnt vmcnt(1)
	v_lshlrev_b32_e32 v10, 16, v7
	s_waitcnt vmcnt(0)
	v_lshlrev_b32_e32 v12, 16, v12
	v_pk_mul_f32 v[10:11], v[10:11], v[12:13] op_sel_hi:[0,1]
	v_and_b32_e32 v7, 0x7f800000, v10
	v_cmp_ne_u32_e32 vcc, s22, v7
                                        ; implicit-def: $vgpr7
	s_and_saveexec_b64 s[14:15], vcc
	s_xor_b64 s[14:15], exec, s[14:15]
; %bb.12:                               ;   in Loop: Header=BB646_11 Depth=1
	v_bfe_u32 v7, v10, 16, 1
	v_add3_u32 v7, v10, v7, s23
                                        ; implicit-def: $vgpr10_vgpr11
; %bb.13:                               ;   in Loop: Header=BB646_11 Depth=1
	s_andn2_saveexec_b64 s[14:15], s[14:15]
	s_cbranch_execz .LBB646_10
; %bb.14:                               ;   in Loop: Header=BB646_11 Depth=1
	v_or_b32_e32 v7, 0x10000, v10
	v_cmp_eq_u32_sdwa vcc, v10, v1 src0_sel:WORD_0 src1_sel:DWORD
	s_nop 1
	v_cndmask_b32_e32 v7, v7, v10, vcc
	s_branch .LBB646_10
.LBB646_15:
	s_or_b64 exec, exec, s[10:11]
.LBB646_16:
	s_or_b64 exec, exec, s[8:9]
	v_add_u32_e32 v1, s4, v0
	v_cmp_gt_i32_e32 vcc, s5, v1
	s_and_saveexec_b64 s[8:9], vcc
	s_cbranch_execz .LBB646_22
; %bb.17:
	s_ashr_i32 s5, s4, 31
	v_mul_lo_u32 v6, v1, s21
	v_lshl_add_u64 v[4:5], s[4:5], 1, v[4:5]
	v_ashrrev_i32_e32 v7, 31, v6
	v_lshl_add_u64 v[6:7], v[6:7], 1, s[0:1]
	global_load_ushort v1, v[4:5], off
	global_load_ushort v8, v[6:7], off
	s_mov_b32 s0, 0x7f800000
	s_waitcnt vmcnt(1)
	v_lshlrev_b32_e32 v2, 16, v1
	s_waitcnt vmcnt(0)
	v_lshlrev_b32_e32 v4, 16, v8
	v_pk_mul_f32 v[4:5], v[4:5], v[2:3] op_sel_hi:[0,1]
	v_and_b32_e32 v1, 0x7f800000, v4
	v_cmp_ne_u32_e32 vcc, s0, v1
                                        ; implicit-def: $vgpr1
	s_and_saveexec_b64 s[0:1], vcc
	s_xor_b64 s[0:1], exec, s[0:1]
; %bb.18:
	v_bfe_u32 v1, v4, 16, 1
	s_movk_i32 s3, 0x7fff
	v_add3_u32 v1, v4, v1, s3
                                        ; implicit-def: $vgpr4_vgpr5
; %bb.19:
	s_andn2_saveexec_b64 s[0:1], s[0:1]
; %bb.20:
	v_mov_b32_e32 v1, 0
	v_or_b32_e32 v2, 0x10000, v4
	v_cmp_eq_u32_sdwa vcc, v4, v1 src0_sel:WORD_0 src1_sel:DWORD
	s_nop 1
	v_cndmask_b32_e32 v1, v2, v4, vcc
; %bb.21:
	s_or_b64 exec, exec, s[0:1]
	v_and_b32_e32 v1, 0xffff0000, v1
	v_add_f32_e32 v3, v3, v1
.LBB646_22:
	s_or_b64 exec, exec, s[8:9]
	v_and_b32_e32 v2, 63, v0
	v_cmp_gt_u32_e32 vcc, 64, v0
	v_lshlrev_b32_e32 v1, 2, v2
	s_and_saveexec_b64 s[0:1], vcc
	s_cbranch_execz .LBB646_24
; %bb.23:
	v_mov_b32_e32 v4, 0
	ds_write_b32 v1, v4
.LBB646_24:
	s_or_b64 exec, exec, s[0:1]
	v_mbcnt_lo_u32_b32 v4, -1, 0
	v_mbcnt_hi_u32_b32 v4, -1, v4
	v_and_b32_e32 v5, 63, v4
	v_cmp_gt_u32_e64 s[0:1], 32, v5
	s_waitcnt lgkmcnt(0)
	s_barrier
	v_cndmask_b32_e64 v6, 0, 1, s[0:1]
	v_lshlrev_b32_e32 v6, 5, v6
	v_add_lshl_u32 v6, v6, v4, 2
	ds_bpermute_b32 v6, v6, v3
	v_cmp_gt_u32_e64 s[0:1], 48, v5
	s_waitcnt lgkmcnt(0)
	v_add_f32_e32 v3, v3, v6
	v_cndmask_b32_e64 v7, 0, 1, s[0:1]
	v_lshlrev_b32_e32 v7, 4, v7
	v_add_lshl_u32 v6, v7, v4, 2
	ds_bpermute_b32 v6, v6, v3
	v_cmp_gt_u32_e64 s[0:1], 56, v5
	s_waitcnt lgkmcnt(0)
	v_add_f32_e32 v3, v3, v6
	;; [unrolled: 7-line block ×4, first 2 shown]
	v_cndmask_b32_e64 v7, 0, 1, s[0:1]
	v_lshlrev_b32_e32 v7, 1, v7
	v_add_lshl_u32 v3, v7, v4, 2
	ds_bpermute_b32 v7, v3, v6
	v_cmp_ne_u32_e64 s[0:1], 63, v5
	s_waitcnt lgkmcnt(0)
	v_add_f32_e32 v5, v6, v7
	v_addc_co_u32_e64 v4, s[0:1], 0, v4, s[0:1]
	v_lshlrev_b32_e32 v4, 2, v4
	ds_bpermute_b32 v6, v4, v5
	v_cmp_eq_u32_e64 s[0:1], 0, v2
	s_and_saveexec_b64 s[4:5], s[0:1]
	s_cbranch_execz .LBB646_26
; %bb.25:
	v_lshrrev_b32_e32 v2, 4, v0
	v_and_b32_e32 v2, 12, v2
	s_waitcnt lgkmcnt(0)
	v_add_f32_e32 v5, v5, v6
	ds_write_b32 v2, v5
.LBB646_26:
	s_or_b64 exec, exec, s[4:5]
	v_cmp_gt_u32_e64 s[0:1], 4, v0
	v_mov_b32_e32 v2, 0
	s_waitcnt lgkmcnt(0)
	s_barrier
	s_and_saveexec_b64 s[4:5], s[0:1]
	s_cbranch_execz .LBB646_28
; %bb.27:
	ds_read_b32 v2, v1
	s_or_b64 exec, exec, s[4:5]
	s_and_saveexec_b64 s[0:1], vcc
	s_cbranch_execz .LBB646_30
	s_branch .LBB646_29
.LBB646_28:
	s_or_b64 exec, exec, s[4:5]
	s_and_saveexec_b64 s[0:1], vcc
	s_cbranch_execz .LBB646_30
.LBB646_29:
	s_waitcnt lgkmcnt(0)
	ds_bpermute_b32 v1, v3, v2
	s_waitcnt lgkmcnt(0)
	v_add_f32_e32 v1, v2, v1
	ds_bpermute_b32 v2, v4, v1
	s_waitcnt lgkmcnt(0)
	v_add_f32_e32 v2, v1, v2
.LBB646_30:
	s_or_b64 exec, exec, s[0:1]
	v_cmp_eq_u32_e32 vcc, 0, v0
                                        ; implicit-def: $vgpr1
                                        ; implicit-def: $sgpr8_sgpr9
	s_and_saveexec_b64 s[0:1], vcc
	s_cbranch_execz .LBB646_34
; %bb.31:
	v_cmp_eq_f32_e64 s[4:5], s18, 0
	s_mul_i32 s8, s2, s20
	s_waitcnt lgkmcnt(0)
	v_mul_f32_e32 v1, s19, v2
	s_ashr_i32 s9, s8, 31
	s_and_b64 vcc, exec, s[4:5]
	s_cbranch_vccnz .LBB646_33
; %bb.32:
	s_lshl_b64 s[2:3], s[8:9], 2
	s_add_u32 s2, s16, s2
	s_addc_u32 s3, s17, s3
	s_load_dword s2, s[2:3], 0x0
	v_mov_b32_e32 v0, s18
	s_waitcnt lgkmcnt(0)
	v_fmac_f32_e32 v1, s2, v0
.LBB646_33:
	s_or_b64 s[6:7], s[6:7], exec
.LBB646_34:
	s_or_b64 exec, exec, s[0:1]
.LBB646_35:
	s_and_saveexec_b64 s[0:1], s[6:7]
	s_cbranch_execz .LBB646_37
; %bb.36:
	s_lshl_b64 s[0:1], s[8:9], 2
	s_add_u32 s0, s16, s0
	s_addc_u32 s1, s17, s1
	v_mov_b32_e32 v0, 0
	global_store_dword v0, v1, s[0:1]
.LBB646_37:
	s_endpgm
	.section	.rodata,"a",@progbits
	.p2align	6, 0x0
	.amdhsa_kernel _ZL32rocblas_gemvt_warp_reduce_kernelILb0ELi256Ei16rocblas_bfloat16ffEviiT3_lPKT2_lT1_lS4_lS5_lS1_lPT4_lS5_li
		.amdhsa_group_segment_fixed_size 256
		.amdhsa_private_segment_fixed_size 0
		.amdhsa_kernarg_size 140
		.amdhsa_user_sgpr_count 2
		.amdhsa_user_sgpr_dispatch_ptr 0
		.amdhsa_user_sgpr_queue_ptr 0
		.amdhsa_user_sgpr_kernarg_segment_ptr 1
		.amdhsa_user_sgpr_dispatch_id 0
		.amdhsa_user_sgpr_kernarg_preload_length 0
		.amdhsa_user_sgpr_kernarg_preload_offset 0
		.amdhsa_user_sgpr_private_segment_size 0
		.amdhsa_uses_dynamic_stack 0
		.amdhsa_enable_private_segment 0
		.amdhsa_system_sgpr_workgroup_id_x 1
		.amdhsa_system_sgpr_workgroup_id_y 0
		.amdhsa_system_sgpr_workgroup_id_z 1
		.amdhsa_system_sgpr_workgroup_info 0
		.amdhsa_system_vgpr_workitem_id 0
		.amdhsa_next_free_vgpr 14
		.amdhsa_next_free_sgpr 26
		.amdhsa_accum_offset 16
		.amdhsa_reserve_vcc 1
		.amdhsa_float_round_mode_32 0
		.amdhsa_float_round_mode_16_64 0
		.amdhsa_float_denorm_mode_32 3
		.amdhsa_float_denorm_mode_16_64 3
		.amdhsa_dx10_clamp 1
		.amdhsa_ieee_mode 1
		.amdhsa_fp16_overflow 0
		.amdhsa_tg_split 0
		.amdhsa_exception_fp_ieee_invalid_op 0
		.amdhsa_exception_fp_denorm_src 0
		.amdhsa_exception_fp_ieee_div_zero 0
		.amdhsa_exception_fp_ieee_overflow 0
		.amdhsa_exception_fp_ieee_underflow 0
		.amdhsa_exception_fp_ieee_inexact 0
		.amdhsa_exception_int_div_zero 0
	.end_amdhsa_kernel
	.section	.text._ZL32rocblas_gemvt_warp_reduce_kernelILb0ELi256Ei16rocblas_bfloat16ffEviiT3_lPKT2_lT1_lS4_lS5_lS1_lPT4_lS5_li,"axG",@progbits,_ZL32rocblas_gemvt_warp_reduce_kernelILb0ELi256Ei16rocblas_bfloat16ffEviiT3_lPKT2_lT1_lS4_lS5_lS1_lPT4_lS5_li,comdat
.Lfunc_end646:
	.size	_ZL32rocblas_gemvt_warp_reduce_kernelILb0ELi256Ei16rocblas_bfloat16ffEviiT3_lPKT2_lT1_lS4_lS5_lS1_lPT4_lS5_li, .Lfunc_end646-_ZL32rocblas_gemvt_warp_reduce_kernelILb0ELi256Ei16rocblas_bfloat16ffEviiT3_lPKT2_lT1_lS4_lS5_lS1_lPT4_lS5_li
                                        ; -- End function
	.section	.AMDGPU.csdata,"",@progbits
; Kernel info:
; codeLenInByte = 1484
; NumSgprs: 32
; NumVgprs: 14
; NumAgprs: 0
; TotalNumVgprs: 14
; ScratchSize: 0
; MemoryBound: 0
; FloatMode: 240
; IeeeMode: 1
; LDSByteSize: 256 bytes/workgroup (compile time only)
; SGPRBlocks: 3
; VGPRBlocks: 1
; NumSGPRsForWavesPerEU: 32
; NumVGPRsForWavesPerEU: 14
; AccumOffset: 16
; Occupancy: 8
; WaveLimiterHint : 1
; COMPUTE_PGM_RSRC2:SCRATCH_EN: 0
; COMPUTE_PGM_RSRC2:USER_SGPR: 2
; COMPUTE_PGM_RSRC2:TRAP_HANDLER: 0
; COMPUTE_PGM_RSRC2:TGID_X_EN: 1
; COMPUTE_PGM_RSRC2:TGID_Y_EN: 0
; COMPUTE_PGM_RSRC2:TGID_Z_EN: 1
; COMPUTE_PGM_RSRC2:TIDIG_COMP_CNT: 0
; COMPUTE_PGM_RSRC3_GFX90A:ACCUM_OFFSET: 3
; COMPUTE_PGM_RSRC3_GFX90A:TG_SPLIT: 0
	.section	.text._ZL32rocblas_gemvt_warp_reduce_kernelILb0ELi256El16rocblas_bfloat16ffEviiT3_lPKT2_lT1_lS4_lS5_lS1_lPT4_lS5_li,"axG",@progbits,_ZL32rocblas_gemvt_warp_reduce_kernelILb0ELi256El16rocblas_bfloat16ffEviiT3_lPKT2_lT1_lS4_lS5_lS1_lPT4_lS5_li,comdat
	.globl	_ZL32rocblas_gemvt_warp_reduce_kernelILb0ELi256El16rocblas_bfloat16ffEviiT3_lPKT2_lT1_lS4_lS5_lS1_lPT4_lS5_li ; -- Begin function _ZL32rocblas_gemvt_warp_reduce_kernelILb0ELi256El16rocblas_bfloat16ffEviiT3_lPKT2_lT1_lS4_lS5_lS1_lPT4_lS5_li
	.p2align	8
	.type	_ZL32rocblas_gemvt_warp_reduce_kernelILb0ELi256El16rocblas_bfloat16ffEviiT3_lPKT2_lT1_lS4_lS5_lS1_lPT4_lS5_li,@function
_ZL32rocblas_gemvt_warp_reduce_kernelILb0ELi256El16rocblas_bfloat16ffEviiT3_lPKT2_lT1_lS4_lS5_lS1_lPT4_lS5_li: ; @_ZL32rocblas_gemvt_warp_reduce_kernelILb0ELi256El16rocblas_bfloat16ffEviiT3_lPKT2_lT1_lS4_lS5_lS1_lPT4_lS5_li
; %bb.0:
	s_load_dword s29, s[0:1], 0x8
	s_load_dword s28, s[0:1], 0x58
	s_waitcnt lgkmcnt(0)
	v_cmp_eq_f32_e64 s[4:5], s29, 0
	v_cmp_eq_f32_e64 s[6:7], s28, 1.0
	s_and_b64 s[4:5], s[4:5], s[6:7]
	s_and_b64 vcc, exec, s[4:5]
	s_cbranch_vccnz .LBB647_37
; %bb.1:
	s_load_dwordx8 s[16:23], s[0:1], 0x68
	v_cmp_neq_f32_e64 s[4:5], s29, 0
	s_waitcnt lgkmcnt(0)
	s_mul_i32 s7, s3, s23
	s_mul_hi_u32 s8, s3, s22
	s_mul_i32 s6, s3, s22
	s_add_i32 s7, s8, s7
	s_lshl_b64 s[6:7], s[6:7], 2
	s_add_u32 s8, s16, s6
	s_addc_u32 s9, s17, s7
	s_lshl_b64 s[6:7], s[18:19], 2
	s_add_u32 s26, s8, s6
	s_addc_u32 s27, s9, s7
	s_and_b64 vcc, exec, s[4:5]
	v_cmp_eq_u32_e64 s[4:5], 0, v0
	s_cbranch_vccnz .LBB647_6
; %bb.2:
	s_mov_b64 s[8:9], 0
	s_mov_b64 s[22:23], 0
                                        ; implicit-def: $vgpr1
                                        ; implicit-def: $sgpr6_sgpr7
	s_and_saveexec_b64 s[10:11], s[4:5]
	s_cbranch_execz .LBB647_7
; %bb.3:
	s_ashr_i32 s6, s2, 31
	s_mul_i32 s7, s2, s21
	s_mul_hi_u32 s12, s2, s20
	v_cmp_eq_f32_e64 s[4:5], s28, 0
	s_add_i32 s7, s12, s7
	s_mul_i32 s6, s6, s20
	v_mov_b32_e32 v1, 0
	s_add_i32 s7, s7, s6
	s_mul_i32 s6, s2, s20
	s_and_b64 vcc, exec, s[4:5]
	s_cbranch_vccnz .LBB647_5
; %bb.4:
	s_lshl_b64 s[4:5], s[6:7], 2
	s_add_u32 s4, s26, s4
	s_addc_u32 s5, s27, s5
	s_load_dword s4, s[4:5], 0x0
	v_mov_b32_e32 v1, s28
	s_waitcnt lgkmcnt(0)
	v_mul_f32_e32 v1, s4, v1
.LBB647_5:
	s_mov_b64 s[22:23], exec
	s_or_b64 exec, exec, s[10:11]
	s_and_b64 vcc, exec, s[8:9]
	s_cbranch_vccnz .LBB647_8
	s_branch .LBB647_35
.LBB647_6:
	s_mov_b64 s[22:23], 0
                                        ; implicit-def: $vgpr1
                                        ; implicit-def: $sgpr6_sgpr7
	s_cbranch_execnz .LBB647_8
	s_branch .LBB647_35
.LBB647_7:
	s_or_b64 exec, exec, s[10:11]
	s_and_b64 vcc, exec, s[8:9]
	s_cbranch_vccz .LBB647_35
.LBB647_8:
	s_load_dwordx16 s[4:19], s[0:1], 0x18
	s_load_dword s30, s[0:1], 0x0
	v_mov_b32_e32 v3, 0
	s_waitcnt lgkmcnt(0)
	s_mul_i32 s1, s3, s19
	s_mul_hi_u32 s19, s3, s18
	s_mul_i32 s0, s3, s18
	s_mul_i32 s11, s3, s11
	s_mul_hi_u32 s18, s3, s10
	s_add_i32 s11, s18, s11
	s_mul_i32 s10, s3, s10
	s_add_i32 s1, s19, s1
	s_lshl_b64 s[10:11], s[10:11], 1
	s_add_u32 s3, s4, s10
	s_addc_u32 s10, s5, s11
	s_lshl_b64 s[4:5], s[6:7], 1
	s_add_u32 s6, s3, s4
	s_addc_u32 s7, s10, s5
	s_ashr_i32 s3, s2, 31
	s_mul_i32 s4, s2, s9
	s_mul_hi_u32 s5, s2, s8
	s_add_i32 s4, s5, s4
	s_mul_i32 s5, s3, s8
	s_add_i32 s5, s4, s5
	s_mul_i32 s4, s2, s8
	v_cmp_gt_i32_e32 vcc, s30, v0
	s_lshl_b64 s[4:5], s[4:5], 1
	s_add_u32 s4, s4, s6
	v_cndmask_b32_e32 v1, 0, v0, vcc
	v_lshlrev_b32_e32 v2, 1, v1
	s_addc_u32 s5, s5, s7
	v_lshl_add_u64 v[4:5], s[4:5], 0, v[2:3]
	s_ashr_i32 s4, s30, 31
	s_lshr_b32 s4, s4, 24
	s_add_i32 s4, s30, s4
	s_and_b32 s4, s4, 0xffffff00
	v_cmp_gt_i32_e32 vcc, s4, v0
	s_and_saveexec_b64 s[6:7], vcc
	s_cbranch_execz .LBB647_16
; %bb.9:
	v_mad_u64_u32 v[2:3], s[10:11], s16, v0, 0
	v_mov_b32_e32 v6, v3
	v_mad_u64_u32 v[6:7], s[10:11], s17, v0, v[6:7]
	s_lshl_b64 s[8:9], s[0:1], 1
	s_lshl_b64 s[10:11], s[14:15], 1
	s_add_u32 s5, s12, s10
	s_addc_u32 s10, s13, s11
	s_add_u32 s8, s5, s8
	v_mov_b32_e32 v3, v6
	s_addc_u32 s9, s10, s9
	v_lshl_add_u64 v[6:7], v[2:3], 1, s[8:9]
	s_lshl_b64 s[10:11], s[16:17], 9
	s_mov_b64 s[8:9], 0
	v_mov_b32_e32 v1, 0
	s_mov_b32 s5, 0x7f800000
	s_movk_i32 s31, 0x7fff
	s_mov_b64 s[18:19], 0x200
	v_mov_b64_e32 v[8:9], v[4:5]
	v_mov_b32_e32 v2, v0
	v_mov_b32_e32 v3, 0
	s_branch .LBB647_11
.LBB647_10:                             ;   in Loop: Header=BB647_11 Depth=1
	s_or_b64 exec, exec, s[24:25]
	v_add_u32_e32 v2, 0x100, v2
	v_and_b32_e32 v10, 0xffff0000, v12
	v_cmp_le_i32_e32 vcc, s4, v2
	v_add_f32_e32 v3, v3, v10
	v_lshl_add_u64 v[8:9], v[8:9], 0, s[18:19]
	s_or_b64 s[8:9], vcc, s[8:9]
	v_lshl_add_u64 v[6:7], v[6:7], 0, s[10:11]
	s_andn2_b64 exec, exec, s[8:9]
	s_cbranch_execz .LBB647_15
.LBB647_11:                             ; =>This Inner Loop Header: Depth=1
	global_load_ushort v10, v[6:7], off
	global_load_ushort v11, v[8:9], off
	s_waitcnt vmcnt(1)
	v_lshlrev_b32_e32 v10, 16, v10
	s_waitcnt vmcnt(0)
	v_lshlrev_b32_e32 v12, 16, v11
	v_pk_mul_f32 v[10:11], v[10:11], v[12:13] op_sel_hi:[0,1]
	v_and_b32_e32 v11, 0x7f800000, v10
	v_cmp_ne_u32_e32 vcc, s5, v11
                                        ; implicit-def: $vgpr12
	s_and_saveexec_b64 s[24:25], vcc
	s_xor_b64 s[24:25], exec, s[24:25]
; %bb.12:                               ;   in Loop: Header=BB647_11 Depth=1
	v_bfe_u32 v11, v10, 16, 1
	v_add3_u32 v12, v10, v11, s31
                                        ; implicit-def: $vgpr10_vgpr11
; %bb.13:                               ;   in Loop: Header=BB647_11 Depth=1
	s_andn2_saveexec_b64 s[24:25], s[24:25]
	s_cbranch_execz .LBB647_10
; %bb.14:                               ;   in Loop: Header=BB647_11 Depth=1
	v_or_b32_e32 v11, 0x10000, v10
	v_cmp_eq_u32_sdwa vcc, v10, v1 src0_sel:WORD_0 src1_sel:DWORD
	s_nop 1
	v_cndmask_b32_e32 v12, v11, v10, vcc
	s_branch .LBB647_10
.LBB647_15:
	s_or_b64 exec, exec, s[8:9]
.LBB647_16:
	s_or_b64 exec, exec, s[6:7]
	v_add_u32_e32 v1, s4, v0
	v_cmp_gt_i32_e32 vcc, s30, v1
	s_and_saveexec_b64 s[6:7], vcc
	s_cbranch_execz .LBB647_22
; %bb.17:
	s_lshl_b64 s[0:1], s[0:1], 1
	s_add_u32 s5, s12, s0
	s_addc_u32 s8, s13, s1
	s_lshl_b64 s[0:1], s[14:15], 1
	s_add_u32 s0, s5, s0
	s_addc_u32 s1, s8, s1
	s_ashr_i32 s5, s4, 31
	v_ashrrev_i32_e32 v2, 31, v1
	v_lshl_add_u64 v[4:5], s[4:5], 1, v[4:5]
	v_mul_lo_u32 v8, v1, s17
	v_mul_lo_u32 v2, v2, s16
	v_mad_u64_u32 v[6:7], s[4:5], v1, s16, 0
	v_add3_u32 v7, v7, v8, v2
	v_lshl_add_u64 v[6:7], v[6:7], 1, s[0:1]
	global_load_ushort v1, v[6:7], off
	global_load_ushort v8, v[4:5], off
	s_mov_b32 s0, 0x7f800000
	s_waitcnt vmcnt(1)
	v_lshlrev_b32_e32 v2, 16, v1
	s_waitcnt vmcnt(0)
	v_lshlrev_b32_e32 v4, 16, v8
	v_pk_mul_f32 v[4:5], v[2:3], v[4:5] op_sel_hi:[0,1]
	v_and_b32_e32 v1, 0x7f800000, v4
	v_cmp_ne_u32_e32 vcc, s0, v1
                                        ; implicit-def: $vgpr1
	s_and_saveexec_b64 s[0:1], vcc
	s_xor_b64 s[0:1], exec, s[0:1]
; %bb.18:
	v_bfe_u32 v1, v4, 16, 1
	s_movk_i32 s4, 0x7fff
	v_add3_u32 v1, v4, v1, s4
                                        ; implicit-def: $vgpr4_vgpr5
; %bb.19:
	s_andn2_saveexec_b64 s[0:1], s[0:1]
; %bb.20:
	v_mov_b32_e32 v1, 0
	v_or_b32_e32 v2, 0x10000, v4
	v_cmp_eq_u32_sdwa vcc, v4, v1 src0_sel:WORD_0 src1_sel:DWORD
	s_nop 1
	v_cndmask_b32_e32 v1, v2, v4, vcc
; %bb.21:
	s_or_b64 exec, exec, s[0:1]
	v_and_b32_e32 v1, 0xffff0000, v1
	v_add_f32_e32 v3, v3, v1
.LBB647_22:
	s_or_b64 exec, exec, s[6:7]
	v_and_b32_e32 v2, 63, v0
	v_cmp_gt_u32_e32 vcc, 64, v0
	v_lshlrev_b32_e32 v1, 2, v2
	s_and_saveexec_b64 s[0:1], vcc
	s_cbranch_execz .LBB647_24
; %bb.23:
	v_mov_b32_e32 v4, 0
	ds_write_b32 v1, v4
.LBB647_24:
	s_or_b64 exec, exec, s[0:1]
	v_mbcnt_lo_u32_b32 v4, -1, 0
	v_mbcnt_hi_u32_b32 v4, -1, v4
	v_and_b32_e32 v5, 63, v4
	v_cmp_gt_u32_e64 s[0:1], 32, v5
	s_waitcnt lgkmcnt(0)
	s_barrier
	v_cndmask_b32_e64 v6, 0, 1, s[0:1]
	v_lshlrev_b32_e32 v6, 5, v6
	v_add_lshl_u32 v6, v6, v4, 2
	ds_bpermute_b32 v6, v6, v3
	v_cmp_gt_u32_e64 s[0:1], 48, v5
	s_waitcnt lgkmcnt(0)
	v_add_f32_e32 v3, v3, v6
	v_cndmask_b32_e64 v7, 0, 1, s[0:1]
	v_lshlrev_b32_e32 v7, 4, v7
	v_add_lshl_u32 v6, v7, v4, 2
	ds_bpermute_b32 v6, v6, v3
	v_cmp_gt_u32_e64 s[0:1], 56, v5
	s_waitcnt lgkmcnt(0)
	v_add_f32_e32 v3, v3, v6
	;; [unrolled: 7-line block ×4, first 2 shown]
	v_cndmask_b32_e64 v7, 0, 1, s[0:1]
	v_lshlrev_b32_e32 v7, 1, v7
	v_add_lshl_u32 v3, v7, v4, 2
	ds_bpermute_b32 v7, v3, v6
	v_cmp_ne_u32_e64 s[0:1], 63, v5
	s_waitcnt lgkmcnt(0)
	v_add_f32_e32 v5, v6, v7
	v_addc_co_u32_e64 v4, s[0:1], 0, v4, s[0:1]
	v_lshlrev_b32_e32 v4, 2, v4
	ds_bpermute_b32 v6, v4, v5
	v_cmp_eq_u32_e64 s[0:1], 0, v2
	s_and_saveexec_b64 s[4:5], s[0:1]
	s_cbranch_execz .LBB647_26
; %bb.25:
	v_lshrrev_b32_e32 v2, 4, v0
	v_and_b32_e32 v2, 12, v2
	s_waitcnt lgkmcnt(0)
	v_add_f32_e32 v5, v5, v6
	ds_write_b32 v2, v5
.LBB647_26:
	s_or_b64 exec, exec, s[4:5]
	v_cmp_gt_u32_e64 s[0:1], 4, v0
	v_mov_b32_e32 v2, 0
	s_waitcnt lgkmcnt(0)
	s_barrier
	s_and_saveexec_b64 s[4:5], s[0:1]
	s_cbranch_execz .LBB647_28
; %bb.27:
	ds_read_b32 v2, v1
	s_or_b64 exec, exec, s[4:5]
	s_and_saveexec_b64 s[0:1], vcc
	s_cbranch_execz .LBB647_30
	s_branch .LBB647_29
.LBB647_28:
	s_or_b64 exec, exec, s[4:5]
	s_and_saveexec_b64 s[0:1], vcc
	s_cbranch_execz .LBB647_30
.LBB647_29:
	s_waitcnt lgkmcnt(0)
	ds_bpermute_b32 v1, v3, v2
	s_waitcnt lgkmcnt(0)
	v_add_f32_e32 v1, v2, v1
	ds_bpermute_b32 v2, v4, v1
	s_waitcnt lgkmcnt(0)
	v_add_f32_e32 v2, v1, v2
.LBB647_30:
	s_or_b64 exec, exec, s[0:1]
	v_cmp_eq_u32_e32 vcc, 0, v0
                                        ; implicit-def: $vgpr1
                                        ; implicit-def: $sgpr6_sgpr7
	s_and_saveexec_b64 s[0:1], vcc
	s_cbranch_execz .LBB647_34
; %bb.31:
	s_mul_i32 s6, s2, s21
	s_mul_hi_u32 s7, s2, s20
	v_cmp_eq_f32_e64 s[4:5], s28, 0
	s_add_i32 s6, s7, s6
	s_mul_i32 s3, s3, s20
	s_waitcnt lgkmcnt(0)
	v_mul_f32_e32 v1, s29, v2
	s_add_i32 s7, s6, s3
	s_mul_i32 s6, s2, s20
	s_and_b64 vcc, exec, s[4:5]
	s_cbranch_vccnz .LBB647_33
; %bb.32:
	s_lshl_b64 s[2:3], s[6:7], 2
	s_add_u32 s2, s26, s2
	s_addc_u32 s3, s27, s3
	s_load_dword s2, s[2:3], 0x0
	v_mov_b32_e32 v0, s28
	s_waitcnt lgkmcnt(0)
	v_fmac_f32_e32 v1, s2, v0
.LBB647_33:
	s_or_b64 s[22:23], s[22:23], exec
.LBB647_34:
	s_or_b64 exec, exec, s[0:1]
.LBB647_35:
	s_and_saveexec_b64 s[0:1], s[22:23]
	s_cbranch_execz .LBB647_37
; %bb.36:
	s_lshl_b64 s[0:1], s[6:7], 2
	s_add_u32 s0, s26, s0
	s_addc_u32 s1, s27, s1
	v_mov_b32_e32 v0, 0
	global_store_dword v0, v1, s[0:1]
.LBB647_37:
	s_endpgm
	.section	.rodata,"a",@progbits
	.p2align	6, 0x0
	.amdhsa_kernel _ZL32rocblas_gemvt_warp_reduce_kernelILb0ELi256El16rocblas_bfloat16ffEviiT3_lPKT2_lT1_lS4_lS5_lS1_lPT4_lS5_li
		.amdhsa_group_segment_fixed_size 256
		.amdhsa_private_segment_fixed_size 0
		.amdhsa_kernarg_size 140
		.amdhsa_user_sgpr_count 2
		.amdhsa_user_sgpr_dispatch_ptr 0
		.amdhsa_user_sgpr_queue_ptr 0
		.amdhsa_user_sgpr_kernarg_segment_ptr 1
		.amdhsa_user_sgpr_dispatch_id 0
		.amdhsa_user_sgpr_kernarg_preload_length 0
		.amdhsa_user_sgpr_kernarg_preload_offset 0
		.amdhsa_user_sgpr_private_segment_size 0
		.amdhsa_uses_dynamic_stack 0
		.amdhsa_enable_private_segment 0
		.amdhsa_system_sgpr_workgroup_id_x 1
		.amdhsa_system_sgpr_workgroup_id_y 0
		.amdhsa_system_sgpr_workgroup_id_z 1
		.amdhsa_system_sgpr_workgroup_info 0
		.amdhsa_system_vgpr_workitem_id 0
		.amdhsa_next_free_vgpr 14
		.amdhsa_next_free_sgpr 32
		.amdhsa_accum_offset 16
		.amdhsa_reserve_vcc 1
		.amdhsa_float_round_mode_32 0
		.amdhsa_float_round_mode_16_64 0
		.amdhsa_float_denorm_mode_32 3
		.amdhsa_float_denorm_mode_16_64 3
		.amdhsa_dx10_clamp 1
		.amdhsa_ieee_mode 1
		.amdhsa_fp16_overflow 0
		.amdhsa_tg_split 0
		.amdhsa_exception_fp_ieee_invalid_op 0
		.amdhsa_exception_fp_denorm_src 0
		.amdhsa_exception_fp_ieee_div_zero 0
		.amdhsa_exception_fp_ieee_overflow 0
		.amdhsa_exception_fp_ieee_underflow 0
		.amdhsa_exception_fp_ieee_inexact 0
		.amdhsa_exception_int_div_zero 0
	.end_amdhsa_kernel
	.section	.text._ZL32rocblas_gemvt_warp_reduce_kernelILb0ELi256El16rocblas_bfloat16ffEviiT3_lPKT2_lT1_lS4_lS5_lS1_lPT4_lS5_li,"axG",@progbits,_ZL32rocblas_gemvt_warp_reduce_kernelILb0ELi256El16rocblas_bfloat16ffEviiT3_lPKT2_lT1_lS4_lS5_lS1_lPT4_lS5_li,comdat
.Lfunc_end647:
	.size	_ZL32rocblas_gemvt_warp_reduce_kernelILb0ELi256El16rocblas_bfloat16ffEviiT3_lPKT2_lT1_lS4_lS5_lS1_lPT4_lS5_li, .Lfunc_end647-_ZL32rocblas_gemvt_warp_reduce_kernelILb0ELi256El16rocblas_bfloat16ffEviiT3_lPKT2_lT1_lS4_lS5_lS1_lPT4_lS5_li
                                        ; -- End function
	.section	.AMDGPU.csdata,"",@progbits
; Kernel info:
; codeLenInByte = 1548
; NumSgprs: 38
; NumVgprs: 14
; NumAgprs: 0
; TotalNumVgprs: 14
; ScratchSize: 0
; MemoryBound: 0
; FloatMode: 240
; IeeeMode: 1
; LDSByteSize: 256 bytes/workgroup (compile time only)
; SGPRBlocks: 4
; VGPRBlocks: 1
; NumSGPRsForWavesPerEU: 38
; NumVGPRsForWavesPerEU: 14
; AccumOffset: 16
; Occupancy: 8
; WaveLimiterHint : 1
; COMPUTE_PGM_RSRC2:SCRATCH_EN: 0
; COMPUTE_PGM_RSRC2:USER_SGPR: 2
; COMPUTE_PGM_RSRC2:TRAP_HANDLER: 0
; COMPUTE_PGM_RSRC2:TGID_X_EN: 1
; COMPUTE_PGM_RSRC2:TGID_Y_EN: 0
; COMPUTE_PGM_RSRC2:TGID_Z_EN: 1
; COMPUTE_PGM_RSRC2:TIDIG_COMP_CNT: 0
; COMPUTE_PGM_RSRC3_GFX90A:ACCUM_OFFSET: 3
; COMPUTE_PGM_RSRC3_GFX90A:TG_SPLIT: 0
	.section	.text._ZL20rocblas_gemvt_kernelILb0ELi256E16rocblas_bfloat16PKffEviiT2_lPKT1_lilS6_lilS3_lPT3_lili,"axG",@progbits,_ZL20rocblas_gemvt_kernelILb0ELi256E16rocblas_bfloat16PKffEviiT2_lPKT1_lilS6_lilS3_lPT3_lili,comdat
	.globl	_ZL20rocblas_gemvt_kernelILb0ELi256E16rocblas_bfloat16PKffEviiT2_lPKT1_lilS6_lilS3_lPT3_lili ; -- Begin function _ZL20rocblas_gemvt_kernelILb0ELi256E16rocblas_bfloat16PKffEviiT2_lPKT1_lilS6_lilS3_lPT3_lili
	.p2align	8
	.type	_ZL20rocblas_gemvt_kernelILb0ELi256E16rocblas_bfloat16PKffEviiT2_lPKT1_lilS6_lilS3_lPT3_lili,@function
_ZL20rocblas_gemvt_kernelILb0ELi256E16rocblas_bfloat16PKffEviiT2_lPKT1_lilS6_lilS3_lPT3_lili: ; @_ZL20rocblas_gemvt_kernelILb0ELi256E16rocblas_bfloat16PKffEviiT2_lPKT1_lilS6_lilS3_lPT3_lili
; %bb.0:
	s_load_dwordx8 s[4:11], s[0:1], 0x8
	s_load_dwordx8 s[12:19], s[0:1], 0x50
	s_waitcnt lgkmcnt(0)
	s_mul_i32 s7, s3, s7
	s_mul_hi_u32 s20, s3, s6
	s_add_i32 s7, s20, s7
	s_mul_i32 s6, s3, s6
	s_lshl_b64 s[6:7], s[6:7], 2
	s_add_u32 s4, s4, s6
	s_addc_u32 s5, s5, s7
	s_load_dword s22, s[4:5], 0x0
	s_mul_i32 s4, s3, s17
	s_mul_hi_u32 s5, s3, s16
	s_add_i32 s5, s5, s4
	s_mul_i32 s4, s3, s16
	s_lshl_b64 s[4:5], s[4:5], 2
	s_add_u32 s4, s14, s4
	s_addc_u32 s5, s15, s5
	s_load_dword s23, s[4:5], 0x0
	s_waitcnt lgkmcnt(0)
	v_cmp_eq_f32_e64 s[4:5], s22, 0
	v_cmp_eq_f32_e64 s[6:7], s23, 1.0
	s_and_b64 s[4:5], s[4:5], s[6:7]
	s_and_b64 vcc, exec, s[4:5]
	s_cbranch_vccnz .LBB648_44
; %bb.1:
	s_load_dwordx2 s[4:5], s[0:1], 0x80
	s_load_dwordx2 s[6:7], s[0:1], 0x70
	s_load_dword s24, s[0:1], 0x78
	s_waitcnt lgkmcnt(0)
	s_mul_i32 s5, s3, s5
	s_mul_hi_u32 s14, s3, s4
	s_mul_i32 s4, s3, s4
	s_add_i32 s5, s14, s5
	s_lshl_b64 s[4:5], s[4:5], 2
	s_add_u32 s14, s18, s4
	s_addc_u32 s15, s19, s5
	s_lshl_b64 s[4:5], s[6:7], 2
	s_add_u32 s20, s14, s4
	s_addc_u32 s21, s15, s5
	v_cmp_neq_f32_e64 s[4:5], s22, 0
	s_and_b64 vcc, exec, s[4:5]
	v_cmp_eq_u32_e64 s[4:5], 0, v0
	s_cbranch_vccnz .LBB648_6
; %bb.2:
	s_mov_b64 s[16:17], 0
	s_mov_b64 s[14:15], 0
                                        ; implicit-def: $vgpr1
                                        ; implicit-def: $sgpr6_sgpr7
	s_and_saveexec_b64 s[18:19], s[4:5]
	s_cbranch_execz .LBB648_7
; %bb.3:
	v_cmp_eq_f32_e64 s[4:5], s23, 0
	v_mov_b32_e32 v1, 0
	s_mul_hi_i32 s7, s24, s2
	s_mul_i32 s6, s24, s2
	s_and_b64 vcc, exec, s[4:5]
	s_cbranch_vccnz .LBB648_5
; %bb.4:
	s_lshl_b64 s[4:5], s[6:7], 2
	s_add_u32 s4, s20, s4
	s_addc_u32 s5, s21, s5
	s_load_dword s4, s[4:5], 0x0
	s_waitcnt lgkmcnt(0)
	v_mov_b32_e32 v1, s4
	v_mul_f32_e32 v1, s23, v1
.LBB648_5:
	s_mov_b64 s[14:15], exec
	s_or_b64 exec, exec, s[18:19]
	s_and_b64 vcc, exec, s[16:17]
	s_cbranch_vccnz .LBB648_8
	s_branch .LBB648_42
.LBB648_6:
	s_mov_b64 s[14:15], 0
                                        ; implicit-def: $vgpr1
                                        ; implicit-def: $sgpr6_sgpr7
	s_cbranch_execnz .LBB648_8
	s_branch .LBB648_42
.LBB648_7:
	s_or_b64 exec, exec, s[18:19]
	s_and_b64 vcc, exec, s[16:17]
	s_cbranch_vccz .LBB648_42
.LBB648_8:
	s_load_dword s25, s[0:1], 0x0
	s_load_dword s18, s[0:1], 0x28
	s_load_dwordx4 s[4:7], s[0:1], 0x30
	s_load_dwordx2 s[16:17], s[0:1], 0x40
	s_mul_i32 s13, s3, s13
	s_load_dword s0, s[0:1], 0x48
	s_mul_hi_u32 s19, s3, s12
	s_waitcnt lgkmcnt(0)
	s_mul_i32 s1, s3, s5
	s_mul_hi_u32 s5, s3, s4
	s_add_i32 s5, s5, s1
	s_mul_i32 s4, s3, s4
	s_add_i32 s13, s19, s13
	s_lshl_b64 s[4:5], s[4:5], 1
	s_add_u32 s1, s8, s4
	s_mul_i32 s12, s3, s12
	s_addc_u32 s3, s9, s5
	s_lshl_b64 s[4:5], s[10:11], 1
	s_add_u32 s1, s1, s4
	s_addc_u32 s9, s3, s5
	s_mul_hi_i32 s5, s18, s2
	s_mul_i32 s4, s18, s2
	s_lshl_b64 s[4:5], s[4:5], 1
	s_add_u32 s8, s4, s1
	s_addc_u32 s9, s5, s9
	s_ashr_i32 s1, s25, 31
	v_cmp_gt_i32_e32 vcc, s25, v0
	s_lshr_b32 s1, s1, 24
	s_add_i32 s1, s25, s1
	v_cndmask_b32_e32 v1, 0, v0, vcc
	v_lshlrev_b32_e32 v2, 1, v1
	v_mov_b32_e32 v3, 0
	s_and_b32 s4, s1, 0xffffff00
	s_mov_b32 s3, 0
	s_cmpk_lt_i32 s25, 0x100
	v_lshl_add_u64 v[4:5], s[8:9], 0, v[2:3]
	s_cbranch_scc1 .LBB648_15
; %bb.9:
	v_mad_i64_i32 v[2:3], s[10:11], s0, v0, 0
	s_ashr_i32 s1, s0, 31
	s_lshl_b64 s[8:9], s[12:13], 1
	s_lshl_b64 s[10:11], s[16:17], 1
	s_add_u32 s5, s6, s10
	s_addc_u32 s10, s7, s11
	s_add_u32 s8, s5, s8
	s_addc_u32 s9, s10, s9
	v_lshl_add_u64 v[6:7], v[2:3], 1, s[8:9]
	s_lshl_b64 s[8:9], s[0:1], 9
	v_mov_b32_e32 v1, 0
	s_mov_b32 s1, 0x7f800000
	s_movk_i32 s5, 0x7fff
	s_mov_b64 s[10:11], 0x200
	v_mov_b64_e32 v[8:9], v[4:5]
	v_mov_b32_e32 v3, 0
	s_branch .LBB648_11
.LBB648_10:                             ;   in Loop: Header=BB648_11 Depth=1
	s_or_b64 exec, exec, s[18:19]
	v_and_b32_e32 v2, 0xffff0000, v2
	s_addk_i32 s3, 0x100
	v_add_f32_e32 v3, v3, v2
	v_lshl_add_u64 v[6:7], v[6:7], 0, s[8:9]
	s_cmp_ge_i32 s3, s4
	v_lshl_add_u64 v[8:9], v[8:9], 0, s[10:11]
	s_cbranch_scc1 .LBB648_15
.LBB648_11:                             ; =>This Inner Loop Header: Depth=1
	global_load_ushort v2, v[6:7], off
	global_load_ushort v10, v[8:9], off
	s_waitcnt vmcnt(1)
	v_lshlrev_b32_e32 v2, 16, v2
	s_waitcnt vmcnt(0)
	v_lshlrev_b32_e32 v10, 16, v10
	v_pk_mul_f32 v[10:11], v[2:3], v[10:11] op_sel_hi:[0,1]
	v_and_b32_e32 v2, 0x7f800000, v10
	v_cmp_ne_u32_e32 vcc, s1, v2
                                        ; implicit-def: $vgpr2
	s_and_saveexec_b64 s[18:19], vcc
	s_xor_b64 s[18:19], exec, s[18:19]
; %bb.12:                               ;   in Loop: Header=BB648_11 Depth=1
	v_bfe_u32 v2, v10, 16, 1
	v_add3_u32 v2, v10, v2, s5
                                        ; implicit-def: $vgpr10_vgpr11
; %bb.13:                               ;   in Loop: Header=BB648_11 Depth=1
	s_andn2_saveexec_b64 s[18:19], s[18:19]
	s_cbranch_execz .LBB648_10
; %bb.14:                               ;   in Loop: Header=BB648_11 Depth=1
	v_or_b32_e32 v2, 0x10000, v10
	v_cmp_eq_u32_sdwa vcc, v10, v1 src0_sel:WORD_0 src1_sel:DWORD
	s_nop 1
	v_cndmask_b32_e32 v2, v2, v10, vcc
	s_branch .LBB648_10
.LBB648_15:
	v_add_u32_e32 v1, s4, v0
	v_cmp_gt_i32_e32 vcc, s25, v1
	s_and_saveexec_b64 s[8:9], vcc
	s_cbranch_execz .LBB648_21
; %bb.16:
	s_lshl_b64 s[10:11], s[12:13], 1
	s_add_u32 s1, s6, s10
	s_addc_u32 s3, s7, s11
	s_lshl_b64 s[6:7], s[16:17], 1
	s_add_u32 s6, s1, s6
	s_addc_u32 s7, s3, s7
	v_mad_i64_i32 v[6:7], s[0:1], s0, v1, 0
	s_ashr_i32 s5, s4, 31
	v_lshl_add_u64 v[6:7], v[6:7], 1, s[6:7]
	v_lshl_add_u64 v[4:5], s[4:5], 1, v[4:5]
	global_load_ushort v1, v[6:7], off
	global_load_ushort v8, v[4:5], off
	s_mov_b32 s0, 0x7f800000
	s_waitcnt vmcnt(1)
	v_lshlrev_b32_e32 v2, 16, v1
	s_waitcnt vmcnt(0)
	v_lshlrev_b32_e32 v4, 16, v8
	v_pk_mul_f32 v[4:5], v[2:3], v[4:5] op_sel_hi:[0,1]
	v_and_b32_e32 v1, 0x7f800000, v4
	v_cmp_ne_u32_e32 vcc, s0, v1
                                        ; implicit-def: $vgpr1
	s_and_saveexec_b64 s[0:1], vcc
	s_xor_b64 s[0:1], exec, s[0:1]
; %bb.17:
	v_bfe_u32 v1, v4, 16, 1
	s_movk_i32 s3, 0x7fff
	v_add3_u32 v1, v4, v1, s3
                                        ; implicit-def: $vgpr4_vgpr5
; %bb.18:
	s_andn2_saveexec_b64 s[0:1], s[0:1]
; %bb.19:
	v_mov_b32_e32 v1, 0
	v_or_b32_e32 v2, 0x10000, v4
	v_cmp_eq_u32_sdwa vcc, v4, v1 src0_sel:WORD_0 src1_sel:DWORD
	s_nop 1
	v_cndmask_b32_e32 v1, v2, v4, vcc
; %bb.20:
	s_or_b64 exec, exec, s[0:1]
	v_and_b32_e32 v1, 0xffff0000, v1
	v_add_f32_e32 v3, v3, v1
.LBB648_21:
	s_or_b64 exec, exec, s[8:9]
	s_movk_i32 s0, 0x80
	v_lshlrev_b32_e32 v1, 2, v0
	v_cmp_gt_u32_e32 vcc, s0, v0
	ds_write_b32 v1, v3
	s_waitcnt lgkmcnt(0)
	s_barrier
	s_and_saveexec_b64 s[0:1], vcc
	s_cbranch_execz .LBB648_23
; %bb.22:
	ds_read2st64_b32 v[2:3], v1 offset1:2
	s_waitcnt lgkmcnt(0)
	v_add_f32_e32 v2, v3, v2
	ds_write_b32 v1, v2
.LBB648_23:
	s_or_b64 exec, exec, s[0:1]
	v_cmp_gt_u32_e32 vcc, 64, v0
	s_waitcnt lgkmcnt(0)
	s_barrier
	s_and_saveexec_b64 s[0:1], vcc
	s_cbranch_execz .LBB648_25
; %bb.24:
	ds_read2st64_b32 v[2:3], v1 offset1:1
	s_waitcnt lgkmcnt(0)
	v_add_f32_e32 v2, v3, v2
	ds_write_b32 v1, v2
.LBB648_25:
	s_or_b64 exec, exec, s[0:1]
	v_cmp_gt_u32_e32 vcc, 32, v0
	s_waitcnt lgkmcnt(0)
	s_barrier
	s_and_saveexec_b64 s[0:1], vcc
	s_cbranch_execz .LBB648_27
; %bb.26:
	ds_read2_b32 v[2:3], v1 offset1:32
	s_waitcnt lgkmcnt(0)
	v_add_f32_e32 v2, v3, v2
	ds_write_b32 v1, v2
.LBB648_27:
	s_or_b64 exec, exec, s[0:1]
	v_cmp_gt_u32_e32 vcc, 16, v0
	s_waitcnt lgkmcnt(0)
	s_barrier
	s_and_saveexec_b64 s[0:1], vcc
	s_cbranch_execz .LBB648_29
; %bb.28:
	ds_read2_b32 v[2:3], v1 offset1:16
	s_waitcnt lgkmcnt(0)
	v_add_f32_e32 v2, v3, v2
	ds_write_b32 v1, v2
.LBB648_29:
	;; [unrolled: 12-line block ×5, first 2 shown]
	s_or_b64 exec, exec, s[0:1]
	v_cmp_eq_u32_e32 vcc, 0, v0
	s_waitcnt lgkmcnt(0)
	s_barrier
	s_and_saveexec_b64 s[0:1], vcc
	s_cbranch_execz .LBB648_37
; %bb.36:
	v_mov_b32_e32 v2, 0
	ds_read_b64 v[0:1], v2
	s_waitcnt lgkmcnt(0)
	v_add_f32_e32 v0, v1, v0
	ds_write_b32 v2, v0
.LBB648_37:
	s_or_b64 exec, exec, s[0:1]
	s_waitcnt lgkmcnt(0)
	s_barrier
	s_waitcnt lgkmcnt(0)
                                        ; implicit-def: $vgpr1
                                        ; implicit-def: $sgpr6_sgpr7
	s_and_saveexec_b64 s[0:1], vcc
	s_cbranch_execz .LBB648_41
; %bb.38:
	v_mov_b32_e32 v0, 0
	ds_read_b32 v0, v0
	v_cmp_eq_f32_e64 s[4:5], s23, 0
	s_mul_hi_i32 s7, s24, s2
	s_mul_i32 s6, s24, s2
	s_and_b64 vcc, exec, s[4:5]
	s_waitcnt lgkmcnt(0)
	v_mul_f32_e32 v1, s22, v0
	s_cbranch_vccnz .LBB648_40
; %bb.39:
	s_lshl_b64 s[2:3], s[6:7], 2
	s_add_u32 s2, s20, s2
	s_addc_u32 s3, s21, s3
	s_load_dword s2, s[2:3], 0x0
	s_waitcnt lgkmcnt(0)
	v_mov_b32_e32 v0, s2
	v_fmac_f32_e32 v1, s23, v0
.LBB648_40:
	s_or_b64 s[14:15], s[14:15], exec
.LBB648_41:
	s_or_b64 exec, exec, s[0:1]
.LBB648_42:
	s_and_saveexec_b64 s[0:1], s[14:15]
	s_cbranch_execz .LBB648_44
; %bb.43:
	s_lshl_b64 s[0:1], s[6:7], 2
	s_add_u32 s0, s20, s0
	s_addc_u32 s1, s21, s1
	v_mov_b32_e32 v0, 0
	global_store_dword v0, v1, s[0:1]
.LBB648_44:
	s_endpgm
	.section	.rodata,"a",@progbits
	.p2align	6, 0x0
	.amdhsa_kernel _ZL20rocblas_gemvt_kernelILb0ELi256E16rocblas_bfloat16PKffEviiT2_lPKT1_lilS6_lilS3_lPT3_lili
		.amdhsa_group_segment_fixed_size 1024
		.amdhsa_private_segment_fixed_size 0
		.amdhsa_kernarg_size 140
		.amdhsa_user_sgpr_count 2
		.amdhsa_user_sgpr_dispatch_ptr 0
		.amdhsa_user_sgpr_queue_ptr 0
		.amdhsa_user_sgpr_kernarg_segment_ptr 1
		.amdhsa_user_sgpr_dispatch_id 0
		.amdhsa_user_sgpr_kernarg_preload_length 0
		.amdhsa_user_sgpr_kernarg_preload_offset 0
		.amdhsa_user_sgpr_private_segment_size 0
		.amdhsa_uses_dynamic_stack 0
		.amdhsa_enable_private_segment 0
		.amdhsa_system_sgpr_workgroup_id_x 1
		.amdhsa_system_sgpr_workgroup_id_y 0
		.amdhsa_system_sgpr_workgroup_id_z 1
		.amdhsa_system_sgpr_workgroup_info 0
		.amdhsa_system_vgpr_workitem_id 0
		.amdhsa_next_free_vgpr 12
		.amdhsa_next_free_sgpr 26
		.amdhsa_accum_offset 12
		.amdhsa_reserve_vcc 1
		.amdhsa_float_round_mode_32 0
		.amdhsa_float_round_mode_16_64 0
		.amdhsa_float_denorm_mode_32 3
		.amdhsa_float_denorm_mode_16_64 3
		.amdhsa_dx10_clamp 1
		.amdhsa_ieee_mode 1
		.amdhsa_fp16_overflow 0
		.amdhsa_tg_split 0
		.amdhsa_exception_fp_ieee_invalid_op 0
		.amdhsa_exception_fp_denorm_src 0
		.amdhsa_exception_fp_ieee_div_zero 0
		.amdhsa_exception_fp_ieee_overflow 0
		.amdhsa_exception_fp_ieee_underflow 0
		.amdhsa_exception_fp_ieee_inexact 0
		.amdhsa_exception_int_div_zero 0
	.end_amdhsa_kernel
	.section	.text._ZL20rocblas_gemvt_kernelILb0ELi256E16rocblas_bfloat16PKffEviiT2_lPKT1_lilS6_lilS3_lPT3_lili,"axG",@progbits,_ZL20rocblas_gemvt_kernelILb0ELi256E16rocblas_bfloat16PKffEviiT2_lPKT1_lilS6_lilS3_lPT3_lili,comdat
.Lfunc_end648:
	.size	_ZL20rocblas_gemvt_kernelILb0ELi256E16rocblas_bfloat16PKffEviiT2_lPKT1_lilS6_lilS3_lPT3_lili, .Lfunc_end648-_ZL20rocblas_gemvt_kernelILb0ELi256E16rocblas_bfloat16PKffEviiT2_lPKT1_lilS6_lilS3_lPT3_lili
                                        ; -- End function
	.section	.AMDGPU.csdata,"",@progbits
; Kernel info:
; codeLenInByte = 1504
; NumSgprs: 32
; NumVgprs: 12
; NumAgprs: 0
; TotalNumVgprs: 12
; ScratchSize: 0
; MemoryBound: 0
; FloatMode: 240
; IeeeMode: 1
; LDSByteSize: 1024 bytes/workgroup (compile time only)
; SGPRBlocks: 3
; VGPRBlocks: 1
; NumSGPRsForWavesPerEU: 32
; NumVGPRsForWavesPerEU: 12
; AccumOffset: 12
; Occupancy: 8
; WaveLimiterHint : 1
; COMPUTE_PGM_RSRC2:SCRATCH_EN: 0
; COMPUTE_PGM_RSRC2:USER_SGPR: 2
; COMPUTE_PGM_RSRC2:TRAP_HANDLER: 0
; COMPUTE_PGM_RSRC2:TGID_X_EN: 1
; COMPUTE_PGM_RSRC2:TGID_Y_EN: 0
; COMPUTE_PGM_RSRC2:TGID_Z_EN: 1
; COMPUTE_PGM_RSRC2:TIDIG_COMP_CNT: 0
; COMPUTE_PGM_RSRC3_GFX90A:ACCUM_OFFSET: 2
; COMPUTE_PGM_RSRC3_GFX90A:TG_SPLIT: 0
	.section	.text._ZL20rocblas_gemvt_kernelILb0ELi256E16rocblas_bfloat16ffEviiT2_lPKT1_lilS4_lilS1_lPT3_lili,"axG",@progbits,_ZL20rocblas_gemvt_kernelILb0ELi256E16rocblas_bfloat16ffEviiT2_lPKT1_lilS4_lilS1_lPT3_lili,comdat
	.globl	_ZL20rocblas_gemvt_kernelILb0ELi256E16rocblas_bfloat16ffEviiT2_lPKT1_lilS4_lilS1_lPT3_lili ; -- Begin function _ZL20rocblas_gemvt_kernelILb0ELi256E16rocblas_bfloat16ffEviiT2_lPKT1_lilS4_lilS1_lPT3_lili
	.p2align	8
	.type	_ZL20rocblas_gemvt_kernelILb0ELi256E16rocblas_bfloat16ffEviiT2_lPKT1_lilS4_lilS1_lPT3_lili,@function
_ZL20rocblas_gemvt_kernelILb0ELi256E16rocblas_bfloat16ffEviiT2_lPKT1_lilS4_lilS1_lPT3_lili: ; @_ZL20rocblas_gemvt_kernelILb0ELi256E16rocblas_bfloat16ffEviiT2_lPKT1_lilS4_lilS1_lPT3_lili
; %bb.0:
	s_load_dword s23, s[0:1], 0x8
	s_load_dword s22, s[0:1], 0x58
	s_waitcnt lgkmcnt(0)
	v_cmp_eq_f32_e64 s[4:5], s23, 0
	v_cmp_eq_f32_e64 s[6:7], s22, 1.0
	s_and_b64 s[4:5], s[4:5], s[6:7]
	s_and_b64 vcc, exec, s[4:5]
	s_cbranch_vccnz .LBB649_44
; %bb.1:
	s_load_dwordx2 s[8:9], s[0:1], 0x80
	s_load_dwordx4 s[4:7], s[0:1], 0x68
	s_load_dword s24, s[0:1], 0x78
	s_waitcnt lgkmcnt(0)
	s_mul_i32 s9, s3, s9
	s_mul_hi_u32 s10, s3, s8
	s_mul_i32 s8, s3, s8
	s_add_i32 s9, s10, s9
	s_lshl_b64 s[8:9], s[8:9], 2
	s_add_u32 s8, s4, s8
	s_addc_u32 s9, s5, s9
	s_lshl_b64 s[4:5], s[6:7], 2
	s_add_u32 s20, s8, s4
	s_addc_u32 s21, s9, s5
	v_cmp_neq_f32_e64 s[4:5], s23, 0
	s_and_b64 vcc, exec, s[4:5]
	v_cmp_eq_u32_e64 s[4:5], 0, v0
	s_cbranch_vccnz .LBB649_6
; %bb.2:
	s_mov_b64 s[10:11], 0
	s_mov_b64 s[8:9], 0
                                        ; implicit-def: $vgpr1
                                        ; implicit-def: $sgpr6_sgpr7
	s_and_saveexec_b64 s[12:13], s[4:5]
	s_cbranch_execz .LBB649_7
; %bb.3:
	v_cmp_eq_f32_e64 s[4:5], s22, 0
	v_mov_b32_e32 v1, 0
	s_mul_hi_i32 s7, s24, s2
	s_mul_i32 s6, s24, s2
	s_and_b64 vcc, exec, s[4:5]
	s_cbranch_vccnz .LBB649_5
; %bb.4:
	s_lshl_b64 s[4:5], s[6:7], 2
	s_add_u32 s4, s20, s4
	s_addc_u32 s5, s21, s5
	s_load_dword s4, s[4:5], 0x0
	v_mov_b32_e32 v1, s22
	s_waitcnt lgkmcnt(0)
	v_mul_f32_e32 v1, s4, v1
.LBB649_5:
	s_mov_b64 s[8:9], exec
	s_or_b64 exec, exec, s[12:13]
	s_and_b64 vcc, exec, s[10:11]
	s_cbranch_vccnz .LBB649_8
	s_branch .LBB649_42
.LBB649_6:
	s_mov_b64 s[8:9], 0
                                        ; implicit-def: $vgpr1
                                        ; implicit-def: $sgpr6_sgpr7
	s_cbranch_execnz .LBB649_8
	s_branch .LBB649_42
.LBB649_7:
	s_or_b64 exec, exec, s[12:13]
	s_and_b64 vcc, exec, s[10:11]
	s_cbranch_vccz .LBB649_42
.LBB649_8:
	s_load_dwordx2 s[14:15], s[0:1], 0x50
	s_load_dword s25, s[0:1], 0x0
	s_load_dwordx4 s[16:19], s[0:1], 0x18
	s_load_dword s13, s[0:1], 0x28
	s_load_dwordx4 s[4:7], s[0:1], 0x30
	s_load_dwordx2 s[10:11], s[0:1], 0x40
	s_load_dword s12, s[0:1], 0x48
	s_waitcnt lgkmcnt(0)
	s_mul_i32 s0, s3, s15
	s_mul_hi_u32 s1, s3, s14
	s_add_i32 s1, s1, s0
	s_mul_i32 s0, s3, s14
	s_mul_i32 s5, s3, s5
	s_mul_hi_u32 s14, s3, s4
	s_add_i32 s5, s14, s5
	s_mul_i32 s4, s3, s4
	s_lshl_b64 s[4:5], s[4:5], 1
	s_add_u32 s3, s16, s4
	s_addc_u32 s14, s17, s5
	s_lshl_b64 s[4:5], s[18:19], 1
	s_add_u32 s15, s3, s4
	s_addc_u32 s16, s14, s5
	s_mul_hi_i32 s5, s13, s2
	s_mul_i32 s4, s13, s2
	s_lshl_b64 s[4:5], s[4:5], 1
	s_add_u32 s14, s4, s15
	s_addc_u32 s15, s5, s16
	s_ashr_i32 s4, s25, 31
	v_cmp_gt_i32_e32 vcc, s25, v0
	s_lshr_b32 s4, s4, 24
	s_add_i32 s4, s25, s4
	v_cndmask_b32_e32 v1, 0, v0, vcc
	v_lshlrev_b32_e32 v2, 1, v1
	v_mov_b32_e32 v3, 0
	s_and_b32 s4, s4, 0xffffff00
	s_mov_b32 s3, 0
	s_cmpk_lt_i32 s25, 0x100
	v_lshl_add_u64 v[4:5], s[14:15], 0, v[2:3]
	s_cbranch_scc1 .LBB649_15
; %bb.9:
	v_mad_i64_i32 v[2:3], s[16:17], s12, v0, 0
	s_ashr_i32 s13, s12, 31
	s_lshl_b64 s[14:15], s[0:1], 1
	s_lshl_b64 s[16:17], s[10:11], 1
	s_add_u32 s5, s6, s16
	s_addc_u32 s16, s7, s17
	s_add_u32 s14, s5, s14
	s_addc_u32 s15, s16, s15
	v_lshl_add_u64 v[6:7], v[2:3], 1, s[14:15]
	s_lshl_b64 s[14:15], s[12:13], 9
	v_mov_b32_e32 v1, 0
	s_mov_b32 s5, 0x7f800000
	s_movk_i32 s13, 0x7fff
	s_mov_b64 s[16:17], 0x200
	v_mov_b64_e32 v[8:9], v[4:5]
	v_mov_b32_e32 v3, 0
	s_branch .LBB649_11
.LBB649_10:                             ;   in Loop: Header=BB649_11 Depth=1
	s_or_b64 exec, exec, s[18:19]
	v_and_b32_e32 v2, 0xffff0000, v2
	s_addk_i32 s3, 0x100
	v_add_f32_e32 v3, v3, v2
	v_lshl_add_u64 v[6:7], v[6:7], 0, s[14:15]
	s_cmp_ge_i32 s3, s4
	v_lshl_add_u64 v[8:9], v[8:9], 0, s[16:17]
	s_cbranch_scc1 .LBB649_15
.LBB649_11:                             ; =>This Inner Loop Header: Depth=1
	global_load_ushort v2, v[6:7], off
	global_load_ushort v10, v[8:9], off
	s_waitcnt vmcnt(1)
	v_lshlrev_b32_e32 v2, 16, v2
	s_waitcnt vmcnt(0)
	v_lshlrev_b32_e32 v10, 16, v10
	v_pk_mul_f32 v[10:11], v[2:3], v[10:11] op_sel_hi:[0,1]
	v_and_b32_e32 v2, 0x7f800000, v10
	v_cmp_ne_u32_e32 vcc, s5, v2
                                        ; implicit-def: $vgpr2
	s_and_saveexec_b64 s[18:19], vcc
	s_xor_b64 s[18:19], exec, s[18:19]
; %bb.12:                               ;   in Loop: Header=BB649_11 Depth=1
	v_bfe_u32 v2, v10, 16, 1
	v_add3_u32 v2, v10, v2, s13
                                        ; implicit-def: $vgpr10_vgpr11
; %bb.13:                               ;   in Loop: Header=BB649_11 Depth=1
	s_andn2_saveexec_b64 s[18:19], s[18:19]
	s_cbranch_execz .LBB649_10
; %bb.14:                               ;   in Loop: Header=BB649_11 Depth=1
	v_or_b32_e32 v2, 0x10000, v10
	v_cmp_eq_u32_sdwa vcc, v10, v1 src0_sel:WORD_0 src1_sel:DWORD
	s_nop 1
	v_cndmask_b32_e32 v2, v2, v10, vcc
	s_branch .LBB649_10
.LBB649_15:
	v_add_u32_e32 v1, s4, v0
	v_cmp_gt_i32_e32 vcc, s25, v1
	s_and_saveexec_b64 s[14:15], vcc
	s_cbranch_execz .LBB649_21
; %bb.16:
	s_lshl_b64 s[0:1], s[0:1], 1
	s_add_u32 s3, s6, s0
	s_addc_u32 s5, s7, s1
	s_lshl_b64 s[0:1], s[10:11], 1
	s_add_u32 s0, s3, s0
	s_addc_u32 s1, s5, s1
	s_ashr_i32 s5, s4, 31
	v_lshl_add_u64 v[4:5], s[4:5], 1, v[4:5]
	v_mad_i64_i32 v[6:7], s[4:5], s12, v1, 0
	v_lshl_add_u64 v[6:7], v[6:7], 1, s[0:1]
	global_load_ushort v1, v[6:7], off
	global_load_ushort v8, v[4:5], off
	s_mov_b32 s0, 0x7f800000
	s_waitcnt vmcnt(1)
	v_lshlrev_b32_e32 v2, 16, v1
	s_waitcnt vmcnt(0)
	v_lshlrev_b32_e32 v4, 16, v8
	v_pk_mul_f32 v[4:5], v[2:3], v[4:5] op_sel_hi:[0,1]
	v_and_b32_e32 v1, 0x7f800000, v4
	v_cmp_ne_u32_e32 vcc, s0, v1
                                        ; implicit-def: $vgpr1
	s_and_saveexec_b64 s[0:1], vcc
	s_xor_b64 s[0:1], exec, s[0:1]
; %bb.17:
	v_bfe_u32 v1, v4, 16, 1
	s_movk_i32 s3, 0x7fff
	v_add3_u32 v1, v4, v1, s3
                                        ; implicit-def: $vgpr4_vgpr5
; %bb.18:
	s_andn2_saveexec_b64 s[0:1], s[0:1]
; %bb.19:
	v_mov_b32_e32 v1, 0
	v_or_b32_e32 v2, 0x10000, v4
	v_cmp_eq_u32_sdwa vcc, v4, v1 src0_sel:WORD_0 src1_sel:DWORD
	s_nop 1
	v_cndmask_b32_e32 v1, v2, v4, vcc
; %bb.20:
	s_or_b64 exec, exec, s[0:1]
	v_and_b32_e32 v1, 0xffff0000, v1
	v_add_f32_e32 v3, v3, v1
.LBB649_21:
	s_or_b64 exec, exec, s[14:15]
	s_movk_i32 s0, 0x80
	v_lshlrev_b32_e32 v1, 2, v0
	v_cmp_gt_u32_e32 vcc, s0, v0
	ds_write_b32 v1, v3
	s_waitcnt lgkmcnt(0)
	s_barrier
	s_and_saveexec_b64 s[0:1], vcc
	s_cbranch_execz .LBB649_23
; %bb.22:
	ds_read2st64_b32 v[2:3], v1 offset1:2
	s_waitcnt lgkmcnt(0)
	v_add_f32_e32 v2, v3, v2
	ds_write_b32 v1, v2
.LBB649_23:
	s_or_b64 exec, exec, s[0:1]
	v_cmp_gt_u32_e32 vcc, 64, v0
	s_waitcnt lgkmcnt(0)
	s_barrier
	s_and_saveexec_b64 s[0:1], vcc
	s_cbranch_execz .LBB649_25
; %bb.24:
	ds_read2st64_b32 v[2:3], v1 offset1:1
	s_waitcnt lgkmcnt(0)
	v_add_f32_e32 v2, v3, v2
	ds_write_b32 v1, v2
.LBB649_25:
	s_or_b64 exec, exec, s[0:1]
	v_cmp_gt_u32_e32 vcc, 32, v0
	s_waitcnt lgkmcnt(0)
	s_barrier
	s_and_saveexec_b64 s[0:1], vcc
	s_cbranch_execz .LBB649_27
; %bb.26:
	ds_read2_b32 v[2:3], v1 offset1:32
	s_waitcnt lgkmcnt(0)
	v_add_f32_e32 v2, v3, v2
	ds_write_b32 v1, v2
.LBB649_27:
	s_or_b64 exec, exec, s[0:1]
	v_cmp_gt_u32_e32 vcc, 16, v0
	s_waitcnt lgkmcnt(0)
	s_barrier
	s_and_saveexec_b64 s[0:1], vcc
	s_cbranch_execz .LBB649_29
; %bb.28:
	ds_read2_b32 v[2:3], v1 offset1:16
	s_waitcnt lgkmcnt(0)
	v_add_f32_e32 v2, v3, v2
	ds_write_b32 v1, v2
.LBB649_29:
	s_or_b64 exec, exec, s[0:1]
	v_cmp_gt_u32_e32 vcc, 8, v0
	s_waitcnt lgkmcnt(0)
	s_barrier
	s_and_saveexec_b64 s[0:1], vcc
	s_cbranch_execz .LBB649_31
; %bb.30:
	ds_read2_b32 v[2:3], v1 offset1:8
	s_waitcnt lgkmcnt(0)
	v_add_f32_e32 v2, v3, v2
	ds_write_b32 v1, v2
.LBB649_31:
	s_or_b64 exec, exec, s[0:1]
	v_cmp_gt_u32_e32 vcc, 4, v0
	s_waitcnt lgkmcnt(0)
	s_barrier
	s_and_saveexec_b64 s[0:1], vcc
	s_cbranch_execz .LBB649_33
; %bb.32:
	ds_read2_b32 v[2:3], v1 offset1:4
	s_waitcnt lgkmcnt(0)
	v_add_f32_e32 v2, v3, v2
	ds_write_b32 v1, v2
.LBB649_33:
	s_or_b64 exec, exec, s[0:1]
	v_cmp_gt_u32_e32 vcc, 2, v0
	s_waitcnt lgkmcnt(0)
	s_barrier
	s_and_saveexec_b64 s[0:1], vcc
	s_cbranch_execz .LBB649_35
; %bb.34:
	ds_read2_b32 v[2:3], v1 offset1:2
	s_waitcnt lgkmcnt(0)
	v_add_f32_e32 v2, v3, v2
	ds_write_b32 v1, v2
.LBB649_35:
	s_or_b64 exec, exec, s[0:1]
	v_cmp_eq_u32_e32 vcc, 0, v0
	s_waitcnt lgkmcnt(0)
	s_barrier
	s_and_saveexec_b64 s[0:1], vcc
	s_cbranch_execz .LBB649_37
; %bb.36:
	v_mov_b32_e32 v2, 0
	ds_read_b64 v[0:1], v2
	s_waitcnt lgkmcnt(0)
	v_add_f32_e32 v0, v1, v0
	ds_write_b32 v2, v0
.LBB649_37:
	s_or_b64 exec, exec, s[0:1]
	s_waitcnt lgkmcnt(0)
	s_barrier
	s_waitcnt lgkmcnt(0)
                                        ; implicit-def: $vgpr1
                                        ; implicit-def: $sgpr6_sgpr7
	s_and_saveexec_b64 s[0:1], vcc
	s_cbranch_execz .LBB649_41
; %bb.38:
	v_mov_b32_e32 v0, 0
	ds_read_b32 v0, v0
	v_cmp_eq_f32_e64 s[4:5], s22, 0
	s_mul_hi_i32 s7, s24, s2
	s_mul_i32 s6, s24, s2
	s_and_b64 vcc, exec, s[4:5]
	s_waitcnt lgkmcnt(0)
	v_mul_f32_e32 v1, s23, v0
	s_cbranch_vccnz .LBB649_40
; %bb.39:
	s_lshl_b64 s[2:3], s[6:7], 2
	s_add_u32 s2, s20, s2
	s_addc_u32 s3, s21, s3
	s_load_dword s2, s[2:3], 0x0
	v_mov_b32_e32 v0, s22
	s_waitcnt lgkmcnt(0)
	v_fmac_f32_e32 v1, s2, v0
.LBB649_40:
	s_or_b64 s[8:9], s[8:9], exec
.LBB649_41:
	s_or_b64 exec, exec, s[0:1]
.LBB649_42:
	s_and_saveexec_b64 s[0:1], s[8:9]
	s_cbranch_execz .LBB649_44
; %bb.43:
	s_lshl_b64 s[0:1], s[6:7], 2
	s_add_u32 s0, s20, s0
	s_addc_u32 s1, s21, s1
	v_mov_b32_e32 v0, 0
	global_store_dword v0, v1, s[0:1]
.LBB649_44:
	s_endpgm
	.section	.rodata,"a",@progbits
	.p2align	6, 0x0
	.amdhsa_kernel _ZL20rocblas_gemvt_kernelILb0ELi256E16rocblas_bfloat16ffEviiT2_lPKT1_lilS4_lilS1_lPT3_lili
		.amdhsa_group_segment_fixed_size 1024
		.amdhsa_private_segment_fixed_size 0
		.amdhsa_kernarg_size 140
		.amdhsa_user_sgpr_count 2
		.amdhsa_user_sgpr_dispatch_ptr 0
		.amdhsa_user_sgpr_queue_ptr 0
		.amdhsa_user_sgpr_kernarg_segment_ptr 1
		.amdhsa_user_sgpr_dispatch_id 0
		.amdhsa_user_sgpr_kernarg_preload_length 0
		.amdhsa_user_sgpr_kernarg_preload_offset 0
		.amdhsa_user_sgpr_private_segment_size 0
		.amdhsa_uses_dynamic_stack 0
		.amdhsa_enable_private_segment 0
		.amdhsa_system_sgpr_workgroup_id_x 1
		.amdhsa_system_sgpr_workgroup_id_y 0
		.amdhsa_system_sgpr_workgroup_id_z 1
		.amdhsa_system_sgpr_workgroup_info 0
		.amdhsa_system_vgpr_workitem_id 0
		.amdhsa_next_free_vgpr 12
		.amdhsa_next_free_sgpr 26
		.amdhsa_accum_offset 12
		.amdhsa_reserve_vcc 1
		.amdhsa_float_round_mode_32 0
		.amdhsa_float_round_mode_16_64 0
		.amdhsa_float_denorm_mode_32 3
		.amdhsa_float_denorm_mode_16_64 3
		.amdhsa_dx10_clamp 1
		.amdhsa_ieee_mode 1
		.amdhsa_fp16_overflow 0
		.amdhsa_tg_split 0
		.amdhsa_exception_fp_ieee_invalid_op 0
		.amdhsa_exception_fp_denorm_src 0
		.amdhsa_exception_fp_ieee_div_zero 0
		.amdhsa_exception_fp_ieee_overflow 0
		.amdhsa_exception_fp_ieee_underflow 0
		.amdhsa_exception_fp_ieee_inexact 0
		.amdhsa_exception_int_div_zero 0
	.end_amdhsa_kernel
	.section	.text._ZL20rocblas_gemvt_kernelILb0ELi256E16rocblas_bfloat16ffEviiT2_lPKT1_lilS4_lilS1_lPT3_lili,"axG",@progbits,_ZL20rocblas_gemvt_kernelILb0ELi256E16rocblas_bfloat16ffEviiT2_lPKT1_lilS4_lilS1_lPT3_lili,comdat
.Lfunc_end649:
	.size	_ZL20rocblas_gemvt_kernelILb0ELi256E16rocblas_bfloat16ffEviiT2_lPKT1_lilS4_lilS1_lPT3_lili, .Lfunc_end649-_ZL20rocblas_gemvt_kernelILb0ELi256E16rocblas_bfloat16ffEviiT2_lPKT1_lilS4_lilS1_lPT3_lili
                                        ; -- End function
	.section	.AMDGPU.csdata,"",@progbits
; Kernel info:
; codeLenInByte = 1444
; NumSgprs: 32
; NumVgprs: 12
; NumAgprs: 0
; TotalNumVgprs: 12
; ScratchSize: 0
; MemoryBound: 0
; FloatMode: 240
; IeeeMode: 1
; LDSByteSize: 1024 bytes/workgroup (compile time only)
; SGPRBlocks: 3
; VGPRBlocks: 1
; NumSGPRsForWavesPerEU: 32
; NumVGPRsForWavesPerEU: 12
; AccumOffset: 12
; Occupancy: 8
; WaveLimiterHint : 1
; COMPUTE_PGM_RSRC2:SCRATCH_EN: 0
; COMPUTE_PGM_RSRC2:USER_SGPR: 2
; COMPUTE_PGM_RSRC2:TRAP_HANDLER: 0
; COMPUTE_PGM_RSRC2:TGID_X_EN: 1
; COMPUTE_PGM_RSRC2:TGID_Y_EN: 0
; COMPUTE_PGM_RSRC2:TGID_Z_EN: 1
; COMPUTE_PGM_RSRC2:TIDIG_COMP_CNT: 0
; COMPUTE_PGM_RSRC3_GFX90A:ACCUM_OFFSET: 2
; COMPUTE_PGM_RSRC3_GFX90A:TG_SPLIT: 0
	.section	.text._ZL32rocblas_gemvt_warp_reduce_kernelILb0ELi1024Ei16rocblas_bfloat16PKffEviiT3_lPKT2_lT1_lS6_lS7_lS3_lPT4_lS7_li,"axG",@progbits,_ZL32rocblas_gemvt_warp_reduce_kernelILb0ELi1024Ei16rocblas_bfloat16PKffEviiT3_lPKT2_lT1_lS6_lS7_lS3_lPT4_lS7_li,comdat
	.globl	_ZL32rocblas_gemvt_warp_reduce_kernelILb0ELi1024Ei16rocblas_bfloat16PKffEviiT3_lPKT2_lT1_lS6_lS7_lS3_lPT4_lS7_li ; -- Begin function _ZL32rocblas_gemvt_warp_reduce_kernelILb0ELi1024Ei16rocblas_bfloat16PKffEviiT3_lPKT2_lT1_lS6_lS7_lS3_lPT4_lS7_li
	.p2align	8
	.type	_ZL32rocblas_gemvt_warp_reduce_kernelILb0ELi1024Ei16rocblas_bfloat16PKffEviiT3_lPKT2_lT1_lS6_lS7_lS3_lPT4_lS7_li,@function
_ZL32rocblas_gemvt_warp_reduce_kernelILb0ELi1024Ei16rocblas_bfloat16PKffEviiT3_lPKT2_lT1_lS6_lS7_lS3_lPT4_lS7_li: ; @_ZL32rocblas_gemvt_warp_reduce_kernelILb0ELi1024Ei16rocblas_bfloat16PKffEviiT3_lPKT2_lT1_lS6_lS7_lS3_lPT4_lS7_li
; %bb.0:
	s_load_dwordx8 s[4:11], s[0:1], 0x8
	s_load_dwordx8 s[12:19], s[0:1], 0x50
	s_waitcnt lgkmcnt(0)
	s_mul_i32 s7, s3, s7
	s_mul_hi_u32 s20, s3, s6
	s_add_i32 s7, s20, s7
	s_mul_i32 s6, s3, s6
	s_lshl_b64 s[6:7], s[6:7], 2
	s_add_u32 s4, s4, s6
	s_addc_u32 s5, s5, s7
	s_load_dword s23, s[4:5], 0x0
	s_mul_i32 s4, s3, s17
	s_mul_hi_u32 s5, s3, s16
	s_add_i32 s5, s5, s4
	s_mul_i32 s4, s3, s16
	s_lshl_b64 s[4:5], s[4:5], 2
	s_add_u32 s4, s14, s4
	s_addc_u32 s5, s15, s5
	s_load_dword s22, s[4:5], 0x0
	s_waitcnt lgkmcnt(0)
	v_cmp_eq_f32_e64 s[4:5], s23, 0
	v_cmp_eq_f32_e64 s[6:7], s22, 1.0
	s_and_b64 s[4:5], s[4:5], s[6:7]
	s_and_b64 vcc, exec, s[4:5]
	s_cbranch_vccnz .LBB650_37
; %bb.1:
	s_load_dwordx2 s[4:5], s[0:1], 0x80
	s_load_dwordx2 s[6:7], s[0:1], 0x70
	s_load_dword s24, s[0:1], 0x78
	s_waitcnt lgkmcnt(0)
	s_mul_i32 s5, s3, s5
	s_mul_hi_u32 s14, s3, s4
	s_mul_i32 s4, s3, s4
	s_add_i32 s5, s14, s5
	s_lshl_b64 s[4:5], s[4:5], 2
	s_add_u32 s14, s18, s4
	s_addc_u32 s15, s19, s5
	s_lshl_b64 s[4:5], s[6:7], 2
	s_add_u32 s20, s14, s4
	s_addc_u32 s21, s15, s5
	v_cmp_neq_f32_e64 s[4:5], s23, 0
	s_and_b64 vcc, exec, s[4:5]
	v_cmp_eq_u32_e64 s[4:5], 0, v0
	s_cbranch_vccnz .LBB650_6
; %bb.2:
	s_mov_b64 s[16:17], 0
	s_mov_b64 s[6:7], 0
                                        ; implicit-def: $vgpr1
                                        ; implicit-def: $sgpr14_sgpr15
	s_and_saveexec_b64 s[18:19], s[4:5]
	s_cbranch_execz .LBB650_7
; %bb.3:
	v_cmp_eq_f32_e64 s[4:5], s22, 0
	s_mul_i32 s14, s2, s24
	v_mov_b32_e32 v1, 0
	s_ashr_i32 s15, s14, 31
	s_and_b64 vcc, exec, s[4:5]
	s_cbranch_vccnz .LBB650_5
; %bb.4:
	s_lshl_b64 s[4:5], s[14:15], 2
	s_add_u32 s4, s20, s4
	s_addc_u32 s5, s21, s5
	s_load_dword s4, s[4:5], 0x0
	s_waitcnt lgkmcnt(0)
	v_mov_b32_e32 v1, s4
	v_mul_f32_e32 v1, s22, v1
.LBB650_5:
	s_mov_b64 s[6:7], exec
	s_or_b64 exec, exec, s[18:19]
	s_and_b64 vcc, exec, s[16:17]
	s_cbranch_vccnz .LBB650_8
	s_branch .LBB650_35
.LBB650_6:
	s_mov_b64 s[6:7], 0
                                        ; implicit-def: $vgpr1
                                        ; implicit-def: $sgpr14_sgpr15
	s_cbranch_execnz .LBB650_8
	s_branch .LBB650_35
.LBB650_7:
	s_or_b64 exec, exec, s[18:19]
	s_and_b64 vcc, exec, s[16:17]
	s_cbranch_vccz .LBB650_35
.LBB650_8:
	s_load_dword s16, s[0:1], 0x0
	s_load_dword s14, s[0:1], 0x28
	s_load_dwordx4 s[28:31], s[0:1], 0x30
	s_load_dwordx2 s[4:5], s[0:1], 0x40
	s_mul_i32 s13, s3, s13
	s_mul_hi_u32 s15, s3, s12
	s_add_i32 s13, s15, s13
	s_mul_i32 s12, s3, s12
	s_lshl_b64 s[12:13], s[12:13], 1
	s_waitcnt lgkmcnt(0)
	s_add_u32 s12, s30, s12
	s_addc_u32 s13, s31, s13
	s_lshl_b64 s[4:5], s[4:5], 1
	s_add_u32 s4, s12, s4
	s_load_dword s17, s[0:1], 0x48
	s_mul_i32 s0, s3, s29
	s_mul_hi_u32 s1, s3, s28
	s_addc_u32 s5, s13, s5
	s_add_i32 s1, s1, s0
	s_mul_i32 s0, s3, s28
	s_lshl_b64 s[0:1], s[0:1], 1
	s_add_u32 s3, s8, s0
	s_addc_u32 s8, s9, s1
	s_lshl_b64 s[0:1], s[10:11], 1
	s_add_u32 s3, s3, s0
	s_mul_i32 s0, s2, s14
	s_addc_u32 s8, s8, s1
	s_ashr_i32 s1, s0, 31
	v_cmp_gt_i32_e32 vcc, s16, v0
	s_lshl_b64 s[0:1], s[0:1], 1
	s_add_u32 s0, s0, s3
	v_cndmask_b32_e32 v1, 0, v0, vcc
	v_lshlrev_b32_e32 v2, 1, v1
	v_mov_b32_e32 v3, 0
	s_addc_u32 s1, s1, s8
	v_lshl_add_u64 v[4:5], s[0:1], 0, v[2:3]
	s_ashr_i32 s0, s16, 31
	s_lshr_b32 s0, s0, 22
	s_add_i32 s0, s16, s0
	s_and_b32 s0, s0, 0xfffffc00
	v_cmp_gt_i32_e32 vcc, s0, v0
	s_and_saveexec_b64 s[8:9], vcc
	s_cbranch_execz .LBB650_16
; %bb.9:
	s_waitcnt lgkmcnt(0)
	v_mul_lo_u32 v6, v0, s17
	s_lshl_b32 s1, s17, 10
	s_mov_b64 s[10:11], 0
	v_mov_b32_e32 v1, 0
	s_mov_b32 s3, 0x7f800000
	s_movk_i32 s18, 0x7fff
	s_mov_b64 s[12:13], 0x800
	v_mov_b64_e32 v[8:9], v[4:5]
	v_mov_b32_e32 v2, v0
	v_mov_b32_e32 v3, 0
	s_branch .LBB650_11
.LBB650_10:                             ;   in Loop: Header=BB650_11 Depth=1
	s_or_b64 exec, exec, s[14:15]
	v_add_u32_e32 v2, 0x400, v2
	v_and_b32_e32 v7, 0xffff0000, v7
	v_cmp_le_i32_e32 vcc, s0, v2
	v_add_f32_e32 v3, v3, v7
	v_add_u32_e32 v6, s1, v6
	s_or_b64 s[10:11], vcc, s[10:11]
	v_lshl_add_u64 v[8:9], v[8:9], 0, s[12:13]
	s_andn2_b64 exec, exec, s[10:11]
	s_cbranch_execz .LBB650_15
.LBB650_11:                             ; =>This Inner Loop Header: Depth=1
	v_ashrrev_i32_e32 v7, 31, v6
	v_lshl_add_u64 v[10:11], v[6:7], 1, s[4:5]
	global_load_ushort v7, v[10:11], off
	global_load_ushort v12, v[8:9], off
	s_waitcnt vmcnt(1)
	v_lshlrev_b32_e32 v10, 16, v7
	s_waitcnt vmcnt(0)
	v_lshlrev_b32_e32 v12, 16, v12
	v_pk_mul_f32 v[10:11], v[10:11], v[12:13] op_sel_hi:[0,1]
	v_and_b32_e32 v7, 0x7f800000, v10
	v_cmp_ne_u32_e32 vcc, s3, v7
                                        ; implicit-def: $vgpr7
	s_and_saveexec_b64 s[14:15], vcc
	s_xor_b64 s[14:15], exec, s[14:15]
; %bb.12:                               ;   in Loop: Header=BB650_11 Depth=1
	v_bfe_u32 v7, v10, 16, 1
	v_add3_u32 v7, v10, v7, s18
                                        ; implicit-def: $vgpr10_vgpr11
; %bb.13:                               ;   in Loop: Header=BB650_11 Depth=1
	s_andn2_saveexec_b64 s[14:15], s[14:15]
	s_cbranch_execz .LBB650_10
; %bb.14:                               ;   in Loop: Header=BB650_11 Depth=1
	v_or_b32_e32 v7, 0x10000, v10
	v_cmp_eq_u32_sdwa vcc, v10, v1 src0_sel:WORD_0 src1_sel:DWORD
	s_nop 1
	v_cndmask_b32_e32 v7, v7, v10, vcc
	s_branch .LBB650_10
.LBB650_15:
	s_or_b64 exec, exec, s[10:11]
.LBB650_16:
	s_or_b64 exec, exec, s[8:9]
	v_or_b32_e32 v1, s0, v0
	v_cmp_gt_i32_e32 vcc, s16, v1
	s_and_saveexec_b64 s[8:9], vcc
	s_cbranch_execz .LBB650_22
; %bb.17:
	s_ashr_i32 s1, s0, 31
	s_waitcnt lgkmcnt(0)
	v_mul_lo_u32 v6, v1, s17
	v_lshl_add_u64 v[4:5], s[0:1], 1, v[4:5]
	v_ashrrev_i32_e32 v7, 31, v6
	v_lshl_add_u64 v[6:7], v[6:7], 1, s[4:5]
	global_load_ushort v1, v[4:5], off
	global_load_ushort v8, v[6:7], off
	s_mov_b32 s0, 0x7f800000
	s_waitcnt vmcnt(1)
	v_lshlrev_b32_e32 v2, 16, v1
	s_waitcnt vmcnt(0)
	v_lshlrev_b32_e32 v4, 16, v8
	v_pk_mul_f32 v[4:5], v[4:5], v[2:3] op_sel_hi:[0,1]
	v_and_b32_e32 v1, 0x7f800000, v4
	v_cmp_ne_u32_e32 vcc, s0, v1
                                        ; implicit-def: $vgpr1
	s_and_saveexec_b64 s[0:1], vcc
	s_xor_b64 s[0:1], exec, s[0:1]
; %bb.18:
	v_bfe_u32 v1, v4, 16, 1
	s_movk_i32 s3, 0x7fff
	v_add3_u32 v1, v4, v1, s3
                                        ; implicit-def: $vgpr4_vgpr5
; %bb.19:
	s_andn2_saveexec_b64 s[0:1], s[0:1]
; %bb.20:
	v_mov_b32_e32 v1, 0
	v_or_b32_e32 v2, 0x10000, v4
	v_cmp_eq_u32_sdwa vcc, v4, v1 src0_sel:WORD_0 src1_sel:DWORD
	s_nop 1
	v_cndmask_b32_e32 v1, v2, v4, vcc
; %bb.21:
	s_or_b64 exec, exec, s[0:1]
	v_and_b32_e32 v1, 0xffff0000, v1
	v_add_f32_e32 v3, v3, v1
.LBB650_22:
	s_or_b64 exec, exec, s[8:9]
	v_and_b32_e32 v2, 63, v0
	v_cmp_gt_u32_e32 vcc, 64, v0
	v_lshlrev_b32_e32 v1, 2, v2
	s_and_saveexec_b64 s[0:1], vcc
	s_cbranch_execz .LBB650_24
; %bb.23:
	v_mov_b32_e32 v4, 0
	ds_write_b32 v1, v4
.LBB650_24:
	s_or_b64 exec, exec, s[0:1]
	v_mbcnt_lo_u32_b32 v4, -1, 0
	v_mbcnt_hi_u32_b32 v6, -1, v4
	v_and_b32_e32 v7, 63, v6
	v_cmp_gt_u32_e64 s[0:1], 32, v7
	s_waitcnt lgkmcnt(0)
	s_barrier
	v_cndmask_b32_e64 v4, 0, 1, s[0:1]
	v_lshlrev_b32_e32 v4, 5, v4
	v_add_lshl_u32 v4, v4, v6, 2
	ds_bpermute_b32 v4, v4, v3
	v_cmp_gt_u32_e64 s[0:1], 48, v7
	s_waitcnt lgkmcnt(0)
	v_add_f32_e32 v3, v3, v4
	v_cndmask_b32_e64 v5, 0, 1, s[0:1]
	v_lshlrev_b32_e32 v5, 4, v5
	v_add_lshl_u32 v4, v5, v6, 2
	ds_bpermute_b32 v4, v4, v3
	v_cmp_gt_u32_e64 s[0:1], 56, v7
	s_waitcnt lgkmcnt(0)
	v_add_f32_e32 v4, v3, v4
	;; [unrolled: 7-line block ×4, first 2 shown]
	v_cndmask_b32_e64 v9, 0, 1, s[0:1]
	v_lshlrev_b32_e32 v9, 1, v9
	v_add_lshl_u32 v5, v9, v6, 2
	ds_bpermute_b32 v9, v5, v8
	v_cmp_ne_u32_e64 s[0:1], 63, v7
	s_waitcnt lgkmcnt(0)
	v_add_f32_e32 v7, v8, v9
	v_addc_co_u32_e64 v6, s[0:1], 0, v6, s[0:1]
	v_lshlrev_b32_e32 v6, 2, v6
	ds_bpermute_b32 v8, v6, v7
	v_cmp_eq_u32_e64 s[0:1], 0, v2
	s_and_saveexec_b64 s[4:5], s[0:1]
	s_cbranch_execz .LBB650_26
; %bb.25:
	v_lshrrev_b32_e32 v2, 4, v0
	v_and_b32_e32 v2, 60, v2
	s_waitcnt lgkmcnt(0)
	v_add_f32_e32 v7, v7, v8
	ds_write_b32 v2, v7
.LBB650_26:
	s_or_b64 exec, exec, s[4:5]
	v_cmp_gt_u32_e64 s[0:1], 16, v0
	v_mov_b32_e32 v2, 0
	s_waitcnt lgkmcnt(0)
	s_barrier
	s_and_saveexec_b64 s[4:5], s[0:1]
	s_cbranch_execz .LBB650_28
; %bb.27:
	ds_read_b32 v2, v1
	s_or_b64 exec, exec, s[4:5]
	s_and_saveexec_b64 s[0:1], vcc
	s_cbranch_execz .LBB650_30
	s_branch .LBB650_29
.LBB650_28:
	s_or_b64 exec, exec, s[4:5]
	s_and_saveexec_b64 s[0:1], vcc
	s_cbranch_execz .LBB650_30
.LBB650_29:
	s_waitcnt lgkmcnt(0)
	ds_bpermute_b32 v1, v3, v2
	s_waitcnt lgkmcnt(0)
	v_add_f32_e32 v1, v2, v1
	ds_bpermute_b32 v2, v4, v1
	s_waitcnt lgkmcnt(0)
	v_add_f32_e32 v1, v1, v2
	;; [unrolled: 3-line block ×4, first 2 shown]
.LBB650_30:
	s_or_b64 exec, exec, s[0:1]
	v_cmp_eq_u32_e32 vcc, 0, v0
                                        ; implicit-def: $vgpr1
                                        ; implicit-def: $sgpr14_sgpr15
	s_and_saveexec_b64 s[0:1], vcc
	s_cbranch_execz .LBB650_34
; %bb.31:
	v_cmp_eq_f32_e64 s[4:5], s22, 0
	s_mul_i32 s14, s2, s24
	s_waitcnt lgkmcnt(0)
	v_mul_f32_e32 v1, s23, v2
	s_ashr_i32 s15, s14, 31
	s_and_b64 vcc, exec, s[4:5]
	s_cbranch_vccnz .LBB650_33
; %bb.32:
	s_lshl_b64 s[2:3], s[14:15], 2
	s_add_u32 s2, s20, s2
	s_addc_u32 s3, s21, s3
	s_load_dword s2, s[2:3], 0x0
	s_waitcnt lgkmcnt(0)
	v_mov_b32_e32 v0, s2
	v_fmac_f32_e32 v1, s22, v0
.LBB650_33:
	s_or_b64 s[6:7], s[6:7], exec
.LBB650_34:
	s_or_b64 exec, exec, s[0:1]
.LBB650_35:
	s_and_saveexec_b64 s[0:1], s[6:7]
	s_cbranch_execz .LBB650_37
; %bb.36:
	s_lshl_b64 s[0:1], s[14:15], 2
	s_add_u32 s0, s20, s0
	s_addc_u32 s1, s21, s1
	v_mov_b32_e32 v0, 0
	global_store_dword v0, v1, s[0:1]
.LBB650_37:
	s_endpgm
	.section	.rodata,"a",@progbits
	.p2align	6, 0x0
	.amdhsa_kernel _ZL32rocblas_gemvt_warp_reduce_kernelILb0ELi1024Ei16rocblas_bfloat16PKffEviiT3_lPKT2_lT1_lS6_lS7_lS3_lPT4_lS7_li
		.amdhsa_group_segment_fixed_size 256
		.amdhsa_private_segment_fixed_size 0
		.amdhsa_kernarg_size 140
		.amdhsa_user_sgpr_count 2
		.amdhsa_user_sgpr_dispatch_ptr 0
		.amdhsa_user_sgpr_queue_ptr 0
		.amdhsa_user_sgpr_kernarg_segment_ptr 1
		.amdhsa_user_sgpr_dispatch_id 0
		.amdhsa_user_sgpr_kernarg_preload_length 0
		.amdhsa_user_sgpr_kernarg_preload_offset 0
		.amdhsa_user_sgpr_private_segment_size 0
		.amdhsa_uses_dynamic_stack 0
		.amdhsa_enable_private_segment 0
		.amdhsa_system_sgpr_workgroup_id_x 1
		.amdhsa_system_sgpr_workgroup_id_y 0
		.amdhsa_system_sgpr_workgroup_id_z 1
		.amdhsa_system_sgpr_workgroup_info 0
		.amdhsa_system_vgpr_workitem_id 0
		.amdhsa_next_free_vgpr 14
		.amdhsa_next_free_sgpr 32
		.amdhsa_accum_offset 16
		.amdhsa_reserve_vcc 1
		.amdhsa_float_round_mode_32 0
		.amdhsa_float_round_mode_16_64 0
		.amdhsa_float_denorm_mode_32 3
		.amdhsa_float_denorm_mode_16_64 3
		.amdhsa_dx10_clamp 1
		.amdhsa_ieee_mode 1
		.amdhsa_fp16_overflow 0
		.amdhsa_tg_split 0
		.amdhsa_exception_fp_ieee_invalid_op 0
		.amdhsa_exception_fp_denorm_src 0
		.amdhsa_exception_fp_ieee_div_zero 0
		.amdhsa_exception_fp_ieee_overflow 0
		.amdhsa_exception_fp_ieee_underflow 0
		.amdhsa_exception_fp_ieee_inexact 0
		.amdhsa_exception_int_div_zero 0
	.end_amdhsa_kernel
	.section	.text._ZL32rocblas_gemvt_warp_reduce_kernelILb0ELi1024Ei16rocblas_bfloat16PKffEviiT3_lPKT2_lT1_lS6_lS7_lS3_lPT4_lS7_li,"axG",@progbits,_ZL32rocblas_gemvt_warp_reduce_kernelILb0ELi1024Ei16rocblas_bfloat16PKffEviiT3_lPKT2_lT1_lS6_lS7_lS3_lPT4_lS7_li,comdat
.Lfunc_end650:
	.size	_ZL32rocblas_gemvt_warp_reduce_kernelILb0ELi1024Ei16rocblas_bfloat16PKffEviiT3_lPKT2_lT1_lS6_lS7_lS3_lPT4_lS7_li, .Lfunc_end650-_ZL32rocblas_gemvt_warp_reduce_kernelILb0ELi1024Ei16rocblas_bfloat16PKffEviiT3_lPKT2_lT1_lS6_lS7_lS3_lPT4_lS7_li
                                        ; -- End function
	.section	.AMDGPU.csdata,"",@progbits
; Kernel info:
; codeLenInByte = 1584
; NumSgprs: 38
; NumVgprs: 14
; NumAgprs: 0
; TotalNumVgprs: 14
; ScratchSize: 0
; MemoryBound: 0
; FloatMode: 240
; IeeeMode: 1
; LDSByteSize: 256 bytes/workgroup (compile time only)
; SGPRBlocks: 4
; VGPRBlocks: 1
; NumSGPRsForWavesPerEU: 38
; NumVGPRsForWavesPerEU: 14
; AccumOffset: 16
; Occupancy: 8
; WaveLimiterHint : 1
; COMPUTE_PGM_RSRC2:SCRATCH_EN: 0
; COMPUTE_PGM_RSRC2:USER_SGPR: 2
; COMPUTE_PGM_RSRC2:TRAP_HANDLER: 0
; COMPUTE_PGM_RSRC2:TGID_X_EN: 1
; COMPUTE_PGM_RSRC2:TGID_Y_EN: 0
; COMPUTE_PGM_RSRC2:TGID_Z_EN: 1
; COMPUTE_PGM_RSRC2:TIDIG_COMP_CNT: 0
; COMPUTE_PGM_RSRC3_GFX90A:ACCUM_OFFSET: 3
; COMPUTE_PGM_RSRC3_GFX90A:TG_SPLIT: 0
	.section	.text._ZL32rocblas_gemvt_warp_reduce_kernelILb0ELi1024El16rocblas_bfloat16PKffEviiT3_lPKT2_lT1_lS6_lS7_lS3_lPT4_lS7_li,"axG",@progbits,_ZL32rocblas_gemvt_warp_reduce_kernelILb0ELi1024El16rocblas_bfloat16PKffEviiT3_lPKT2_lT1_lS6_lS7_lS3_lPT4_lS7_li,comdat
	.globl	_ZL32rocblas_gemvt_warp_reduce_kernelILb0ELi1024El16rocblas_bfloat16PKffEviiT3_lPKT2_lT1_lS6_lS7_lS3_lPT4_lS7_li ; -- Begin function _ZL32rocblas_gemvt_warp_reduce_kernelILb0ELi1024El16rocblas_bfloat16PKffEviiT3_lPKT2_lT1_lS6_lS7_lS3_lPT4_lS7_li
	.p2align	8
	.type	_ZL32rocblas_gemvt_warp_reduce_kernelILb0ELi1024El16rocblas_bfloat16PKffEviiT3_lPKT2_lT1_lS6_lS7_lS3_lPT4_lS7_li,@function
_ZL32rocblas_gemvt_warp_reduce_kernelILb0ELi1024El16rocblas_bfloat16PKffEviiT3_lPKT2_lT1_lS6_lS7_lS3_lPT4_lS7_li: ; @_ZL32rocblas_gemvt_warp_reduce_kernelILb0ELi1024El16rocblas_bfloat16PKffEviiT3_lPKT2_lT1_lS6_lS7_lS3_lPT4_lS7_li
; %bb.0:
	s_load_dwordx16 s[36:51], s[0:1], 0x8
	s_load_dwordx16 s[8:23], s[0:1], 0x48
	s_waitcnt lgkmcnt(0)
	s_mul_i32 s4, s3, s39
	s_mul_hi_u32 s5, s3, s38
	s_add_i32 s5, s5, s4
	s_mul_i32 s4, s3, s38
	s_lshl_b64 s[4:5], s[4:5], 2
	s_add_u32 s4, s36, s4
	s_addc_u32 s5, s37, s5
	s_load_dword s25, s[4:5], 0x0
	s_mul_i32 s4, s3, s15
	s_mul_hi_u32 s5, s3, s14
	s_add_i32 s5, s5, s4
	s_mul_i32 s4, s3, s14
	s_lshl_b64 s[4:5], s[4:5], 2
	s_add_u32 s4, s12, s4
	s_addc_u32 s5, s13, s5
	s_load_dword s24, s[4:5], 0x0
	s_waitcnt lgkmcnt(0)
	v_cmp_eq_f32_e64 s[4:5], s25, 0
	v_cmp_eq_f32_e64 s[6:7], s24, 1.0
	s_and_b64 s[4:5], s[4:5], s[6:7]
	s_and_b64 vcc, exec, s[4:5]
	s_cbranch_vccnz .LBB651_37
; %bb.1:
	s_mul_i32 s4, s3, s23
	s_mul_hi_u32 s5, s3, s22
	s_add_i32 s5, s5, s4
	s_mul_i32 s4, s3, s22
	s_lshl_b64 s[4:5], s[4:5], 2
	s_add_u32 s6, s16, s4
	s_addc_u32 s7, s17, s5
	s_lshl_b64 s[4:5], s[18:19], 2
	s_add_u32 s22, s6, s4
	s_addc_u32 s23, s7, s5
	v_cmp_neq_f32_e64 s[4:5], s25, 0
	s_and_b64 vcc, exec, s[4:5]
	v_cmp_eq_u32_e64 s[4:5], 0, v0
	s_cbranch_vccnz .LBB651_6
; %bb.2:
	s_mov_b64 s[14:15], 0
	s_mov_b64 s[6:7], 0
                                        ; implicit-def: $vgpr1
                                        ; implicit-def: $sgpr12_sgpr13
	s_and_saveexec_b64 s[16:17], s[4:5]
	s_cbranch_execz .LBB651_7
; %bb.3:
	s_ashr_i32 s6, s2, 31
	s_mul_i32 s7, s2, s21
	s_mul_hi_u32 s12, s2, s20
	v_cmp_eq_f32_e64 s[4:5], s24, 0
	s_add_i32 s7, s12, s7
	s_mul_i32 s6, s6, s20
	v_mov_b32_e32 v1, 0
	s_add_i32 s13, s7, s6
	s_mul_i32 s12, s2, s20
	s_and_b64 vcc, exec, s[4:5]
	s_cbranch_vccnz .LBB651_5
; %bb.4:
	s_lshl_b64 s[4:5], s[12:13], 2
	s_add_u32 s4, s22, s4
	s_addc_u32 s5, s23, s5
	s_load_dword s4, s[4:5], 0x0
	s_waitcnt lgkmcnt(0)
	v_mov_b32_e32 v1, s4
	v_mul_f32_e32 v1, s24, v1
.LBB651_5:
	s_mov_b64 s[6:7], exec
	s_or_b64 exec, exec, s[16:17]
	s_and_b64 vcc, exec, s[14:15]
	s_cbranch_vccnz .LBB651_8
	s_branch .LBB651_35
.LBB651_6:
	s_mov_b64 s[6:7], 0
                                        ; implicit-def: $vgpr1
                                        ; implicit-def: $sgpr12_sgpr13
	s_cbranch_execnz .LBB651_8
	s_branch .LBB651_35
.LBB651_7:
	s_or_b64 exec, exec, s[16:17]
	s_and_b64 vcc, exec, s[14:15]
	s_cbranch_vccz .LBB651_35
.LBB651_8:
	s_mul_i32 s4, s3, s11
	s_mul_hi_u32 s5, s3, s10
	s_add_i32 s5, s5, s4
	s_mul_i32 s4, s3, s10
	s_load_dword s1, s[0:1], 0x0
	s_mul_i32 s0, s3, s47
	s_mul_hi_u32 s10, s3, s46
	s_add_i32 s11, s10, s0
	s_mul_i32 s10, s3, s46
	s_lshl_b64 s[10:11], s[10:11], 1
	s_add_u32 s0, s40, s10
	s_addc_u32 s3, s41, s11
	s_lshl_b64 s[10:11], s[42:43], 1
	s_add_u32 s0, s0, s10
	s_addc_u32 s12, s3, s11
	s_ashr_i32 s3, s2, 31
	s_mul_i32 s10, s2, s45
	s_mul_hi_u32 s11, s2, s44
	s_add_i32 s10, s11, s10
	s_mul_i32 s11, s3, s44
	s_add_i32 s11, s10, s11
	s_mul_i32 s10, s2, s44
	s_lshl_b64 s[10:11], s[10:11], 1
	s_add_u32 s10, s10, s0
	s_addc_u32 s11, s11, s12
	s_waitcnt lgkmcnt(0)
	s_ashr_i32 s0, s1, 31
	v_cmp_gt_i32_e32 vcc, s1, v0
	s_lshr_b32 s0, s0, 22
	s_add_i32 s0, s1, s0
	v_cndmask_b32_e32 v1, 0, v0, vcc
	v_lshlrev_b32_e32 v2, 1, v1
	v_mov_b32_e32 v3, 0
	s_and_b32 s0, s0, 0xfffffc00
	v_lshl_add_u64 v[4:5], s[10:11], 0, v[2:3]
	v_cmp_gt_i32_e32 vcc, s0, v0
	s_and_saveexec_b64 s[10:11], vcc
	s_cbranch_execz .LBB651_16
; %bb.9:
	v_mad_u64_u32 v[2:3], s[14:15], s8, v0, 0
	v_mov_b32_e32 v6, v3
	v_mad_u64_u32 v[6:7], s[14:15], s9, v0, v[6:7]
	s_lshl_b64 s[12:13], s[4:5], 1
	s_lshl_b64 s[14:15], s[50:51], 1
	s_add_u32 s14, s48, s14
	s_addc_u32 s15, s49, s15
	s_add_u32 s12, s14, s12
	v_mov_b32_e32 v3, v6
	s_addc_u32 s13, s15, s13
	v_lshl_add_u64 v[6:7], v[2:3], 1, s[12:13]
	s_lshl_b64 s[14:15], s[8:9], 11
	s_mov_b64 s[12:13], 0
	v_mov_b32_e32 v1, 0
	s_mov_b32 s26, 0x7f800000
	s_movk_i32 s27, 0x7fff
	s_mov_b64 s[16:17], 0x800
	v_mov_b64_e32 v[8:9], v[4:5]
	v_mov_b32_e32 v2, v0
	v_mov_b32_e32 v3, 0
	s_branch .LBB651_11
.LBB651_10:                             ;   in Loop: Header=BB651_11 Depth=1
	s_or_b64 exec, exec, s[18:19]
	v_add_u32_e32 v2, 0x400, v2
	v_and_b32_e32 v10, 0xffff0000, v12
	v_cmp_le_i32_e32 vcc, s0, v2
	v_add_f32_e32 v3, v3, v10
	v_lshl_add_u64 v[8:9], v[8:9], 0, s[16:17]
	s_or_b64 s[12:13], vcc, s[12:13]
	v_lshl_add_u64 v[6:7], v[6:7], 0, s[14:15]
	s_andn2_b64 exec, exec, s[12:13]
	s_cbranch_execz .LBB651_15
.LBB651_11:                             ; =>This Inner Loop Header: Depth=1
	global_load_ushort v10, v[6:7], off
	global_load_ushort v11, v[8:9], off
	s_waitcnt vmcnt(1)
	v_lshlrev_b32_e32 v10, 16, v10
	s_waitcnt vmcnt(0)
	v_lshlrev_b32_e32 v12, 16, v11
	v_pk_mul_f32 v[10:11], v[10:11], v[12:13] op_sel_hi:[0,1]
	v_and_b32_e32 v11, 0x7f800000, v10
	v_cmp_ne_u32_e32 vcc, s26, v11
                                        ; implicit-def: $vgpr12
	s_and_saveexec_b64 s[18:19], vcc
	s_xor_b64 s[18:19], exec, s[18:19]
; %bb.12:                               ;   in Loop: Header=BB651_11 Depth=1
	v_bfe_u32 v11, v10, 16, 1
	v_add3_u32 v12, v10, v11, s27
                                        ; implicit-def: $vgpr10_vgpr11
; %bb.13:                               ;   in Loop: Header=BB651_11 Depth=1
	s_andn2_saveexec_b64 s[18:19], s[18:19]
	s_cbranch_execz .LBB651_10
; %bb.14:                               ;   in Loop: Header=BB651_11 Depth=1
	v_or_b32_e32 v11, 0x10000, v10
	v_cmp_eq_u32_sdwa vcc, v10, v1 src0_sel:WORD_0 src1_sel:DWORD
	s_nop 1
	v_cndmask_b32_e32 v12, v11, v10, vcc
	s_branch .LBB651_10
.LBB651_15:
	s_or_b64 exec, exec, s[12:13]
.LBB651_16:
	s_or_b64 exec, exec, s[10:11]
	v_or_b32_e32 v1, s0, v0
	v_cmp_gt_i32_e32 vcc, s1, v1
	s_and_saveexec_b64 s[10:11], vcc
	s_cbranch_execz .LBB651_22
; %bb.17:
	s_lshl_b64 s[4:5], s[4:5], 1
	s_add_u32 s1, s48, s4
	s_addc_u32 s12, s49, s5
	s_lshl_b64 s[4:5], s[50:51], 1
	s_add_u32 s4, s1, s4
	s_addc_u32 s5, s12, s5
	s_ashr_i32 s1, s0, 31
	v_ashrrev_i32_e32 v2, 31, v1
	v_lshl_add_u64 v[4:5], s[0:1], 1, v[4:5]
	v_mul_lo_u32 v8, v1, s9
	v_mul_lo_u32 v2, v2, s8
	v_mad_u64_u32 v[6:7], s[0:1], v1, s8, 0
	v_add3_u32 v7, v7, v8, v2
	v_lshl_add_u64 v[6:7], v[6:7], 1, s[4:5]
	global_load_ushort v1, v[6:7], off
	global_load_ushort v8, v[4:5], off
	s_mov_b32 s0, 0x7f800000
	s_waitcnt vmcnt(1)
	v_lshlrev_b32_e32 v2, 16, v1
	s_waitcnt vmcnt(0)
	v_lshlrev_b32_e32 v4, 16, v8
	v_pk_mul_f32 v[4:5], v[2:3], v[4:5] op_sel_hi:[0,1]
	v_and_b32_e32 v1, 0x7f800000, v4
	v_cmp_ne_u32_e32 vcc, s0, v1
                                        ; implicit-def: $vgpr1
	s_and_saveexec_b64 s[0:1], vcc
	s_xor_b64 s[0:1], exec, s[0:1]
; %bb.18:
	v_bfe_u32 v1, v4, 16, 1
	s_movk_i32 s4, 0x7fff
	v_add3_u32 v1, v4, v1, s4
                                        ; implicit-def: $vgpr4_vgpr5
; %bb.19:
	s_andn2_saveexec_b64 s[0:1], s[0:1]
; %bb.20:
	v_mov_b32_e32 v1, 0
	v_or_b32_e32 v2, 0x10000, v4
	v_cmp_eq_u32_sdwa vcc, v4, v1 src0_sel:WORD_0 src1_sel:DWORD
	s_nop 1
	v_cndmask_b32_e32 v1, v2, v4, vcc
; %bb.21:
	s_or_b64 exec, exec, s[0:1]
	v_and_b32_e32 v1, 0xffff0000, v1
	v_add_f32_e32 v3, v3, v1
.LBB651_22:
	s_or_b64 exec, exec, s[10:11]
	v_and_b32_e32 v2, 63, v0
	v_cmp_gt_u32_e32 vcc, 64, v0
	v_lshlrev_b32_e32 v1, 2, v2
	s_and_saveexec_b64 s[0:1], vcc
	s_cbranch_execz .LBB651_24
; %bb.23:
	v_mov_b32_e32 v4, 0
	ds_write_b32 v1, v4
.LBB651_24:
	s_or_b64 exec, exec, s[0:1]
	v_mbcnt_lo_u32_b32 v4, -1, 0
	v_mbcnt_hi_u32_b32 v6, -1, v4
	v_and_b32_e32 v7, 63, v6
	v_cmp_gt_u32_e64 s[0:1], 32, v7
	s_waitcnt lgkmcnt(0)
	s_barrier
	v_cndmask_b32_e64 v4, 0, 1, s[0:1]
	v_lshlrev_b32_e32 v4, 5, v4
	v_add_lshl_u32 v4, v4, v6, 2
	ds_bpermute_b32 v4, v4, v3
	v_cmp_gt_u32_e64 s[0:1], 48, v7
	s_waitcnt lgkmcnt(0)
	v_add_f32_e32 v3, v3, v4
	v_cndmask_b32_e64 v5, 0, 1, s[0:1]
	v_lshlrev_b32_e32 v5, 4, v5
	v_add_lshl_u32 v4, v5, v6, 2
	ds_bpermute_b32 v4, v4, v3
	v_cmp_gt_u32_e64 s[0:1], 56, v7
	s_waitcnt lgkmcnt(0)
	v_add_f32_e32 v4, v3, v4
	v_cndmask_b32_e64 v5, 0, 1, s[0:1]
	v_lshlrev_b32_e32 v5, 3, v5
	v_add_lshl_u32 v3, v5, v6, 2
	ds_bpermute_b32 v5, v3, v4
	v_cmp_gt_u32_e64 s[0:1], 60, v7
	s_waitcnt lgkmcnt(0)
	v_add_f32_e32 v5, v4, v5
	v_cndmask_b32_e64 v8, 0, 1, s[0:1]
	v_lshlrev_b32_e32 v8, 2, v8
	v_add_lshl_u32 v4, v8, v6, 2
	ds_bpermute_b32 v8, v4, v5
	v_cmp_gt_u32_e64 s[0:1], 62, v7
	s_waitcnt lgkmcnt(0)
	v_add_f32_e32 v8, v5, v8
	v_cndmask_b32_e64 v9, 0, 1, s[0:1]
	v_lshlrev_b32_e32 v9, 1, v9
	v_add_lshl_u32 v5, v9, v6, 2
	ds_bpermute_b32 v9, v5, v8
	v_cmp_ne_u32_e64 s[0:1], 63, v7
	s_waitcnt lgkmcnt(0)
	v_add_f32_e32 v7, v8, v9
	v_addc_co_u32_e64 v6, s[0:1], 0, v6, s[0:1]
	v_lshlrev_b32_e32 v6, 2, v6
	ds_bpermute_b32 v8, v6, v7
	v_cmp_eq_u32_e64 s[0:1], 0, v2
	s_and_saveexec_b64 s[4:5], s[0:1]
	s_cbranch_execz .LBB651_26
; %bb.25:
	v_lshrrev_b32_e32 v2, 4, v0
	v_and_b32_e32 v2, 60, v2
	s_waitcnt lgkmcnt(0)
	v_add_f32_e32 v7, v7, v8
	ds_write_b32 v2, v7
.LBB651_26:
	s_or_b64 exec, exec, s[4:5]
	v_cmp_gt_u32_e64 s[0:1], 16, v0
	v_mov_b32_e32 v2, 0
	s_waitcnt lgkmcnt(0)
	s_barrier
	s_and_saveexec_b64 s[4:5], s[0:1]
	s_cbranch_execz .LBB651_28
; %bb.27:
	ds_read_b32 v2, v1
	s_or_b64 exec, exec, s[4:5]
	s_and_saveexec_b64 s[0:1], vcc
	s_cbranch_execz .LBB651_30
	s_branch .LBB651_29
.LBB651_28:
	s_or_b64 exec, exec, s[4:5]
	s_and_saveexec_b64 s[0:1], vcc
	s_cbranch_execz .LBB651_30
.LBB651_29:
	s_waitcnt lgkmcnt(0)
	ds_bpermute_b32 v1, v3, v2
	s_waitcnt lgkmcnt(0)
	v_add_f32_e32 v1, v2, v1
	ds_bpermute_b32 v2, v4, v1
	s_waitcnt lgkmcnt(0)
	v_add_f32_e32 v1, v1, v2
	;; [unrolled: 3-line block ×4, first 2 shown]
.LBB651_30:
	s_or_b64 exec, exec, s[0:1]
	v_cmp_eq_u32_e32 vcc, 0, v0
                                        ; implicit-def: $vgpr1
                                        ; implicit-def: $sgpr12_sgpr13
	s_and_saveexec_b64 s[0:1], vcc
	s_cbranch_execz .LBB651_34
; %bb.31:
	s_mul_i32 s8, s2, s21
	s_mul_hi_u32 s9, s2, s20
	v_cmp_eq_f32_e64 s[4:5], s24, 0
	s_add_i32 s8, s9, s8
	s_mul_i32 s3, s3, s20
	s_waitcnt lgkmcnt(0)
	v_mul_f32_e32 v1, s25, v2
	s_add_i32 s13, s8, s3
	s_mul_i32 s12, s2, s20
	s_and_b64 vcc, exec, s[4:5]
	s_cbranch_vccnz .LBB651_33
; %bb.32:
	s_lshl_b64 s[2:3], s[12:13], 2
	s_add_u32 s2, s22, s2
	s_addc_u32 s3, s23, s3
	s_load_dword s2, s[2:3], 0x0
	s_waitcnt lgkmcnt(0)
	v_mov_b32_e32 v0, s2
	v_fmac_f32_e32 v1, s24, v0
.LBB651_33:
	s_or_b64 s[6:7], s[6:7], exec
.LBB651_34:
	s_or_b64 exec, exec, s[0:1]
.LBB651_35:
	s_and_saveexec_b64 s[0:1], s[6:7]
	s_cbranch_execz .LBB651_37
; %bb.36:
	s_lshl_b64 s[0:1], s[12:13], 2
	s_add_u32 s0, s22, s0
	s_addc_u32 s1, s23, s1
	v_mov_b32_e32 v0, 0
	global_store_dword v0, v1, s[0:1]
.LBB651_37:
	s_endpgm
	.section	.rodata,"a",@progbits
	.p2align	6, 0x0
	.amdhsa_kernel _ZL32rocblas_gemvt_warp_reduce_kernelILb0ELi1024El16rocblas_bfloat16PKffEviiT3_lPKT2_lT1_lS6_lS7_lS3_lPT4_lS7_li
		.amdhsa_group_segment_fixed_size 256
		.amdhsa_private_segment_fixed_size 0
		.amdhsa_kernarg_size 140
		.amdhsa_user_sgpr_count 2
		.amdhsa_user_sgpr_dispatch_ptr 0
		.amdhsa_user_sgpr_queue_ptr 0
		.amdhsa_user_sgpr_kernarg_segment_ptr 1
		.amdhsa_user_sgpr_dispatch_id 0
		.amdhsa_user_sgpr_kernarg_preload_length 0
		.amdhsa_user_sgpr_kernarg_preload_offset 0
		.amdhsa_user_sgpr_private_segment_size 0
		.amdhsa_uses_dynamic_stack 0
		.amdhsa_enable_private_segment 0
		.amdhsa_system_sgpr_workgroup_id_x 1
		.amdhsa_system_sgpr_workgroup_id_y 0
		.amdhsa_system_sgpr_workgroup_id_z 1
		.amdhsa_system_sgpr_workgroup_info 0
		.amdhsa_system_vgpr_workitem_id 0
		.amdhsa_next_free_vgpr 14
		.amdhsa_next_free_sgpr 52
		.amdhsa_accum_offset 16
		.amdhsa_reserve_vcc 1
		.amdhsa_float_round_mode_32 0
		.amdhsa_float_round_mode_16_64 0
		.amdhsa_float_denorm_mode_32 3
		.amdhsa_float_denorm_mode_16_64 3
		.amdhsa_dx10_clamp 1
		.amdhsa_ieee_mode 1
		.amdhsa_fp16_overflow 0
		.amdhsa_tg_split 0
		.amdhsa_exception_fp_ieee_invalid_op 0
		.amdhsa_exception_fp_denorm_src 0
		.amdhsa_exception_fp_ieee_div_zero 0
		.amdhsa_exception_fp_ieee_overflow 0
		.amdhsa_exception_fp_ieee_underflow 0
		.amdhsa_exception_fp_ieee_inexact 0
		.amdhsa_exception_int_div_zero 0
	.end_amdhsa_kernel
	.section	.text._ZL32rocblas_gemvt_warp_reduce_kernelILb0ELi1024El16rocblas_bfloat16PKffEviiT3_lPKT2_lT1_lS6_lS7_lS3_lPT4_lS7_li,"axG",@progbits,_ZL32rocblas_gemvt_warp_reduce_kernelILb0ELi1024El16rocblas_bfloat16PKffEviiT3_lPKT2_lT1_lS6_lS7_lS3_lPT4_lS7_li,comdat
.Lfunc_end651:
	.size	_ZL32rocblas_gemvt_warp_reduce_kernelILb0ELi1024El16rocblas_bfloat16PKffEviiT3_lPKT2_lT1_lS6_lS7_lS3_lPT4_lS7_li, .Lfunc_end651-_ZL32rocblas_gemvt_warp_reduce_kernelILb0ELi1024El16rocblas_bfloat16PKffEviiT3_lPKT2_lT1_lS6_lS7_lS3_lPT4_lS7_li
                                        ; -- End function
	.section	.AMDGPU.csdata,"",@progbits
; Kernel info:
; codeLenInByte = 1636
; NumSgprs: 58
; NumVgprs: 14
; NumAgprs: 0
; TotalNumVgprs: 14
; ScratchSize: 0
; MemoryBound: 0
; FloatMode: 240
; IeeeMode: 1
; LDSByteSize: 256 bytes/workgroup (compile time only)
; SGPRBlocks: 7
; VGPRBlocks: 1
; NumSGPRsForWavesPerEU: 58
; NumVGPRsForWavesPerEU: 14
; AccumOffset: 16
; Occupancy: 8
; WaveLimiterHint : 0
; COMPUTE_PGM_RSRC2:SCRATCH_EN: 0
; COMPUTE_PGM_RSRC2:USER_SGPR: 2
; COMPUTE_PGM_RSRC2:TRAP_HANDLER: 0
; COMPUTE_PGM_RSRC2:TGID_X_EN: 1
; COMPUTE_PGM_RSRC2:TGID_Y_EN: 0
; COMPUTE_PGM_RSRC2:TGID_Z_EN: 1
; COMPUTE_PGM_RSRC2:TIDIG_COMP_CNT: 0
; COMPUTE_PGM_RSRC3_GFX90A:ACCUM_OFFSET: 3
; COMPUTE_PGM_RSRC3_GFX90A:TG_SPLIT: 0
	.section	.text._ZL32rocblas_gemvt_warp_reduce_kernelILb0ELi1024Ei16rocblas_bfloat16ffEviiT3_lPKT2_lT1_lS4_lS5_lS1_lPT4_lS5_li,"axG",@progbits,_ZL32rocblas_gemvt_warp_reduce_kernelILb0ELi1024Ei16rocblas_bfloat16ffEviiT3_lPKT2_lT1_lS4_lS5_lS1_lPT4_lS5_li,comdat
	.globl	_ZL32rocblas_gemvt_warp_reduce_kernelILb0ELi1024Ei16rocblas_bfloat16ffEviiT3_lPKT2_lT1_lS4_lS5_lS1_lPT4_lS5_li ; -- Begin function _ZL32rocblas_gemvt_warp_reduce_kernelILb0ELi1024Ei16rocblas_bfloat16ffEviiT3_lPKT2_lT1_lS4_lS5_lS1_lPT4_lS5_li
	.p2align	8
	.type	_ZL32rocblas_gemvt_warp_reduce_kernelILb0ELi1024Ei16rocblas_bfloat16ffEviiT3_lPKT2_lT1_lS4_lS5_lS1_lPT4_lS5_li,@function
_ZL32rocblas_gemvt_warp_reduce_kernelILb0ELi1024Ei16rocblas_bfloat16ffEviiT3_lPKT2_lT1_lS4_lS5_lS1_lPT4_lS5_li: ; @_ZL32rocblas_gemvt_warp_reduce_kernelILb0ELi1024Ei16rocblas_bfloat16ffEviiT3_lPKT2_lT1_lS4_lS5_lS1_lPT4_lS5_li
; %bb.0:
	s_load_dword s19, s[0:1], 0x8
	s_load_dword s18, s[0:1], 0x58
	s_waitcnt lgkmcnt(0)
	v_cmp_eq_f32_e64 s[4:5], s19, 0
	v_cmp_eq_f32_e64 s[6:7], s18, 1.0
	s_and_b64 s[4:5], s[4:5], s[6:7]
	s_and_b64 vcc, exec, s[4:5]
	s_cbranch_vccnz .LBB652_37
; %bb.1:
	s_load_dwordx2 s[8:9], s[0:1], 0x80
	s_load_dwordx4 s[4:7], s[0:1], 0x68
	s_load_dword s20, s[0:1], 0x78
	s_waitcnt lgkmcnt(0)
	s_mul_i32 s9, s3, s9
	s_mul_hi_u32 s10, s3, s8
	s_mul_i32 s8, s3, s8
	s_add_i32 s9, s10, s9
	s_lshl_b64 s[8:9], s[8:9], 2
	s_add_u32 s8, s4, s8
	s_addc_u32 s9, s5, s9
	s_lshl_b64 s[4:5], s[6:7], 2
	s_add_u32 s16, s8, s4
	s_addc_u32 s17, s9, s5
	v_cmp_neq_f32_e64 s[4:5], s19, 0
	s_and_b64 vcc, exec, s[4:5]
	v_cmp_eq_u32_e64 s[4:5], 0, v0
	s_cbranch_vccnz .LBB652_6
; %bb.2:
	s_mov_b64 s[10:11], 0
	s_mov_b64 s[6:7], 0
                                        ; implicit-def: $vgpr1
                                        ; implicit-def: $sgpr8_sgpr9
	s_and_saveexec_b64 s[12:13], s[4:5]
	s_cbranch_execz .LBB652_7
; %bb.3:
	v_cmp_eq_f32_e64 s[4:5], s18, 0
	s_mul_i32 s8, s2, s20
	v_mov_b32_e32 v1, 0
	s_ashr_i32 s9, s8, 31
	s_and_b64 vcc, exec, s[4:5]
	s_cbranch_vccnz .LBB652_5
; %bb.4:
	s_lshl_b64 s[4:5], s[8:9], 2
	s_add_u32 s4, s16, s4
	s_addc_u32 s5, s17, s5
	s_load_dword s4, s[4:5], 0x0
	v_mov_b32_e32 v1, s18
	s_waitcnt lgkmcnt(0)
	v_mul_f32_e32 v1, s4, v1
.LBB652_5:
	s_mov_b64 s[6:7], exec
	s_or_b64 exec, exec, s[12:13]
	s_and_b64 vcc, exec, s[10:11]
	s_cbranch_vccnz .LBB652_8
	s_branch .LBB652_35
.LBB652_6:
	s_mov_b64 s[6:7], 0
                                        ; implicit-def: $vgpr1
                                        ; implicit-def: $sgpr8_sgpr9
	s_cbranch_execnz .LBB652_8
	s_branch .LBB652_35
.LBB652_7:
	s_or_b64 exec, exec, s[12:13]
	s_and_b64 vcc, exec, s[10:11]
	s_cbranch_vccz .LBB652_35
.LBB652_8:
	s_load_dwordx2 s[22:23], s[0:1], 0x50
	s_load_dword s5, s[0:1], 0x0
	s_load_dwordx4 s[8:11], s[0:1], 0x18
	s_load_dword s4, s[0:1], 0x28
	s_load_dwordx4 s[12:15], s[0:1], 0x30
	s_load_dwordx2 s[24:25], s[0:1], 0x40
	s_load_dword s21, s[0:1], 0x48
	s_waitcnt lgkmcnt(0)
	s_mul_i32 s0, s3, s23
	s_mul_hi_u32 s1, s3, s22
	s_add_i32 s1, s1, s0
	s_mul_i32 s0, s3, s22
	s_lshl_b64 s[0:1], s[0:1], 1
	s_add_u32 s14, s14, s0
	s_addc_u32 s15, s15, s1
	s_lshl_b64 s[0:1], s[24:25], 1
	s_add_u32 s0, s14, s0
	s_mul_i32 s13, s3, s13
	s_mul_hi_u32 s14, s3, s12
	s_addc_u32 s1, s15, s1
	s_add_i32 s13, s14, s13
	s_mul_i32 s12, s3, s12
	s_lshl_b64 s[12:13], s[12:13], 1
	s_add_u32 s3, s8, s12
	s_addc_u32 s12, s9, s13
	s_lshl_b64 s[8:9], s[10:11], 1
	s_add_u32 s3, s3, s8
	s_mul_i32 s8, s2, s4
	s_addc_u32 s10, s12, s9
	s_ashr_i32 s9, s8, 31
	s_lshl_b64 s[8:9], s[8:9], 1
	s_add_u32 s8, s8, s3
	s_addc_u32 s9, s9, s10
	s_ashr_i32 s3, s5, 31
	v_cmp_gt_i32_e32 vcc, s5, v0
	s_lshr_b32 s3, s3, 22
	s_add_i32 s3, s5, s3
	v_cndmask_b32_e32 v1, 0, v0, vcc
	v_lshlrev_b32_e32 v2, 1, v1
	v_mov_b32_e32 v3, 0
	s_and_b32 s4, s3, 0xfffffc00
	v_lshl_add_u64 v[4:5], s[8:9], 0, v[2:3]
	v_cmp_gt_i32_e32 vcc, s4, v0
	s_and_saveexec_b64 s[8:9], vcc
	s_cbranch_execz .LBB652_16
; %bb.9:
	v_mul_lo_u32 v6, v0, s21
	s_lshl_b32 s3, s21, 10
	s_mov_b64 s[10:11], 0
	v_mov_b32_e32 v1, 0
	s_mov_b32 s22, 0x7f800000
	s_movk_i32 s23, 0x7fff
	s_mov_b64 s[12:13], 0x800
	v_mov_b64_e32 v[8:9], v[4:5]
	v_mov_b32_e32 v2, v0
	v_mov_b32_e32 v3, 0
	s_branch .LBB652_11
.LBB652_10:                             ;   in Loop: Header=BB652_11 Depth=1
	s_or_b64 exec, exec, s[14:15]
	v_add_u32_e32 v2, 0x400, v2
	v_and_b32_e32 v7, 0xffff0000, v7
	v_cmp_le_i32_e32 vcc, s4, v2
	v_add_f32_e32 v3, v3, v7
	v_add_u32_e32 v6, s3, v6
	s_or_b64 s[10:11], vcc, s[10:11]
	v_lshl_add_u64 v[8:9], v[8:9], 0, s[12:13]
	s_andn2_b64 exec, exec, s[10:11]
	s_cbranch_execz .LBB652_15
.LBB652_11:                             ; =>This Inner Loop Header: Depth=1
	v_ashrrev_i32_e32 v7, 31, v6
	v_lshl_add_u64 v[10:11], v[6:7], 1, s[0:1]
	global_load_ushort v7, v[10:11], off
	global_load_ushort v12, v[8:9], off
	s_waitcnt vmcnt(1)
	v_lshlrev_b32_e32 v10, 16, v7
	s_waitcnt vmcnt(0)
	v_lshlrev_b32_e32 v12, 16, v12
	v_pk_mul_f32 v[10:11], v[10:11], v[12:13] op_sel_hi:[0,1]
	v_and_b32_e32 v7, 0x7f800000, v10
	v_cmp_ne_u32_e32 vcc, s22, v7
                                        ; implicit-def: $vgpr7
	s_and_saveexec_b64 s[14:15], vcc
	s_xor_b64 s[14:15], exec, s[14:15]
; %bb.12:                               ;   in Loop: Header=BB652_11 Depth=1
	v_bfe_u32 v7, v10, 16, 1
	v_add3_u32 v7, v10, v7, s23
                                        ; implicit-def: $vgpr10_vgpr11
; %bb.13:                               ;   in Loop: Header=BB652_11 Depth=1
	s_andn2_saveexec_b64 s[14:15], s[14:15]
	s_cbranch_execz .LBB652_10
; %bb.14:                               ;   in Loop: Header=BB652_11 Depth=1
	v_or_b32_e32 v7, 0x10000, v10
	v_cmp_eq_u32_sdwa vcc, v10, v1 src0_sel:WORD_0 src1_sel:DWORD
	s_nop 1
	v_cndmask_b32_e32 v7, v7, v10, vcc
	s_branch .LBB652_10
.LBB652_15:
	s_or_b64 exec, exec, s[10:11]
.LBB652_16:
	s_or_b64 exec, exec, s[8:9]
	v_or_b32_e32 v1, s4, v0
	v_cmp_gt_i32_e32 vcc, s5, v1
	s_and_saveexec_b64 s[8:9], vcc
	s_cbranch_execz .LBB652_22
; %bb.17:
	s_ashr_i32 s5, s4, 31
	v_mul_lo_u32 v6, v1, s21
	v_lshl_add_u64 v[4:5], s[4:5], 1, v[4:5]
	v_ashrrev_i32_e32 v7, 31, v6
	v_lshl_add_u64 v[6:7], v[6:7], 1, s[0:1]
	global_load_ushort v1, v[4:5], off
	global_load_ushort v8, v[6:7], off
	s_mov_b32 s0, 0x7f800000
	s_waitcnt vmcnt(1)
	v_lshlrev_b32_e32 v2, 16, v1
	s_waitcnt vmcnt(0)
	v_lshlrev_b32_e32 v4, 16, v8
	v_pk_mul_f32 v[4:5], v[4:5], v[2:3] op_sel_hi:[0,1]
	v_and_b32_e32 v1, 0x7f800000, v4
	v_cmp_ne_u32_e32 vcc, s0, v1
                                        ; implicit-def: $vgpr1
	s_and_saveexec_b64 s[0:1], vcc
	s_xor_b64 s[0:1], exec, s[0:1]
; %bb.18:
	v_bfe_u32 v1, v4, 16, 1
	s_movk_i32 s3, 0x7fff
	v_add3_u32 v1, v4, v1, s3
                                        ; implicit-def: $vgpr4_vgpr5
; %bb.19:
	s_andn2_saveexec_b64 s[0:1], s[0:1]
; %bb.20:
	v_mov_b32_e32 v1, 0
	v_or_b32_e32 v2, 0x10000, v4
	v_cmp_eq_u32_sdwa vcc, v4, v1 src0_sel:WORD_0 src1_sel:DWORD
	s_nop 1
	v_cndmask_b32_e32 v1, v2, v4, vcc
; %bb.21:
	s_or_b64 exec, exec, s[0:1]
	v_and_b32_e32 v1, 0xffff0000, v1
	v_add_f32_e32 v3, v3, v1
.LBB652_22:
	s_or_b64 exec, exec, s[8:9]
	v_and_b32_e32 v2, 63, v0
	v_cmp_gt_u32_e32 vcc, 64, v0
	v_lshlrev_b32_e32 v1, 2, v2
	s_and_saveexec_b64 s[0:1], vcc
	s_cbranch_execz .LBB652_24
; %bb.23:
	v_mov_b32_e32 v4, 0
	ds_write_b32 v1, v4
.LBB652_24:
	s_or_b64 exec, exec, s[0:1]
	v_mbcnt_lo_u32_b32 v4, -1, 0
	v_mbcnt_hi_u32_b32 v6, -1, v4
	v_and_b32_e32 v7, 63, v6
	v_cmp_gt_u32_e64 s[0:1], 32, v7
	s_waitcnt lgkmcnt(0)
	s_barrier
	v_cndmask_b32_e64 v4, 0, 1, s[0:1]
	v_lshlrev_b32_e32 v4, 5, v4
	v_add_lshl_u32 v4, v4, v6, 2
	ds_bpermute_b32 v4, v4, v3
	v_cmp_gt_u32_e64 s[0:1], 48, v7
	s_waitcnt lgkmcnt(0)
	v_add_f32_e32 v3, v3, v4
	v_cndmask_b32_e64 v5, 0, 1, s[0:1]
	v_lshlrev_b32_e32 v5, 4, v5
	v_add_lshl_u32 v4, v5, v6, 2
	ds_bpermute_b32 v4, v4, v3
	v_cmp_gt_u32_e64 s[0:1], 56, v7
	s_waitcnt lgkmcnt(0)
	v_add_f32_e32 v4, v3, v4
	;; [unrolled: 7-line block ×4, first 2 shown]
	v_cndmask_b32_e64 v9, 0, 1, s[0:1]
	v_lshlrev_b32_e32 v9, 1, v9
	v_add_lshl_u32 v5, v9, v6, 2
	ds_bpermute_b32 v9, v5, v8
	v_cmp_ne_u32_e64 s[0:1], 63, v7
	s_waitcnt lgkmcnt(0)
	v_add_f32_e32 v7, v8, v9
	v_addc_co_u32_e64 v6, s[0:1], 0, v6, s[0:1]
	v_lshlrev_b32_e32 v6, 2, v6
	ds_bpermute_b32 v8, v6, v7
	v_cmp_eq_u32_e64 s[0:1], 0, v2
	s_and_saveexec_b64 s[4:5], s[0:1]
	s_cbranch_execz .LBB652_26
; %bb.25:
	v_lshrrev_b32_e32 v2, 4, v0
	v_and_b32_e32 v2, 60, v2
	s_waitcnt lgkmcnt(0)
	v_add_f32_e32 v7, v7, v8
	ds_write_b32 v2, v7
.LBB652_26:
	s_or_b64 exec, exec, s[4:5]
	v_cmp_gt_u32_e64 s[0:1], 16, v0
	v_mov_b32_e32 v2, 0
	s_waitcnt lgkmcnt(0)
	s_barrier
	s_and_saveexec_b64 s[4:5], s[0:1]
	s_cbranch_execz .LBB652_28
; %bb.27:
	ds_read_b32 v2, v1
	s_or_b64 exec, exec, s[4:5]
	s_and_saveexec_b64 s[0:1], vcc
	s_cbranch_execz .LBB652_30
	s_branch .LBB652_29
.LBB652_28:
	s_or_b64 exec, exec, s[4:5]
	s_and_saveexec_b64 s[0:1], vcc
	s_cbranch_execz .LBB652_30
.LBB652_29:
	s_waitcnt lgkmcnt(0)
	ds_bpermute_b32 v1, v3, v2
	s_waitcnt lgkmcnt(0)
	v_add_f32_e32 v1, v2, v1
	ds_bpermute_b32 v2, v4, v1
	s_waitcnt lgkmcnt(0)
	v_add_f32_e32 v1, v1, v2
	ds_bpermute_b32 v2, v5, v1
	s_waitcnt lgkmcnt(0)
	v_add_f32_e32 v1, v1, v2
	ds_bpermute_b32 v2, v6, v1
	s_waitcnt lgkmcnt(0)
	v_add_f32_e32 v2, v1, v2
.LBB652_30:
	s_or_b64 exec, exec, s[0:1]
	v_cmp_eq_u32_e32 vcc, 0, v0
                                        ; implicit-def: $vgpr1
                                        ; implicit-def: $sgpr8_sgpr9
	s_and_saveexec_b64 s[0:1], vcc
	s_cbranch_execz .LBB652_34
; %bb.31:
	v_cmp_eq_f32_e64 s[4:5], s18, 0
	s_mul_i32 s8, s2, s20
	s_waitcnt lgkmcnt(0)
	v_mul_f32_e32 v1, s19, v2
	s_ashr_i32 s9, s8, 31
	s_and_b64 vcc, exec, s[4:5]
	s_cbranch_vccnz .LBB652_33
; %bb.32:
	s_lshl_b64 s[2:3], s[8:9], 2
	s_add_u32 s2, s16, s2
	s_addc_u32 s3, s17, s3
	s_load_dword s2, s[2:3], 0x0
	v_mov_b32_e32 v0, s18
	s_waitcnt lgkmcnt(0)
	v_fmac_f32_e32 v1, s2, v0
.LBB652_33:
	s_or_b64 s[6:7], s[6:7], exec
.LBB652_34:
	s_or_b64 exec, exec, s[0:1]
.LBB652_35:
	s_and_saveexec_b64 s[0:1], s[6:7]
	s_cbranch_execz .LBB652_37
; %bb.36:
	s_lshl_b64 s[0:1], s[8:9], 2
	s_add_u32 s0, s16, s0
	s_addc_u32 s1, s17, s1
	v_mov_b32_e32 v0, 0
	global_store_dword v0, v1, s[0:1]
.LBB652_37:
	s_endpgm
	.section	.rodata,"a",@progbits
	.p2align	6, 0x0
	.amdhsa_kernel _ZL32rocblas_gemvt_warp_reduce_kernelILb0ELi1024Ei16rocblas_bfloat16ffEviiT3_lPKT2_lT1_lS4_lS5_lS1_lPT4_lS5_li
		.amdhsa_group_segment_fixed_size 256
		.amdhsa_private_segment_fixed_size 0
		.amdhsa_kernarg_size 140
		.amdhsa_user_sgpr_count 2
		.amdhsa_user_sgpr_dispatch_ptr 0
		.amdhsa_user_sgpr_queue_ptr 0
		.amdhsa_user_sgpr_kernarg_segment_ptr 1
		.amdhsa_user_sgpr_dispatch_id 0
		.amdhsa_user_sgpr_kernarg_preload_length 0
		.amdhsa_user_sgpr_kernarg_preload_offset 0
		.amdhsa_user_sgpr_private_segment_size 0
		.amdhsa_uses_dynamic_stack 0
		.amdhsa_enable_private_segment 0
		.amdhsa_system_sgpr_workgroup_id_x 1
		.amdhsa_system_sgpr_workgroup_id_y 0
		.amdhsa_system_sgpr_workgroup_id_z 1
		.amdhsa_system_sgpr_workgroup_info 0
		.amdhsa_system_vgpr_workitem_id 0
		.amdhsa_next_free_vgpr 14
		.amdhsa_next_free_sgpr 26
		.amdhsa_accum_offset 16
		.amdhsa_reserve_vcc 1
		.amdhsa_float_round_mode_32 0
		.amdhsa_float_round_mode_16_64 0
		.amdhsa_float_denorm_mode_32 3
		.amdhsa_float_denorm_mode_16_64 3
		.amdhsa_dx10_clamp 1
		.amdhsa_ieee_mode 1
		.amdhsa_fp16_overflow 0
		.amdhsa_tg_split 0
		.amdhsa_exception_fp_ieee_invalid_op 0
		.amdhsa_exception_fp_denorm_src 0
		.amdhsa_exception_fp_ieee_div_zero 0
		.amdhsa_exception_fp_ieee_overflow 0
		.amdhsa_exception_fp_ieee_underflow 0
		.amdhsa_exception_fp_ieee_inexact 0
		.amdhsa_exception_int_div_zero 0
	.end_amdhsa_kernel
	.section	.text._ZL32rocblas_gemvt_warp_reduce_kernelILb0ELi1024Ei16rocblas_bfloat16ffEviiT3_lPKT2_lT1_lS4_lS5_lS1_lPT4_lS5_li,"axG",@progbits,_ZL32rocblas_gemvt_warp_reduce_kernelILb0ELi1024Ei16rocblas_bfloat16ffEviiT3_lPKT2_lT1_lS4_lS5_lS1_lPT4_lS5_li,comdat
.Lfunc_end652:
	.size	_ZL32rocblas_gemvt_warp_reduce_kernelILb0ELi1024Ei16rocblas_bfloat16ffEviiT3_lPKT2_lT1_lS4_lS5_lS1_lPT4_lS5_li, .Lfunc_end652-_ZL32rocblas_gemvt_warp_reduce_kernelILb0ELi1024Ei16rocblas_bfloat16ffEviiT3_lPKT2_lT1_lS4_lS5_lS1_lPT4_lS5_li
                                        ; -- End function
	.section	.AMDGPU.csdata,"",@progbits
; Kernel info:
; codeLenInByte = 1516
; NumSgprs: 32
; NumVgprs: 14
; NumAgprs: 0
; TotalNumVgprs: 14
; ScratchSize: 0
; MemoryBound: 0
; FloatMode: 240
; IeeeMode: 1
; LDSByteSize: 256 bytes/workgroup (compile time only)
; SGPRBlocks: 3
; VGPRBlocks: 1
; NumSGPRsForWavesPerEU: 32
; NumVGPRsForWavesPerEU: 14
; AccumOffset: 16
; Occupancy: 8
; WaveLimiterHint : 1
; COMPUTE_PGM_RSRC2:SCRATCH_EN: 0
; COMPUTE_PGM_RSRC2:USER_SGPR: 2
; COMPUTE_PGM_RSRC2:TRAP_HANDLER: 0
; COMPUTE_PGM_RSRC2:TGID_X_EN: 1
; COMPUTE_PGM_RSRC2:TGID_Y_EN: 0
; COMPUTE_PGM_RSRC2:TGID_Z_EN: 1
; COMPUTE_PGM_RSRC2:TIDIG_COMP_CNT: 0
; COMPUTE_PGM_RSRC3_GFX90A:ACCUM_OFFSET: 3
; COMPUTE_PGM_RSRC3_GFX90A:TG_SPLIT: 0
	.section	.text._ZL32rocblas_gemvt_warp_reduce_kernelILb0ELi1024El16rocblas_bfloat16ffEviiT3_lPKT2_lT1_lS4_lS5_lS1_lPT4_lS5_li,"axG",@progbits,_ZL32rocblas_gemvt_warp_reduce_kernelILb0ELi1024El16rocblas_bfloat16ffEviiT3_lPKT2_lT1_lS4_lS5_lS1_lPT4_lS5_li,comdat
	.globl	_ZL32rocblas_gemvt_warp_reduce_kernelILb0ELi1024El16rocblas_bfloat16ffEviiT3_lPKT2_lT1_lS4_lS5_lS1_lPT4_lS5_li ; -- Begin function _ZL32rocblas_gemvt_warp_reduce_kernelILb0ELi1024El16rocblas_bfloat16ffEviiT3_lPKT2_lT1_lS4_lS5_lS1_lPT4_lS5_li
	.p2align	8
	.type	_ZL32rocblas_gemvt_warp_reduce_kernelILb0ELi1024El16rocblas_bfloat16ffEviiT3_lPKT2_lT1_lS4_lS5_lS1_lPT4_lS5_li,@function
_ZL32rocblas_gemvt_warp_reduce_kernelILb0ELi1024El16rocblas_bfloat16ffEviiT3_lPKT2_lT1_lS4_lS5_lS1_lPT4_lS5_li: ; @_ZL32rocblas_gemvt_warp_reduce_kernelILb0ELi1024El16rocblas_bfloat16ffEviiT3_lPKT2_lT1_lS4_lS5_lS1_lPT4_lS5_li
; %bb.0:
	s_load_dword s29, s[0:1], 0x8
	s_load_dword s28, s[0:1], 0x58
	s_waitcnt lgkmcnt(0)
	v_cmp_eq_f32_e64 s[4:5], s29, 0
	v_cmp_eq_f32_e64 s[6:7], s28, 1.0
	s_and_b64 s[4:5], s[4:5], s[6:7]
	s_and_b64 vcc, exec, s[4:5]
	s_cbranch_vccnz .LBB653_37
; %bb.1:
	s_load_dwordx8 s[16:23], s[0:1], 0x68
	v_cmp_neq_f32_e64 s[4:5], s29, 0
	s_waitcnt lgkmcnt(0)
	s_mul_i32 s7, s3, s23
	s_mul_hi_u32 s8, s3, s22
	s_mul_i32 s6, s3, s22
	s_add_i32 s7, s8, s7
	s_lshl_b64 s[6:7], s[6:7], 2
	s_add_u32 s8, s16, s6
	s_addc_u32 s9, s17, s7
	s_lshl_b64 s[6:7], s[18:19], 2
	s_add_u32 s26, s8, s6
	s_addc_u32 s27, s9, s7
	s_and_b64 vcc, exec, s[4:5]
	v_cmp_eq_u32_e64 s[4:5], 0, v0
	s_cbranch_vccnz .LBB653_6
; %bb.2:
	s_mov_b64 s[8:9], 0
	s_mov_b64 s[22:23], 0
                                        ; implicit-def: $vgpr1
                                        ; implicit-def: $sgpr6_sgpr7
	s_and_saveexec_b64 s[10:11], s[4:5]
	s_cbranch_execz .LBB653_7
; %bb.3:
	s_ashr_i32 s6, s2, 31
	s_mul_i32 s7, s2, s21
	s_mul_hi_u32 s12, s2, s20
	v_cmp_eq_f32_e64 s[4:5], s28, 0
	s_add_i32 s7, s12, s7
	s_mul_i32 s6, s6, s20
	v_mov_b32_e32 v1, 0
	s_add_i32 s7, s7, s6
	s_mul_i32 s6, s2, s20
	s_and_b64 vcc, exec, s[4:5]
	s_cbranch_vccnz .LBB653_5
; %bb.4:
	s_lshl_b64 s[4:5], s[6:7], 2
	s_add_u32 s4, s26, s4
	s_addc_u32 s5, s27, s5
	s_load_dword s4, s[4:5], 0x0
	v_mov_b32_e32 v1, s28
	s_waitcnt lgkmcnt(0)
	v_mul_f32_e32 v1, s4, v1
.LBB653_5:
	s_mov_b64 s[22:23], exec
	s_or_b64 exec, exec, s[10:11]
	s_and_b64 vcc, exec, s[8:9]
	s_cbranch_vccnz .LBB653_8
	s_branch .LBB653_35
.LBB653_6:
	s_mov_b64 s[22:23], 0
                                        ; implicit-def: $vgpr1
                                        ; implicit-def: $sgpr6_sgpr7
	s_cbranch_execnz .LBB653_8
	s_branch .LBB653_35
.LBB653_7:
	s_or_b64 exec, exec, s[10:11]
	s_and_b64 vcc, exec, s[8:9]
	s_cbranch_vccz .LBB653_35
.LBB653_8:
	s_load_dwordx16 s[4:19], s[0:1], 0x18
	s_load_dword s30, s[0:1], 0x0
	v_mov_b32_e32 v3, 0
	s_waitcnt lgkmcnt(0)
	s_mul_i32 s1, s3, s19
	s_mul_hi_u32 s19, s3, s18
	s_mul_i32 s0, s3, s18
	s_mul_i32 s11, s3, s11
	s_mul_hi_u32 s18, s3, s10
	s_add_i32 s11, s18, s11
	s_mul_i32 s10, s3, s10
	s_add_i32 s1, s19, s1
	s_lshl_b64 s[10:11], s[10:11], 1
	s_add_u32 s3, s4, s10
	s_addc_u32 s10, s5, s11
	s_lshl_b64 s[4:5], s[6:7], 1
	s_add_u32 s6, s3, s4
	s_addc_u32 s7, s10, s5
	s_ashr_i32 s3, s2, 31
	s_mul_i32 s4, s2, s9
	s_mul_hi_u32 s5, s2, s8
	s_add_i32 s4, s5, s4
	s_mul_i32 s5, s3, s8
	s_add_i32 s5, s4, s5
	s_mul_i32 s4, s2, s8
	v_cmp_gt_i32_e32 vcc, s30, v0
	s_lshl_b64 s[4:5], s[4:5], 1
	s_add_u32 s4, s4, s6
	v_cndmask_b32_e32 v1, 0, v0, vcc
	v_lshlrev_b32_e32 v2, 1, v1
	s_addc_u32 s5, s5, s7
	v_lshl_add_u64 v[4:5], s[4:5], 0, v[2:3]
	s_ashr_i32 s4, s30, 31
	s_lshr_b32 s4, s4, 22
	s_add_i32 s4, s30, s4
	s_and_b32 s4, s4, 0xfffffc00
	v_cmp_gt_i32_e32 vcc, s4, v0
	s_and_saveexec_b64 s[6:7], vcc
	s_cbranch_execz .LBB653_16
; %bb.9:
	v_mad_u64_u32 v[2:3], s[10:11], s16, v0, 0
	v_mov_b32_e32 v6, v3
	v_mad_u64_u32 v[6:7], s[10:11], s17, v0, v[6:7]
	s_lshl_b64 s[8:9], s[0:1], 1
	s_lshl_b64 s[10:11], s[14:15], 1
	s_add_u32 s5, s12, s10
	s_addc_u32 s10, s13, s11
	s_add_u32 s8, s5, s8
	v_mov_b32_e32 v3, v6
	s_addc_u32 s9, s10, s9
	v_lshl_add_u64 v[6:7], v[2:3], 1, s[8:9]
	s_lshl_b64 s[10:11], s[16:17], 11
	s_mov_b64 s[8:9], 0
	v_mov_b32_e32 v1, 0
	s_mov_b32 s5, 0x7f800000
	s_movk_i32 s31, 0x7fff
	s_mov_b64 s[18:19], 0x800
	v_mov_b64_e32 v[8:9], v[4:5]
	v_mov_b32_e32 v2, v0
	v_mov_b32_e32 v3, 0
	s_branch .LBB653_11
.LBB653_10:                             ;   in Loop: Header=BB653_11 Depth=1
	s_or_b64 exec, exec, s[24:25]
	v_add_u32_e32 v2, 0x400, v2
	v_and_b32_e32 v10, 0xffff0000, v12
	v_cmp_le_i32_e32 vcc, s4, v2
	v_add_f32_e32 v3, v3, v10
	v_lshl_add_u64 v[8:9], v[8:9], 0, s[18:19]
	s_or_b64 s[8:9], vcc, s[8:9]
	v_lshl_add_u64 v[6:7], v[6:7], 0, s[10:11]
	s_andn2_b64 exec, exec, s[8:9]
	s_cbranch_execz .LBB653_15
.LBB653_11:                             ; =>This Inner Loop Header: Depth=1
	global_load_ushort v10, v[6:7], off
	global_load_ushort v11, v[8:9], off
	s_waitcnt vmcnt(1)
	v_lshlrev_b32_e32 v10, 16, v10
	s_waitcnt vmcnt(0)
	v_lshlrev_b32_e32 v12, 16, v11
	v_pk_mul_f32 v[10:11], v[10:11], v[12:13] op_sel_hi:[0,1]
	v_and_b32_e32 v11, 0x7f800000, v10
	v_cmp_ne_u32_e32 vcc, s5, v11
                                        ; implicit-def: $vgpr12
	s_and_saveexec_b64 s[24:25], vcc
	s_xor_b64 s[24:25], exec, s[24:25]
; %bb.12:                               ;   in Loop: Header=BB653_11 Depth=1
	v_bfe_u32 v11, v10, 16, 1
	v_add3_u32 v12, v10, v11, s31
                                        ; implicit-def: $vgpr10_vgpr11
; %bb.13:                               ;   in Loop: Header=BB653_11 Depth=1
	s_andn2_saveexec_b64 s[24:25], s[24:25]
	s_cbranch_execz .LBB653_10
; %bb.14:                               ;   in Loop: Header=BB653_11 Depth=1
	v_or_b32_e32 v11, 0x10000, v10
	v_cmp_eq_u32_sdwa vcc, v10, v1 src0_sel:WORD_0 src1_sel:DWORD
	s_nop 1
	v_cndmask_b32_e32 v12, v11, v10, vcc
	s_branch .LBB653_10
.LBB653_15:
	s_or_b64 exec, exec, s[8:9]
.LBB653_16:
	s_or_b64 exec, exec, s[6:7]
	v_or_b32_e32 v1, s4, v0
	v_cmp_gt_i32_e32 vcc, s30, v1
	s_and_saveexec_b64 s[6:7], vcc
	s_cbranch_execz .LBB653_22
; %bb.17:
	s_lshl_b64 s[0:1], s[0:1], 1
	s_add_u32 s5, s12, s0
	s_addc_u32 s8, s13, s1
	s_lshl_b64 s[0:1], s[14:15], 1
	s_add_u32 s0, s5, s0
	s_addc_u32 s1, s8, s1
	s_ashr_i32 s5, s4, 31
	v_ashrrev_i32_e32 v2, 31, v1
	v_lshl_add_u64 v[4:5], s[4:5], 1, v[4:5]
	v_mul_lo_u32 v8, v1, s17
	v_mul_lo_u32 v2, v2, s16
	v_mad_u64_u32 v[6:7], s[4:5], v1, s16, 0
	v_add3_u32 v7, v7, v8, v2
	v_lshl_add_u64 v[6:7], v[6:7], 1, s[0:1]
	global_load_ushort v1, v[6:7], off
	global_load_ushort v8, v[4:5], off
	s_mov_b32 s0, 0x7f800000
	s_waitcnt vmcnt(1)
	v_lshlrev_b32_e32 v2, 16, v1
	s_waitcnt vmcnt(0)
	v_lshlrev_b32_e32 v4, 16, v8
	v_pk_mul_f32 v[4:5], v[2:3], v[4:5] op_sel_hi:[0,1]
	v_and_b32_e32 v1, 0x7f800000, v4
	v_cmp_ne_u32_e32 vcc, s0, v1
                                        ; implicit-def: $vgpr1
	s_and_saveexec_b64 s[0:1], vcc
	s_xor_b64 s[0:1], exec, s[0:1]
; %bb.18:
	v_bfe_u32 v1, v4, 16, 1
	s_movk_i32 s4, 0x7fff
	v_add3_u32 v1, v4, v1, s4
                                        ; implicit-def: $vgpr4_vgpr5
; %bb.19:
	s_andn2_saveexec_b64 s[0:1], s[0:1]
; %bb.20:
	v_mov_b32_e32 v1, 0
	v_or_b32_e32 v2, 0x10000, v4
	v_cmp_eq_u32_sdwa vcc, v4, v1 src0_sel:WORD_0 src1_sel:DWORD
	s_nop 1
	v_cndmask_b32_e32 v1, v2, v4, vcc
; %bb.21:
	s_or_b64 exec, exec, s[0:1]
	v_and_b32_e32 v1, 0xffff0000, v1
	v_add_f32_e32 v3, v3, v1
.LBB653_22:
	s_or_b64 exec, exec, s[6:7]
	v_and_b32_e32 v2, 63, v0
	v_cmp_gt_u32_e32 vcc, 64, v0
	v_lshlrev_b32_e32 v1, 2, v2
	s_and_saveexec_b64 s[0:1], vcc
	s_cbranch_execz .LBB653_24
; %bb.23:
	v_mov_b32_e32 v4, 0
	ds_write_b32 v1, v4
.LBB653_24:
	s_or_b64 exec, exec, s[0:1]
	v_mbcnt_lo_u32_b32 v4, -1, 0
	v_mbcnt_hi_u32_b32 v6, -1, v4
	v_and_b32_e32 v7, 63, v6
	v_cmp_gt_u32_e64 s[0:1], 32, v7
	s_waitcnt lgkmcnt(0)
	s_barrier
	v_cndmask_b32_e64 v4, 0, 1, s[0:1]
	v_lshlrev_b32_e32 v4, 5, v4
	v_add_lshl_u32 v4, v4, v6, 2
	ds_bpermute_b32 v4, v4, v3
	v_cmp_gt_u32_e64 s[0:1], 48, v7
	s_waitcnt lgkmcnt(0)
	v_add_f32_e32 v3, v3, v4
	v_cndmask_b32_e64 v5, 0, 1, s[0:1]
	v_lshlrev_b32_e32 v5, 4, v5
	v_add_lshl_u32 v4, v5, v6, 2
	ds_bpermute_b32 v4, v4, v3
	v_cmp_gt_u32_e64 s[0:1], 56, v7
	s_waitcnt lgkmcnt(0)
	v_add_f32_e32 v4, v3, v4
	;; [unrolled: 7-line block ×4, first 2 shown]
	v_cndmask_b32_e64 v9, 0, 1, s[0:1]
	v_lshlrev_b32_e32 v9, 1, v9
	v_add_lshl_u32 v5, v9, v6, 2
	ds_bpermute_b32 v9, v5, v8
	v_cmp_ne_u32_e64 s[0:1], 63, v7
	s_waitcnt lgkmcnt(0)
	v_add_f32_e32 v7, v8, v9
	v_addc_co_u32_e64 v6, s[0:1], 0, v6, s[0:1]
	v_lshlrev_b32_e32 v6, 2, v6
	ds_bpermute_b32 v8, v6, v7
	v_cmp_eq_u32_e64 s[0:1], 0, v2
	s_and_saveexec_b64 s[4:5], s[0:1]
	s_cbranch_execz .LBB653_26
; %bb.25:
	v_lshrrev_b32_e32 v2, 4, v0
	v_and_b32_e32 v2, 60, v2
	s_waitcnt lgkmcnt(0)
	v_add_f32_e32 v7, v7, v8
	ds_write_b32 v2, v7
.LBB653_26:
	s_or_b64 exec, exec, s[4:5]
	v_cmp_gt_u32_e64 s[0:1], 16, v0
	v_mov_b32_e32 v2, 0
	s_waitcnt lgkmcnt(0)
	s_barrier
	s_and_saveexec_b64 s[4:5], s[0:1]
	s_cbranch_execz .LBB653_28
; %bb.27:
	ds_read_b32 v2, v1
	s_or_b64 exec, exec, s[4:5]
	s_and_saveexec_b64 s[0:1], vcc
	s_cbranch_execz .LBB653_30
	s_branch .LBB653_29
.LBB653_28:
	s_or_b64 exec, exec, s[4:5]
	s_and_saveexec_b64 s[0:1], vcc
	s_cbranch_execz .LBB653_30
.LBB653_29:
	s_waitcnt lgkmcnt(0)
	ds_bpermute_b32 v1, v3, v2
	s_waitcnt lgkmcnt(0)
	v_add_f32_e32 v1, v2, v1
	ds_bpermute_b32 v2, v4, v1
	s_waitcnt lgkmcnt(0)
	v_add_f32_e32 v1, v1, v2
	;; [unrolled: 3-line block ×4, first 2 shown]
.LBB653_30:
	s_or_b64 exec, exec, s[0:1]
	v_cmp_eq_u32_e32 vcc, 0, v0
                                        ; implicit-def: $vgpr1
                                        ; implicit-def: $sgpr6_sgpr7
	s_and_saveexec_b64 s[0:1], vcc
	s_cbranch_execz .LBB653_34
; %bb.31:
	s_mul_i32 s6, s2, s21
	s_mul_hi_u32 s7, s2, s20
	v_cmp_eq_f32_e64 s[4:5], s28, 0
	s_add_i32 s6, s7, s6
	s_mul_i32 s3, s3, s20
	s_waitcnt lgkmcnt(0)
	v_mul_f32_e32 v1, s29, v2
	s_add_i32 s7, s6, s3
	s_mul_i32 s6, s2, s20
	s_and_b64 vcc, exec, s[4:5]
	s_cbranch_vccnz .LBB653_33
; %bb.32:
	s_lshl_b64 s[2:3], s[6:7], 2
	s_add_u32 s2, s26, s2
	s_addc_u32 s3, s27, s3
	s_load_dword s2, s[2:3], 0x0
	v_mov_b32_e32 v0, s28
	s_waitcnt lgkmcnt(0)
	v_fmac_f32_e32 v1, s2, v0
.LBB653_33:
	s_or_b64 s[22:23], s[22:23], exec
.LBB653_34:
	s_or_b64 exec, exec, s[0:1]
.LBB653_35:
	s_and_saveexec_b64 s[0:1], s[22:23]
	s_cbranch_execz .LBB653_37
; %bb.36:
	s_lshl_b64 s[0:1], s[6:7], 2
	s_add_u32 s0, s26, s0
	s_addc_u32 s1, s27, s1
	v_mov_b32_e32 v0, 0
	global_store_dword v0, v1, s[0:1]
.LBB653_37:
	s_endpgm
	.section	.rodata,"a",@progbits
	.p2align	6, 0x0
	.amdhsa_kernel _ZL32rocblas_gemvt_warp_reduce_kernelILb0ELi1024El16rocblas_bfloat16ffEviiT3_lPKT2_lT1_lS4_lS5_lS1_lPT4_lS5_li
		.amdhsa_group_segment_fixed_size 256
		.amdhsa_private_segment_fixed_size 0
		.amdhsa_kernarg_size 140
		.amdhsa_user_sgpr_count 2
		.amdhsa_user_sgpr_dispatch_ptr 0
		.amdhsa_user_sgpr_queue_ptr 0
		.amdhsa_user_sgpr_kernarg_segment_ptr 1
		.amdhsa_user_sgpr_dispatch_id 0
		.amdhsa_user_sgpr_kernarg_preload_length 0
		.amdhsa_user_sgpr_kernarg_preload_offset 0
		.amdhsa_user_sgpr_private_segment_size 0
		.amdhsa_uses_dynamic_stack 0
		.amdhsa_enable_private_segment 0
		.amdhsa_system_sgpr_workgroup_id_x 1
		.amdhsa_system_sgpr_workgroup_id_y 0
		.amdhsa_system_sgpr_workgroup_id_z 1
		.amdhsa_system_sgpr_workgroup_info 0
		.amdhsa_system_vgpr_workitem_id 0
		.amdhsa_next_free_vgpr 14
		.amdhsa_next_free_sgpr 32
		.amdhsa_accum_offset 16
		.amdhsa_reserve_vcc 1
		.amdhsa_float_round_mode_32 0
		.amdhsa_float_round_mode_16_64 0
		.amdhsa_float_denorm_mode_32 3
		.amdhsa_float_denorm_mode_16_64 3
		.amdhsa_dx10_clamp 1
		.amdhsa_ieee_mode 1
		.amdhsa_fp16_overflow 0
		.amdhsa_tg_split 0
		.amdhsa_exception_fp_ieee_invalid_op 0
		.amdhsa_exception_fp_denorm_src 0
		.amdhsa_exception_fp_ieee_div_zero 0
		.amdhsa_exception_fp_ieee_overflow 0
		.amdhsa_exception_fp_ieee_underflow 0
		.amdhsa_exception_fp_ieee_inexact 0
		.amdhsa_exception_int_div_zero 0
	.end_amdhsa_kernel
	.section	.text._ZL32rocblas_gemvt_warp_reduce_kernelILb0ELi1024El16rocblas_bfloat16ffEviiT3_lPKT2_lT1_lS4_lS5_lS1_lPT4_lS5_li,"axG",@progbits,_ZL32rocblas_gemvt_warp_reduce_kernelILb0ELi1024El16rocblas_bfloat16ffEviiT3_lPKT2_lT1_lS4_lS5_lS1_lPT4_lS5_li,comdat
.Lfunc_end653:
	.size	_ZL32rocblas_gemvt_warp_reduce_kernelILb0ELi1024El16rocblas_bfloat16ffEviiT3_lPKT2_lT1_lS4_lS5_lS1_lPT4_lS5_li, .Lfunc_end653-_ZL32rocblas_gemvt_warp_reduce_kernelILb0ELi1024El16rocblas_bfloat16ffEviiT3_lPKT2_lT1_lS4_lS5_lS1_lPT4_lS5_li
                                        ; -- End function
	.section	.AMDGPU.csdata,"",@progbits
; Kernel info:
; codeLenInByte = 1580
; NumSgprs: 38
; NumVgprs: 14
; NumAgprs: 0
; TotalNumVgprs: 14
; ScratchSize: 0
; MemoryBound: 0
; FloatMode: 240
; IeeeMode: 1
; LDSByteSize: 256 bytes/workgroup (compile time only)
; SGPRBlocks: 4
; VGPRBlocks: 1
; NumSGPRsForWavesPerEU: 38
; NumVGPRsForWavesPerEU: 14
; AccumOffset: 16
; Occupancy: 8
; WaveLimiterHint : 1
; COMPUTE_PGM_RSRC2:SCRATCH_EN: 0
; COMPUTE_PGM_RSRC2:USER_SGPR: 2
; COMPUTE_PGM_RSRC2:TRAP_HANDLER: 0
; COMPUTE_PGM_RSRC2:TGID_X_EN: 1
; COMPUTE_PGM_RSRC2:TGID_Y_EN: 0
; COMPUTE_PGM_RSRC2:TGID_Z_EN: 1
; COMPUTE_PGM_RSRC2:TIDIG_COMP_CNT: 0
; COMPUTE_PGM_RSRC3_GFX90A:ACCUM_OFFSET: 3
; COMPUTE_PGM_RSRC3_GFX90A:TG_SPLIT: 0
	.section	.text._ZL22rocblas_gemvtsm_kernelILb1ELi256E16rocblas_bfloat16PKffEviiT2_lPKT1_lilS6_lilS3_lPT3_lil,"axG",@progbits,_ZL22rocblas_gemvtsm_kernelILb1ELi256E16rocblas_bfloat16PKffEviiT2_lPKT1_lilS6_lilS3_lPT3_lil,comdat
	.globl	_ZL22rocblas_gemvtsm_kernelILb1ELi256E16rocblas_bfloat16PKffEviiT2_lPKT1_lilS6_lilS3_lPT3_lil ; -- Begin function _ZL22rocblas_gemvtsm_kernelILb1ELi256E16rocblas_bfloat16PKffEviiT2_lPKT1_lilS6_lilS3_lPT3_lil
	.p2align	8
	.type	_ZL22rocblas_gemvtsm_kernelILb1ELi256E16rocblas_bfloat16PKffEviiT2_lPKT1_lilS6_lilS3_lPT3_lil,@function
_ZL22rocblas_gemvtsm_kernelILb1ELi256E16rocblas_bfloat16PKffEviiT2_lPKT1_lilS6_lilS3_lPT3_lil: ; @_ZL22rocblas_gemvtsm_kernelILb1ELi256E16rocblas_bfloat16PKffEviiT2_lPKT1_lilS6_lilS3_lPT3_lil
; %bb.0:
	s_load_dwordx8 s[4:11], s[0:1], 0x8
	s_load_dwordx8 s[12:19], s[0:1], 0x50
	s_waitcnt lgkmcnt(0)
	s_mul_i32 s3, s2, s7
	s_mul_hi_u32 s7, s2, s6
	s_add_i32 s7, s7, s3
	s_mul_i32 s6, s2, s6
	s_lshl_b64 s[6:7], s[6:7], 2
	s_add_u32 s4, s4, s6
	s_addc_u32 s5, s5, s7
	s_load_dword s3, s[4:5], 0x0
	s_mul_i32 s4, s2, s17
	s_mul_hi_u32 s5, s2, s16
	s_add_i32 s5, s5, s4
	s_mul_i32 s4, s2, s16
	s_lshl_b64 s[4:5], s[4:5], 2
	s_add_u32 s4, s14, s4
	s_addc_u32 s5, s15, s5
	s_load_dword s28, s[4:5], 0x0
	s_waitcnt lgkmcnt(0)
	v_cmp_eq_f32_e64 s[4:5], s3, 0
	v_cmp_eq_f32_e64 s[6:7], s28, 1.0
	s_and_b64 s[4:5], s[4:5], s[6:7]
	s_and_b64 vcc, exec, s[4:5]
	s_cbranch_vccnz .LBB654_58
; %bb.1:
	s_load_dwordx2 s[4:5], s[0:1], 0x80
	s_load_dword s14, s[0:1], 0x78
	s_load_dwordx2 s[20:21], s[0:1], 0x70
	s_load_dwordx2 s[16:17], s[0:1], 0x0
	s_waitcnt lgkmcnt(0)
	s_mul_i32 s5, s2, s5
	s_mul_hi_u32 s6, s2, s4
	s_add_i32 s23, s6, s5
	s_mul_i32 s22, s2, s4
	v_cmp_neq_f32_e64 s[4:5], s3, 0
	s_and_b64 vcc, exec, s[4:5]
	s_cbranch_vccnz .LBB654_9
; %bb.2:
	s_cmp_gt_i32 s17, 0
	s_cselect_b64 s[6:7], -1, 0
	v_cmp_neq_f32_e64 s[4:5], s28, 0
	v_cndmask_b32_e64 v1, 0, 1, s[6:7]
	s_and_b64 vcc, exec, s[4:5]
	v_cmp_ne_u32_e64 s[4:5], 1, v1
	s_cbranch_vccnz .LBB654_10
; %bb.3:
	s_and_b64 vcc, exec, s[4:5]
	s_cbranch_vccnz .LBB654_8
; %bb.4:
	v_mad_i64_i32 v[2:3], s[24:25], s14, v0, 0
	s_ashr_i32 s15, s14, 31
	s_lshl_b64 s[6:7], s[22:23], 2
	s_lshl_b64 s[24:25], s[20:21], 2
	s_add_u32 s24, s18, s24
	s_addc_u32 s25, s19, s25
	s_add_u32 s6, s24, s6
	s_addc_u32 s7, s25, s7
	v_lshl_add_u64 v[2:3], v[2:3], 2, s[6:7]
	s_lshl_b64 s[6:7], s[14:15], 10
	s_mov_b32 s15, 0
	v_mov_b32_e32 v1, 0
	s_branch .LBB654_6
.LBB654_5:                              ;   in Loop: Header=BB654_6 Depth=1
	s_or_b64 exec, exec, s[24:25]
	s_addk_i32 s15, 0x100
	s_cmp_ge_i32 s15, s17
	v_lshl_add_u64 v[2:3], v[2:3], 0, s[6:7]
	s_cbranch_scc1 .LBB654_8
.LBB654_6:                              ; =>This Inner Loop Header: Depth=1
	v_add_u32_e32 v4, s15, v0
	v_cmp_gt_i32_e32 vcc, s17, v4
	s_and_saveexec_b64 s[24:25], vcc
	s_cbranch_execz .LBB654_5
; %bb.7:                                ;   in Loop: Header=BB654_6 Depth=1
	global_store_dword v[2:3], v1, off
	s_branch .LBB654_5
.LBB654_8:
	s_cbranch_execz .LBB654_11
	s_branch .LBB654_16
.LBB654_9:
	s_branch .LBB654_17
.LBB654_10:
.LBB654_11:
	s_and_b64 vcc, exec, s[4:5]
	s_cbranch_vccnz .LBB654_16
; %bb.12:
	v_mad_i64_i32 v[2:3], s[6:7], s14, v0, 0
	s_ashr_i32 s15, s14, 31
	s_lshl_b64 s[4:5], s[22:23], 2
	s_lshl_b64 s[6:7], s[20:21], 2
	s_add_u32 s6, s18, s6
	s_addc_u32 s7, s19, s7
	s_add_u32 s4, s6, s4
	s_addc_u32 s5, s7, s5
	v_lshl_add_u64 v[2:3], v[2:3], 2, s[4:5]
	s_lshl_b64 s[4:5], s[14:15], 10
	s_mov_b32 s15, 0
	s_branch .LBB654_14
.LBB654_13:                             ;   in Loop: Header=BB654_14 Depth=1
	s_or_b64 exec, exec, s[6:7]
	s_addk_i32 s15, 0x100
	s_cmp_ge_i32 s15, s17
	v_lshl_add_u64 v[2:3], v[2:3], 0, s[4:5]
	s_cbranch_scc1 .LBB654_16
.LBB654_14:                             ; =>This Inner Loop Header: Depth=1
	v_add_u32_e32 v1, s15, v0
	v_cmp_gt_i32_e32 vcc, s17, v1
	s_and_saveexec_b64 s[6:7], vcc
	s_cbranch_execz .LBB654_13
; %bb.15:                               ;   in Loop: Header=BB654_14 Depth=1
	global_load_dword v1, v[2:3], off
	s_waitcnt vmcnt(0)
	v_mul_f32_e32 v1, s28, v1
	global_store_dword v[2:3], v1, off
	s_branch .LBB654_13
.LBB654_16:
	s_cbranch_execnz .LBB654_58
.LBB654_17:
	s_load_dwordx4 s[4:7], s[0:1], 0x30
	s_load_dwordx2 s[26:27], s[0:1], 0x40
	v_cmp_gt_i32_e32 vcc, s16, v0
	s_and_saveexec_b64 s[24:25], vcc
	s_cbranch_execz .LBB654_23
; %bb.18:
	s_mul_i32 s13, s2, s13
	s_mul_hi_u32 s15, s2, s12
	s_add_i32 s13, s15, s13
	s_mul_i32 s12, s2, s12
	s_load_dword s15, s[0:1], 0x48
	s_lshl_b64 s[12:13], s[12:13], 1
	s_waitcnt lgkmcnt(0)
	s_add_u32 s12, s6, s12
	s_addc_u32 s13, s7, s13
	s_lshl_b64 s[6:7], s[26:27], 1
	s_add_u32 s6, s12, s6
	s_addc_u32 s7, s13, s7
	v_mad_i64_i32 v[2:3], s[12:13], s15, v0, 0
	v_lshl_add_u64 v[2:3], v[2:3], 1, s[6:7]
	global_load_ushort v1, v[2:3], off
	s_waitcnt vmcnt(0)
	v_lshlrev_b32_e32 v1, 16, v1
	v_mul_f32_e32 v1, s3, v1
	s_mov_b32 s3, 0x7f800000
	v_and_b32_e32 v2, 0x7f800000, v1
	v_cmp_ne_u32_e32 vcc, s3, v2
                                        ; implicit-def: $vgpr2
	s_and_saveexec_b64 s[6:7], vcc
	s_xor_b64 s[6:7], exec, s[6:7]
; %bb.19:
	v_bfe_u32 v2, v1, 16, 1
	s_movk_i32 s3, 0x7fff
	v_add3_u32 v2, v1, v2, s3
                                        ; implicit-def: $vgpr1
; %bb.20:
	s_andn2_saveexec_b64 s[6:7], s[6:7]
; %bb.21:
	v_mov_b32_e32 v2, 0
	v_or_b32_e32 v3, 0x10000, v1
	v_cmp_eq_u32_sdwa vcc, v1, v2 src0_sel:WORD_0 src1_sel:DWORD
	s_nop 1
	v_cndmask_b32_e32 v2, v3, v1, vcc
; %bb.22:
	s_or_b64 exec, exec, s[6:7]
	v_and_b32_e32 v1, 0xffff0000, v2
	v_lshlrev_b32_e32 v2, 2, v0
	ds_write_b32 v2, v1
.LBB654_23:
	s_or_b64 exec, exec, s[24:25]
	s_cmp_lt_i32 s17, 1
	s_waitcnt lgkmcnt(0)
	s_barrier
	s_cbranch_scc1 .LBB654_58
; %bb.24:
	s_load_dword s0, s[0:1], 0x28
	s_lshl_b64 s[6:7], s[22:23], 2
	s_add_u32 s3, s18, s6
	s_addc_u32 s1, s19, s7
	s_lshl_b64 s[6:7], s[20:21], 2
	s_add_u32 s6, s3, s6
	s_addc_u32 s7, s1, s7
	s_waitcnt lgkmcnt(0)
	s_ashr_i32 s1, s0, 31
	s_ashr_i32 s15, s14, 31
	s_cmp_gt_i32 s16, 0
	s_cselect_b64 s[20:21], -1, 0
	s_and_b32 s22, s16, 3
	s_cmp_gt_u32 s16, 3
	s_cselect_b64 s[24:25], -1, 0
	s_and_b32 s16, s16, 0x7ffffffc
	s_cmp_lg_u32 s22, 0
	s_mul_i32 s3, s5, s2
	s_mul_hi_u32 s5, s4, s2
	s_cselect_b64 s[18:19], -1, 0
	s_add_i32 s3, s5, s3
	s_mul_i32 s2, s4, s2
	v_mad_i64_i32 v[2:3], s[4:5], s0, v0, 0
	s_lshl_b64 s[2:3], s[2:3], 1
	s_lshl_b64 s[4:5], s[10:11], 1
	s_add_u32 s4, s8, s4
	s_addc_u32 s5, s9, s5
	s_add_u32 s2, s4, s2
	s_addc_u32 s3, s5, s3
	s_lshl_b64 s[8:9], s[0:1], 9
	v_cmp_neq_f32_e64 s[0:1], s28, 0
	v_lshl_add_u64 v[2:3], v[2:3], 1, s[2:3]
	v_cndmask_b32_e64 v6, 0, 1, s[24:25]
	v_cndmask_b32_e64 v1, 0, 1, s[0:1]
	v_cmp_ne_u32_e64 s[0:1], 1, v1
	v_cndmask_b32_e64 v1, 0, 1, s[20:21]
	s_mov_b32 s13, 0
	v_lshl_add_u64 v[4:5], v[2:3], 0, 4
	v_cmp_ne_u32_e64 s[2:3], 1, v6
	s_mov_b32 s23, 0x7f800000
	s_movk_i32 s24, 0x7fff
	v_cmp_ne_u32_e64 s[4:5], 1, v1
	v_mov_b32_e32 v1, 0
	s_mov_b32 s25, 0
	s_branch .LBB654_27
.LBB654_25:                             ;   in Loop: Header=BB654_27 Depth=1
	global_store_dword v[6:7], v10, off
.LBB654_26:                             ;   in Loop: Header=BB654_27 Depth=1
	s_or_b64 exec, exec, s[10:11]
	s_addk_i32 s25, 0x100
	v_lshl_add_u64 v[4:5], v[4:5], 0, s[8:9]
	s_cmp_ge_i32 s25, s17
	v_lshl_add_u64 v[2:3], v[2:3], 0, s[8:9]
	s_cbranch_scc1 .LBB654_58
.LBB654_27:                             ; =>This Loop Header: Depth=1
                                        ;     Child Loop BB654_34 Depth 2
                                        ;     Child Loop BB654_54 Depth 2
	v_add_u32_e32 v6, s25, v0
	v_cmp_gt_i32_e32 vcc, s17, v6
	s_and_saveexec_b64 s[10:11], vcc
	s_cbranch_execz .LBB654_26
; %bb.28:                               ;   in Loop: Header=BB654_27 Depth=1
	v_mad_u64_u32 v[8:9], s[20:21], v6, s14, 0
	v_mov_b32_e32 v10, v9
	v_mad_u64_u32 v[6:7], s[20:21], v6, s15, v[10:11]
	v_mov_b32_e32 v9, v6
	s_and_b64 vcc, exec, s[0:1]
	v_lshl_add_u64 v[6:7], v[8:9], 2, s[6:7]
	s_cbranch_vccnz .LBB654_30
; %bb.29:                               ;   in Loop: Header=BB654_27 Depth=1
	global_load_dword v8, v[6:7], off
	s_waitcnt vmcnt(0)
	v_mul_f32_e32 v10, s28, v8
	s_and_b64 vcc, exec, s[4:5]
	s_cbranch_vccz .LBB654_31
	s_branch .LBB654_25
.LBB654_30:                             ;   in Loop: Header=BB654_27 Depth=1
	v_mov_b32_e32 v10, 0
	s_and_b64 vcc, exec, s[4:5]
	s_cbranch_vccnz .LBB654_25
.LBB654_31:                             ;   in Loop: Header=BB654_27 Depth=1
	s_mov_b32 s12, 0
	s_and_b64 vcc, exec, s[2:3]
	s_cbranch_vccnz .LBB654_51
; %bb.32:                               ;   in Loop: Header=BB654_27 Depth=1
	s_mov_b32 s26, 0
	v_mov_b64_e32 v[8:9], v[4:5]
	s_branch .LBB654_34
.LBB654_33:                             ;   in Loop: Header=BB654_34 Depth=2
	s_or_b64 exec, exec, s[20:21]
	v_and_b32_e32 v11, 0xffff0000, v11
	v_add_f32_e32 v10, v10, v11
	v_and_b32_e32 v11, 0xffff0000, v12
	v_add_f32_e32 v10, v10, v11
	;; [unrolled: 2-line block ×3, first 2 shown]
	v_and_b32_e32 v11, 0xffff0000, v14
	s_add_i32 s26, s26, 4
	s_add_i32 s12, s12, 16
	v_add_f32_e32 v10, v10, v11
	s_cmp_eq_u32 s16, s26
	v_lshl_add_u64 v[8:9], v[8:9], 0, 8
	s_cbranch_scc1 .LBB654_50
.LBB654_34:                             ;   Parent Loop BB654_27 Depth=1
                                        ; =>  This Inner Loop Header: Depth=2
	global_load_ushort v11, v[8:9], off offset:-4
	v_mov_b32_e32 v12, s12
	ds_read_b32 v12, v12
	s_waitcnt vmcnt(0)
	v_lshlrev_b32_e32 v11, 16, v11
	s_waitcnt lgkmcnt(0)
	v_mul_f32_e32 v12, v12, v11
	v_and_b32_e32 v11, 0x7f800000, v12
	v_cmp_ne_u32_e32 vcc, s23, v11
                                        ; implicit-def: $vgpr11
	s_and_saveexec_b64 s[20:21], vcc
	s_xor_b64 s[20:21], exec, s[20:21]
; %bb.35:                               ;   in Loop: Header=BB654_34 Depth=2
	v_bfe_u32 v11, v12, 16, 1
	v_add3_u32 v11, v12, v11, s24
                                        ; implicit-def: $vgpr12
; %bb.36:                               ;   in Loop: Header=BB654_34 Depth=2
	s_andn2_saveexec_b64 s[20:21], s[20:21]
; %bb.37:                               ;   in Loop: Header=BB654_34 Depth=2
	v_or_b32_e32 v11, 0x10000, v12
	v_cmp_eq_u32_sdwa vcc, v12, v1 src0_sel:WORD_0 src1_sel:DWORD
	s_nop 1
	v_cndmask_b32_e32 v11, v11, v12, vcc
; %bb.38:                               ;   in Loop: Header=BB654_34 Depth=2
	s_or_b64 exec, exec, s[20:21]
	global_load_ushort v12, v[8:9], off offset:-2
	v_mov_b32_e32 v13, s12
	ds_read_b32 v13, v13 offset:4
	s_waitcnt vmcnt(0)
	v_lshlrev_b32_e32 v12, 16, v12
	s_waitcnt lgkmcnt(0)
	v_mul_f32_e32 v13, v13, v12
	v_and_b32_e32 v12, 0x7f800000, v13
	v_cmp_ne_u32_e32 vcc, s23, v12
                                        ; implicit-def: $vgpr12
	s_and_saveexec_b64 s[20:21], vcc
	s_xor_b64 s[20:21], exec, s[20:21]
; %bb.39:                               ;   in Loop: Header=BB654_34 Depth=2
	v_bfe_u32 v12, v13, 16, 1
	v_add3_u32 v12, v13, v12, s24
                                        ; implicit-def: $vgpr13
; %bb.40:                               ;   in Loop: Header=BB654_34 Depth=2
	s_andn2_saveexec_b64 s[20:21], s[20:21]
; %bb.41:                               ;   in Loop: Header=BB654_34 Depth=2
	v_or_b32_e32 v12, 0x10000, v13
	v_cmp_eq_u32_sdwa vcc, v13, v1 src0_sel:WORD_0 src1_sel:DWORD
	s_nop 1
	v_cndmask_b32_e32 v12, v12, v13, vcc
; %bb.42:                               ;   in Loop: Header=BB654_34 Depth=2
	s_or_b64 exec, exec, s[20:21]
	global_load_ushort v13, v[8:9], off
	v_mov_b32_e32 v14, s12
	ds_read_b32 v14, v14 offset:8
	s_waitcnt vmcnt(0)
	v_lshlrev_b32_e32 v13, 16, v13
	s_waitcnt lgkmcnt(0)
	v_mul_f32_e32 v14, v14, v13
	v_and_b32_e32 v13, 0x7f800000, v14
	v_cmp_ne_u32_e32 vcc, s23, v13
                                        ; implicit-def: $vgpr13
	s_and_saveexec_b64 s[20:21], vcc
	s_xor_b64 s[20:21], exec, s[20:21]
; %bb.43:                               ;   in Loop: Header=BB654_34 Depth=2
	v_bfe_u32 v13, v14, 16, 1
	v_add3_u32 v13, v14, v13, s24
                                        ; implicit-def: $vgpr14
; %bb.44:                               ;   in Loop: Header=BB654_34 Depth=2
	s_andn2_saveexec_b64 s[20:21], s[20:21]
; %bb.45:                               ;   in Loop: Header=BB654_34 Depth=2
	v_or_b32_e32 v13, 0x10000, v14
	v_cmp_eq_u32_sdwa vcc, v14, v1 src0_sel:WORD_0 src1_sel:DWORD
	s_nop 1
	v_cndmask_b32_e32 v13, v13, v14, vcc
; %bb.46:                               ;   in Loop: Header=BB654_34 Depth=2
	s_or_b64 exec, exec, s[20:21]
	global_load_ushort v14, v[8:9], off offset:2
	v_mov_b32_e32 v15, s12
	ds_read_b32 v15, v15 offset:12
	s_waitcnt vmcnt(0)
	v_lshlrev_b32_e32 v14, 16, v14
	s_waitcnt lgkmcnt(0)
	v_mul_f32_e32 v15, v15, v14
	v_and_b32_e32 v14, 0x7f800000, v15
	v_cmp_ne_u32_e32 vcc, s23, v14
                                        ; implicit-def: $vgpr14
	s_and_saveexec_b64 s[20:21], vcc
	s_xor_b64 s[20:21], exec, s[20:21]
; %bb.47:                               ;   in Loop: Header=BB654_34 Depth=2
	v_bfe_u32 v14, v15, 16, 1
	v_add3_u32 v14, v15, v14, s24
                                        ; implicit-def: $vgpr15
; %bb.48:                               ;   in Loop: Header=BB654_34 Depth=2
	s_andn2_saveexec_b64 s[20:21], s[20:21]
	s_cbranch_execz .LBB654_33
; %bb.49:                               ;   in Loop: Header=BB654_34 Depth=2
	v_or_b32_e32 v14, 0x10000, v15
	v_cmp_eq_u32_sdwa vcc, v15, v1 src0_sel:WORD_0 src1_sel:DWORD
	s_nop 1
	v_cndmask_b32_e32 v14, v14, v15, vcc
	s_branch .LBB654_33
.LBB654_50:                             ;   in Loop: Header=BB654_27 Depth=1
	s_mov_b32 s12, s16
.LBB654_51:                             ;   in Loop: Header=BB654_27 Depth=1
	s_andn2_b64 vcc, exec, s[18:19]
	s_cbranch_vccnz .LBB654_25
; %bb.52:                               ;   in Loop: Header=BB654_27 Depth=1
	s_lshl_b32 s26, s12, 2
	s_lshl_b32 s12, s12, 1
	v_lshl_add_u64 v[8:9], v[2:3], 0, s[12:13]
	s_mov_b32 s12, s22
	s_branch .LBB654_54
.LBB654_53:                             ;   in Loop: Header=BB654_54 Depth=2
	s_or_b64 exec, exec, s[20:21]
	v_and_b32_e32 v11, 0xffff0000, v12
	s_add_i32 s26, s26, 4
	s_add_i32 s12, s12, -1
	v_add_f32_e32 v10, v10, v11
	s_cmp_lg_u32 s12, 0
	v_lshl_add_u64 v[8:9], v[8:9], 0, 2
	s_cbranch_scc0 .LBB654_25
.LBB654_54:                             ;   Parent Loop BB654_27 Depth=1
                                        ; =>  This Inner Loop Header: Depth=2
	global_load_ushort v11, v[8:9], off
	v_mov_b32_e32 v12, s26
	ds_read_b32 v12, v12
	s_waitcnt vmcnt(0)
	v_lshlrev_b32_e32 v11, 16, v11
	s_waitcnt lgkmcnt(0)
	v_mul_f32_e32 v11, v12, v11
	v_and_b32_e32 v12, 0x7f800000, v11
	v_cmp_ne_u32_e32 vcc, s23, v12
                                        ; implicit-def: $vgpr12
	s_and_saveexec_b64 s[20:21], vcc
	s_xor_b64 s[20:21], exec, s[20:21]
; %bb.55:                               ;   in Loop: Header=BB654_54 Depth=2
	v_bfe_u32 v12, v11, 16, 1
	v_add3_u32 v12, v11, v12, s24
                                        ; implicit-def: $vgpr11
; %bb.56:                               ;   in Loop: Header=BB654_54 Depth=2
	s_andn2_saveexec_b64 s[20:21], s[20:21]
	s_cbranch_execz .LBB654_53
; %bb.57:                               ;   in Loop: Header=BB654_54 Depth=2
	v_or_b32_e32 v12, 0x10000, v11
	v_cmp_eq_u32_sdwa vcc, v11, v1 src0_sel:WORD_0 src1_sel:DWORD
	s_nop 1
	v_cndmask_b32_e32 v12, v12, v11, vcc
	s_branch .LBB654_53
.LBB654_58:
	s_endpgm
	.section	.rodata,"a",@progbits
	.p2align	6, 0x0
	.amdhsa_kernel _ZL22rocblas_gemvtsm_kernelILb1ELi256E16rocblas_bfloat16PKffEviiT2_lPKT1_lilS6_lilS3_lPT3_lil
		.amdhsa_group_segment_fixed_size 256
		.amdhsa_private_segment_fixed_size 0
		.amdhsa_kernarg_size 136
		.amdhsa_user_sgpr_count 2
		.amdhsa_user_sgpr_dispatch_ptr 0
		.amdhsa_user_sgpr_queue_ptr 0
		.amdhsa_user_sgpr_kernarg_segment_ptr 1
		.amdhsa_user_sgpr_dispatch_id 0
		.amdhsa_user_sgpr_kernarg_preload_length 0
		.amdhsa_user_sgpr_kernarg_preload_offset 0
		.amdhsa_user_sgpr_private_segment_size 0
		.amdhsa_uses_dynamic_stack 0
		.amdhsa_enable_private_segment 0
		.amdhsa_system_sgpr_workgroup_id_x 1
		.amdhsa_system_sgpr_workgroup_id_y 0
		.amdhsa_system_sgpr_workgroup_id_z 0
		.amdhsa_system_sgpr_workgroup_info 0
		.amdhsa_system_vgpr_workitem_id 0
		.amdhsa_next_free_vgpr 16
		.amdhsa_next_free_sgpr 29
		.amdhsa_accum_offset 16
		.amdhsa_reserve_vcc 1
		.amdhsa_float_round_mode_32 0
		.amdhsa_float_round_mode_16_64 0
		.amdhsa_float_denorm_mode_32 3
		.amdhsa_float_denorm_mode_16_64 3
		.amdhsa_dx10_clamp 1
		.amdhsa_ieee_mode 1
		.amdhsa_fp16_overflow 0
		.amdhsa_tg_split 0
		.amdhsa_exception_fp_ieee_invalid_op 0
		.amdhsa_exception_fp_denorm_src 0
		.amdhsa_exception_fp_ieee_div_zero 0
		.amdhsa_exception_fp_ieee_overflow 0
		.amdhsa_exception_fp_ieee_underflow 0
		.amdhsa_exception_fp_ieee_inexact 0
		.amdhsa_exception_int_div_zero 0
	.end_amdhsa_kernel
	.section	.text._ZL22rocblas_gemvtsm_kernelILb1ELi256E16rocblas_bfloat16PKffEviiT2_lPKT1_lilS6_lilS3_lPT3_lil,"axG",@progbits,_ZL22rocblas_gemvtsm_kernelILb1ELi256E16rocblas_bfloat16PKffEviiT2_lPKT1_lilS6_lilS3_lPT3_lil,comdat
.Lfunc_end654:
	.size	_ZL22rocblas_gemvtsm_kernelILb1ELi256E16rocblas_bfloat16PKffEviiT2_lPKT1_lilS6_lilS3_lPT3_lil, .Lfunc_end654-_ZL22rocblas_gemvtsm_kernelILb1ELi256E16rocblas_bfloat16PKffEviiT2_lPKT1_lilS6_lilS3_lPT3_lil
                                        ; -- End function
	.section	.AMDGPU.csdata,"",@progbits
; Kernel info:
; codeLenInByte = 1816
; NumSgprs: 35
; NumVgprs: 16
; NumAgprs: 0
; TotalNumVgprs: 16
; ScratchSize: 0
; MemoryBound: 0
; FloatMode: 240
; IeeeMode: 1
; LDSByteSize: 256 bytes/workgroup (compile time only)
; SGPRBlocks: 4
; VGPRBlocks: 1
; NumSGPRsForWavesPerEU: 35
; NumVGPRsForWavesPerEU: 16
; AccumOffset: 16
; Occupancy: 8
; WaveLimiterHint : 1
; COMPUTE_PGM_RSRC2:SCRATCH_EN: 0
; COMPUTE_PGM_RSRC2:USER_SGPR: 2
; COMPUTE_PGM_RSRC2:TRAP_HANDLER: 0
; COMPUTE_PGM_RSRC2:TGID_X_EN: 1
; COMPUTE_PGM_RSRC2:TGID_Y_EN: 0
; COMPUTE_PGM_RSRC2:TGID_Z_EN: 0
; COMPUTE_PGM_RSRC2:TIDIG_COMP_CNT: 0
; COMPUTE_PGM_RSRC3_GFX90A:ACCUM_OFFSET: 3
; COMPUTE_PGM_RSRC3_GFX90A:TG_SPLIT: 0
	.section	.text._ZL22rocblas_gemvtsm_kernelILb1ELi256E16rocblas_bfloat16ffEviiT2_lPKT1_lilS4_lilS1_lPT3_lil,"axG",@progbits,_ZL22rocblas_gemvtsm_kernelILb1ELi256E16rocblas_bfloat16ffEviiT2_lPKT1_lilS4_lilS1_lPT3_lil,comdat
	.globl	_ZL22rocblas_gemvtsm_kernelILb1ELi256E16rocblas_bfloat16ffEviiT2_lPKT1_lilS4_lilS1_lPT3_lil ; -- Begin function _ZL22rocblas_gemvtsm_kernelILb1ELi256E16rocblas_bfloat16ffEviiT2_lPKT1_lilS4_lilS1_lPT3_lil
	.p2align	8
	.type	_ZL22rocblas_gemvtsm_kernelILb1ELi256E16rocblas_bfloat16ffEviiT2_lPKT1_lilS4_lilS1_lPT3_lil,@function
_ZL22rocblas_gemvtsm_kernelILb1ELi256E16rocblas_bfloat16ffEviiT2_lPKT1_lilS4_lilS1_lPT3_lil: ; @_ZL22rocblas_gemvtsm_kernelILb1ELi256E16rocblas_bfloat16ffEviiT2_lPKT1_lilS4_lilS1_lPT3_lil
; %bb.0:
	s_load_dwordx4 s[8:11], s[0:1], 0x0
	s_load_dword s24, s[0:1], 0x58
	s_waitcnt lgkmcnt(0)
	v_cmp_eq_f32_e64 s[4:5], s10, 0
	v_cmp_eq_f32_e64 s[6:7], s24, 1.0
	s_and_b64 s[4:5], s[4:5], s[6:7]
	s_and_b64 vcc, exec, s[4:5]
	s_cbranch_vccnz .LBB655_58
; %bb.1:
	s_load_dwordx2 s[4:5], s[0:1], 0x80
	s_load_dwordx4 s[12:15], s[0:1], 0x68
	s_load_dword s16, s[0:1], 0x78
	s_waitcnt lgkmcnt(0)
	s_mul_i32 s3, s2, s5
	s_mul_hi_u32 s5, s2, s4
	s_mul_i32 s18, s2, s4
	s_add_i32 s19, s5, s3
	v_cmp_neq_f32_e64 s[4:5], s10, 0
	s_and_b64 vcc, exec, s[4:5]
	s_cbranch_vccnz .LBB655_9
; %bb.2:
	s_cmp_gt_i32 s9, 0
	s_cselect_b64 s[6:7], -1, 0
	v_cmp_neq_f32_e64 s[4:5], s24, 0
	v_cndmask_b32_e64 v1, 0, 1, s[6:7]
	s_and_b64 vcc, exec, s[4:5]
	v_cmp_ne_u32_e64 s[4:5], 1, v1
	s_cbranch_vccnz .LBB655_10
; %bb.3:
	s_and_b64 vcc, exec, s[4:5]
	s_cbranch_vccnz .LBB655_8
; %bb.4:
	v_mad_i64_i32 v[2:3], s[20:21], s16, v0, 0
	s_ashr_i32 s17, s16, 31
	s_lshl_b64 s[6:7], s[18:19], 2
	s_lshl_b64 s[20:21], s[14:15], 2
	s_add_u32 s3, s12, s20
	s_addc_u32 s11, s13, s21
	s_add_u32 s6, s3, s6
	s_addc_u32 s7, s11, s7
	v_lshl_add_u64 v[2:3], v[2:3], 2, s[6:7]
	s_lshl_b64 s[6:7], s[16:17], 10
	s_mov_b32 s3, 0
	v_mov_b32_e32 v1, 0
	s_branch .LBB655_6
.LBB655_5:                              ;   in Loop: Header=BB655_6 Depth=1
	s_or_b64 exec, exec, s[20:21]
	s_addk_i32 s3, 0x100
	s_cmp_ge_i32 s3, s9
	v_lshl_add_u64 v[2:3], v[2:3], 0, s[6:7]
	s_cbranch_scc1 .LBB655_8
.LBB655_6:                              ; =>This Inner Loop Header: Depth=1
	v_add_u32_e32 v4, s3, v0
	v_cmp_gt_i32_e32 vcc, s9, v4
	s_and_saveexec_b64 s[20:21], vcc
	s_cbranch_execz .LBB655_5
; %bb.7:                                ;   in Loop: Header=BB655_6 Depth=1
	global_store_dword v[2:3], v1, off
	s_branch .LBB655_5
.LBB655_8:
	s_cbranch_execz .LBB655_11
	s_branch .LBB655_16
.LBB655_9:
	s_branch .LBB655_17
.LBB655_10:
.LBB655_11:
	s_and_b64 vcc, exec, s[4:5]
	s_cbranch_vccnz .LBB655_16
; %bb.12:
	v_mad_i64_i32 v[2:3], s[6:7], s16, v0, 0
	s_ashr_i32 s17, s16, 31
	s_lshl_b64 s[4:5], s[18:19], 2
	s_lshl_b64 s[6:7], s[14:15], 2
	s_add_u32 s3, s12, s6
	s_addc_u32 s6, s13, s7
	s_add_u32 s4, s3, s4
	s_addc_u32 s5, s6, s5
	v_lshl_add_u64 v[2:3], v[2:3], 2, s[4:5]
	s_lshl_b64 s[4:5], s[16:17], 10
	s_mov_b32 s3, 0
	s_branch .LBB655_14
.LBB655_13:                             ;   in Loop: Header=BB655_14 Depth=1
	s_or_b64 exec, exec, s[6:7]
	s_addk_i32 s3, 0x100
	s_cmp_ge_i32 s3, s9
	v_lshl_add_u64 v[2:3], v[2:3], 0, s[4:5]
	s_cbranch_scc1 .LBB655_16
.LBB655_14:                             ; =>This Inner Loop Header: Depth=1
	v_add_u32_e32 v1, s3, v0
	v_cmp_gt_i32_e32 vcc, s9, v1
	s_and_saveexec_b64 s[6:7], vcc
	s_cbranch_execz .LBB655_13
; %bb.15:                               ;   in Loop: Header=BB655_14 Depth=1
	global_load_dword v1, v[2:3], off
	s_waitcnt vmcnt(0)
	v_mul_f32_e32 v1, s24, v1
	global_store_dword v[2:3], v1, off
	s_branch .LBB655_13
.LBB655_16:
	s_cbranch_execnz .LBB655_58
.LBB655_17:
	s_load_dwordx4 s[4:7], s[0:1], 0x30
	s_load_dwordx2 s[22:23], s[0:1], 0x40
	v_cmp_gt_i32_e32 vcc, s8, v0
	s_and_saveexec_b64 s[20:21], vcc
	s_cbranch_execz .LBB655_23
; %bb.18:
	s_load_dwordx2 s[26:27], s[0:1], 0x50
	s_load_dword s3, s[0:1], 0x48
	s_waitcnt lgkmcnt(0)
	s_mul_i32 s11, s2, s27
	s_mul_hi_u32 s17, s2, s26
	s_mul_i32 s26, s2, s26
	s_add_i32 s27, s17, s11
	s_lshl_b64 s[26:27], s[26:27], 1
	s_add_u32 s11, s6, s26
	s_addc_u32 s17, s7, s27
	s_lshl_b64 s[6:7], s[22:23], 1
	s_add_u32 s6, s11, s6
	s_addc_u32 s7, s17, s7
	v_mad_i64_i32 v[2:3], s[22:23], s3, v0, 0
	v_lshl_add_u64 v[2:3], v[2:3], 1, s[6:7]
	global_load_ushort v1, v[2:3], off
	s_mov_b32 s3, 0x7f800000
	s_waitcnt vmcnt(0)
	v_lshlrev_b32_e32 v1, 16, v1
	v_mul_f32_e32 v1, s10, v1
	v_and_b32_e32 v2, 0x7f800000, v1
	v_cmp_ne_u32_e32 vcc, s3, v2
                                        ; implicit-def: $vgpr2
	s_and_saveexec_b64 s[6:7], vcc
	s_xor_b64 s[6:7], exec, s[6:7]
; %bb.19:
	v_bfe_u32 v2, v1, 16, 1
	s_movk_i32 s3, 0x7fff
	v_add3_u32 v2, v1, v2, s3
                                        ; implicit-def: $vgpr1
; %bb.20:
	s_andn2_saveexec_b64 s[6:7], s[6:7]
; %bb.21:
	v_mov_b32_e32 v2, 0
	v_or_b32_e32 v3, 0x10000, v1
	v_cmp_eq_u32_sdwa vcc, v1, v2 src0_sel:WORD_0 src1_sel:DWORD
	s_nop 1
	v_cndmask_b32_e32 v2, v3, v1, vcc
; %bb.22:
	s_or_b64 exec, exec, s[6:7]
	v_and_b32_e32 v1, 0xffff0000, v2
	v_lshlrev_b32_e32 v2, 2, v0
	ds_write_b32 v2, v1
.LBB655_23:
	s_or_b64 exec, exec, s[20:21]
	s_cmp_lt_i32 s9, 1
	s_waitcnt lgkmcnt(0)
	s_barrier
	s_cbranch_scc1 .LBB655_58
; %bb.24:
	s_lshl_b64 s[6:7], s[18:19], 2
	s_add_u32 s3, s12, s6
	s_load_dwordx4 s[28:31], s[0:1], 0x18
	s_load_dword s6, s[0:1], 0x28
	s_addc_u32 s7, s13, s7
	s_lshl_b64 s[0:1], s[14:15], 2
	s_add_u32 s10, s3, s0
	s_addc_u32 s11, s7, s1
	s_waitcnt lgkmcnt(0)
	s_ashr_i32 s7, s6, 31
	s_ashr_i32 s17, s16, 31
	s_cmp_gt_i32 s8, 0
	s_cselect_b64 s[18:19], -1, 0
	s_and_b32 s22, s8, 3
	s_cmp_gt_u32 s8, 3
	s_cselect_b64 s[20:21], -1, 0
	s_and_b32 s8, s8, 0x7ffffffc
	s_cmp_lg_u32 s22, 0
	s_mul_i32 s0, s5, s2
	s_mul_hi_u32 s1, s4, s2
	s_cselect_b64 s[26:27], -1, 0
	s_add_i32 s1, s1, s0
	s_mul_i32 s0, s4, s2
	v_mad_i64_i32 v[2:3], s[2:3], s6, v0, 0
	s_lshl_b64 s[0:1], s[0:1], 1
	s_lshl_b64 s[2:3], s[30:31], 1
	s_add_u32 s2, s28, s2
	s_addc_u32 s3, s29, s3
	s_add_u32 s0, s2, s0
	s_addc_u32 s1, s3, s1
	v_lshl_add_u64 v[2:3], v[2:3], 1, s[0:1]
	v_cmp_neq_f32_e64 s[0:1], s24, 0
	v_cndmask_b32_e64 v6, 0, 1, s[26:27]
	s_mov_b32 s13, 0
	v_cndmask_b32_e64 v1, 0, 1, s[0:1]
	v_cmp_ne_u32_e64 s[0:1], 1, v1
	v_cndmask_b32_e64 v1, 0, 1, s[18:19]
	v_cmp_ne_u32_e64 s[2:3], 1, v1
	v_cndmask_b32_e64 v1, 0, 1, s[20:21]
	v_lshl_add_u64 v[4:5], v[2:3], 0, 4
	s_lshl_b64 s[14:15], s[6:7], 9
	v_cmp_ne_u32_e64 s[4:5], 1, v1
	s_mov_b32 s23, 0x7f800000
	s_movk_i32 s25, 0x7fff
	v_mov_b32_e32 v1, 0
	v_cmp_ne_u32_e64 s[6:7], 1, v6
	s_mov_b32 s26, 0
	s_branch .LBB655_27
.LBB655_25:                             ;   in Loop: Header=BB655_27 Depth=1
	global_store_dword v[6:7], v10, off
.LBB655_26:                             ;   in Loop: Header=BB655_27 Depth=1
	s_or_b64 exec, exec, s[18:19]
	s_addk_i32 s26, 0x100
	v_lshl_add_u64 v[4:5], v[4:5], 0, s[14:15]
	s_cmp_ge_i32 s26, s9
	v_lshl_add_u64 v[2:3], v[2:3], 0, s[14:15]
	s_cbranch_scc1 .LBB655_58
.LBB655_27:                             ; =>This Loop Header: Depth=1
                                        ;     Child Loop BB655_34 Depth 2
                                        ;     Child Loop BB655_54 Depth 2
	v_add_u32_e32 v6, s26, v0
	v_cmp_gt_i32_e32 vcc, s9, v6
	s_and_saveexec_b64 s[18:19], vcc
	s_cbranch_execz .LBB655_26
; %bb.28:                               ;   in Loop: Header=BB655_27 Depth=1
	v_mad_u64_u32 v[8:9], s[20:21], v6, s16, 0
	v_mov_b32_e32 v10, v9
	v_mad_u64_u32 v[6:7], s[20:21], v6, s17, v[10:11]
	v_mov_b32_e32 v9, v6
	s_and_b64 vcc, exec, s[0:1]
	v_lshl_add_u64 v[6:7], v[8:9], 2, s[10:11]
	s_cbranch_vccnz .LBB655_30
; %bb.29:                               ;   in Loop: Header=BB655_27 Depth=1
	global_load_dword v8, v[6:7], off
	s_waitcnt vmcnt(0)
	v_mul_f32_e32 v10, s24, v8
	s_and_b64 vcc, exec, s[2:3]
	s_cbranch_vccz .LBB655_31
	s_branch .LBB655_25
.LBB655_30:                             ;   in Loop: Header=BB655_27 Depth=1
	v_mov_b32_e32 v10, 0
	s_and_b64 vcc, exec, s[2:3]
	s_cbranch_vccnz .LBB655_25
.LBB655_31:                             ;   in Loop: Header=BB655_27 Depth=1
	s_mov_b32 s12, 0
	s_and_b64 vcc, exec, s[4:5]
	s_cbranch_vccnz .LBB655_51
; %bb.32:                               ;   in Loop: Header=BB655_27 Depth=1
	s_mov_b32 s27, 0
	v_mov_b64_e32 v[8:9], v[4:5]
	s_branch .LBB655_34
.LBB655_33:                             ;   in Loop: Header=BB655_34 Depth=2
	s_or_b64 exec, exec, s[20:21]
	v_and_b32_e32 v11, 0xffff0000, v11
	v_add_f32_e32 v10, v10, v11
	v_and_b32_e32 v11, 0xffff0000, v12
	v_add_f32_e32 v10, v10, v11
	;; [unrolled: 2-line block ×3, first 2 shown]
	v_and_b32_e32 v11, 0xffff0000, v14
	s_add_i32 s27, s27, 4
	s_add_i32 s12, s12, 16
	v_add_f32_e32 v10, v10, v11
	s_cmp_eq_u32 s8, s27
	v_lshl_add_u64 v[8:9], v[8:9], 0, 8
	s_cbranch_scc1 .LBB655_50
.LBB655_34:                             ;   Parent Loop BB655_27 Depth=1
                                        ; =>  This Inner Loop Header: Depth=2
	global_load_ushort v11, v[8:9], off offset:-4
	v_mov_b32_e32 v12, s12
	ds_read_b32 v12, v12
	s_waitcnt vmcnt(0)
	v_lshlrev_b32_e32 v11, 16, v11
	s_waitcnt lgkmcnt(0)
	v_mul_f32_e32 v12, v12, v11
	v_and_b32_e32 v11, 0x7f800000, v12
	v_cmp_ne_u32_e32 vcc, s23, v11
                                        ; implicit-def: $vgpr11
	s_and_saveexec_b64 s[20:21], vcc
	s_xor_b64 s[20:21], exec, s[20:21]
; %bb.35:                               ;   in Loop: Header=BB655_34 Depth=2
	v_bfe_u32 v11, v12, 16, 1
	v_add3_u32 v11, v12, v11, s25
                                        ; implicit-def: $vgpr12
; %bb.36:                               ;   in Loop: Header=BB655_34 Depth=2
	s_andn2_saveexec_b64 s[20:21], s[20:21]
; %bb.37:                               ;   in Loop: Header=BB655_34 Depth=2
	v_or_b32_e32 v11, 0x10000, v12
	v_cmp_eq_u32_sdwa vcc, v12, v1 src0_sel:WORD_0 src1_sel:DWORD
	s_nop 1
	v_cndmask_b32_e32 v11, v11, v12, vcc
; %bb.38:                               ;   in Loop: Header=BB655_34 Depth=2
	s_or_b64 exec, exec, s[20:21]
	global_load_ushort v12, v[8:9], off offset:-2
	v_mov_b32_e32 v13, s12
	ds_read_b32 v13, v13 offset:4
	s_waitcnt vmcnt(0)
	v_lshlrev_b32_e32 v12, 16, v12
	s_waitcnt lgkmcnt(0)
	v_mul_f32_e32 v13, v13, v12
	v_and_b32_e32 v12, 0x7f800000, v13
	v_cmp_ne_u32_e32 vcc, s23, v12
                                        ; implicit-def: $vgpr12
	s_and_saveexec_b64 s[20:21], vcc
	s_xor_b64 s[20:21], exec, s[20:21]
; %bb.39:                               ;   in Loop: Header=BB655_34 Depth=2
	v_bfe_u32 v12, v13, 16, 1
	v_add3_u32 v12, v13, v12, s25
                                        ; implicit-def: $vgpr13
; %bb.40:                               ;   in Loop: Header=BB655_34 Depth=2
	s_andn2_saveexec_b64 s[20:21], s[20:21]
; %bb.41:                               ;   in Loop: Header=BB655_34 Depth=2
	v_or_b32_e32 v12, 0x10000, v13
	v_cmp_eq_u32_sdwa vcc, v13, v1 src0_sel:WORD_0 src1_sel:DWORD
	s_nop 1
	v_cndmask_b32_e32 v12, v12, v13, vcc
; %bb.42:                               ;   in Loop: Header=BB655_34 Depth=2
	s_or_b64 exec, exec, s[20:21]
	global_load_ushort v13, v[8:9], off
	v_mov_b32_e32 v14, s12
	ds_read_b32 v14, v14 offset:8
	s_waitcnt vmcnt(0)
	v_lshlrev_b32_e32 v13, 16, v13
	s_waitcnt lgkmcnt(0)
	v_mul_f32_e32 v14, v14, v13
	v_and_b32_e32 v13, 0x7f800000, v14
	v_cmp_ne_u32_e32 vcc, s23, v13
                                        ; implicit-def: $vgpr13
	s_and_saveexec_b64 s[20:21], vcc
	s_xor_b64 s[20:21], exec, s[20:21]
; %bb.43:                               ;   in Loop: Header=BB655_34 Depth=2
	v_bfe_u32 v13, v14, 16, 1
	v_add3_u32 v13, v14, v13, s25
                                        ; implicit-def: $vgpr14
; %bb.44:                               ;   in Loop: Header=BB655_34 Depth=2
	s_andn2_saveexec_b64 s[20:21], s[20:21]
; %bb.45:                               ;   in Loop: Header=BB655_34 Depth=2
	v_or_b32_e32 v13, 0x10000, v14
	v_cmp_eq_u32_sdwa vcc, v14, v1 src0_sel:WORD_0 src1_sel:DWORD
	s_nop 1
	v_cndmask_b32_e32 v13, v13, v14, vcc
; %bb.46:                               ;   in Loop: Header=BB655_34 Depth=2
	s_or_b64 exec, exec, s[20:21]
	global_load_ushort v14, v[8:9], off offset:2
	v_mov_b32_e32 v15, s12
	ds_read_b32 v15, v15 offset:12
	s_waitcnt vmcnt(0)
	v_lshlrev_b32_e32 v14, 16, v14
	s_waitcnt lgkmcnt(0)
	v_mul_f32_e32 v15, v15, v14
	v_and_b32_e32 v14, 0x7f800000, v15
	v_cmp_ne_u32_e32 vcc, s23, v14
                                        ; implicit-def: $vgpr14
	s_and_saveexec_b64 s[20:21], vcc
	s_xor_b64 s[20:21], exec, s[20:21]
; %bb.47:                               ;   in Loop: Header=BB655_34 Depth=2
	v_bfe_u32 v14, v15, 16, 1
	v_add3_u32 v14, v15, v14, s25
                                        ; implicit-def: $vgpr15
; %bb.48:                               ;   in Loop: Header=BB655_34 Depth=2
	s_andn2_saveexec_b64 s[20:21], s[20:21]
	s_cbranch_execz .LBB655_33
; %bb.49:                               ;   in Loop: Header=BB655_34 Depth=2
	v_or_b32_e32 v14, 0x10000, v15
	v_cmp_eq_u32_sdwa vcc, v15, v1 src0_sel:WORD_0 src1_sel:DWORD
	s_nop 1
	v_cndmask_b32_e32 v14, v14, v15, vcc
	s_branch .LBB655_33
.LBB655_50:                             ;   in Loop: Header=BB655_27 Depth=1
	s_mov_b32 s12, s8
.LBB655_51:                             ;   in Loop: Header=BB655_27 Depth=1
	s_and_b64 vcc, exec, s[6:7]
	s_cbranch_vccnz .LBB655_25
; %bb.52:                               ;   in Loop: Header=BB655_27 Depth=1
	s_lshl_b32 s27, s12, 2
	s_lshl_b32 s12, s12, 1
	v_lshl_add_u64 v[8:9], v[2:3], 0, s[12:13]
	s_mov_b32 s12, s22
	s_branch .LBB655_54
.LBB655_53:                             ;   in Loop: Header=BB655_54 Depth=2
	s_or_b64 exec, exec, s[20:21]
	v_and_b32_e32 v11, 0xffff0000, v12
	s_add_i32 s27, s27, 4
	s_add_i32 s12, s12, -1
	v_add_f32_e32 v10, v10, v11
	s_cmp_lg_u32 s12, 0
	v_lshl_add_u64 v[8:9], v[8:9], 0, 2
	s_cbranch_scc0 .LBB655_25
.LBB655_54:                             ;   Parent Loop BB655_27 Depth=1
                                        ; =>  This Inner Loop Header: Depth=2
	global_load_ushort v11, v[8:9], off
	v_mov_b32_e32 v12, s27
	ds_read_b32 v12, v12
	s_waitcnt vmcnt(0)
	v_lshlrev_b32_e32 v11, 16, v11
	s_waitcnt lgkmcnt(0)
	v_mul_f32_e32 v11, v12, v11
	v_and_b32_e32 v12, 0x7f800000, v11
	v_cmp_ne_u32_e32 vcc, s23, v12
                                        ; implicit-def: $vgpr12
	s_and_saveexec_b64 s[20:21], vcc
	s_xor_b64 s[20:21], exec, s[20:21]
; %bb.55:                               ;   in Loop: Header=BB655_54 Depth=2
	v_bfe_u32 v12, v11, 16, 1
	v_add3_u32 v12, v11, v12, s25
                                        ; implicit-def: $vgpr11
; %bb.56:                               ;   in Loop: Header=BB655_54 Depth=2
	s_andn2_saveexec_b64 s[20:21], s[20:21]
	s_cbranch_execz .LBB655_53
; %bb.57:                               ;   in Loop: Header=BB655_54 Depth=2
	v_or_b32_e32 v12, 0x10000, v11
	v_cmp_eq_u32_sdwa vcc, v11, v1 src0_sel:WORD_0 src1_sel:DWORD
	s_nop 1
	v_cndmask_b32_e32 v12, v12, v11, vcc
	s_branch .LBB655_53
.LBB655_58:
	s_endpgm
	.section	.rodata,"a",@progbits
	.p2align	6, 0x0
	.amdhsa_kernel _ZL22rocblas_gemvtsm_kernelILb1ELi256E16rocblas_bfloat16ffEviiT2_lPKT1_lilS4_lilS1_lPT3_lil
		.amdhsa_group_segment_fixed_size 256
		.amdhsa_private_segment_fixed_size 0
		.amdhsa_kernarg_size 136
		.amdhsa_user_sgpr_count 2
		.amdhsa_user_sgpr_dispatch_ptr 0
		.amdhsa_user_sgpr_queue_ptr 0
		.amdhsa_user_sgpr_kernarg_segment_ptr 1
		.amdhsa_user_sgpr_dispatch_id 0
		.amdhsa_user_sgpr_kernarg_preload_length 0
		.amdhsa_user_sgpr_kernarg_preload_offset 0
		.amdhsa_user_sgpr_private_segment_size 0
		.amdhsa_uses_dynamic_stack 0
		.amdhsa_enable_private_segment 0
		.amdhsa_system_sgpr_workgroup_id_x 1
		.amdhsa_system_sgpr_workgroup_id_y 0
		.amdhsa_system_sgpr_workgroup_id_z 0
		.amdhsa_system_sgpr_workgroup_info 0
		.amdhsa_system_vgpr_workitem_id 0
		.amdhsa_next_free_vgpr 16
		.amdhsa_next_free_sgpr 32
		.amdhsa_accum_offset 16
		.amdhsa_reserve_vcc 1
		.amdhsa_float_round_mode_32 0
		.amdhsa_float_round_mode_16_64 0
		.amdhsa_float_denorm_mode_32 3
		.amdhsa_float_denorm_mode_16_64 3
		.amdhsa_dx10_clamp 1
		.amdhsa_ieee_mode 1
		.amdhsa_fp16_overflow 0
		.amdhsa_tg_split 0
		.amdhsa_exception_fp_ieee_invalid_op 0
		.amdhsa_exception_fp_denorm_src 0
		.amdhsa_exception_fp_ieee_div_zero 0
		.amdhsa_exception_fp_ieee_overflow 0
		.amdhsa_exception_fp_ieee_underflow 0
		.amdhsa_exception_fp_ieee_inexact 0
		.amdhsa_exception_int_div_zero 0
	.end_amdhsa_kernel
	.section	.text._ZL22rocblas_gemvtsm_kernelILb1ELi256E16rocblas_bfloat16ffEviiT2_lPKT1_lilS4_lilS1_lPT3_lil,"axG",@progbits,_ZL22rocblas_gemvtsm_kernelILb1ELi256E16rocblas_bfloat16ffEviiT2_lPKT1_lilS4_lilS1_lPT3_lil,comdat
.Lfunc_end655:
	.size	_ZL22rocblas_gemvtsm_kernelILb1ELi256E16rocblas_bfloat16ffEviiT2_lPKT1_lilS4_lilS1_lPT3_lil, .Lfunc_end655-_ZL22rocblas_gemvtsm_kernelILb1ELi256E16rocblas_bfloat16ffEviiT2_lPKT1_lilS4_lilS1_lPT3_lil
                                        ; -- End function
	.section	.AMDGPU.csdata,"",@progbits
; Kernel info:
; codeLenInByte = 1764
; NumSgprs: 38
; NumVgprs: 16
; NumAgprs: 0
; TotalNumVgprs: 16
; ScratchSize: 0
; MemoryBound: 0
; FloatMode: 240
; IeeeMode: 1
; LDSByteSize: 256 bytes/workgroup (compile time only)
; SGPRBlocks: 4
; VGPRBlocks: 1
; NumSGPRsForWavesPerEU: 38
; NumVGPRsForWavesPerEU: 16
; AccumOffset: 16
; Occupancy: 8
; WaveLimiterHint : 1
; COMPUTE_PGM_RSRC2:SCRATCH_EN: 0
; COMPUTE_PGM_RSRC2:USER_SGPR: 2
; COMPUTE_PGM_RSRC2:TRAP_HANDLER: 0
; COMPUTE_PGM_RSRC2:TGID_X_EN: 1
; COMPUTE_PGM_RSRC2:TGID_Y_EN: 0
; COMPUTE_PGM_RSRC2:TGID_Z_EN: 0
; COMPUTE_PGM_RSRC2:TIDIG_COMP_CNT: 0
; COMPUTE_PGM_RSRC3_GFX90A:ACCUM_OFFSET: 3
; COMPUTE_PGM_RSRC3_GFX90A:TG_SPLIT: 0
	.section	.text._ZL20rocblas_gemvt_kernelILb1ELi256E16rocblas_bfloat16PKffEviiT2_lPKT1_lilS6_lilS3_lPT3_lili,"axG",@progbits,_ZL20rocblas_gemvt_kernelILb1ELi256E16rocblas_bfloat16PKffEviiT2_lPKT1_lilS6_lilS3_lPT3_lili,comdat
	.globl	_ZL20rocblas_gemvt_kernelILb1ELi256E16rocblas_bfloat16PKffEviiT2_lPKT1_lilS6_lilS3_lPT3_lili ; -- Begin function _ZL20rocblas_gemvt_kernelILb1ELi256E16rocblas_bfloat16PKffEviiT2_lPKT1_lilS6_lilS3_lPT3_lili
	.p2align	8
	.type	_ZL20rocblas_gemvt_kernelILb1ELi256E16rocblas_bfloat16PKffEviiT2_lPKT1_lilS6_lilS3_lPT3_lili,@function
_ZL20rocblas_gemvt_kernelILb1ELi256E16rocblas_bfloat16PKffEviiT2_lPKT1_lilS6_lilS3_lPT3_lili: ; @_ZL20rocblas_gemvt_kernelILb1ELi256E16rocblas_bfloat16PKffEviiT2_lPKT1_lilS6_lilS3_lPT3_lili
; %bb.0:
	s_load_dwordx8 s[4:11], s[0:1], 0x8
	s_load_dwordx8 s[12:19], s[0:1], 0x50
	s_waitcnt lgkmcnt(0)
	s_mul_i32 s7, s3, s7
	s_mul_hi_u32 s20, s3, s6
	s_add_i32 s7, s20, s7
	s_mul_i32 s6, s3, s6
	s_lshl_b64 s[6:7], s[6:7], 2
	s_add_u32 s4, s4, s6
	s_addc_u32 s5, s5, s7
	s_load_dword s22, s[4:5], 0x0
	s_mul_i32 s4, s3, s17
	s_mul_hi_u32 s5, s3, s16
	s_add_i32 s5, s5, s4
	s_mul_i32 s4, s3, s16
	s_lshl_b64 s[4:5], s[4:5], 2
	s_add_u32 s4, s14, s4
	s_addc_u32 s5, s15, s5
	s_load_dword s23, s[4:5], 0x0
	s_waitcnt lgkmcnt(0)
	v_cmp_eq_f32_e64 s[4:5], s22, 0
	v_cmp_eq_f32_e64 s[6:7], s23, 1.0
	s_and_b64 s[4:5], s[4:5], s[6:7]
	s_and_b64 vcc, exec, s[4:5]
	s_cbranch_vccnz .LBB656_44
; %bb.1:
	s_load_dwordx2 s[4:5], s[0:1], 0x80
	s_load_dwordx2 s[6:7], s[0:1], 0x70
	s_load_dword s24, s[0:1], 0x78
	s_waitcnt lgkmcnt(0)
	s_mul_i32 s5, s3, s5
	s_mul_hi_u32 s14, s3, s4
	s_mul_i32 s4, s3, s4
	s_add_i32 s5, s14, s5
	s_lshl_b64 s[4:5], s[4:5], 2
	s_add_u32 s14, s18, s4
	s_addc_u32 s15, s19, s5
	s_lshl_b64 s[4:5], s[6:7], 2
	s_add_u32 s20, s14, s4
	s_addc_u32 s21, s15, s5
	v_cmp_neq_f32_e64 s[4:5], s22, 0
	s_and_b64 vcc, exec, s[4:5]
	v_cmp_eq_u32_e64 s[4:5], 0, v0
	s_cbranch_vccnz .LBB656_6
; %bb.2:
	s_mov_b64 s[16:17], 0
	s_mov_b64 s[14:15], 0
                                        ; implicit-def: $vgpr1
                                        ; implicit-def: $sgpr6_sgpr7
	s_and_saveexec_b64 s[18:19], s[4:5]
	s_cbranch_execz .LBB656_7
; %bb.3:
	v_cmp_eq_f32_e64 s[4:5], s23, 0
	v_mov_b32_e32 v1, 0
	s_mul_hi_i32 s7, s24, s2
	s_mul_i32 s6, s24, s2
	s_and_b64 vcc, exec, s[4:5]
	s_cbranch_vccnz .LBB656_5
; %bb.4:
	s_lshl_b64 s[4:5], s[6:7], 2
	s_add_u32 s4, s20, s4
	s_addc_u32 s5, s21, s5
	s_load_dword s4, s[4:5], 0x0
	s_waitcnt lgkmcnt(0)
	v_mov_b32_e32 v1, s4
	v_mul_f32_e32 v1, s23, v1
.LBB656_5:
	s_mov_b64 s[14:15], exec
	s_or_b64 exec, exec, s[18:19]
	s_and_b64 vcc, exec, s[16:17]
	s_cbranch_vccnz .LBB656_8
	s_branch .LBB656_42
.LBB656_6:
	s_mov_b64 s[14:15], 0
                                        ; implicit-def: $vgpr1
                                        ; implicit-def: $sgpr6_sgpr7
	s_cbranch_execnz .LBB656_8
	s_branch .LBB656_42
.LBB656_7:
	s_or_b64 exec, exec, s[18:19]
	s_and_b64 vcc, exec, s[16:17]
	s_cbranch_vccz .LBB656_42
.LBB656_8:
	s_load_dword s25, s[0:1], 0x0
	s_load_dword s18, s[0:1], 0x28
	s_load_dwordx4 s[4:7], s[0:1], 0x30
	s_load_dwordx2 s[16:17], s[0:1], 0x40
	s_mul_i32 s13, s3, s13
	s_load_dword s0, s[0:1], 0x48
	s_mul_hi_u32 s19, s3, s12
	s_waitcnt lgkmcnt(0)
	s_mul_i32 s1, s3, s5
	s_mul_hi_u32 s5, s3, s4
	s_add_i32 s5, s5, s1
	s_mul_i32 s4, s3, s4
	s_add_i32 s13, s19, s13
	s_lshl_b64 s[4:5], s[4:5], 1
	s_add_u32 s1, s8, s4
	s_mul_i32 s12, s3, s12
	s_addc_u32 s3, s9, s5
	s_lshl_b64 s[4:5], s[10:11], 1
	s_add_u32 s1, s1, s4
	s_addc_u32 s9, s3, s5
	s_mul_hi_i32 s5, s18, s2
	s_mul_i32 s4, s18, s2
	s_lshl_b64 s[4:5], s[4:5], 1
	s_add_u32 s8, s4, s1
	s_addc_u32 s9, s5, s9
	s_ashr_i32 s1, s25, 31
	v_cmp_gt_i32_e32 vcc, s25, v0
	s_lshr_b32 s1, s1, 24
	s_add_i32 s1, s25, s1
	v_cndmask_b32_e32 v1, 0, v0, vcc
	v_lshlrev_b32_e32 v2, 1, v1
	v_mov_b32_e32 v3, 0
	s_and_b32 s4, s1, 0xffffff00
	s_mov_b32 s3, 0
	s_cmpk_lt_i32 s25, 0x100
	v_lshl_add_u64 v[4:5], s[8:9], 0, v[2:3]
	s_cbranch_scc1 .LBB656_15
; %bb.9:
	v_mad_i64_i32 v[2:3], s[10:11], s0, v0, 0
	s_ashr_i32 s1, s0, 31
	s_lshl_b64 s[8:9], s[12:13], 1
	s_lshl_b64 s[10:11], s[16:17], 1
	s_add_u32 s5, s6, s10
	s_addc_u32 s10, s7, s11
	s_add_u32 s8, s5, s8
	s_addc_u32 s9, s10, s9
	v_lshl_add_u64 v[6:7], v[2:3], 1, s[8:9]
	s_lshl_b64 s[8:9], s[0:1], 9
	v_mov_b32_e32 v1, 0
	s_mov_b32 s1, 0x7f800000
	s_movk_i32 s5, 0x7fff
	s_mov_b64 s[10:11], 0x200
	v_mov_b64_e32 v[8:9], v[4:5]
	v_mov_b32_e32 v3, 0
	s_branch .LBB656_11
.LBB656_10:                             ;   in Loop: Header=BB656_11 Depth=1
	s_or_b64 exec, exec, s[18:19]
	v_and_b32_e32 v2, 0xffff0000, v2
	s_addk_i32 s3, 0x100
	v_add_f32_e32 v3, v3, v2
	v_lshl_add_u64 v[6:7], v[6:7], 0, s[8:9]
	s_cmp_ge_i32 s3, s4
	v_lshl_add_u64 v[8:9], v[8:9], 0, s[10:11]
	s_cbranch_scc1 .LBB656_15
.LBB656_11:                             ; =>This Inner Loop Header: Depth=1
	global_load_ushort v2, v[6:7], off
	global_load_ushort v10, v[8:9], off
	s_waitcnt vmcnt(1)
	v_lshlrev_b32_e32 v2, 16, v2
	s_waitcnt vmcnt(0)
	v_lshlrev_b32_e32 v10, 16, v10
	v_pk_mul_f32 v[10:11], v[2:3], v[10:11] op_sel_hi:[0,1]
	v_and_b32_e32 v2, 0x7f800000, v10
	v_cmp_ne_u32_e32 vcc, s1, v2
                                        ; implicit-def: $vgpr2
	s_and_saveexec_b64 s[18:19], vcc
	s_xor_b64 s[18:19], exec, s[18:19]
; %bb.12:                               ;   in Loop: Header=BB656_11 Depth=1
	v_bfe_u32 v2, v10, 16, 1
	v_add3_u32 v2, v10, v2, s5
                                        ; implicit-def: $vgpr10_vgpr11
; %bb.13:                               ;   in Loop: Header=BB656_11 Depth=1
	s_andn2_saveexec_b64 s[18:19], s[18:19]
	s_cbranch_execz .LBB656_10
; %bb.14:                               ;   in Loop: Header=BB656_11 Depth=1
	v_or_b32_e32 v2, 0x10000, v10
	v_cmp_eq_u32_sdwa vcc, v10, v1 src0_sel:WORD_0 src1_sel:DWORD
	s_nop 1
	v_cndmask_b32_e32 v2, v2, v10, vcc
	s_branch .LBB656_10
.LBB656_15:
	v_add_u32_e32 v1, s4, v0
	v_cmp_gt_i32_e32 vcc, s25, v1
	s_and_saveexec_b64 s[8:9], vcc
	s_cbranch_execz .LBB656_21
; %bb.16:
	s_lshl_b64 s[10:11], s[12:13], 1
	s_add_u32 s1, s6, s10
	s_addc_u32 s3, s7, s11
	s_lshl_b64 s[6:7], s[16:17], 1
	s_add_u32 s6, s1, s6
	s_addc_u32 s7, s3, s7
	v_mad_i64_i32 v[6:7], s[0:1], s0, v1, 0
	s_ashr_i32 s5, s4, 31
	v_lshl_add_u64 v[6:7], v[6:7], 1, s[6:7]
	v_lshl_add_u64 v[4:5], s[4:5], 1, v[4:5]
	global_load_ushort v1, v[6:7], off
	global_load_ushort v8, v[4:5], off
	s_mov_b32 s0, 0x7f800000
	s_waitcnt vmcnt(1)
	v_lshlrev_b32_e32 v2, 16, v1
	s_waitcnt vmcnt(0)
	v_lshlrev_b32_e32 v4, 16, v8
	v_pk_mul_f32 v[4:5], v[2:3], v[4:5] op_sel_hi:[0,1]
	v_and_b32_e32 v1, 0x7f800000, v4
	v_cmp_ne_u32_e32 vcc, s0, v1
                                        ; implicit-def: $vgpr1
	s_and_saveexec_b64 s[0:1], vcc
	s_xor_b64 s[0:1], exec, s[0:1]
; %bb.17:
	v_bfe_u32 v1, v4, 16, 1
	s_movk_i32 s3, 0x7fff
	v_add3_u32 v1, v4, v1, s3
                                        ; implicit-def: $vgpr4_vgpr5
; %bb.18:
	s_andn2_saveexec_b64 s[0:1], s[0:1]
; %bb.19:
	v_mov_b32_e32 v1, 0
	v_or_b32_e32 v2, 0x10000, v4
	v_cmp_eq_u32_sdwa vcc, v4, v1 src0_sel:WORD_0 src1_sel:DWORD
	s_nop 1
	v_cndmask_b32_e32 v1, v2, v4, vcc
; %bb.20:
	s_or_b64 exec, exec, s[0:1]
	v_and_b32_e32 v1, 0xffff0000, v1
	v_add_f32_e32 v3, v3, v1
.LBB656_21:
	s_or_b64 exec, exec, s[8:9]
	s_movk_i32 s0, 0x80
	v_lshlrev_b32_e32 v1, 2, v0
	v_cmp_gt_u32_e32 vcc, s0, v0
	ds_write_b32 v1, v3
	s_waitcnt lgkmcnt(0)
	s_barrier
	s_and_saveexec_b64 s[0:1], vcc
	s_cbranch_execz .LBB656_23
; %bb.22:
	ds_read2st64_b32 v[2:3], v1 offset1:2
	s_waitcnt lgkmcnt(0)
	v_add_f32_e32 v2, v3, v2
	ds_write_b32 v1, v2
.LBB656_23:
	s_or_b64 exec, exec, s[0:1]
	v_cmp_gt_u32_e32 vcc, 64, v0
	s_waitcnt lgkmcnt(0)
	s_barrier
	s_and_saveexec_b64 s[0:1], vcc
	s_cbranch_execz .LBB656_25
; %bb.24:
	ds_read2st64_b32 v[2:3], v1 offset1:1
	s_waitcnt lgkmcnt(0)
	v_add_f32_e32 v2, v3, v2
	ds_write_b32 v1, v2
.LBB656_25:
	s_or_b64 exec, exec, s[0:1]
	v_cmp_gt_u32_e32 vcc, 32, v0
	s_waitcnt lgkmcnt(0)
	s_barrier
	s_and_saveexec_b64 s[0:1], vcc
	s_cbranch_execz .LBB656_27
; %bb.26:
	ds_read2_b32 v[2:3], v1 offset1:32
	s_waitcnt lgkmcnt(0)
	v_add_f32_e32 v2, v3, v2
	ds_write_b32 v1, v2
.LBB656_27:
	s_or_b64 exec, exec, s[0:1]
	v_cmp_gt_u32_e32 vcc, 16, v0
	s_waitcnt lgkmcnt(0)
	s_barrier
	s_and_saveexec_b64 s[0:1], vcc
	s_cbranch_execz .LBB656_29
; %bb.28:
	ds_read2_b32 v[2:3], v1 offset1:16
	s_waitcnt lgkmcnt(0)
	v_add_f32_e32 v2, v3, v2
	ds_write_b32 v1, v2
.LBB656_29:
	;; [unrolled: 12-line block ×5, first 2 shown]
	s_or_b64 exec, exec, s[0:1]
	v_cmp_eq_u32_e32 vcc, 0, v0
	s_waitcnt lgkmcnt(0)
	s_barrier
	s_and_saveexec_b64 s[0:1], vcc
	s_cbranch_execz .LBB656_37
; %bb.36:
	v_mov_b32_e32 v2, 0
	ds_read_b64 v[0:1], v2
	s_waitcnt lgkmcnt(0)
	v_add_f32_e32 v0, v1, v0
	ds_write_b32 v2, v0
.LBB656_37:
	s_or_b64 exec, exec, s[0:1]
	s_waitcnt lgkmcnt(0)
	s_barrier
	s_waitcnt lgkmcnt(0)
                                        ; implicit-def: $vgpr1
                                        ; implicit-def: $sgpr6_sgpr7
	s_and_saveexec_b64 s[0:1], vcc
	s_cbranch_execz .LBB656_41
; %bb.38:
	v_mov_b32_e32 v0, 0
	ds_read_b32 v0, v0
	v_cmp_eq_f32_e64 s[4:5], s23, 0
	s_mul_hi_i32 s7, s24, s2
	s_mul_i32 s6, s24, s2
	s_and_b64 vcc, exec, s[4:5]
	s_waitcnt lgkmcnt(0)
	v_mul_f32_e32 v1, s22, v0
	s_cbranch_vccnz .LBB656_40
; %bb.39:
	s_lshl_b64 s[2:3], s[6:7], 2
	s_add_u32 s2, s20, s2
	s_addc_u32 s3, s21, s3
	s_load_dword s2, s[2:3], 0x0
	s_waitcnt lgkmcnt(0)
	v_mov_b32_e32 v0, s2
	v_fmac_f32_e32 v1, s23, v0
.LBB656_40:
	s_or_b64 s[14:15], s[14:15], exec
.LBB656_41:
	s_or_b64 exec, exec, s[0:1]
.LBB656_42:
	s_and_saveexec_b64 s[0:1], s[14:15]
	s_cbranch_execz .LBB656_44
; %bb.43:
	s_lshl_b64 s[0:1], s[6:7], 2
	s_add_u32 s0, s20, s0
	s_addc_u32 s1, s21, s1
	v_mov_b32_e32 v0, 0
	global_store_dword v0, v1, s[0:1]
.LBB656_44:
	s_endpgm
	.section	.rodata,"a",@progbits
	.p2align	6, 0x0
	.amdhsa_kernel _ZL20rocblas_gemvt_kernelILb1ELi256E16rocblas_bfloat16PKffEviiT2_lPKT1_lilS6_lilS3_lPT3_lili
		.amdhsa_group_segment_fixed_size 1024
		.amdhsa_private_segment_fixed_size 0
		.amdhsa_kernarg_size 140
		.amdhsa_user_sgpr_count 2
		.amdhsa_user_sgpr_dispatch_ptr 0
		.amdhsa_user_sgpr_queue_ptr 0
		.amdhsa_user_sgpr_kernarg_segment_ptr 1
		.amdhsa_user_sgpr_dispatch_id 0
		.amdhsa_user_sgpr_kernarg_preload_length 0
		.amdhsa_user_sgpr_kernarg_preload_offset 0
		.amdhsa_user_sgpr_private_segment_size 0
		.amdhsa_uses_dynamic_stack 0
		.amdhsa_enable_private_segment 0
		.amdhsa_system_sgpr_workgroup_id_x 1
		.amdhsa_system_sgpr_workgroup_id_y 0
		.amdhsa_system_sgpr_workgroup_id_z 1
		.amdhsa_system_sgpr_workgroup_info 0
		.amdhsa_system_vgpr_workitem_id 0
		.amdhsa_next_free_vgpr 12
		.amdhsa_next_free_sgpr 26
		.amdhsa_accum_offset 12
		.amdhsa_reserve_vcc 1
		.amdhsa_float_round_mode_32 0
		.amdhsa_float_round_mode_16_64 0
		.amdhsa_float_denorm_mode_32 3
		.amdhsa_float_denorm_mode_16_64 3
		.amdhsa_dx10_clamp 1
		.amdhsa_ieee_mode 1
		.amdhsa_fp16_overflow 0
		.amdhsa_tg_split 0
		.amdhsa_exception_fp_ieee_invalid_op 0
		.amdhsa_exception_fp_denorm_src 0
		.amdhsa_exception_fp_ieee_div_zero 0
		.amdhsa_exception_fp_ieee_overflow 0
		.amdhsa_exception_fp_ieee_underflow 0
		.amdhsa_exception_fp_ieee_inexact 0
		.amdhsa_exception_int_div_zero 0
	.end_amdhsa_kernel
	.section	.text._ZL20rocblas_gemvt_kernelILb1ELi256E16rocblas_bfloat16PKffEviiT2_lPKT1_lilS6_lilS3_lPT3_lili,"axG",@progbits,_ZL20rocblas_gemvt_kernelILb1ELi256E16rocblas_bfloat16PKffEviiT2_lPKT1_lilS6_lilS3_lPT3_lili,comdat
.Lfunc_end656:
	.size	_ZL20rocblas_gemvt_kernelILb1ELi256E16rocblas_bfloat16PKffEviiT2_lPKT1_lilS6_lilS3_lPT3_lili, .Lfunc_end656-_ZL20rocblas_gemvt_kernelILb1ELi256E16rocblas_bfloat16PKffEviiT2_lPKT1_lilS6_lilS3_lPT3_lili
                                        ; -- End function
	.section	.AMDGPU.csdata,"",@progbits
; Kernel info:
; codeLenInByte = 1504
; NumSgprs: 32
; NumVgprs: 12
; NumAgprs: 0
; TotalNumVgprs: 12
; ScratchSize: 0
; MemoryBound: 0
; FloatMode: 240
; IeeeMode: 1
; LDSByteSize: 1024 bytes/workgroup (compile time only)
; SGPRBlocks: 3
; VGPRBlocks: 1
; NumSGPRsForWavesPerEU: 32
; NumVGPRsForWavesPerEU: 12
; AccumOffset: 12
; Occupancy: 8
; WaveLimiterHint : 1
; COMPUTE_PGM_RSRC2:SCRATCH_EN: 0
; COMPUTE_PGM_RSRC2:USER_SGPR: 2
; COMPUTE_PGM_RSRC2:TRAP_HANDLER: 0
; COMPUTE_PGM_RSRC2:TGID_X_EN: 1
; COMPUTE_PGM_RSRC2:TGID_Y_EN: 0
; COMPUTE_PGM_RSRC2:TGID_Z_EN: 1
; COMPUTE_PGM_RSRC2:TIDIG_COMP_CNT: 0
; COMPUTE_PGM_RSRC3_GFX90A:ACCUM_OFFSET: 2
; COMPUTE_PGM_RSRC3_GFX90A:TG_SPLIT: 0
	.section	.text._ZL20rocblas_gemvt_kernelILb1ELi256E16rocblas_bfloat16ffEviiT2_lPKT1_lilS4_lilS1_lPT3_lili,"axG",@progbits,_ZL20rocblas_gemvt_kernelILb1ELi256E16rocblas_bfloat16ffEviiT2_lPKT1_lilS4_lilS1_lPT3_lili,comdat
	.globl	_ZL20rocblas_gemvt_kernelILb1ELi256E16rocblas_bfloat16ffEviiT2_lPKT1_lilS4_lilS1_lPT3_lili ; -- Begin function _ZL20rocblas_gemvt_kernelILb1ELi256E16rocblas_bfloat16ffEviiT2_lPKT1_lilS4_lilS1_lPT3_lili
	.p2align	8
	.type	_ZL20rocblas_gemvt_kernelILb1ELi256E16rocblas_bfloat16ffEviiT2_lPKT1_lilS4_lilS1_lPT3_lili,@function
_ZL20rocblas_gemvt_kernelILb1ELi256E16rocblas_bfloat16ffEviiT2_lPKT1_lilS4_lilS1_lPT3_lili: ; @_ZL20rocblas_gemvt_kernelILb1ELi256E16rocblas_bfloat16ffEviiT2_lPKT1_lilS4_lilS1_lPT3_lili
; %bb.0:
	s_load_dword s23, s[0:1], 0x8
	s_load_dword s22, s[0:1], 0x58
	s_waitcnt lgkmcnt(0)
	v_cmp_eq_f32_e64 s[4:5], s23, 0
	v_cmp_eq_f32_e64 s[6:7], s22, 1.0
	s_and_b64 s[4:5], s[4:5], s[6:7]
	s_and_b64 vcc, exec, s[4:5]
	s_cbranch_vccnz .LBB657_44
; %bb.1:
	s_load_dwordx2 s[8:9], s[0:1], 0x80
	s_load_dwordx4 s[4:7], s[0:1], 0x68
	s_load_dword s24, s[0:1], 0x78
	s_waitcnt lgkmcnt(0)
	s_mul_i32 s9, s3, s9
	s_mul_hi_u32 s10, s3, s8
	s_mul_i32 s8, s3, s8
	s_add_i32 s9, s10, s9
	s_lshl_b64 s[8:9], s[8:9], 2
	s_add_u32 s8, s4, s8
	s_addc_u32 s9, s5, s9
	s_lshl_b64 s[4:5], s[6:7], 2
	s_add_u32 s20, s8, s4
	s_addc_u32 s21, s9, s5
	v_cmp_neq_f32_e64 s[4:5], s23, 0
	s_and_b64 vcc, exec, s[4:5]
	v_cmp_eq_u32_e64 s[4:5], 0, v0
	s_cbranch_vccnz .LBB657_6
; %bb.2:
	s_mov_b64 s[10:11], 0
	s_mov_b64 s[8:9], 0
                                        ; implicit-def: $vgpr1
                                        ; implicit-def: $sgpr6_sgpr7
	s_and_saveexec_b64 s[12:13], s[4:5]
	s_cbranch_execz .LBB657_7
; %bb.3:
	v_cmp_eq_f32_e64 s[4:5], s22, 0
	v_mov_b32_e32 v1, 0
	s_mul_hi_i32 s7, s24, s2
	s_mul_i32 s6, s24, s2
	s_and_b64 vcc, exec, s[4:5]
	s_cbranch_vccnz .LBB657_5
; %bb.4:
	s_lshl_b64 s[4:5], s[6:7], 2
	s_add_u32 s4, s20, s4
	s_addc_u32 s5, s21, s5
	s_load_dword s4, s[4:5], 0x0
	v_mov_b32_e32 v1, s22
	s_waitcnt lgkmcnt(0)
	v_mul_f32_e32 v1, s4, v1
.LBB657_5:
	s_mov_b64 s[8:9], exec
	s_or_b64 exec, exec, s[12:13]
	s_and_b64 vcc, exec, s[10:11]
	s_cbranch_vccnz .LBB657_8
	s_branch .LBB657_42
.LBB657_6:
	s_mov_b64 s[8:9], 0
                                        ; implicit-def: $vgpr1
                                        ; implicit-def: $sgpr6_sgpr7
	s_cbranch_execnz .LBB657_8
	s_branch .LBB657_42
.LBB657_7:
	s_or_b64 exec, exec, s[12:13]
	s_and_b64 vcc, exec, s[10:11]
	s_cbranch_vccz .LBB657_42
.LBB657_8:
	s_load_dwordx2 s[14:15], s[0:1], 0x50
	s_load_dword s25, s[0:1], 0x0
	s_load_dwordx4 s[16:19], s[0:1], 0x18
	s_load_dword s13, s[0:1], 0x28
	s_load_dwordx4 s[4:7], s[0:1], 0x30
	s_load_dwordx2 s[10:11], s[0:1], 0x40
	s_load_dword s12, s[0:1], 0x48
	s_waitcnt lgkmcnt(0)
	s_mul_i32 s0, s3, s15
	s_mul_hi_u32 s1, s3, s14
	s_add_i32 s1, s1, s0
	s_mul_i32 s0, s3, s14
	s_mul_i32 s5, s3, s5
	s_mul_hi_u32 s14, s3, s4
	s_add_i32 s5, s14, s5
	s_mul_i32 s4, s3, s4
	s_lshl_b64 s[4:5], s[4:5], 1
	s_add_u32 s3, s16, s4
	s_addc_u32 s14, s17, s5
	s_lshl_b64 s[4:5], s[18:19], 1
	s_add_u32 s15, s3, s4
	s_addc_u32 s16, s14, s5
	s_mul_hi_i32 s5, s13, s2
	s_mul_i32 s4, s13, s2
	s_lshl_b64 s[4:5], s[4:5], 1
	s_add_u32 s14, s4, s15
	s_addc_u32 s15, s5, s16
	s_ashr_i32 s4, s25, 31
	v_cmp_gt_i32_e32 vcc, s25, v0
	s_lshr_b32 s4, s4, 24
	s_add_i32 s4, s25, s4
	v_cndmask_b32_e32 v1, 0, v0, vcc
	v_lshlrev_b32_e32 v2, 1, v1
	v_mov_b32_e32 v3, 0
	s_and_b32 s4, s4, 0xffffff00
	s_mov_b32 s3, 0
	s_cmpk_lt_i32 s25, 0x100
	v_lshl_add_u64 v[4:5], s[14:15], 0, v[2:3]
	s_cbranch_scc1 .LBB657_15
; %bb.9:
	v_mad_i64_i32 v[2:3], s[16:17], s12, v0, 0
	s_ashr_i32 s13, s12, 31
	s_lshl_b64 s[14:15], s[0:1], 1
	s_lshl_b64 s[16:17], s[10:11], 1
	s_add_u32 s5, s6, s16
	s_addc_u32 s16, s7, s17
	s_add_u32 s14, s5, s14
	s_addc_u32 s15, s16, s15
	v_lshl_add_u64 v[6:7], v[2:3], 1, s[14:15]
	s_lshl_b64 s[14:15], s[12:13], 9
	v_mov_b32_e32 v1, 0
	s_mov_b32 s5, 0x7f800000
	s_movk_i32 s13, 0x7fff
	s_mov_b64 s[16:17], 0x200
	v_mov_b64_e32 v[8:9], v[4:5]
	v_mov_b32_e32 v3, 0
	s_branch .LBB657_11
.LBB657_10:                             ;   in Loop: Header=BB657_11 Depth=1
	s_or_b64 exec, exec, s[18:19]
	v_and_b32_e32 v2, 0xffff0000, v2
	s_addk_i32 s3, 0x100
	v_add_f32_e32 v3, v3, v2
	v_lshl_add_u64 v[6:7], v[6:7], 0, s[14:15]
	s_cmp_ge_i32 s3, s4
	v_lshl_add_u64 v[8:9], v[8:9], 0, s[16:17]
	s_cbranch_scc1 .LBB657_15
.LBB657_11:                             ; =>This Inner Loop Header: Depth=1
	global_load_ushort v2, v[6:7], off
	global_load_ushort v10, v[8:9], off
	s_waitcnt vmcnt(1)
	v_lshlrev_b32_e32 v2, 16, v2
	s_waitcnt vmcnt(0)
	v_lshlrev_b32_e32 v10, 16, v10
	v_pk_mul_f32 v[10:11], v[2:3], v[10:11] op_sel_hi:[0,1]
	v_and_b32_e32 v2, 0x7f800000, v10
	v_cmp_ne_u32_e32 vcc, s5, v2
                                        ; implicit-def: $vgpr2
	s_and_saveexec_b64 s[18:19], vcc
	s_xor_b64 s[18:19], exec, s[18:19]
; %bb.12:                               ;   in Loop: Header=BB657_11 Depth=1
	v_bfe_u32 v2, v10, 16, 1
	v_add3_u32 v2, v10, v2, s13
                                        ; implicit-def: $vgpr10_vgpr11
; %bb.13:                               ;   in Loop: Header=BB657_11 Depth=1
	s_andn2_saveexec_b64 s[18:19], s[18:19]
	s_cbranch_execz .LBB657_10
; %bb.14:                               ;   in Loop: Header=BB657_11 Depth=1
	v_or_b32_e32 v2, 0x10000, v10
	v_cmp_eq_u32_sdwa vcc, v10, v1 src0_sel:WORD_0 src1_sel:DWORD
	s_nop 1
	v_cndmask_b32_e32 v2, v2, v10, vcc
	s_branch .LBB657_10
.LBB657_15:
	v_add_u32_e32 v1, s4, v0
	v_cmp_gt_i32_e32 vcc, s25, v1
	s_and_saveexec_b64 s[14:15], vcc
	s_cbranch_execz .LBB657_21
; %bb.16:
	s_lshl_b64 s[0:1], s[0:1], 1
	s_add_u32 s3, s6, s0
	s_addc_u32 s5, s7, s1
	s_lshl_b64 s[0:1], s[10:11], 1
	s_add_u32 s0, s3, s0
	s_addc_u32 s1, s5, s1
	s_ashr_i32 s5, s4, 31
	v_lshl_add_u64 v[4:5], s[4:5], 1, v[4:5]
	v_mad_i64_i32 v[6:7], s[4:5], s12, v1, 0
	v_lshl_add_u64 v[6:7], v[6:7], 1, s[0:1]
	global_load_ushort v1, v[6:7], off
	global_load_ushort v8, v[4:5], off
	s_mov_b32 s0, 0x7f800000
	s_waitcnt vmcnt(1)
	v_lshlrev_b32_e32 v2, 16, v1
	s_waitcnt vmcnt(0)
	v_lshlrev_b32_e32 v4, 16, v8
	v_pk_mul_f32 v[4:5], v[2:3], v[4:5] op_sel_hi:[0,1]
	v_and_b32_e32 v1, 0x7f800000, v4
	v_cmp_ne_u32_e32 vcc, s0, v1
                                        ; implicit-def: $vgpr1
	s_and_saveexec_b64 s[0:1], vcc
	s_xor_b64 s[0:1], exec, s[0:1]
; %bb.17:
	v_bfe_u32 v1, v4, 16, 1
	s_movk_i32 s3, 0x7fff
	v_add3_u32 v1, v4, v1, s3
                                        ; implicit-def: $vgpr4_vgpr5
; %bb.18:
	s_andn2_saveexec_b64 s[0:1], s[0:1]
; %bb.19:
	v_mov_b32_e32 v1, 0
	v_or_b32_e32 v2, 0x10000, v4
	v_cmp_eq_u32_sdwa vcc, v4, v1 src0_sel:WORD_0 src1_sel:DWORD
	s_nop 1
	v_cndmask_b32_e32 v1, v2, v4, vcc
; %bb.20:
	s_or_b64 exec, exec, s[0:1]
	v_and_b32_e32 v1, 0xffff0000, v1
	v_add_f32_e32 v3, v3, v1
.LBB657_21:
	s_or_b64 exec, exec, s[14:15]
	s_movk_i32 s0, 0x80
	v_lshlrev_b32_e32 v1, 2, v0
	v_cmp_gt_u32_e32 vcc, s0, v0
	ds_write_b32 v1, v3
	s_waitcnt lgkmcnt(0)
	s_barrier
	s_and_saveexec_b64 s[0:1], vcc
	s_cbranch_execz .LBB657_23
; %bb.22:
	ds_read2st64_b32 v[2:3], v1 offset1:2
	s_waitcnt lgkmcnt(0)
	v_add_f32_e32 v2, v3, v2
	ds_write_b32 v1, v2
.LBB657_23:
	s_or_b64 exec, exec, s[0:1]
	v_cmp_gt_u32_e32 vcc, 64, v0
	s_waitcnt lgkmcnt(0)
	s_barrier
	s_and_saveexec_b64 s[0:1], vcc
	s_cbranch_execz .LBB657_25
; %bb.24:
	ds_read2st64_b32 v[2:3], v1 offset1:1
	s_waitcnt lgkmcnt(0)
	v_add_f32_e32 v2, v3, v2
	ds_write_b32 v1, v2
.LBB657_25:
	s_or_b64 exec, exec, s[0:1]
	v_cmp_gt_u32_e32 vcc, 32, v0
	s_waitcnt lgkmcnt(0)
	s_barrier
	s_and_saveexec_b64 s[0:1], vcc
	s_cbranch_execz .LBB657_27
; %bb.26:
	ds_read2_b32 v[2:3], v1 offset1:32
	s_waitcnt lgkmcnt(0)
	v_add_f32_e32 v2, v3, v2
	ds_write_b32 v1, v2
.LBB657_27:
	s_or_b64 exec, exec, s[0:1]
	v_cmp_gt_u32_e32 vcc, 16, v0
	s_waitcnt lgkmcnt(0)
	s_barrier
	s_and_saveexec_b64 s[0:1], vcc
	s_cbranch_execz .LBB657_29
; %bb.28:
	ds_read2_b32 v[2:3], v1 offset1:16
	s_waitcnt lgkmcnt(0)
	v_add_f32_e32 v2, v3, v2
	ds_write_b32 v1, v2
.LBB657_29:
	;; [unrolled: 12-line block ×5, first 2 shown]
	s_or_b64 exec, exec, s[0:1]
	v_cmp_eq_u32_e32 vcc, 0, v0
	s_waitcnt lgkmcnt(0)
	s_barrier
	s_and_saveexec_b64 s[0:1], vcc
	s_cbranch_execz .LBB657_37
; %bb.36:
	v_mov_b32_e32 v2, 0
	ds_read_b64 v[0:1], v2
	s_waitcnt lgkmcnt(0)
	v_add_f32_e32 v0, v1, v0
	ds_write_b32 v2, v0
.LBB657_37:
	s_or_b64 exec, exec, s[0:1]
	s_waitcnt lgkmcnt(0)
	s_barrier
	s_waitcnt lgkmcnt(0)
                                        ; implicit-def: $vgpr1
                                        ; implicit-def: $sgpr6_sgpr7
	s_and_saveexec_b64 s[0:1], vcc
	s_cbranch_execz .LBB657_41
; %bb.38:
	v_mov_b32_e32 v0, 0
	ds_read_b32 v0, v0
	v_cmp_eq_f32_e64 s[4:5], s22, 0
	s_mul_hi_i32 s7, s24, s2
	s_mul_i32 s6, s24, s2
	s_and_b64 vcc, exec, s[4:5]
	s_waitcnt lgkmcnt(0)
	v_mul_f32_e32 v1, s23, v0
	s_cbranch_vccnz .LBB657_40
; %bb.39:
	s_lshl_b64 s[2:3], s[6:7], 2
	s_add_u32 s2, s20, s2
	s_addc_u32 s3, s21, s3
	s_load_dword s2, s[2:3], 0x0
	v_mov_b32_e32 v0, s22
	s_waitcnt lgkmcnt(0)
	v_fmac_f32_e32 v1, s2, v0
.LBB657_40:
	s_or_b64 s[8:9], s[8:9], exec
.LBB657_41:
	s_or_b64 exec, exec, s[0:1]
.LBB657_42:
	s_and_saveexec_b64 s[0:1], s[8:9]
	s_cbranch_execz .LBB657_44
; %bb.43:
	s_lshl_b64 s[0:1], s[6:7], 2
	s_add_u32 s0, s20, s0
	s_addc_u32 s1, s21, s1
	v_mov_b32_e32 v0, 0
	global_store_dword v0, v1, s[0:1]
.LBB657_44:
	s_endpgm
	.section	.rodata,"a",@progbits
	.p2align	6, 0x0
	.amdhsa_kernel _ZL20rocblas_gemvt_kernelILb1ELi256E16rocblas_bfloat16ffEviiT2_lPKT1_lilS4_lilS1_lPT3_lili
		.amdhsa_group_segment_fixed_size 1024
		.amdhsa_private_segment_fixed_size 0
		.amdhsa_kernarg_size 140
		.amdhsa_user_sgpr_count 2
		.amdhsa_user_sgpr_dispatch_ptr 0
		.amdhsa_user_sgpr_queue_ptr 0
		.amdhsa_user_sgpr_kernarg_segment_ptr 1
		.amdhsa_user_sgpr_dispatch_id 0
		.amdhsa_user_sgpr_kernarg_preload_length 0
		.amdhsa_user_sgpr_kernarg_preload_offset 0
		.amdhsa_user_sgpr_private_segment_size 0
		.amdhsa_uses_dynamic_stack 0
		.amdhsa_enable_private_segment 0
		.amdhsa_system_sgpr_workgroup_id_x 1
		.amdhsa_system_sgpr_workgroup_id_y 0
		.amdhsa_system_sgpr_workgroup_id_z 1
		.amdhsa_system_sgpr_workgroup_info 0
		.amdhsa_system_vgpr_workitem_id 0
		.amdhsa_next_free_vgpr 12
		.amdhsa_next_free_sgpr 26
		.amdhsa_accum_offset 12
		.amdhsa_reserve_vcc 1
		.amdhsa_float_round_mode_32 0
		.amdhsa_float_round_mode_16_64 0
		.amdhsa_float_denorm_mode_32 3
		.amdhsa_float_denorm_mode_16_64 3
		.amdhsa_dx10_clamp 1
		.amdhsa_ieee_mode 1
		.amdhsa_fp16_overflow 0
		.amdhsa_tg_split 0
		.amdhsa_exception_fp_ieee_invalid_op 0
		.amdhsa_exception_fp_denorm_src 0
		.amdhsa_exception_fp_ieee_div_zero 0
		.amdhsa_exception_fp_ieee_overflow 0
		.amdhsa_exception_fp_ieee_underflow 0
		.amdhsa_exception_fp_ieee_inexact 0
		.amdhsa_exception_int_div_zero 0
	.end_amdhsa_kernel
	.section	.text._ZL20rocblas_gemvt_kernelILb1ELi256E16rocblas_bfloat16ffEviiT2_lPKT1_lilS4_lilS1_lPT3_lili,"axG",@progbits,_ZL20rocblas_gemvt_kernelILb1ELi256E16rocblas_bfloat16ffEviiT2_lPKT1_lilS4_lilS1_lPT3_lili,comdat
.Lfunc_end657:
	.size	_ZL20rocblas_gemvt_kernelILb1ELi256E16rocblas_bfloat16ffEviiT2_lPKT1_lilS4_lilS1_lPT3_lili, .Lfunc_end657-_ZL20rocblas_gemvt_kernelILb1ELi256E16rocblas_bfloat16ffEviiT2_lPKT1_lilS4_lilS1_lPT3_lili
                                        ; -- End function
	.section	.AMDGPU.csdata,"",@progbits
; Kernel info:
; codeLenInByte = 1444
; NumSgprs: 32
; NumVgprs: 12
; NumAgprs: 0
; TotalNumVgprs: 12
; ScratchSize: 0
; MemoryBound: 0
; FloatMode: 240
; IeeeMode: 1
; LDSByteSize: 1024 bytes/workgroup (compile time only)
; SGPRBlocks: 3
; VGPRBlocks: 1
; NumSGPRsForWavesPerEU: 32
; NumVGPRsForWavesPerEU: 12
; AccumOffset: 12
; Occupancy: 8
; WaveLimiterHint : 1
; COMPUTE_PGM_RSRC2:SCRATCH_EN: 0
; COMPUTE_PGM_RSRC2:USER_SGPR: 2
; COMPUTE_PGM_RSRC2:TRAP_HANDLER: 0
; COMPUTE_PGM_RSRC2:TGID_X_EN: 1
; COMPUTE_PGM_RSRC2:TGID_Y_EN: 0
; COMPUTE_PGM_RSRC2:TGID_Z_EN: 1
; COMPUTE_PGM_RSRC2:TIDIG_COMP_CNT: 0
; COMPUTE_PGM_RSRC3_GFX90A:ACCUM_OFFSET: 2
; COMPUTE_PGM_RSRC3_GFX90A:TG_SPLIT: 0
	.section	.text._ZL32rocblas_gemvt_warp_reduce_kernelILb1ELi1024Ei16rocblas_bfloat16PKffEviiT3_lPKT2_lT1_lS6_lS7_lS3_lPT4_lS7_li,"axG",@progbits,_ZL32rocblas_gemvt_warp_reduce_kernelILb1ELi1024Ei16rocblas_bfloat16PKffEviiT3_lPKT2_lT1_lS6_lS7_lS3_lPT4_lS7_li,comdat
	.globl	_ZL32rocblas_gemvt_warp_reduce_kernelILb1ELi1024Ei16rocblas_bfloat16PKffEviiT3_lPKT2_lT1_lS6_lS7_lS3_lPT4_lS7_li ; -- Begin function _ZL32rocblas_gemvt_warp_reduce_kernelILb1ELi1024Ei16rocblas_bfloat16PKffEviiT3_lPKT2_lT1_lS6_lS7_lS3_lPT4_lS7_li
	.p2align	8
	.type	_ZL32rocblas_gemvt_warp_reduce_kernelILb1ELi1024Ei16rocblas_bfloat16PKffEviiT3_lPKT2_lT1_lS6_lS7_lS3_lPT4_lS7_li,@function
_ZL32rocblas_gemvt_warp_reduce_kernelILb1ELi1024Ei16rocblas_bfloat16PKffEviiT3_lPKT2_lT1_lS6_lS7_lS3_lPT4_lS7_li: ; @_ZL32rocblas_gemvt_warp_reduce_kernelILb1ELi1024Ei16rocblas_bfloat16PKffEviiT3_lPKT2_lT1_lS6_lS7_lS3_lPT4_lS7_li
; %bb.0:
	s_load_dwordx8 s[4:11], s[0:1], 0x8
	s_load_dwordx8 s[12:19], s[0:1], 0x50
	s_waitcnt lgkmcnt(0)
	s_mul_i32 s7, s3, s7
	s_mul_hi_u32 s20, s3, s6
	s_add_i32 s7, s20, s7
	s_mul_i32 s6, s3, s6
	s_lshl_b64 s[6:7], s[6:7], 2
	s_add_u32 s4, s4, s6
	s_addc_u32 s5, s5, s7
	s_load_dword s23, s[4:5], 0x0
	s_mul_i32 s4, s3, s17
	s_mul_hi_u32 s5, s3, s16
	s_add_i32 s5, s5, s4
	s_mul_i32 s4, s3, s16
	s_lshl_b64 s[4:5], s[4:5], 2
	s_add_u32 s4, s14, s4
	s_addc_u32 s5, s15, s5
	s_load_dword s22, s[4:5], 0x0
	s_waitcnt lgkmcnt(0)
	v_cmp_eq_f32_e64 s[4:5], s23, 0
	v_cmp_eq_f32_e64 s[6:7], s22, 1.0
	s_and_b64 s[4:5], s[4:5], s[6:7]
	s_and_b64 vcc, exec, s[4:5]
	s_cbranch_vccnz .LBB658_37
; %bb.1:
	s_load_dwordx2 s[4:5], s[0:1], 0x80
	s_load_dwordx2 s[6:7], s[0:1], 0x70
	s_load_dword s24, s[0:1], 0x78
	s_waitcnt lgkmcnt(0)
	s_mul_i32 s5, s3, s5
	s_mul_hi_u32 s14, s3, s4
	s_mul_i32 s4, s3, s4
	s_add_i32 s5, s14, s5
	s_lshl_b64 s[4:5], s[4:5], 2
	s_add_u32 s14, s18, s4
	s_addc_u32 s15, s19, s5
	s_lshl_b64 s[4:5], s[6:7], 2
	s_add_u32 s20, s14, s4
	s_addc_u32 s21, s15, s5
	v_cmp_neq_f32_e64 s[4:5], s23, 0
	s_and_b64 vcc, exec, s[4:5]
	v_cmp_eq_u32_e64 s[4:5], 0, v0
	s_cbranch_vccnz .LBB658_6
; %bb.2:
	s_mov_b64 s[16:17], 0
	s_mov_b64 s[6:7], 0
                                        ; implicit-def: $vgpr1
                                        ; implicit-def: $sgpr14_sgpr15
	s_and_saveexec_b64 s[18:19], s[4:5]
	s_cbranch_execz .LBB658_7
; %bb.3:
	v_cmp_eq_f32_e64 s[4:5], s22, 0
	s_mul_i32 s14, s2, s24
	v_mov_b32_e32 v1, 0
	s_ashr_i32 s15, s14, 31
	s_and_b64 vcc, exec, s[4:5]
	s_cbranch_vccnz .LBB658_5
; %bb.4:
	s_lshl_b64 s[4:5], s[14:15], 2
	s_add_u32 s4, s20, s4
	s_addc_u32 s5, s21, s5
	s_load_dword s4, s[4:5], 0x0
	s_waitcnt lgkmcnt(0)
	v_mov_b32_e32 v1, s4
	v_mul_f32_e32 v1, s22, v1
.LBB658_5:
	s_mov_b64 s[6:7], exec
	s_or_b64 exec, exec, s[18:19]
	s_and_b64 vcc, exec, s[16:17]
	s_cbranch_vccnz .LBB658_8
	s_branch .LBB658_35
.LBB658_6:
	s_mov_b64 s[6:7], 0
                                        ; implicit-def: $vgpr1
                                        ; implicit-def: $sgpr14_sgpr15
	s_cbranch_execnz .LBB658_8
	s_branch .LBB658_35
.LBB658_7:
	s_or_b64 exec, exec, s[18:19]
	s_and_b64 vcc, exec, s[16:17]
	s_cbranch_vccz .LBB658_35
.LBB658_8:
	s_load_dword s16, s[0:1], 0x0
	s_load_dword s14, s[0:1], 0x28
	s_load_dwordx4 s[28:31], s[0:1], 0x30
	s_load_dwordx2 s[4:5], s[0:1], 0x40
	s_mul_i32 s13, s3, s13
	s_mul_hi_u32 s15, s3, s12
	s_add_i32 s13, s15, s13
	s_mul_i32 s12, s3, s12
	s_lshl_b64 s[12:13], s[12:13], 1
	s_waitcnt lgkmcnt(0)
	s_add_u32 s12, s30, s12
	s_addc_u32 s13, s31, s13
	s_lshl_b64 s[4:5], s[4:5], 1
	s_add_u32 s4, s12, s4
	s_load_dword s17, s[0:1], 0x48
	s_mul_i32 s0, s3, s29
	s_mul_hi_u32 s1, s3, s28
	s_addc_u32 s5, s13, s5
	s_add_i32 s1, s1, s0
	s_mul_i32 s0, s3, s28
	s_lshl_b64 s[0:1], s[0:1], 1
	s_add_u32 s3, s8, s0
	s_addc_u32 s8, s9, s1
	s_lshl_b64 s[0:1], s[10:11], 1
	s_add_u32 s3, s3, s0
	s_mul_i32 s0, s2, s14
	s_addc_u32 s8, s8, s1
	s_ashr_i32 s1, s0, 31
	v_cmp_gt_i32_e32 vcc, s16, v0
	s_lshl_b64 s[0:1], s[0:1], 1
	s_add_u32 s0, s0, s3
	v_cndmask_b32_e32 v1, 0, v0, vcc
	v_lshlrev_b32_e32 v2, 1, v1
	v_mov_b32_e32 v3, 0
	s_addc_u32 s1, s1, s8
	v_lshl_add_u64 v[4:5], s[0:1], 0, v[2:3]
	s_ashr_i32 s0, s16, 31
	s_lshr_b32 s0, s0, 22
	s_add_i32 s0, s16, s0
	s_and_b32 s0, s0, 0xfffffc00
	v_cmp_gt_i32_e32 vcc, s0, v0
	s_and_saveexec_b64 s[8:9], vcc
	s_cbranch_execz .LBB658_16
; %bb.9:
	s_waitcnt lgkmcnt(0)
	v_mul_lo_u32 v6, v0, s17
	s_lshl_b32 s1, s17, 10
	s_mov_b64 s[10:11], 0
	v_mov_b32_e32 v1, 0
	s_mov_b32 s3, 0x7f800000
	s_movk_i32 s18, 0x7fff
	s_mov_b64 s[12:13], 0x800
	v_mov_b64_e32 v[8:9], v[4:5]
	v_mov_b32_e32 v2, v0
	v_mov_b32_e32 v3, 0
	s_branch .LBB658_11
.LBB658_10:                             ;   in Loop: Header=BB658_11 Depth=1
	s_or_b64 exec, exec, s[14:15]
	v_add_u32_e32 v2, 0x400, v2
	v_and_b32_e32 v7, 0xffff0000, v7
	v_cmp_le_i32_e32 vcc, s0, v2
	v_add_f32_e32 v3, v3, v7
	v_add_u32_e32 v6, s1, v6
	s_or_b64 s[10:11], vcc, s[10:11]
	v_lshl_add_u64 v[8:9], v[8:9], 0, s[12:13]
	s_andn2_b64 exec, exec, s[10:11]
	s_cbranch_execz .LBB658_15
.LBB658_11:                             ; =>This Inner Loop Header: Depth=1
	v_ashrrev_i32_e32 v7, 31, v6
	v_lshl_add_u64 v[10:11], v[6:7], 1, s[4:5]
	global_load_ushort v7, v[10:11], off
	global_load_ushort v12, v[8:9], off
	s_waitcnt vmcnt(1)
	v_lshlrev_b32_e32 v10, 16, v7
	s_waitcnt vmcnt(0)
	v_lshlrev_b32_e32 v12, 16, v12
	v_pk_mul_f32 v[10:11], v[10:11], v[12:13] op_sel_hi:[0,1]
	v_and_b32_e32 v7, 0x7f800000, v10
	v_cmp_ne_u32_e32 vcc, s3, v7
                                        ; implicit-def: $vgpr7
	s_and_saveexec_b64 s[14:15], vcc
	s_xor_b64 s[14:15], exec, s[14:15]
; %bb.12:                               ;   in Loop: Header=BB658_11 Depth=1
	v_bfe_u32 v7, v10, 16, 1
	v_add3_u32 v7, v10, v7, s18
                                        ; implicit-def: $vgpr10_vgpr11
; %bb.13:                               ;   in Loop: Header=BB658_11 Depth=1
	s_andn2_saveexec_b64 s[14:15], s[14:15]
	s_cbranch_execz .LBB658_10
; %bb.14:                               ;   in Loop: Header=BB658_11 Depth=1
	v_or_b32_e32 v7, 0x10000, v10
	v_cmp_eq_u32_sdwa vcc, v10, v1 src0_sel:WORD_0 src1_sel:DWORD
	s_nop 1
	v_cndmask_b32_e32 v7, v7, v10, vcc
	s_branch .LBB658_10
.LBB658_15:
	s_or_b64 exec, exec, s[10:11]
.LBB658_16:
	s_or_b64 exec, exec, s[8:9]
	v_or_b32_e32 v1, s0, v0
	v_cmp_gt_i32_e32 vcc, s16, v1
	s_and_saveexec_b64 s[8:9], vcc
	s_cbranch_execz .LBB658_22
; %bb.17:
	s_ashr_i32 s1, s0, 31
	s_waitcnt lgkmcnt(0)
	v_mul_lo_u32 v6, v1, s17
	v_lshl_add_u64 v[4:5], s[0:1], 1, v[4:5]
	v_ashrrev_i32_e32 v7, 31, v6
	v_lshl_add_u64 v[6:7], v[6:7], 1, s[4:5]
	global_load_ushort v1, v[4:5], off
	global_load_ushort v8, v[6:7], off
	s_mov_b32 s0, 0x7f800000
	s_waitcnt vmcnt(1)
	v_lshlrev_b32_e32 v2, 16, v1
	s_waitcnt vmcnt(0)
	v_lshlrev_b32_e32 v4, 16, v8
	v_pk_mul_f32 v[4:5], v[4:5], v[2:3] op_sel_hi:[0,1]
	v_and_b32_e32 v1, 0x7f800000, v4
	v_cmp_ne_u32_e32 vcc, s0, v1
                                        ; implicit-def: $vgpr1
	s_and_saveexec_b64 s[0:1], vcc
	s_xor_b64 s[0:1], exec, s[0:1]
; %bb.18:
	v_bfe_u32 v1, v4, 16, 1
	s_movk_i32 s3, 0x7fff
	v_add3_u32 v1, v4, v1, s3
                                        ; implicit-def: $vgpr4_vgpr5
; %bb.19:
	s_andn2_saveexec_b64 s[0:1], s[0:1]
; %bb.20:
	v_mov_b32_e32 v1, 0
	v_or_b32_e32 v2, 0x10000, v4
	v_cmp_eq_u32_sdwa vcc, v4, v1 src0_sel:WORD_0 src1_sel:DWORD
	s_nop 1
	v_cndmask_b32_e32 v1, v2, v4, vcc
; %bb.21:
	s_or_b64 exec, exec, s[0:1]
	v_and_b32_e32 v1, 0xffff0000, v1
	v_add_f32_e32 v3, v3, v1
.LBB658_22:
	s_or_b64 exec, exec, s[8:9]
	v_and_b32_e32 v2, 63, v0
	v_cmp_gt_u32_e32 vcc, 64, v0
	v_lshlrev_b32_e32 v1, 2, v2
	s_and_saveexec_b64 s[0:1], vcc
	s_cbranch_execz .LBB658_24
; %bb.23:
	v_mov_b32_e32 v4, 0
	ds_write_b32 v1, v4
.LBB658_24:
	s_or_b64 exec, exec, s[0:1]
	v_mbcnt_lo_u32_b32 v4, -1, 0
	v_mbcnt_hi_u32_b32 v6, -1, v4
	v_and_b32_e32 v7, 63, v6
	v_cmp_gt_u32_e64 s[0:1], 32, v7
	s_waitcnt lgkmcnt(0)
	s_barrier
	v_cndmask_b32_e64 v4, 0, 1, s[0:1]
	v_lshlrev_b32_e32 v4, 5, v4
	v_add_lshl_u32 v4, v4, v6, 2
	ds_bpermute_b32 v4, v4, v3
	v_cmp_gt_u32_e64 s[0:1], 48, v7
	s_waitcnt lgkmcnt(0)
	v_add_f32_e32 v3, v3, v4
	v_cndmask_b32_e64 v5, 0, 1, s[0:1]
	v_lshlrev_b32_e32 v5, 4, v5
	v_add_lshl_u32 v4, v5, v6, 2
	ds_bpermute_b32 v4, v4, v3
	v_cmp_gt_u32_e64 s[0:1], 56, v7
	s_waitcnt lgkmcnt(0)
	v_add_f32_e32 v4, v3, v4
	;; [unrolled: 7-line block ×4, first 2 shown]
	v_cndmask_b32_e64 v9, 0, 1, s[0:1]
	v_lshlrev_b32_e32 v9, 1, v9
	v_add_lshl_u32 v5, v9, v6, 2
	ds_bpermute_b32 v9, v5, v8
	v_cmp_ne_u32_e64 s[0:1], 63, v7
	s_waitcnt lgkmcnt(0)
	v_add_f32_e32 v7, v8, v9
	v_addc_co_u32_e64 v6, s[0:1], 0, v6, s[0:1]
	v_lshlrev_b32_e32 v6, 2, v6
	ds_bpermute_b32 v8, v6, v7
	v_cmp_eq_u32_e64 s[0:1], 0, v2
	s_and_saveexec_b64 s[4:5], s[0:1]
	s_cbranch_execz .LBB658_26
; %bb.25:
	v_lshrrev_b32_e32 v2, 4, v0
	v_and_b32_e32 v2, 60, v2
	s_waitcnt lgkmcnt(0)
	v_add_f32_e32 v7, v7, v8
	ds_write_b32 v2, v7
.LBB658_26:
	s_or_b64 exec, exec, s[4:5]
	v_cmp_gt_u32_e64 s[0:1], 16, v0
	v_mov_b32_e32 v2, 0
	s_waitcnt lgkmcnt(0)
	s_barrier
	s_and_saveexec_b64 s[4:5], s[0:1]
	s_cbranch_execz .LBB658_28
; %bb.27:
	ds_read_b32 v2, v1
	s_or_b64 exec, exec, s[4:5]
	s_and_saveexec_b64 s[0:1], vcc
	s_cbranch_execz .LBB658_30
	s_branch .LBB658_29
.LBB658_28:
	s_or_b64 exec, exec, s[4:5]
	s_and_saveexec_b64 s[0:1], vcc
	s_cbranch_execz .LBB658_30
.LBB658_29:
	s_waitcnt lgkmcnt(0)
	ds_bpermute_b32 v1, v3, v2
	s_waitcnt lgkmcnt(0)
	v_add_f32_e32 v1, v2, v1
	ds_bpermute_b32 v2, v4, v1
	s_waitcnt lgkmcnt(0)
	v_add_f32_e32 v1, v1, v2
	;; [unrolled: 3-line block ×4, first 2 shown]
.LBB658_30:
	s_or_b64 exec, exec, s[0:1]
	v_cmp_eq_u32_e32 vcc, 0, v0
                                        ; implicit-def: $vgpr1
                                        ; implicit-def: $sgpr14_sgpr15
	s_and_saveexec_b64 s[0:1], vcc
	s_cbranch_execz .LBB658_34
; %bb.31:
	v_cmp_eq_f32_e64 s[4:5], s22, 0
	s_mul_i32 s14, s2, s24
	s_waitcnt lgkmcnt(0)
	v_mul_f32_e32 v1, s23, v2
	s_ashr_i32 s15, s14, 31
	s_and_b64 vcc, exec, s[4:5]
	s_cbranch_vccnz .LBB658_33
; %bb.32:
	s_lshl_b64 s[2:3], s[14:15], 2
	s_add_u32 s2, s20, s2
	s_addc_u32 s3, s21, s3
	s_load_dword s2, s[2:3], 0x0
	s_waitcnt lgkmcnt(0)
	v_mov_b32_e32 v0, s2
	v_fmac_f32_e32 v1, s22, v0
.LBB658_33:
	s_or_b64 s[6:7], s[6:7], exec
.LBB658_34:
	s_or_b64 exec, exec, s[0:1]
.LBB658_35:
	s_and_saveexec_b64 s[0:1], s[6:7]
	s_cbranch_execz .LBB658_37
; %bb.36:
	s_lshl_b64 s[0:1], s[14:15], 2
	s_add_u32 s0, s20, s0
	s_addc_u32 s1, s21, s1
	v_mov_b32_e32 v0, 0
	global_store_dword v0, v1, s[0:1]
.LBB658_37:
	s_endpgm
	.section	.rodata,"a",@progbits
	.p2align	6, 0x0
	.amdhsa_kernel _ZL32rocblas_gemvt_warp_reduce_kernelILb1ELi1024Ei16rocblas_bfloat16PKffEviiT3_lPKT2_lT1_lS6_lS7_lS3_lPT4_lS7_li
		.amdhsa_group_segment_fixed_size 256
		.amdhsa_private_segment_fixed_size 0
		.amdhsa_kernarg_size 140
		.amdhsa_user_sgpr_count 2
		.amdhsa_user_sgpr_dispatch_ptr 0
		.amdhsa_user_sgpr_queue_ptr 0
		.amdhsa_user_sgpr_kernarg_segment_ptr 1
		.amdhsa_user_sgpr_dispatch_id 0
		.amdhsa_user_sgpr_kernarg_preload_length 0
		.amdhsa_user_sgpr_kernarg_preload_offset 0
		.amdhsa_user_sgpr_private_segment_size 0
		.amdhsa_uses_dynamic_stack 0
		.amdhsa_enable_private_segment 0
		.amdhsa_system_sgpr_workgroup_id_x 1
		.amdhsa_system_sgpr_workgroup_id_y 0
		.amdhsa_system_sgpr_workgroup_id_z 1
		.amdhsa_system_sgpr_workgroup_info 0
		.amdhsa_system_vgpr_workitem_id 0
		.amdhsa_next_free_vgpr 14
		.amdhsa_next_free_sgpr 32
		.amdhsa_accum_offset 16
		.amdhsa_reserve_vcc 1
		.amdhsa_float_round_mode_32 0
		.amdhsa_float_round_mode_16_64 0
		.amdhsa_float_denorm_mode_32 3
		.amdhsa_float_denorm_mode_16_64 3
		.amdhsa_dx10_clamp 1
		.amdhsa_ieee_mode 1
		.amdhsa_fp16_overflow 0
		.amdhsa_tg_split 0
		.amdhsa_exception_fp_ieee_invalid_op 0
		.amdhsa_exception_fp_denorm_src 0
		.amdhsa_exception_fp_ieee_div_zero 0
		.amdhsa_exception_fp_ieee_overflow 0
		.amdhsa_exception_fp_ieee_underflow 0
		.amdhsa_exception_fp_ieee_inexact 0
		.amdhsa_exception_int_div_zero 0
	.end_amdhsa_kernel
	.section	.text._ZL32rocblas_gemvt_warp_reduce_kernelILb1ELi1024Ei16rocblas_bfloat16PKffEviiT3_lPKT2_lT1_lS6_lS7_lS3_lPT4_lS7_li,"axG",@progbits,_ZL32rocblas_gemvt_warp_reduce_kernelILb1ELi1024Ei16rocblas_bfloat16PKffEviiT3_lPKT2_lT1_lS6_lS7_lS3_lPT4_lS7_li,comdat
.Lfunc_end658:
	.size	_ZL32rocblas_gemvt_warp_reduce_kernelILb1ELi1024Ei16rocblas_bfloat16PKffEviiT3_lPKT2_lT1_lS6_lS7_lS3_lPT4_lS7_li, .Lfunc_end658-_ZL32rocblas_gemvt_warp_reduce_kernelILb1ELi1024Ei16rocblas_bfloat16PKffEviiT3_lPKT2_lT1_lS6_lS7_lS3_lPT4_lS7_li
                                        ; -- End function
	.section	.AMDGPU.csdata,"",@progbits
; Kernel info:
; codeLenInByte = 1584
; NumSgprs: 38
; NumVgprs: 14
; NumAgprs: 0
; TotalNumVgprs: 14
; ScratchSize: 0
; MemoryBound: 0
; FloatMode: 240
; IeeeMode: 1
; LDSByteSize: 256 bytes/workgroup (compile time only)
; SGPRBlocks: 4
; VGPRBlocks: 1
; NumSGPRsForWavesPerEU: 38
; NumVGPRsForWavesPerEU: 14
; AccumOffset: 16
; Occupancy: 8
; WaveLimiterHint : 1
; COMPUTE_PGM_RSRC2:SCRATCH_EN: 0
; COMPUTE_PGM_RSRC2:USER_SGPR: 2
; COMPUTE_PGM_RSRC2:TRAP_HANDLER: 0
; COMPUTE_PGM_RSRC2:TGID_X_EN: 1
; COMPUTE_PGM_RSRC2:TGID_Y_EN: 0
; COMPUTE_PGM_RSRC2:TGID_Z_EN: 1
; COMPUTE_PGM_RSRC2:TIDIG_COMP_CNT: 0
; COMPUTE_PGM_RSRC3_GFX90A:ACCUM_OFFSET: 3
; COMPUTE_PGM_RSRC3_GFX90A:TG_SPLIT: 0
	.section	.text._ZL32rocblas_gemvt_warp_reduce_kernelILb1ELi1024El16rocblas_bfloat16PKffEviiT3_lPKT2_lT1_lS6_lS7_lS3_lPT4_lS7_li,"axG",@progbits,_ZL32rocblas_gemvt_warp_reduce_kernelILb1ELi1024El16rocblas_bfloat16PKffEviiT3_lPKT2_lT1_lS6_lS7_lS3_lPT4_lS7_li,comdat
	.globl	_ZL32rocblas_gemvt_warp_reduce_kernelILb1ELi1024El16rocblas_bfloat16PKffEviiT3_lPKT2_lT1_lS6_lS7_lS3_lPT4_lS7_li ; -- Begin function _ZL32rocblas_gemvt_warp_reduce_kernelILb1ELi1024El16rocblas_bfloat16PKffEviiT3_lPKT2_lT1_lS6_lS7_lS3_lPT4_lS7_li
	.p2align	8
	.type	_ZL32rocblas_gemvt_warp_reduce_kernelILb1ELi1024El16rocblas_bfloat16PKffEviiT3_lPKT2_lT1_lS6_lS7_lS3_lPT4_lS7_li,@function
_ZL32rocblas_gemvt_warp_reduce_kernelILb1ELi1024El16rocblas_bfloat16PKffEviiT3_lPKT2_lT1_lS6_lS7_lS3_lPT4_lS7_li: ; @_ZL32rocblas_gemvt_warp_reduce_kernelILb1ELi1024El16rocblas_bfloat16PKffEviiT3_lPKT2_lT1_lS6_lS7_lS3_lPT4_lS7_li
; %bb.0:
	s_load_dwordx16 s[36:51], s[0:1], 0x8
	s_load_dwordx16 s[8:23], s[0:1], 0x48
	s_waitcnt lgkmcnt(0)
	s_mul_i32 s4, s3, s39
	s_mul_hi_u32 s5, s3, s38
	s_add_i32 s5, s5, s4
	s_mul_i32 s4, s3, s38
	s_lshl_b64 s[4:5], s[4:5], 2
	s_add_u32 s4, s36, s4
	s_addc_u32 s5, s37, s5
	s_load_dword s25, s[4:5], 0x0
	s_mul_i32 s4, s3, s15
	s_mul_hi_u32 s5, s3, s14
	s_add_i32 s5, s5, s4
	s_mul_i32 s4, s3, s14
	s_lshl_b64 s[4:5], s[4:5], 2
	s_add_u32 s4, s12, s4
	s_addc_u32 s5, s13, s5
	s_load_dword s24, s[4:5], 0x0
	s_waitcnt lgkmcnt(0)
	v_cmp_eq_f32_e64 s[4:5], s25, 0
	v_cmp_eq_f32_e64 s[6:7], s24, 1.0
	s_and_b64 s[4:5], s[4:5], s[6:7]
	s_and_b64 vcc, exec, s[4:5]
	s_cbranch_vccnz .LBB659_37
; %bb.1:
	s_mul_i32 s4, s3, s23
	s_mul_hi_u32 s5, s3, s22
	s_add_i32 s5, s5, s4
	s_mul_i32 s4, s3, s22
	s_lshl_b64 s[4:5], s[4:5], 2
	s_add_u32 s6, s16, s4
	s_addc_u32 s7, s17, s5
	s_lshl_b64 s[4:5], s[18:19], 2
	s_add_u32 s22, s6, s4
	s_addc_u32 s23, s7, s5
	v_cmp_neq_f32_e64 s[4:5], s25, 0
	s_and_b64 vcc, exec, s[4:5]
	v_cmp_eq_u32_e64 s[4:5], 0, v0
	s_cbranch_vccnz .LBB659_6
; %bb.2:
	s_mov_b64 s[14:15], 0
	s_mov_b64 s[6:7], 0
                                        ; implicit-def: $vgpr1
                                        ; implicit-def: $sgpr12_sgpr13
	s_and_saveexec_b64 s[16:17], s[4:5]
	s_cbranch_execz .LBB659_7
; %bb.3:
	s_ashr_i32 s6, s2, 31
	s_mul_i32 s7, s2, s21
	s_mul_hi_u32 s12, s2, s20
	v_cmp_eq_f32_e64 s[4:5], s24, 0
	s_add_i32 s7, s12, s7
	s_mul_i32 s6, s6, s20
	v_mov_b32_e32 v1, 0
	s_add_i32 s13, s7, s6
	s_mul_i32 s12, s2, s20
	s_and_b64 vcc, exec, s[4:5]
	s_cbranch_vccnz .LBB659_5
; %bb.4:
	s_lshl_b64 s[4:5], s[12:13], 2
	s_add_u32 s4, s22, s4
	s_addc_u32 s5, s23, s5
	s_load_dword s4, s[4:5], 0x0
	s_waitcnt lgkmcnt(0)
	v_mov_b32_e32 v1, s4
	v_mul_f32_e32 v1, s24, v1
.LBB659_5:
	s_mov_b64 s[6:7], exec
	s_or_b64 exec, exec, s[16:17]
	s_and_b64 vcc, exec, s[14:15]
	s_cbranch_vccnz .LBB659_8
	s_branch .LBB659_35
.LBB659_6:
	s_mov_b64 s[6:7], 0
                                        ; implicit-def: $vgpr1
                                        ; implicit-def: $sgpr12_sgpr13
	s_cbranch_execnz .LBB659_8
	s_branch .LBB659_35
.LBB659_7:
	s_or_b64 exec, exec, s[16:17]
	s_and_b64 vcc, exec, s[14:15]
	s_cbranch_vccz .LBB659_35
.LBB659_8:
	s_mul_i32 s4, s3, s11
	s_mul_hi_u32 s5, s3, s10
	s_add_i32 s5, s5, s4
	s_mul_i32 s4, s3, s10
	s_load_dword s1, s[0:1], 0x0
	s_mul_i32 s0, s3, s47
	s_mul_hi_u32 s10, s3, s46
	s_add_i32 s11, s10, s0
	s_mul_i32 s10, s3, s46
	s_lshl_b64 s[10:11], s[10:11], 1
	s_add_u32 s0, s40, s10
	s_addc_u32 s3, s41, s11
	s_lshl_b64 s[10:11], s[42:43], 1
	s_add_u32 s0, s0, s10
	s_addc_u32 s12, s3, s11
	s_ashr_i32 s3, s2, 31
	s_mul_i32 s10, s2, s45
	s_mul_hi_u32 s11, s2, s44
	s_add_i32 s10, s11, s10
	s_mul_i32 s11, s3, s44
	s_add_i32 s11, s10, s11
	s_mul_i32 s10, s2, s44
	s_lshl_b64 s[10:11], s[10:11], 1
	s_add_u32 s10, s10, s0
	s_addc_u32 s11, s11, s12
	s_waitcnt lgkmcnt(0)
	s_ashr_i32 s0, s1, 31
	v_cmp_gt_i32_e32 vcc, s1, v0
	s_lshr_b32 s0, s0, 22
	s_add_i32 s0, s1, s0
	v_cndmask_b32_e32 v1, 0, v0, vcc
	v_lshlrev_b32_e32 v2, 1, v1
	v_mov_b32_e32 v3, 0
	s_and_b32 s0, s0, 0xfffffc00
	v_lshl_add_u64 v[4:5], s[10:11], 0, v[2:3]
	v_cmp_gt_i32_e32 vcc, s0, v0
	s_and_saveexec_b64 s[10:11], vcc
	s_cbranch_execz .LBB659_16
; %bb.9:
	v_mad_u64_u32 v[2:3], s[14:15], s8, v0, 0
	v_mov_b32_e32 v6, v3
	v_mad_u64_u32 v[6:7], s[14:15], s9, v0, v[6:7]
	s_lshl_b64 s[12:13], s[4:5], 1
	s_lshl_b64 s[14:15], s[50:51], 1
	s_add_u32 s14, s48, s14
	s_addc_u32 s15, s49, s15
	s_add_u32 s12, s14, s12
	v_mov_b32_e32 v3, v6
	s_addc_u32 s13, s15, s13
	v_lshl_add_u64 v[6:7], v[2:3], 1, s[12:13]
	s_lshl_b64 s[14:15], s[8:9], 11
	s_mov_b64 s[12:13], 0
	v_mov_b32_e32 v1, 0
	s_mov_b32 s26, 0x7f800000
	s_movk_i32 s27, 0x7fff
	s_mov_b64 s[16:17], 0x800
	v_mov_b64_e32 v[8:9], v[4:5]
	v_mov_b32_e32 v2, v0
	v_mov_b32_e32 v3, 0
	s_branch .LBB659_11
.LBB659_10:                             ;   in Loop: Header=BB659_11 Depth=1
	s_or_b64 exec, exec, s[18:19]
	v_add_u32_e32 v2, 0x400, v2
	v_and_b32_e32 v10, 0xffff0000, v12
	v_cmp_le_i32_e32 vcc, s0, v2
	v_add_f32_e32 v3, v3, v10
	v_lshl_add_u64 v[8:9], v[8:9], 0, s[16:17]
	s_or_b64 s[12:13], vcc, s[12:13]
	v_lshl_add_u64 v[6:7], v[6:7], 0, s[14:15]
	s_andn2_b64 exec, exec, s[12:13]
	s_cbranch_execz .LBB659_15
.LBB659_11:                             ; =>This Inner Loop Header: Depth=1
	global_load_ushort v10, v[6:7], off
	global_load_ushort v11, v[8:9], off
	s_waitcnt vmcnt(1)
	v_lshlrev_b32_e32 v10, 16, v10
	s_waitcnt vmcnt(0)
	v_lshlrev_b32_e32 v12, 16, v11
	v_pk_mul_f32 v[10:11], v[10:11], v[12:13] op_sel_hi:[0,1]
	v_and_b32_e32 v11, 0x7f800000, v10
	v_cmp_ne_u32_e32 vcc, s26, v11
                                        ; implicit-def: $vgpr12
	s_and_saveexec_b64 s[18:19], vcc
	s_xor_b64 s[18:19], exec, s[18:19]
; %bb.12:                               ;   in Loop: Header=BB659_11 Depth=1
	v_bfe_u32 v11, v10, 16, 1
	v_add3_u32 v12, v10, v11, s27
                                        ; implicit-def: $vgpr10_vgpr11
; %bb.13:                               ;   in Loop: Header=BB659_11 Depth=1
	s_andn2_saveexec_b64 s[18:19], s[18:19]
	s_cbranch_execz .LBB659_10
; %bb.14:                               ;   in Loop: Header=BB659_11 Depth=1
	v_or_b32_e32 v11, 0x10000, v10
	v_cmp_eq_u32_sdwa vcc, v10, v1 src0_sel:WORD_0 src1_sel:DWORD
	s_nop 1
	v_cndmask_b32_e32 v12, v11, v10, vcc
	s_branch .LBB659_10
.LBB659_15:
	s_or_b64 exec, exec, s[12:13]
.LBB659_16:
	s_or_b64 exec, exec, s[10:11]
	v_or_b32_e32 v1, s0, v0
	v_cmp_gt_i32_e32 vcc, s1, v1
	s_and_saveexec_b64 s[10:11], vcc
	s_cbranch_execz .LBB659_22
; %bb.17:
	s_lshl_b64 s[4:5], s[4:5], 1
	s_add_u32 s1, s48, s4
	s_addc_u32 s12, s49, s5
	s_lshl_b64 s[4:5], s[50:51], 1
	s_add_u32 s4, s1, s4
	s_addc_u32 s5, s12, s5
	s_ashr_i32 s1, s0, 31
	v_ashrrev_i32_e32 v2, 31, v1
	v_lshl_add_u64 v[4:5], s[0:1], 1, v[4:5]
	v_mul_lo_u32 v8, v1, s9
	v_mul_lo_u32 v2, v2, s8
	v_mad_u64_u32 v[6:7], s[0:1], v1, s8, 0
	v_add3_u32 v7, v7, v8, v2
	v_lshl_add_u64 v[6:7], v[6:7], 1, s[4:5]
	global_load_ushort v1, v[6:7], off
	global_load_ushort v8, v[4:5], off
	s_mov_b32 s0, 0x7f800000
	s_waitcnt vmcnt(1)
	v_lshlrev_b32_e32 v2, 16, v1
	s_waitcnt vmcnt(0)
	v_lshlrev_b32_e32 v4, 16, v8
	v_pk_mul_f32 v[4:5], v[2:3], v[4:5] op_sel_hi:[0,1]
	v_and_b32_e32 v1, 0x7f800000, v4
	v_cmp_ne_u32_e32 vcc, s0, v1
                                        ; implicit-def: $vgpr1
	s_and_saveexec_b64 s[0:1], vcc
	s_xor_b64 s[0:1], exec, s[0:1]
; %bb.18:
	v_bfe_u32 v1, v4, 16, 1
	s_movk_i32 s4, 0x7fff
	v_add3_u32 v1, v4, v1, s4
                                        ; implicit-def: $vgpr4_vgpr5
; %bb.19:
	s_andn2_saveexec_b64 s[0:1], s[0:1]
; %bb.20:
	v_mov_b32_e32 v1, 0
	v_or_b32_e32 v2, 0x10000, v4
	v_cmp_eq_u32_sdwa vcc, v4, v1 src0_sel:WORD_0 src1_sel:DWORD
	s_nop 1
	v_cndmask_b32_e32 v1, v2, v4, vcc
; %bb.21:
	s_or_b64 exec, exec, s[0:1]
	v_and_b32_e32 v1, 0xffff0000, v1
	v_add_f32_e32 v3, v3, v1
.LBB659_22:
	s_or_b64 exec, exec, s[10:11]
	v_and_b32_e32 v2, 63, v0
	v_cmp_gt_u32_e32 vcc, 64, v0
	v_lshlrev_b32_e32 v1, 2, v2
	s_and_saveexec_b64 s[0:1], vcc
	s_cbranch_execz .LBB659_24
; %bb.23:
	v_mov_b32_e32 v4, 0
	ds_write_b32 v1, v4
.LBB659_24:
	s_or_b64 exec, exec, s[0:1]
	v_mbcnt_lo_u32_b32 v4, -1, 0
	v_mbcnt_hi_u32_b32 v6, -1, v4
	v_and_b32_e32 v7, 63, v6
	v_cmp_gt_u32_e64 s[0:1], 32, v7
	s_waitcnt lgkmcnt(0)
	s_barrier
	v_cndmask_b32_e64 v4, 0, 1, s[0:1]
	v_lshlrev_b32_e32 v4, 5, v4
	v_add_lshl_u32 v4, v4, v6, 2
	ds_bpermute_b32 v4, v4, v3
	v_cmp_gt_u32_e64 s[0:1], 48, v7
	s_waitcnt lgkmcnt(0)
	v_add_f32_e32 v3, v3, v4
	v_cndmask_b32_e64 v5, 0, 1, s[0:1]
	v_lshlrev_b32_e32 v5, 4, v5
	v_add_lshl_u32 v4, v5, v6, 2
	ds_bpermute_b32 v4, v4, v3
	v_cmp_gt_u32_e64 s[0:1], 56, v7
	s_waitcnt lgkmcnt(0)
	v_add_f32_e32 v4, v3, v4
	;; [unrolled: 7-line block ×4, first 2 shown]
	v_cndmask_b32_e64 v9, 0, 1, s[0:1]
	v_lshlrev_b32_e32 v9, 1, v9
	v_add_lshl_u32 v5, v9, v6, 2
	ds_bpermute_b32 v9, v5, v8
	v_cmp_ne_u32_e64 s[0:1], 63, v7
	s_waitcnt lgkmcnt(0)
	v_add_f32_e32 v7, v8, v9
	v_addc_co_u32_e64 v6, s[0:1], 0, v6, s[0:1]
	v_lshlrev_b32_e32 v6, 2, v6
	ds_bpermute_b32 v8, v6, v7
	v_cmp_eq_u32_e64 s[0:1], 0, v2
	s_and_saveexec_b64 s[4:5], s[0:1]
	s_cbranch_execz .LBB659_26
; %bb.25:
	v_lshrrev_b32_e32 v2, 4, v0
	v_and_b32_e32 v2, 60, v2
	s_waitcnt lgkmcnt(0)
	v_add_f32_e32 v7, v7, v8
	ds_write_b32 v2, v7
.LBB659_26:
	s_or_b64 exec, exec, s[4:5]
	v_cmp_gt_u32_e64 s[0:1], 16, v0
	v_mov_b32_e32 v2, 0
	s_waitcnt lgkmcnt(0)
	s_barrier
	s_and_saveexec_b64 s[4:5], s[0:1]
	s_cbranch_execz .LBB659_28
; %bb.27:
	ds_read_b32 v2, v1
	s_or_b64 exec, exec, s[4:5]
	s_and_saveexec_b64 s[0:1], vcc
	s_cbranch_execz .LBB659_30
	s_branch .LBB659_29
.LBB659_28:
	s_or_b64 exec, exec, s[4:5]
	s_and_saveexec_b64 s[0:1], vcc
	s_cbranch_execz .LBB659_30
.LBB659_29:
	s_waitcnt lgkmcnt(0)
	ds_bpermute_b32 v1, v3, v2
	s_waitcnt lgkmcnt(0)
	v_add_f32_e32 v1, v2, v1
	ds_bpermute_b32 v2, v4, v1
	s_waitcnt lgkmcnt(0)
	v_add_f32_e32 v1, v1, v2
	;; [unrolled: 3-line block ×4, first 2 shown]
.LBB659_30:
	s_or_b64 exec, exec, s[0:1]
	v_cmp_eq_u32_e32 vcc, 0, v0
                                        ; implicit-def: $vgpr1
                                        ; implicit-def: $sgpr12_sgpr13
	s_and_saveexec_b64 s[0:1], vcc
	s_cbranch_execz .LBB659_34
; %bb.31:
	s_mul_i32 s8, s2, s21
	s_mul_hi_u32 s9, s2, s20
	v_cmp_eq_f32_e64 s[4:5], s24, 0
	s_add_i32 s8, s9, s8
	s_mul_i32 s3, s3, s20
	s_waitcnt lgkmcnt(0)
	v_mul_f32_e32 v1, s25, v2
	s_add_i32 s13, s8, s3
	s_mul_i32 s12, s2, s20
	s_and_b64 vcc, exec, s[4:5]
	s_cbranch_vccnz .LBB659_33
; %bb.32:
	s_lshl_b64 s[2:3], s[12:13], 2
	s_add_u32 s2, s22, s2
	s_addc_u32 s3, s23, s3
	s_load_dword s2, s[2:3], 0x0
	s_waitcnt lgkmcnt(0)
	v_mov_b32_e32 v0, s2
	v_fmac_f32_e32 v1, s24, v0
.LBB659_33:
	s_or_b64 s[6:7], s[6:7], exec
.LBB659_34:
	s_or_b64 exec, exec, s[0:1]
.LBB659_35:
	s_and_saveexec_b64 s[0:1], s[6:7]
	s_cbranch_execz .LBB659_37
; %bb.36:
	s_lshl_b64 s[0:1], s[12:13], 2
	s_add_u32 s0, s22, s0
	s_addc_u32 s1, s23, s1
	v_mov_b32_e32 v0, 0
	global_store_dword v0, v1, s[0:1]
.LBB659_37:
	s_endpgm
	.section	.rodata,"a",@progbits
	.p2align	6, 0x0
	.amdhsa_kernel _ZL32rocblas_gemvt_warp_reduce_kernelILb1ELi1024El16rocblas_bfloat16PKffEviiT3_lPKT2_lT1_lS6_lS7_lS3_lPT4_lS7_li
		.amdhsa_group_segment_fixed_size 256
		.amdhsa_private_segment_fixed_size 0
		.amdhsa_kernarg_size 140
		.amdhsa_user_sgpr_count 2
		.amdhsa_user_sgpr_dispatch_ptr 0
		.amdhsa_user_sgpr_queue_ptr 0
		.amdhsa_user_sgpr_kernarg_segment_ptr 1
		.amdhsa_user_sgpr_dispatch_id 0
		.amdhsa_user_sgpr_kernarg_preload_length 0
		.amdhsa_user_sgpr_kernarg_preload_offset 0
		.amdhsa_user_sgpr_private_segment_size 0
		.amdhsa_uses_dynamic_stack 0
		.amdhsa_enable_private_segment 0
		.amdhsa_system_sgpr_workgroup_id_x 1
		.amdhsa_system_sgpr_workgroup_id_y 0
		.amdhsa_system_sgpr_workgroup_id_z 1
		.amdhsa_system_sgpr_workgroup_info 0
		.amdhsa_system_vgpr_workitem_id 0
		.amdhsa_next_free_vgpr 14
		.amdhsa_next_free_sgpr 52
		.amdhsa_accum_offset 16
		.amdhsa_reserve_vcc 1
		.amdhsa_float_round_mode_32 0
		.amdhsa_float_round_mode_16_64 0
		.amdhsa_float_denorm_mode_32 3
		.amdhsa_float_denorm_mode_16_64 3
		.amdhsa_dx10_clamp 1
		.amdhsa_ieee_mode 1
		.amdhsa_fp16_overflow 0
		.amdhsa_tg_split 0
		.amdhsa_exception_fp_ieee_invalid_op 0
		.amdhsa_exception_fp_denorm_src 0
		.amdhsa_exception_fp_ieee_div_zero 0
		.amdhsa_exception_fp_ieee_overflow 0
		.amdhsa_exception_fp_ieee_underflow 0
		.amdhsa_exception_fp_ieee_inexact 0
		.amdhsa_exception_int_div_zero 0
	.end_amdhsa_kernel
	.section	.text._ZL32rocblas_gemvt_warp_reduce_kernelILb1ELi1024El16rocblas_bfloat16PKffEviiT3_lPKT2_lT1_lS6_lS7_lS3_lPT4_lS7_li,"axG",@progbits,_ZL32rocblas_gemvt_warp_reduce_kernelILb1ELi1024El16rocblas_bfloat16PKffEviiT3_lPKT2_lT1_lS6_lS7_lS3_lPT4_lS7_li,comdat
.Lfunc_end659:
	.size	_ZL32rocblas_gemvt_warp_reduce_kernelILb1ELi1024El16rocblas_bfloat16PKffEviiT3_lPKT2_lT1_lS6_lS7_lS3_lPT4_lS7_li, .Lfunc_end659-_ZL32rocblas_gemvt_warp_reduce_kernelILb1ELi1024El16rocblas_bfloat16PKffEviiT3_lPKT2_lT1_lS6_lS7_lS3_lPT4_lS7_li
                                        ; -- End function
	.section	.AMDGPU.csdata,"",@progbits
; Kernel info:
; codeLenInByte = 1636
; NumSgprs: 58
; NumVgprs: 14
; NumAgprs: 0
; TotalNumVgprs: 14
; ScratchSize: 0
; MemoryBound: 0
; FloatMode: 240
; IeeeMode: 1
; LDSByteSize: 256 bytes/workgroup (compile time only)
; SGPRBlocks: 7
; VGPRBlocks: 1
; NumSGPRsForWavesPerEU: 58
; NumVGPRsForWavesPerEU: 14
; AccumOffset: 16
; Occupancy: 8
; WaveLimiterHint : 0
; COMPUTE_PGM_RSRC2:SCRATCH_EN: 0
; COMPUTE_PGM_RSRC2:USER_SGPR: 2
; COMPUTE_PGM_RSRC2:TRAP_HANDLER: 0
; COMPUTE_PGM_RSRC2:TGID_X_EN: 1
; COMPUTE_PGM_RSRC2:TGID_Y_EN: 0
; COMPUTE_PGM_RSRC2:TGID_Z_EN: 1
; COMPUTE_PGM_RSRC2:TIDIG_COMP_CNT: 0
; COMPUTE_PGM_RSRC3_GFX90A:ACCUM_OFFSET: 3
; COMPUTE_PGM_RSRC3_GFX90A:TG_SPLIT: 0
	.section	.text._ZL32rocblas_gemvt_warp_reduce_kernelILb1ELi1024Ei16rocblas_bfloat16ffEviiT3_lPKT2_lT1_lS4_lS5_lS1_lPT4_lS5_li,"axG",@progbits,_ZL32rocblas_gemvt_warp_reduce_kernelILb1ELi1024Ei16rocblas_bfloat16ffEviiT3_lPKT2_lT1_lS4_lS5_lS1_lPT4_lS5_li,comdat
	.globl	_ZL32rocblas_gemvt_warp_reduce_kernelILb1ELi1024Ei16rocblas_bfloat16ffEviiT3_lPKT2_lT1_lS4_lS5_lS1_lPT4_lS5_li ; -- Begin function _ZL32rocblas_gemvt_warp_reduce_kernelILb1ELi1024Ei16rocblas_bfloat16ffEviiT3_lPKT2_lT1_lS4_lS5_lS1_lPT4_lS5_li
	.p2align	8
	.type	_ZL32rocblas_gemvt_warp_reduce_kernelILb1ELi1024Ei16rocblas_bfloat16ffEviiT3_lPKT2_lT1_lS4_lS5_lS1_lPT4_lS5_li,@function
_ZL32rocblas_gemvt_warp_reduce_kernelILb1ELi1024Ei16rocblas_bfloat16ffEviiT3_lPKT2_lT1_lS4_lS5_lS1_lPT4_lS5_li: ; @_ZL32rocblas_gemvt_warp_reduce_kernelILb1ELi1024Ei16rocblas_bfloat16ffEviiT3_lPKT2_lT1_lS4_lS5_lS1_lPT4_lS5_li
; %bb.0:
	s_load_dword s19, s[0:1], 0x8
	s_load_dword s18, s[0:1], 0x58
	s_waitcnt lgkmcnt(0)
	v_cmp_eq_f32_e64 s[4:5], s19, 0
	v_cmp_eq_f32_e64 s[6:7], s18, 1.0
	s_and_b64 s[4:5], s[4:5], s[6:7]
	s_and_b64 vcc, exec, s[4:5]
	s_cbranch_vccnz .LBB660_37
; %bb.1:
	s_load_dwordx2 s[8:9], s[0:1], 0x80
	s_load_dwordx4 s[4:7], s[0:1], 0x68
	s_load_dword s20, s[0:1], 0x78
	s_waitcnt lgkmcnt(0)
	s_mul_i32 s9, s3, s9
	s_mul_hi_u32 s10, s3, s8
	s_mul_i32 s8, s3, s8
	s_add_i32 s9, s10, s9
	s_lshl_b64 s[8:9], s[8:9], 2
	s_add_u32 s8, s4, s8
	s_addc_u32 s9, s5, s9
	s_lshl_b64 s[4:5], s[6:7], 2
	s_add_u32 s16, s8, s4
	s_addc_u32 s17, s9, s5
	v_cmp_neq_f32_e64 s[4:5], s19, 0
	s_and_b64 vcc, exec, s[4:5]
	v_cmp_eq_u32_e64 s[4:5], 0, v0
	s_cbranch_vccnz .LBB660_6
; %bb.2:
	s_mov_b64 s[10:11], 0
	s_mov_b64 s[6:7], 0
                                        ; implicit-def: $vgpr1
                                        ; implicit-def: $sgpr8_sgpr9
	s_and_saveexec_b64 s[12:13], s[4:5]
	s_cbranch_execz .LBB660_7
; %bb.3:
	v_cmp_eq_f32_e64 s[4:5], s18, 0
	s_mul_i32 s8, s2, s20
	v_mov_b32_e32 v1, 0
	s_ashr_i32 s9, s8, 31
	s_and_b64 vcc, exec, s[4:5]
	s_cbranch_vccnz .LBB660_5
; %bb.4:
	s_lshl_b64 s[4:5], s[8:9], 2
	s_add_u32 s4, s16, s4
	s_addc_u32 s5, s17, s5
	s_load_dword s4, s[4:5], 0x0
	v_mov_b32_e32 v1, s18
	s_waitcnt lgkmcnt(0)
	v_mul_f32_e32 v1, s4, v1
.LBB660_5:
	s_mov_b64 s[6:7], exec
	s_or_b64 exec, exec, s[12:13]
	s_and_b64 vcc, exec, s[10:11]
	s_cbranch_vccnz .LBB660_8
	s_branch .LBB660_35
.LBB660_6:
	s_mov_b64 s[6:7], 0
                                        ; implicit-def: $vgpr1
                                        ; implicit-def: $sgpr8_sgpr9
	s_cbranch_execnz .LBB660_8
	s_branch .LBB660_35
.LBB660_7:
	s_or_b64 exec, exec, s[12:13]
	s_and_b64 vcc, exec, s[10:11]
	s_cbranch_vccz .LBB660_35
.LBB660_8:
	s_load_dwordx2 s[22:23], s[0:1], 0x50
	s_load_dword s5, s[0:1], 0x0
	s_load_dwordx4 s[8:11], s[0:1], 0x18
	s_load_dword s4, s[0:1], 0x28
	s_load_dwordx4 s[12:15], s[0:1], 0x30
	s_load_dwordx2 s[24:25], s[0:1], 0x40
	s_load_dword s21, s[0:1], 0x48
	s_waitcnt lgkmcnt(0)
	s_mul_i32 s0, s3, s23
	s_mul_hi_u32 s1, s3, s22
	s_add_i32 s1, s1, s0
	s_mul_i32 s0, s3, s22
	s_lshl_b64 s[0:1], s[0:1], 1
	s_add_u32 s14, s14, s0
	s_addc_u32 s15, s15, s1
	s_lshl_b64 s[0:1], s[24:25], 1
	s_add_u32 s0, s14, s0
	s_mul_i32 s13, s3, s13
	s_mul_hi_u32 s14, s3, s12
	s_addc_u32 s1, s15, s1
	s_add_i32 s13, s14, s13
	s_mul_i32 s12, s3, s12
	s_lshl_b64 s[12:13], s[12:13], 1
	s_add_u32 s3, s8, s12
	s_addc_u32 s12, s9, s13
	s_lshl_b64 s[8:9], s[10:11], 1
	s_add_u32 s3, s3, s8
	s_mul_i32 s8, s2, s4
	s_addc_u32 s10, s12, s9
	s_ashr_i32 s9, s8, 31
	s_lshl_b64 s[8:9], s[8:9], 1
	s_add_u32 s8, s8, s3
	s_addc_u32 s9, s9, s10
	s_ashr_i32 s3, s5, 31
	v_cmp_gt_i32_e32 vcc, s5, v0
	s_lshr_b32 s3, s3, 22
	s_add_i32 s3, s5, s3
	v_cndmask_b32_e32 v1, 0, v0, vcc
	v_lshlrev_b32_e32 v2, 1, v1
	v_mov_b32_e32 v3, 0
	s_and_b32 s4, s3, 0xfffffc00
	v_lshl_add_u64 v[4:5], s[8:9], 0, v[2:3]
	v_cmp_gt_i32_e32 vcc, s4, v0
	s_and_saveexec_b64 s[8:9], vcc
	s_cbranch_execz .LBB660_16
; %bb.9:
	v_mul_lo_u32 v6, v0, s21
	s_lshl_b32 s3, s21, 10
	s_mov_b64 s[10:11], 0
	v_mov_b32_e32 v1, 0
	s_mov_b32 s22, 0x7f800000
	s_movk_i32 s23, 0x7fff
	s_mov_b64 s[12:13], 0x800
	v_mov_b64_e32 v[8:9], v[4:5]
	v_mov_b32_e32 v2, v0
	v_mov_b32_e32 v3, 0
	s_branch .LBB660_11
.LBB660_10:                             ;   in Loop: Header=BB660_11 Depth=1
	s_or_b64 exec, exec, s[14:15]
	v_add_u32_e32 v2, 0x400, v2
	v_and_b32_e32 v7, 0xffff0000, v7
	v_cmp_le_i32_e32 vcc, s4, v2
	v_add_f32_e32 v3, v3, v7
	v_add_u32_e32 v6, s3, v6
	s_or_b64 s[10:11], vcc, s[10:11]
	v_lshl_add_u64 v[8:9], v[8:9], 0, s[12:13]
	s_andn2_b64 exec, exec, s[10:11]
	s_cbranch_execz .LBB660_15
.LBB660_11:                             ; =>This Inner Loop Header: Depth=1
	v_ashrrev_i32_e32 v7, 31, v6
	v_lshl_add_u64 v[10:11], v[6:7], 1, s[0:1]
	global_load_ushort v7, v[10:11], off
	global_load_ushort v12, v[8:9], off
	s_waitcnt vmcnt(1)
	v_lshlrev_b32_e32 v10, 16, v7
	s_waitcnt vmcnt(0)
	v_lshlrev_b32_e32 v12, 16, v12
	v_pk_mul_f32 v[10:11], v[10:11], v[12:13] op_sel_hi:[0,1]
	v_and_b32_e32 v7, 0x7f800000, v10
	v_cmp_ne_u32_e32 vcc, s22, v7
                                        ; implicit-def: $vgpr7
	s_and_saveexec_b64 s[14:15], vcc
	s_xor_b64 s[14:15], exec, s[14:15]
; %bb.12:                               ;   in Loop: Header=BB660_11 Depth=1
	v_bfe_u32 v7, v10, 16, 1
	v_add3_u32 v7, v10, v7, s23
                                        ; implicit-def: $vgpr10_vgpr11
; %bb.13:                               ;   in Loop: Header=BB660_11 Depth=1
	s_andn2_saveexec_b64 s[14:15], s[14:15]
	s_cbranch_execz .LBB660_10
; %bb.14:                               ;   in Loop: Header=BB660_11 Depth=1
	v_or_b32_e32 v7, 0x10000, v10
	v_cmp_eq_u32_sdwa vcc, v10, v1 src0_sel:WORD_0 src1_sel:DWORD
	s_nop 1
	v_cndmask_b32_e32 v7, v7, v10, vcc
	s_branch .LBB660_10
.LBB660_15:
	s_or_b64 exec, exec, s[10:11]
.LBB660_16:
	s_or_b64 exec, exec, s[8:9]
	v_or_b32_e32 v1, s4, v0
	v_cmp_gt_i32_e32 vcc, s5, v1
	s_and_saveexec_b64 s[8:9], vcc
	s_cbranch_execz .LBB660_22
; %bb.17:
	s_ashr_i32 s5, s4, 31
	v_mul_lo_u32 v6, v1, s21
	v_lshl_add_u64 v[4:5], s[4:5], 1, v[4:5]
	v_ashrrev_i32_e32 v7, 31, v6
	v_lshl_add_u64 v[6:7], v[6:7], 1, s[0:1]
	global_load_ushort v1, v[4:5], off
	global_load_ushort v8, v[6:7], off
	s_mov_b32 s0, 0x7f800000
	s_waitcnt vmcnt(1)
	v_lshlrev_b32_e32 v2, 16, v1
	s_waitcnt vmcnt(0)
	v_lshlrev_b32_e32 v4, 16, v8
	v_pk_mul_f32 v[4:5], v[4:5], v[2:3] op_sel_hi:[0,1]
	v_and_b32_e32 v1, 0x7f800000, v4
	v_cmp_ne_u32_e32 vcc, s0, v1
                                        ; implicit-def: $vgpr1
	s_and_saveexec_b64 s[0:1], vcc
	s_xor_b64 s[0:1], exec, s[0:1]
; %bb.18:
	v_bfe_u32 v1, v4, 16, 1
	s_movk_i32 s3, 0x7fff
	v_add3_u32 v1, v4, v1, s3
                                        ; implicit-def: $vgpr4_vgpr5
; %bb.19:
	s_andn2_saveexec_b64 s[0:1], s[0:1]
; %bb.20:
	v_mov_b32_e32 v1, 0
	v_or_b32_e32 v2, 0x10000, v4
	v_cmp_eq_u32_sdwa vcc, v4, v1 src0_sel:WORD_0 src1_sel:DWORD
	s_nop 1
	v_cndmask_b32_e32 v1, v2, v4, vcc
; %bb.21:
	s_or_b64 exec, exec, s[0:1]
	v_and_b32_e32 v1, 0xffff0000, v1
	v_add_f32_e32 v3, v3, v1
.LBB660_22:
	s_or_b64 exec, exec, s[8:9]
	v_and_b32_e32 v2, 63, v0
	v_cmp_gt_u32_e32 vcc, 64, v0
	v_lshlrev_b32_e32 v1, 2, v2
	s_and_saveexec_b64 s[0:1], vcc
	s_cbranch_execz .LBB660_24
; %bb.23:
	v_mov_b32_e32 v4, 0
	ds_write_b32 v1, v4
.LBB660_24:
	s_or_b64 exec, exec, s[0:1]
	v_mbcnt_lo_u32_b32 v4, -1, 0
	v_mbcnt_hi_u32_b32 v6, -1, v4
	v_and_b32_e32 v7, 63, v6
	v_cmp_gt_u32_e64 s[0:1], 32, v7
	s_waitcnt lgkmcnt(0)
	s_barrier
	v_cndmask_b32_e64 v4, 0, 1, s[0:1]
	v_lshlrev_b32_e32 v4, 5, v4
	v_add_lshl_u32 v4, v4, v6, 2
	ds_bpermute_b32 v4, v4, v3
	v_cmp_gt_u32_e64 s[0:1], 48, v7
	s_waitcnt lgkmcnt(0)
	v_add_f32_e32 v3, v3, v4
	v_cndmask_b32_e64 v5, 0, 1, s[0:1]
	v_lshlrev_b32_e32 v5, 4, v5
	v_add_lshl_u32 v4, v5, v6, 2
	ds_bpermute_b32 v4, v4, v3
	v_cmp_gt_u32_e64 s[0:1], 56, v7
	s_waitcnt lgkmcnt(0)
	v_add_f32_e32 v4, v3, v4
	;; [unrolled: 7-line block ×4, first 2 shown]
	v_cndmask_b32_e64 v9, 0, 1, s[0:1]
	v_lshlrev_b32_e32 v9, 1, v9
	v_add_lshl_u32 v5, v9, v6, 2
	ds_bpermute_b32 v9, v5, v8
	v_cmp_ne_u32_e64 s[0:1], 63, v7
	s_waitcnt lgkmcnt(0)
	v_add_f32_e32 v7, v8, v9
	v_addc_co_u32_e64 v6, s[0:1], 0, v6, s[0:1]
	v_lshlrev_b32_e32 v6, 2, v6
	ds_bpermute_b32 v8, v6, v7
	v_cmp_eq_u32_e64 s[0:1], 0, v2
	s_and_saveexec_b64 s[4:5], s[0:1]
	s_cbranch_execz .LBB660_26
; %bb.25:
	v_lshrrev_b32_e32 v2, 4, v0
	v_and_b32_e32 v2, 60, v2
	s_waitcnt lgkmcnt(0)
	v_add_f32_e32 v7, v7, v8
	ds_write_b32 v2, v7
.LBB660_26:
	s_or_b64 exec, exec, s[4:5]
	v_cmp_gt_u32_e64 s[0:1], 16, v0
	v_mov_b32_e32 v2, 0
	s_waitcnt lgkmcnt(0)
	s_barrier
	s_and_saveexec_b64 s[4:5], s[0:1]
	s_cbranch_execz .LBB660_28
; %bb.27:
	ds_read_b32 v2, v1
	s_or_b64 exec, exec, s[4:5]
	s_and_saveexec_b64 s[0:1], vcc
	s_cbranch_execz .LBB660_30
	s_branch .LBB660_29
.LBB660_28:
	s_or_b64 exec, exec, s[4:5]
	s_and_saveexec_b64 s[0:1], vcc
	s_cbranch_execz .LBB660_30
.LBB660_29:
	s_waitcnt lgkmcnt(0)
	ds_bpermute_b32 v1, v3, v2
	s_waitcnt lgkmcnt(0)
	v_add_f32_e32 v1, v2, v1
	ds_bpermute_b32 v2, v4, v1
	s_waitcnt lgkmcnt(0)
	v_add_f32_e32 v1, v1, v2
	;; [unrolled: 3-line block ×4, first 2 shown]
.LBB660_30:
	s_or_b64 exec, exec, s[0:1]
	v_cmp_eq_u32_e32 vcc, 0, v0
                                        ; implicit-def: $vgpr1
                                        ; implicit-def: $sgpr8_sgpr9
	s_and_saveexec_b64 s[0:1], vcc
	s_cbranch_execz .LBB660_34
; %bb.31:
	v_cmp_eq_f32_e64 s[4:5], s18, 0
	s_mul_i32 s8, s2, s20
	s_waitcnt lgkmcnt(0)
	v_mul_f32_e32 v1, s19, v2
	s_ashr_i32 s9, s8, 31
	s_and_b64 vcc, exec, s[4:5]
	s_cbranch_vccnz .LBB660_33
; %bb.32:
	s_lshl_b64 s[2:3], s[8:9], 2
	s_add_u32 s2, s16, s2
	s_addc_u32 s3, s17, s3
	s_load_dword s2, s[2:3], 0x0
	v_mov_b32_e32 v0, s18
	s_waitcnt lgkmcnt(0)
	v_fmac_f32_e32 v1, s2, v0
.LBB660_33:
	s_or_b64 s[6:7], s[6:7], exec
.LBB660_34:
	s_or_b64 exec, exec, s[0:1]
.LBB660_35:
	s_and_saveexec_b64 s[0:1], s[6:7]
	s_cbranch_execz .LBB660_37
; %bb.36:
	s_lshl_b64 s[0:1], s[8:9], 2
	s_add_u32 s0, s16, s0
	s_addc_u32 s1, s17, s1
	v_mov_b32_e32 v0, 0
	global_store_dword v0, v1, s[0:1]
.LBB660_37:
	s_endpgm
	.section	.rodata,"a",@progbits
	.p2align	6, 0x0
	.amdhsa_kernel _ZL32rocblas_gemvt_warp_reduce_kernelILb1ELi1024Ei16rocblas_bfloat16ffEviiT3_lPKT2_lT1_lS4_lS5_lS1_lPT4_lS5_li
		.amdhsa_group_segment_fixed_size 256
		.amdhsa_private_segment_fixed_size 0
		.amdhsa_kernarg_size 140
		.amdhsa_user_sgpr_count 2
		.amdhsa_user_sgpr_dispatch_ptr 0
		.amdhsa_user_sgpr_queue_ptr 0
		.amdhsa_user_sgpr_kernarg_segment_ptr 1
		.amdhsa_user_sgpr_dispatch_id 0
		.amdhsa_user_sgpr_kernarg_preload_length 0
		.amdhsa_user_sgpr_kernarg_preload_offset 0
		.amdhsa_user_sgpr_private_segment_size 0
		.amdhsa_uses_dynamic_stack 0
		.amdhsa_enable_private_segment 0
		.amdhsa_system_sgpr_workgroup_id_x 1
		.amdhsa_system_sgpr_workgroup_id_y 0
		.amdhsa_system_sgpr_workgroup_id_z 1
		.amdhsa_system_sgpr_workgroup_info 0
		.amdhsa_system_vgpr_workitem_id 0
		.amdhsa_next_free_vgpr 14
		.amdhsa_next_free_sgpr 26
		.amdhsa_accum_offset 16
		.amdhsa_reserve_vcc 1
		.amdhsa_float_round_mode_32 0
		.amdhsa_float_round_mode_16_64 0
		.amdhsa_float_denorm_mode_32 3
		.amdhsa_float_denorm_mode_16_64 3
		.amdhsa_dx10_clamp 1
		.amdhsa_ieee_mode 1
		.amdhsa_fp16_overflow 0
		.amdhsa_tg_split 0
		.amdhsa_exception_fp_ieee_invalid_op 0
		.amdhsa_exception_fp_denorm_src 0
		.amdhsa_exception_fp_ieee_div_zero 0
		.amdhsa_exception_fp_ieee_overflow 0
		.amdhsa_exception_fp_ieee_underflow 0
		.amdhsa_exception_fp_ieee_inexact 0
		.amdhsa_exception_int_div_zero 0
	.end_amdhsa_kernel
	.section	.text._ZL32rocblas_gemvt_warp_reduce_kernelILb1ELi1024Ei16rocblas_bfloat16ffEviiT3_lPKT2_lT1_lS4_lS5_lS1_lPT4_lS5_li,"axG",@progbits,_ZL32rocblas_gemvt_warp_reduce_kernelILb1ELi1024Ei16rocblas_bfloat16ffEviiT3_lPKT2_lT1_lS4_lS5_lS1_lPT4_lS5_li,comdat
.Lfunc_end660:
	.size	_ZL32rocblas_gemvt_warp_reduce_kernelILb1ELi1024Ei16rocblas_bfloat16ffEviiT3_lPKT2_lT1_lS4_lS5_lS1_lPT4_lS5_li, .Lfunc_end660-_ZL32rocblas_gemvt_warp_reduce_kernelILb1ELi1024Ei16rocblas_bfloat16ffEviiT3_lPKT2_lT1_lS4_lS5_lS1_lPT4_lS5_li
                                        ; -- End function
	.section	.AMDGPU.csdata,"",@progbits
; Kernel info:
; codeLenInByte = 1516
; NumSgprs: 32
; NumVgprs: 14
; NumAgprs: 0
; TotalNumVgprs: 14
; ScratchSize: 0
; MemoryBound: 0
; FloatMode: 240
; IeeeMode: 1
; LDSByteSize: 256 bytes/workgroup (compile time only)
; SGPRBlocks: 3
; VGPRBlocks: 1
; NumSGPRsForWavesPerEU: 32
; NumVGPRsForWavesPerEU: 14
; AccumOffset: 16
; Occupancy: 8
; WaveLimiterHint : 1
; COMPUTE_PGM_RSRC2:SCRATCH_EN: 0
; COMPUTE_PGM_RSRC2:USER_SGPR: 2
; COMPUTE_PGM_RSRC2:TRAP_HANDLER: 0
; COMPUTE_PGM_RSRC2:TGID_X_EN: 1
; COMPUTE_PGM_RSRC2:TGID_Y_EN: 0
; COMPUTE_PGM_RSRC2:TGID_Z_EN: 1
; COMPUTE_PGM_RSRC2:TIDIG_COMP_CNT: 0
; COMPUTE_PGM_RSRC3_GFX90A:ACCUM_OFFSET: 3
; COMPUTE_PGM_RSRC3_GFX90A:TG_SPLIT: 0
	.section	.text._ZL32rocblas_gemvt_warp_reduce_kernelILb1ELi1024El16rocblas_bfloat16ffEviiT3_lPKT2_lT1_lS4_lS5_lS1_lPT4_lS5_li,"axG",@progbits,_ZL32rocblas_gemvt_warp_reduce_kernelILb1ELi1024El16rocblas_bfloat16ffEviiT3_lPKT2_lT1_lS4_lS5_lS1_lPT4_lS5_li,comdat
	.globl	_ZL32rocblas_gemvt_warp_reduce_kernelILb1ELi1024El16rocblas_bfloat16ffEviiT3_lPKT2_lT1_lS4_lS5_lS1_lPT4_lS5_li ; -- Begin function _ZL32rocblas_gemvt_warp_reduce_kernelILb1ELi1024El16rocblas_bfloat16ffEviiT3_lPKT2_lT1_lS4_lS5_lS1_lPT4_lS5_li
	.p2align	8
	.type	_ZL32rocblas_gemvt_warp_reduce_kernelILb1ELi1024El16rocblas_bfloat16ffEviiT3_lPKT2_lT1_lS4_lS5_lS1_lPT4_lS5_li,@function
_ZL32rocblas_gemvt_warp_reduce_kernelILb1ELi1024El16rocblas_bfloat16ffEviiT3_lPKT2_lT1_lS4_lS5_lS1_lPT4_lS5_li: ; @_ZL32rocblas_gemvt_warp_reduce_kernelILb1ELi1024El16rocblas_bfloat16ffEviiT3_lPKT2_lT1_lS4_lS5_lS1_lPT4_lS5_li
; %bb.0:
	s_load_dword s29, s[0:1], 0x8
	s_load_dword s28, s[0:1], 0x58
	s_waitcnt lgkmcnt(0)
	v_cmp_eq_f32_e64 s[4:5], s29, 0
	v_cmp_eq_f32_e64 s[6:7], s28, 1.0
	s_and_b64 s[4:5], s[4:5], s[6:7]
	s_and_b64 vcc, exec, s[4:5]
	s_cbranch_vccnz .LBB661_37
; %bb.1:
	s_load_dwordx8 s[16:23], s[0:1], 0x68
	v_cmp_neq_f32_e64 s[4:5], s29, 0
	s_waitcnt lgkmcnt(0)
	s_mul_i32 s7, s3, s23
	s_mul_hi_u32 s8, s3, s22
	s_mul_i32 s6, s3, s22
	s_add_i32 s7, s8, s7
	s_lshl_b64 s[6:7], s[6:7], 2
	s_add_u32 s8, s16, s6
	s_addc_u32 s9, s17, s7
	s_lshl_b64 s[6:7], s[18:19], 2
	s_add_u32 s26, s8, s6
	s_addc_u32 s27, s9, s7
	s_and_b64 vcc, exec, s[4:5]
	v_cmp_eq_u32_e64 s[4:5], 0, v0
	s_cbranch_vccnz .LBB661_6
; %bb.2:
	s_mov_b64 s[8:9], 0
	s_mov_b64 s[22:23], 0
                                        ; implicit-def: $vgpr1
                                        ; implicit-def: $sgpr6_sgpr7
	s_and_saveexec_b64 s[10:11], s[4:5]
	s_cbranch_execz .LBB661_7
; %bb.3:
	s_ashr_i32 s6, s2, 31
	s_mul_i32 s7, s2, s21
	s_mul_hi_u32 s12, s2, s20
	v_cmp_eq_f32_e64 s[4:5], s28, 0
	s_add_i32 s7, s12, s7
	s_mul_i32 s6, s6, s20
	v_mov_b32_e32 v1, 0
	s_add_i32 s7, s7, s6
	s_mul_i32 s6, s2, s20
	s_and_b64 vcc, exec, s[4:5]
	s_cbranch_vccnz .LBB661_5
; %bb.4:
	s_lshl_b64 s[4:5], s[6:7], 2
	s_add_u32 s4, s26, s4
	s_addc_u32 s5, s27, s5
	s_load_dword s4, s[4:5], 0x0
	v_mov_b32_e32 v1, s28
	s_waitcnt lgkmcnt(0)
	v_mul_f32_e32 v1, s4, v1
.LBB661_5:
	s_mov_b64 s[22:23], exec
	s_or_b64 exec, exec, s[10:11]
	s_and_b64 vcc, exec, s[8:9]
	s_cbranch_vccnz .LBB661_8
	s_branch .LBB661_35
.LBB661_6:
	s_mov_b64 s[22:23], 0
                                        ; implicit-def: $vgpr1
                                        ; implicit-def: $sgpr6_sgpr7
	s_cbranch_execnz .LBB661_8
	s_branch .LBB661_35
.LBB661_7:
	s_or_b64 exec, exec, s[10:11]
	s_and_b64 vcc, exec, s[8:9]
	s_cbranch_vccz .LBB661_35
.LBB661_8:
	s_load_dwordx16 s[4:19], s[0:1], 0x18
	s_load_dword s30, s[0:1], 0x0
	v_mov_b32_e32 v3, 0
	s_waitcnt lgkmcnt(0)
	s_mul_i32 s1, s3, s19
	s_mul_hi_u32 s19, s3, s18
	s_mul_i32 s0, s3, s18
	s_mul_i32 s11, s3, s11
	s_mul_hi_u32 s18, s3, s10
	s_add_i32 s11, s18, s11
	s_mul_i32 s10, s3, s10
	s_add_i32 s1, s19, s1
	s_lshl_b64 s[10:11], s[10:11], 1
	s_add_u32 s3, s4, s10
	s_addc_u32 s10, s5, s11
	s_lshl_b64 s[4:5], s[6:7], 1
	s_add_u32 s6, s3, s4
	s_addc_u32 s7, s10, s5
	s_ashr_i32 s3, s2, 31
	s_mul_i32 s4, s2, s9
	s_mul_hi_u32 s5, s2, s8
	s_add_i32 s4, s5, s4
	s_mul_i32 s5, s3, s8
	s_add_i32 s5, s4, s5
	s_mul_i32 s4, s2, s8
	v_cmp_gt_i32_e32 vcc, s30, v0
	s_lshl_b64 s[4:5], s[4:5], 1
	s_add_u32 s4, s4, s6
	v_cndmask_b32_e32 v1, 0, v0, vcc
	v_lshlrev_b32_e32 v2, 1, v1
	s_addc_u32 s5, s5, s7
	v_lshl_add_u64 v[4:5], s[4:5], 0, v[2:3]
	s_ashr_i32 s4, s30, 31
	s_lshr_b32 s4, s4, 22
	s_add_i32 s4, s30, s4
	s_and_b32 s4, s4, 0xfffffc00
	v_cmp_gt_i32_e32 vcc, s4, v0
	s_and_saveexec_b64 s[6:7], vcc
	s_cbranch_execz .LBB661_16
; %bb.9:
	v_mad_u64_u32 v[2:3], s[10:11], s16, v0, 0
	v_mov_b32_e32 v6, v3
	v_mad_u64_u32 v[6:7], s[10:11], s17, v0, v[6:7]
	s_lshl_b64 s[8:9], s[0:1], 1
	s_lshl_b64 s[10:11], s[14:15], 1
	s_add_u32 s5, s12, s10
	s_addc_u32 s10, s13, s11
	s_add_u32 s8, s5, s8
	v_mov_b32_e32 v3, v6
	s_addc_u32 s9, s10, s9
	v_lshl_add_u64 v[6:7], v[2:3], 1, s[8:9]
	s_lshl_b64 s[10:11], s[16:17], 11
	s_mov_b64 s[8:9], 0
	v_mov_b32_e32 v1, 0
	s_mov_b32 s5, 0x7f800000
	s_movk_i32 s31, 0x7fff
	s_mov_b64 s[18:19], 0x800
	v_mov_b64_e32 v[8:9], v[4:5]
	v_mov_b32_e32 v2, v0
	v_mov_b32_e32 v3, 0
	s_branch .LBB661_11
.LBB661_10:                             ;   in Loop: Header=BB661_11 Depth=1
	s_or_b64 exec, exec, s[24:25]
	v_add_u32_e32 v2, 0x400, v2
	v_and_b32_e32 v10, 0xffff0000, v12
	v_cmp_le_i32_e32 vcc, s4, v2
	v_add_f32_e32 v3, v3, v10
	v_lshl_add_u64 v[8:9], v[8:9], 0, s[18:19]
	s_or_b64 s[8:9], vcc, s[8:9]
	v_lshl_add_u64 v[6:7], v[6:7], 0, s[10:11]
	s_andn2_b64 exec, exec, s[8:9]
	s_cbranch_execz .LBB661_15
.LBB661_11:                             ; =>This Inner Loop Header: Depth=1
	global_load_ushort v10, v[6:7], off
	global_load_ushort v11, v[8:9], off
	s_waitcnt vmcnt(1)
	v_lshlrev_b32_e32 v10, 16, v10
	s_waitcnt vmcnt(0)
	v_lshlrev_b32_e32 v12, 16, v11
	v_pk_mul_f32 v[10:11], v[10:11], v[12:13] op_sel_hi:[0,1]
	v_and_b32_e32 v11, 0x7f800000, v10
	v_cmp_ne_u32_e32 vcc, s5, v11
                                        ; implicit-def: $vgpr12
	s_and_saveexec_b64 s[24:25], vcc
	s_xor_b64 s[24:25], exec, s[24:25]
; %bb.12:                               ;   in Loop: Header=BB661_11 Depth=1
	v_bfe_u32 v11, v10, 16, 1
	v_add3_u32 v12, v10, v11, s31
                                        ; implicit-def: $vgpr10_vgpr11
; %bb.13:                               ;   in Loop: Header=BB661_11 Depth=1
	s_andn2_saveexec_b64 s[24:25], s[24:25]
	s_cbranch_execz .LBB661_10
; %bb.14:                               ;   in Loop: Header=BB661_11 Depth=1
	v_or_b32_e32 v11, 0x10000, v10
	v_cmp_eq_u32_sdwa vcc, v10, v1 src0_sel:WORD_0 src1_sel:DWORD
	s_nop 1
	v_cndmask_b32_e32 v12, v11, v10, vcc
	s_branch .LBB661_10
.LBB661_15:
	s_or_b64 exec, exec, s[8:9]
.LBB661_16:
	s_or_b64 exec, exec, s[6:7]
	v_or_b32_e32 v1, s4, v0
	v_cmp_gt_i32_e32 vcc, s30, v1
	s_and_saveexec_b64 s[6:7], vcc
	s_cbranch_execz .LBB661_22
; %bb.17:
	s_lshl_b64 s[0:1], s[0:1], 1
	s_add_u32 s5, s12, s0
	s_addc_u32 s8, s13, s1
	s_lshl_b64 s[0:1], s[14:15], 1
	s_add_u32 s0, s5, s0
	s_addc_u32 s1, s8, s1
	s_ashr_i32 s5, s4, 31
	v_ashrrev_i32_e32 v2, 31, v1
	v_lshl_add_u64 v[4:5], s[4:5], 1, v[4:5]
	v_mul_lo_u32 v8, v1, s17
	v_mul_lo_u32 v2, v2, s16
	v_mad_u64_u32 v[6:7], s[4:5], v1, s16, 0
	v_add3_u32 v7, v7, v8, v2
	v_lshl_add_u64 v[6:7], v[6:7], 1, s[0:1]
	global_load_ushort v1, v[6:7], off
	global_load_ushort v8, v[4:5], off
	s_mov_b32 s0, 0x7f800000
	s_waitcnt vmcnt(1)
	v_lshlrev_b32_e32 v2, 16, v1
	s_waitcnt vmcnt(0)
	v_lshlrev_b32_e32 v4, 16, v8
	v_pk_mul_f32 v[4:5], v[2:3], v[4:5] op_sel_hi:[0,1]
	v_and_b32_e32 v1, 0x7f800000, v4
	v_cmp_ne_u32_e32 vcc, s0, v1
                                        ; implicit-def: $vgpr1
	s_and_saveexec_b64 s[0:1], vcc
	s_xor_b64 s[0:1], exec, s[0:1]
; %bb.18:
	v_bfe_u32 v1, v4, 16, 1
	s_movk_i32 s4, 0x7fff
	v_add3_u32 v1, v4, v1, s4
                                        ; implicit-def: $vgpr4_vgpr5
; %bb.19:
	s_andn2_saveexec_b64 s[0:1], s[0:1]
; %bb.20:
	v_mov_b32_e32 v1, 0
	v_or_b32_e32 v2, 0x10000, v4
	v_cmp_eq_u32_sdwa vcc, v4, v1 src0_sel:WORD_0 src1_sel:DWORD
	s_nop 1
	v_cndmask_b32_e32 v1, v2, v4, vcc
; %bb.21:
	s_or_b64 exec, exec, s[0:1]
	v_and_b32_e32 v1, 0xffff0000, v1
	v_add_f32_e32 v3, v3, v1
.LBB661_22:
	s_or_b64 exec, exec, s[6:7]
	v_and_b32_e32 v2, 63, v0
	v_cmp_gt_u32_e32 vcc, 64, v0
	v_lshlrev_b32_e32 v1, 2, v2
	s_and_saveexec_b64 s[0:1], vcc
	s_cbranch_execz .LBB661_24
; %bb.23:
	v_mov_b32_e32 v4, 0
	ds_write_b32 v1, v4
.LBB661_24:
	s_or_b64 exec, exec, s[0:1]
	v_mbcnt_lo_u32_b32 v4, -1, 0
	v_mbcnt_hi_u32_b32 v6, -1, v4
	v_and_b32_e32 v7, 63, v6
	v_cmp_gt_u32_e64 s[0:1], 32, v7
	s_waitcnt lgkmcnt(0)
	s_barrier
	v_cndmask_b32_e64 v4, 0, 1, s[0:1]
	v_lshlrev_b32_e32 v4, 5, v4
	v_add_lshl_u32 v4, v4, v6, 2
	ds_bpermute_b32 v4, v4, v3
	v_cmp_gt_u32_e64 s[0:1], 48, v7
	s_waitcnt lgkmcnt(0)
	v_add_f32_e32 v3, v3, v4
	v_cndmask_b32_e64 v5, 0, 1, s[0:1]
	v_lshlrev_b32_e32 v5, 4, v5
	v_add_lshl_u32 v4, v5, v6, 2
	ds_bpermute_b32 v4, v4, v3
	v_cmp_gt_u32_e64 s[0:1], 56, v7
	s_waitcnt lgkmcnt(0)
	v_add_f32_e32 v4, v3, v4
	;; [unrolled: 7-line block ×4, first 2 shown]
	v_cndmask_b32_e64 v9, 0, 1, s[0:1]
	v_lshlrev_b32_e32 v9, 1, v9
	v_add_lshl_u32 v5, v9, v6, 2
	ds_bpermute_b32 v9, v5, v8
	v_cmp_ne_u32_e64 s[0:1], 63, v7
	s_waitcnt lgkmcnt(0)
	v_add_f32_e32 v7, v8, v9
	v_addc_co_u32_e64 v6, s[0:1], 0, v6, s[0:1]
	v_lshlrev_b32_e32 v6, 2, v6
	ds_bpermute_b32 v8, v6, v7
	v_cmp_eq_u32_e64 s[0:1], 0, v2
	s_and_saveexec_b64 s[4:5], s[0:1]
	s_cbranch_execz .LBB661_26
; %bb.25:
	v_lshrrev_b32_e32 v2, 4, v0
	v_and_b32_e32 v2, 60, v2
	s_waitcnt lgkmcnt(0)
	v_add_f32_e32 v7, v7, v8
	ds_write_b32 v2, v7
.LBB661_26:
	s_or_b64 exec, exec, s[4:5]
	v_cmp_gt_u32_e64 s[0:1], 16, v0
	v_mov_b32_e32 v2, 0
	s_waitcnt lgkmcnt(0)
	s_barrier
	s_and_saveexec_b64 s[4:5], s[0:1]
	s_cbranch_execz .LBB661_28
; %bb.27:
	ds_read_b32 v2, v1
	s_or_b64 exec, exec, s[4:5]
	s_and_saveexec_b64 s[0:1], vcc
	s_cbranch_execz .LBB661_30
	s_branch .LBB661_29
.LBB661_28:
	s_or_b64 exec, exec, s[4:5]
	s_and_saveexec_b64 s[0:1], vcc
	s_cbranch_execz .LBB661_30
.LBB661_29:
	s_waitcnt lgkmcnt(0)
	ds_bpermute_b32 v1, v3, v2
	s_waitcnt lgkmcnt(0)
	v_add_f32_e32 v1, v2, v1
	ds_bpermute_b32 v2, v4, v1
	s_waitcnt lgkmcnt(0)
	v_add_f32_e32 v1, v1, v2
	ds_bpermute_b32 v2, v5, v1
	s_waitcnt lgkmcnt(0)
	v_add_f32_e32 v1, v1, v2
	ds_bpermute_b32 v2, v6, v1
	s_waitcnt lgkmcnt(0)
	v_add_f32_e32 v2, v1, v2
.LBB661_30:
	s_or_b64 exec, exec, s[0:1]
	v_cmp_eq_u32_e32 vcc, 0, v0
                                        ; implicit-def: $vgpr1
                                        ; implicit-def: $sgpr6_sgpr7
	s_and_saveexec_b64 s[0:1], vcc
	s_cbranch_execz .LBB661_34
; %bb.31:
	s_mul_i32 s6, s2, s21
	s_mul_hi_u32 s7, s2, s20
	v_cmp_eq_f32_e64 s[4:5], s28, 0
	s_add_i32 s6, s7, s6
	s_mul_i32 s3, s3, s20
	s_waitcnt lgkmcnt(0)
	v_mul_f32_e32 v1, s29, v2
	s_add_i32 s7, s6, s3
	s_mul_i32 s6, s2, s20
	s_and_b64 vcc, exec, s[4:5]
	s_cbranch_vccnz .LBB661_33
; %bb.32:
	s_lshl_b64 s[2:3], s[6:7], 2
	s_add_u32 s2, s26, s2
	s_addc_u32 s3, s27, s3
	s_load_dword s2, s[2:3], 0x0
	v_mov_b32_e32 v0, s28
	s_waitcnt lgkmcnt(0)
	v_fmac_f32_e32 v1, s2, v0
.LBB661_33:
	s_or_b64 s[22:23], s[22:23], exec
.LBB661_34:
	s_or_b64 exec, exec, s[0:1]
.LBB661_35:
	s_and_saveexec_b64 s[0:1], s[22:23]
	s_cbranch_execz .LBB661_37
; %bb.36:
	s_lshl_b64 s[0:1], s[6:7], 2
	s_add_u32 s0, s26, s0
	s_addc_u32 s1, s27, s1
	v_mov_b32_e32 v0, 0
	global_store_dword v0, v1, s[0:1]
.LBB661_37:
	s_endpgm
	.section	.rodata,"a",@progbits
	.p2align	6, 0x0
	.amdhsa_kernel _ZL32rocblas_gemvt_warp_reduce_kernelILb1ELi1024El16rocblas_bfloat16ffEviiT3_lPKT2_lT1_lS4_lS5_lS1_lPT4_lS5_li
		.amdhsa_group_segment_fixed_size 256
		.amdhsa_private_segment_fixed_size 0
		.amdhsa_kernarg_size 140
		.amdhsa_user_sgpr_count 2
		.amdhsa_user_sgpr_dispatch_ptr 0
		.amdhsa_user_sgpr_queue_ptr 0
		.amdhsa_user_sgpr_kernarg_segment_ptr 1
		.amdhsa_user_sgpr_dispatch_id 0
		.amdhsa_user_sgpr_kernarg_preload_length 0
		.amdhsa_user_sgpr_kernarg_preload_offset 0
		.amdhsa_user_sgpr_private_segment_size 0
		.amdhsa_uses_dynamic_stack 0
		.amdhsa_enable_private_segment 0
		.amdhsa_system_sgpr_workgroup_id_x 1
		.amdhsa_system_sgpr_workgroup_id_y 0
		.amdhsa_system_sgpr_workgroup_id_z 1
		.amdhsa_system_sgpr_workgroup_info 0
		.amdhsa_system_vgpr_workitem_id 0
		.amdhsa_next_free_vgpr 14
		.amdhsa_next_free_sgpr 32
		.amdhsa_accum_offset 16
		.amdhsa_reserve_vcc 1
		.amdhsa_float_round_mode_32 0
		.amdhsa_float_round_mode_16_64 0
		.amdhsa_float_denorm_mode_32 3
		.amdhsa_float_denorm_mode_16_64 3
		.amdhsa_dx10_clamp 1
		.amdhsa_ieee_mode 1
		.amdhsa_fp16_overflow 0
		.amdhsa_tg_split 0
		.amdhsa_exception_fp_ieee_invalid_op 0
		.amdhsa_exception_fp_denorm_src 0
		.amdhsa_exception_fp_ieee_div_zero 0
		.amdhsa_exception_fp_ieee_overflow 0
		.amdhsa_exception_fp_ieee_underflow 0
		.amdhsa_exception_fp_ieee_inexact 0
		.amdhsa_exception_int_div_zero 0
	.end_amdhsa_kernel
	.section	.text._ZL32rocblas_gemvt_warp_reduce_kernelILb1ELi1024El16rocblas_bfloat16ffEviiT3_lPKT2_lT1_lS4_lS5_lS1_lPT4_lS5_li,"axG",@progbits,_ZL32rocblas_gemvt_warp_reduce_kernelILb1ELi1024El16rocblas_bfloat16ffEviiT3_lPKT2_lT1_lS4_lS5_lS1_lPT4_lS5_li,comdat
.Lfunc_end661:
	.size	_ZL32rocblas_gemvt_warp_reduce_kernelILb1ELi1024El16rocblas_bfloat16ffEviiT3_lPKT2_lT1_lS4_lS5_lS1_lPT4_lS5_li, .Lfunc_end661-_ZL32rocblas_gemvt_warp_reduce_kernelILb1ELi1024El16rocblas_bfloat16ffEviiT3_lPKT2_lT1_lS4_lS5_lS1_lPT4_lS5_li
                                        ; -- End function
	.section	.AMDGPU.csdata,"",@progbits
; Kernel info:
; codeLenInByte = 1580
; NumSgprs: 38
; NumVgprs: 14
; NumAgprs: 0
; TotalNumVgprs: 14
; ScratchSize: 0
; MemoryBound: 0
; FloatMode: 240
; IeeeMode: 1
; LDSByteSize: 256 bytes/workgroup (compile time only)
; SGPRBlocks: 4
; VGPRBlocks: 1
; NumSGPRsForWavesPerEU: 38
; NumVGPRsForWavesPerEU: 14
; AccumOffset: 16
; Occupancy: 8
; WaveLimiterHint : 1
; COMPUTE_PGM_RSRC2:SCRATCH_EN: 0
; COMPUTE_PGM_RSRC2:USER_SGPR: 2
; COMPUTE_PGM_RSRC2:TRAP_HANDLER: 0
; COMPUTE_PGM_RSRC2:TGID_X_EN: 1
; COMPUTE_PGM_RSRC2:TGID_Y_EN: 0
; COMPUTE_PGM_RSRC2:TGID_Z_EN: 1
; COMPUTE_PGM_RSRC2:TIDIG_COMP_CNT: 0
; COMPUTE_PGM_RSRC3_GFX90A:ACCUM_OFFSET: 3
; COMPUTE_PGM_RSRC3_GFX90A:TG_SPLIT: 0
	.section	.text._ZL34rocblas_gemvn_sm_mn_batched_kernelILi32ELi24EPK16rocblas_bfloat16PKfKPfEviiT2_lPKT1_lilSA_lilS7_lPT3_lili,"axG",@progbits,_ZL34rocblas_gemvn_sm_mn_batched_kernelILi32ELi24EPK16rocblas_bfloat16PKfKPfEviiT2_lPKT1_lilSA_lilS7_lPT3_lili,comdat
	.globl	_ZL34rocblas_gemvn_sm_mn_batched_kernelILi32ELi24EPK16rocblas_bfloat16PKfKPfEviiT2_lPKT1_lilSA_lilS7_lPT3_lili ; -- Begin function _ZL34rocblas_gemvn_sm_mn_batched_kernelILi32ELi24EPK16rocblas_bfloat16PKfKPfEviiT2_lPKT1_lilSA_lilS7_lPT3_lili
	.p2align	8
	.type	_ZL34rocblas_gemvn_sm_mn_batched_kernelILi32ELi24EPK16rocblas_bfloat16PKfKPfEviiT2_lPKT1_lilSA_lilS7_lPT3_lili,@function
_ZL34rocblas_gemvn_sm_mn_batched_kernelILi32ELi24EPK16rocblas_bfloat16PKfKPfEviiT2_lPKT1_lilSA_lilS7_lPT3_lili: ; @_ZL34rocblas_gemvn_sm_mn_batched_kernelILi32ELi24EPK16rocblas_bfloat16PKfKPfEviiT2_lPKT1_lilSA_lilS7_lPT3_lili
; %bb.0:
	s_load_dword s3, s[0:1], 0x9c
	s_load_dword s4, s[0:1], 0x88
	v_bfe_u32 v1, v0, 10, 10
	s_waitcnt lgkmcnt(0)
	s_lshr_b32 s3, s3, 16
	s_mul_i32 s2, s2, s3
	v_add_u32_e32 v2, s2, v1
	v_cmp_gt_i32_e32 vcc, s4, v2
	s_and_saveexec_b64 s[2:3], vcc
	s_cbranch_execz .LBB662_125
; %bb.1:
	s_load_dwordx8 s[12:19], s[0:1], 0x8
	s_load_dwordx8 s[4:11], s[0:1], 0x58
	s_waitcnt lgkmcnt(0)
	v_mad_u64_u32 v[8:9], s[2:3], v2, s14, 0
	v_mov_b32_e32 v10, v9
	v_mad_u64_u32 v[10:11], s[2:3], v2, s15, v[10:11]
	v_mov_b32_e32 v4, s12
	v_mov_b32_e32 v5, s13
	;; [unrolled: 1-line block ×3, first 2 shown]
	v_lshl_add_u64 v[4:5], v[8:9], 2, v[4:5]
	global_load_dword v11, v[4:5], off
	v_mad_u64_u32 v[4:5], s[2:3], v2, s6, 0
	v_mov_b32_e32 v8, v5
	v_mad_u64_u32 v[8:9], s[2:3], v2, s7, v[8:9]
	v_mov_b32_e32 v6, s4
	v_mov_b32_e32 v7, s5
	;; [unrolled: 1-line block ×3, first 2 shown]
	v_lshl_add_u64 v[4:5], v[4:5], 2, v[6:7]
	global_load_dword v10, v[4:5], off
	s_waitcnt vmcnt(1)
	v_cmp_neq_f32_e32 vcc, 0, v11
	s_waitcnt vmcnt(0)
	v_cmp_neq_f32_e64 s[2:3], 1.0, v10
	s_or_b64 s[2:3], vcc, s[2:3]
	s_and_b64 exec, exec, s[2:3]
	s_cbranch_execz .LBB662_125
; %bb.2:
	v_mov_b64_e32 v[6:7], 0
	v_mov_b32_e32 v3, 0
	v_cmp_eq_f32_e32 vcc, 0, v11
	v_cmp_neq_f32_e64 s[2:3], 0, v11
	v_mov_b64_e32 v[4:5], v[6:7]
	s_and_saveexec_b64 s[4:5], s[2:3]
	s_cbranch_execz .LBB662_4
; %bb.3:
	v_mov_b32_e32 v4, s16
	v_mov_b32_e32 v5, s17
	v_lshl_add_u64 v[4:5], v[2:3], 3, v[4:5]
	global_load_dwordx2 v[4:5], v[4:5], off
	s_waitcnt vmcnt(0)
	v_lshl_add_u64 v[4:5], s[18:19], 1, v[4:5]
.LBB662_4:
	s_or_b64 exec, exec, s[4:5]
	s_and_saveexec_b64 s[4:5], s[2:3]
	s_cbranch_execz .LBB662_6
; %bb.5:
	s_load_dwordx4 s[12:15], s[0:1], 0x38
	s_waitcnt lgkmcnt(0)
	v_mov_b32_e32 v6, s12
	v_mov_b32_e32 v7, s13
	v_lshl_add_u64 v[6:7], v[2:3], 3, v[6:7]
	global_load_dwordx2 v[6:7], v[6:7], off
	s_waitcnt vmcnt(0)
	v_lshl_add_u64 v[6:7], s[14:15], 1, v[6:7]
.LBB662_6:
	s_or_b64 exec, exec, s[4:5]
	v_mov_b32_e32 v8, s8
	v_mov_b32_e32 v9, s9
	v_lshl_add_u64 v[2:3], v[2:3], 3, v[8:9]
	global_load_dwordx2 v[2:3], v[2:3], off
	s_load_dwordx2 s[4:5], s[0:1], 0x0
	s_load_dword s33, s[0:1], 0x78
	v_and_b32_e32 v8, 0x3ff, v0
	s_waitcnt vmcnt(0)
	v_lshl_add_u64 v[2:3], s[10:11], 2, v[2:3]
	s_and_saveexec_b64 s[2:3], vcc
	s_xor_b64 s[6:7], exec, s[2:3]
	s_cbranch_execz .LBB662_16
; %bb.7:
	v_cmp_eq_f32_e64 s[2:3], 0, v10
	s_waitcnt lgkmcnt(0)
	v_cmp_gt_i32_e32 vcc, s4, v8
	s_and_saveexec_b64 s[8:9], s[2:3]
	s_xor_b64 s[2:3], exec, s[8:9]
	s_cbranch_execz .LBB662_11
; %bb.8:
	s_and_saveexec_b64 s[8:9], vcc
	s_cbranch_execz .LBB662_10
; %bb.9:
	v_mad_i64_i32 v[0:1], s[10:11], s33, v8, 0
	v_lshl_add_u64 v[0:1], v[0:1], 2, v[2:3]
	v_mov_b32_e32 v2, 0
	global_store_dword v[0:1], v2, off
.LBB662_10:
	s_or_b64 exec, exec, s[8:9]
                                        ; implicit-def: $vgpr8
                                        ; implicit-def: $vgpr2_vgpr3
                                        ; implicit-def: $vgpr10
.LBB662_11:
	s_andn2_saveexec_b64 s[2:3], s[2:3]
	s_cbranch_execz .LBB662_15
; %bb.12:
	s_and_saveexec_b64 s[8:9], vcc
	s_cbranch_execz .LBB662_14
; %bb.13:
	v_mad_i64_i32 v[0:1], s[10:11], s33, v8, 0
	v_lshl_add_u64 v[0:1], v[0:1], 2, v[2:3]
	global_load_dword v2, v[0:1], off
	s_waitcnt vmcnt(0)
	v_mul_f32_e32 v2, v10, v2
	global_store_dword v[0:1], v2, off
.LBB662_14:
	s_or_b64 exec, exec, s[8:9]
.LBB662_15:
	s_or_b64 exec, exec, s[2:3]
                                        ; implicit-def: $vgpr8
                                        ; implicit-def: $vgpr2_vgpr3
                                        ; implicit-def: $vgpr1
                                        ; implicit-def: $vgpr6_vgpr7
                                        ; implicit-def: $vgpr11
                                        ; implicit-def: $vgpr4_vgpr5
                                        ; implicit-def: $vgpr10
.LBB662_16:
	s_andn2_saveexec_b64 s[2:3], s[6:7]
	s_cbranch_execz .LBB662_125
; %bb.17:
	v_lshlrev_b32_e32 v9, 7, v1
	s_waitcnt lgkmcnt(0)
	v_cmp_gt_i32_e32 vcc, s5, v8
	s_and_saveexec_b64 s[2:3], vcc
	s_cbranch_execz .LBB662_23
; %bb.18:
	s_load_dword s6, s[0:1], 0x48
	s_waitcnt lgkmcnt(0)
	v_mad_i64_i32 v[0:1], s[6:7], s6, v8, 0
	v_lshl_add_u64 v[0:1], v[0:1], 1, v[6:7]
	flat_load_ushort v0, v[0:1]
	s_mov_b32 s6, 0x7f800000
	s_waitcnt vmcnt(0) lgkmcnt(0)
	v_lshlrev_b32_e32 v0, 16, v0
	v_mul_f32_e32 v0, v11, v0
	v_and_b32_e32 v1, 0x7f800000, v0
	v_cmp_ne_u32_e32 vcc, s6, v1
                                        ; implicit-def: $vgpr1
	s_and_saveexec_b64 s[6:7], vcc
	s_xor_b64 s[6:7], exec, s[6:7]
; %bb.19:
	v_bfe_u32 v1, v0, 16, 1
	s_movk_i32 s8, 0x7fff
	v_add3_u32 v1, v0, v1, s8
                                        ; implicit-def: $vgpr0
; %bb.20:
	s_andn2_saveexec_b64 s[6:7], s[6:7]
; %bb.21:
	v_mov_b32_e32 v1, 0
	v_or_b32_e32 v6, 0x10000, v0
	v_cmp_eq_u32_sdwa vcc, v0, v1 src0_sel:WORD_0 src1_sel:DWORD
	s_nop 1
	v_cndmask_b32_e32 v1, v6, v0, vcc
; %bb.22:
	s_or_b64 exec, exec, s[6:7]
	v_and_b32_e32 v0, 0xffff0000, v1
	v_lshl_add_u32 v1, v8, 2, v9
	ds_write_b32 v1, v0
.LBB662_23:
	s_or_b64 exec, exec, s[2:3]
	v_cmp_gt_i32_e32 vcc, s4, v8
	s_waitcnt lgkmcnt(0)
	s_barrier
	s_and_saveexec_b64 s[2:3], vcc
	s_cbranch_execz .LBB662_125
; %bb.24:
	v_cmp_neq_f32_e32 vcc, 0, v10
	v_mov_b32_e32 v1, 0
	v_mov_b32_e32 v6, 0
	s_and_saveexec_b64 s[2:3], vcc
	s_cbranch_execz .LBB662_26
; %bb.25:
	v_mad_i64_i32 v[6:7], s[6:7], s33, v8, 0
	v_lshl_add_u64 v[6:7], v[6:7], 2, v[2:3]
	global_load_dword v0, v[6:7], off
	s_waitcnt vmcnt(0)
	v_mul_f32_e32 v6, v10, v0
.LBB662_26:
	s_or_b64 exec, exec, s[2:3]
	v_lshlrev_b32_e32 v0, 1, v8
	s_cmp_gt_i32 s5, 0
	s_cselect_b64 s[2:3], -1, 0
	s_cmp_lt_i32 s5, 1
	v_lshl_add_u64 v[4:5], v[4:5], 0, v[0:1]
	s_cbranch_scc1 .LBB662_28
; %bb.27:
	flat_load_ushort v0, v[4:5]
	s_waitcnt vmcnt(0) lgkmcnt(0)
	v_lshlrev_b32_e32 v1, 16, v0
.LBB662_28:
	s_load_dword s36, s[0:1], 0x28
	v_mov_b32_e32 v0, 0
	v_mov_b32_e32 v15, 0
	s_waitcnt lgkmcnt(0)
	s_ashr_i32 s37, s36, 31
	s_cmp_gt_i32 s5, 1
	s_cselect_b64 s[0:1], -1, 0
	s_cmp_lt_i32 s5, 2
	s_cbranch_scc1 .LBB662_30
; %bb.29:
	v_lshl_add_u64 v[10:11], s[36:37], 1, v[4:5]
	flat_load_ushort v7, v[10:11]
	s_waitcnt vmcnt(0) lgkmcnt(0)
	v_lshlrev_b32_e32 v15, 16, v7
.LBB662_30:
	s_cmp_gt_i32 s5, 2
	s_cselect_b64 s[6:7], -1, 0
	s_cmp_lt_i32 s5, 3
	s_cbranch_scc1 .LBB662_32
; %bb.31:
	v_lshl_add_u64 v[10:11], s[36:37], 2, v[4:5]
	flat_load_ushort v0, v[10:11]
	s_waitcnt vmcnt(0) lgkmcnt(0)
	v_lshlrev_b32_e32 v0, 16, v0
.LBB662_32:
	s_cmp_gt_i32 s5, 3
	s_cselect_b64 s[8:9], -1, 0
	s_cmp_lt_i32 s5, 4
	v_mov_b32_e32 v7, 0
	v_mov_b32_e32 v16, 0
	s_cbranch_scc1 .LBB662_34
; %bb.33:
	v_mad_i64_i32 v[10:11], s[10:11], s36, 6, v[4:5]
	flat_load_ushort v10, v[10:11]
	s_waitcnt vmcnt(0) lgkmcnt(0)
	v_lshlrev_b32_e32 v16, 16, v10
.LBB662_34:
	s_cmp_gt_i32 s5, 4
	s_cselect_b64 s[10:11], -1, 0
	s_cmp_lt_i32 s5, 5
	s_cbranch_scc1 .LBB662_36
; %bb.35:
	v_lshl_add_u64 v[10:11], s[36:37], 3, v[4:5]
	flat_load_ushort v7, v[10:11]
	s_waitcnt vmcnt(0) lgkmcnt(0)
	v_lshlrev_b32_e32 v7, 16, v7
.LBB662_36:
	s_cmp_gt_i32 s5, 5
	s_cselect_b64 s[12:13], -1, 0
	s_cmp_lt_i32 s5, 6
	v_mov_b32_e32 v10, 0
	v_mov_b32_e32 v18, 0
	s_cbranch_scc1 .LBB662_38
; %bb.37:
	v_mad_i64_i32 v[12:13], s[14:15], s36, 10, v[4:5]
	flat_load_ushort v11, v[12:13]
	s_waitcnt vmcnt(0) lgkmcnt(0)
	v_lshlrev_b32_e32 v18, 16, v11
.LBB662_38:
	s_cmp_gt_i32 s5, 6
	s_cselect_b64 s[14:15], -1, 0
	s_cmp_lt_i32 s5, 7
	s_cbranch_scc1 .LBB662_40
; %bb.39:
	v_mad_i64_i32 v[10:11], s[16:17], s36, 12, v[4:5]
	flat_load_ushort v10, v[10:11]
	s_waitcnt vmcnt(0) lgkmcnt(0)
	v_lshlrev_b32_e32 v10, 16, v10
.LBB662_40:
	s_cmp_gt_i32 s5, 7
	s_cselect_b64 s[16:17], -1, 0
	s_cmp_lt_i32 s5, 8
	v_mov_b32_e32 v11, 0
	v_mov_b32_e32 v20, 0
	s_cbranch_scc1 .LBB662_42
; %bb.41:
	v_mad_i64_i32 v[12:13], s[18:19], s36, 14, v[4:5]
	flat_load_ushort v12, v[12:13]
	s_waitcnt vmcnt(0) lgkmcnt(0)
	v_lshlrev_b32_e32 v20, 16, v12
.LBB662_42:
	s_cmp_gt_i32 s5, 8
	s_cselect_b64 s[18:19], -1, 0
	s_cmp_lt_i32 s5, 9
	s_cbranch_scc1 .LBB662_44
; %bb.43:
	v_lshl_add_u64 v[12:13], s[36:37], 4, v[4:5]
	flat_load_ushort v11, v[12:13]
	s_waitcnt vmcnt(0) lgkmcnt(0)
	v_lshlrev_b32_e32 v11, 16, v11
.LBB662_44:
	s_cmp_gt_i32 s5, 9
	s_cselect_b64 s[20:21], -1, 0
	s_cmp_lt_i32 s5, 10
	v_mov_b32_e32 v12, 0
	v_mov_b32_e32 v22, 0
	s_cbranch_scc1 .LBB662_46
; %bb.45:
	v_mad_i64_i32 v[22:23], s[22:23], s36, 18, v[4:5]
	flat_load_ushort v13, v[22:23]
	s_waitcnt vmcnt(0) lgkmcnt(0)
	v_lshlrev_b32_e32 v22, 16, v13
.LBB662_46:
	s_cmp_gt_i32 s5, 10
	s_cselect_b64 s[22:23], -1, 0
	s_cmp_lt_i32 s5, 11
	s_cbranch_scc1 .LBB662_48
; %bb.47:
	v_mad_i64_i32 v[12:13], s[24:25], s36, 20, v[4:5]
	flat_load_ushort v12, v[12:13]
	s_waitcnt vmcnt(0) lgkmcnt(0)
	v_lshlrev_b32_e32 v12, 16, v12
.LBB662_48:
	s_cmp_gt_i32 s5, 11
	s_cselect_b64 s[24:25], -1, 0
	s_cmp_lt_i32 s5, 12
	v_mov_b32_e32 v13, 0
	v_mov_b32_e32 v24, 0
	s_cbranch_scc1 .LBB662_50
; %bb.49:
	v_mad_i64_i32 v[24:25], s[26:27], s36, 22, v[4:5]
	flat_load_ushort v14, v[24:25]
	s_waitcnt vmcnt(0) lgkmcnt(0)
	v_lshlrev_b32_e32 v24, 16, v14
.LBB662_50:
	s_cmp_gt_i32 s5, 12
	s_cselect_b64 s[26:27], -1, 0
	s_cmp_lt_i32 s5, 13
	s_cbranch_scc1 .LBB662_52
; %bb.51:
	v_mad_i64_i32 v[26:27], s[28:29], s36, 24, v[4:5]
	flat_load_ushort v13, v[26:27]
	s_waitcnt vmcnt(0) lgkmcnt(0)
	v_lshlrev_b32_e32 v13, 16, v13
.LBB662_52:
	;; [unrolled: 22-line block ×3, first 2 shown]
	s_cmp_gt_i32 s5, 15
	s_cselect_b64 s[34:35], -1, 0
	s_cmp_lt_i32 s5, 16
	v_mov_b32_e32 v17, 0
	v_mov_b32_e32 v28, 0
	s_cbranch_scc1 .LBB662_58
; %bb.57:
	v_mad_i64_i32 v[28:29], s[38:39], s36, 30, v[4:5]
	flat_load_ushort v19, v[28:29]
	s_waitcnt vmcnt(0) lgkmcnt(0)
	v_lshlrev_b32_e32 v28, 16, v19
.LBB662_58:
	s_cmp_gt_i32 s5, 16
	s_cselect_b64 s[38:39], -1, 0
	s_cmp_lt_i32 s5, 17
	s_cbranch_scc1 .LBB662_60
; %bb.59:
	s_lshl_b64 s[40:41], s[36:37], 5
	v_lshl_add_u64 v[30:31], v[4:5], 0, s[40:41]
	flat_load_ushort v17, v[30:31]
	s_waitcnt vmcnt(0) lgkmcnt(0)
	v_lshlrev_b32_e32 v17, 16, v17
.LBB662_60:
	s_cmp_gt_i32 s5, 17
	s_cselect_b64 s[40:41], -1, 0
	s_cmp_lt_i32 s5, 18
	v_mov_b32_e32 v19, 0
	v_mov_b32_e32 v31, 0
	s_cbranch_scc1 .LBB662_62
; %bb.61:
	v_mad_i64_i32 v[30:31], s[42:43], s36, 34, v[4:5]
	flat_load_ushort v21, v[30:31]
	s_waitcnt vmcnt(0) lgkmcnt(0)
	v_lshlrev_b32_e32 v31, 16, v21
.LBB662_62:
	s_cmp_gt_i32 s5, 18
	s_cselect_b64 s[42:43], -1, 0
	s_cmp_lt_i32 s5, 19
	s_cbranch_scc1 .LBB662_64
; %bb.63:
	v_mad_i64_i32 v[32:33], s[44:45], s36, 36, v[4:5]
	flat_load_ushort v19, v[32:33]
	s_waitcnt vmcnt(0) lgkmcnt(0)
	v_lshlrev_b32_e32 v19, 16, v19
.LBB662_64:
	s_cmp_gt_i32 s5, 19
	s_cselect_b64 s[44:45], -1, 0
	s_cmp_lt_i32 s5, 20
	v_mov_b32_e32 v21, 0
	v_mov_b32_e32 v32, 0
	s_cbranch_scc1 .LBB662_66
; %bb.65:
	v_mad_i64_i32 v[32:33], s[46:47], s36, 38, v[4:5]
	flat_load_ushort v23, v[32:33]
	s_waitcnt vmcnt(0) lgkmcnt(0)
	v_lshlrev_b32_e32 v32, 16, v23
.LBB662_66:
	s_cmp_gt_i32 s5, 20
	s_cselect_b64 s[46:47], -1, 0
	s_cmp_lt_i32 s5, 21
	s_cbranch_scc1 .LBB662_68
; %bb.67:
	v_mad_i64_i32 v[34:35], s[48:49], s36, 40, v[4:5]
	flat_load_ushort v21, v[34:35]
	s_waitcnt vmcnt(0) lgkmcnt(0)
	v_lshlrev_b32_e32 v21, 16, v21
.LBB662_68:
	;; [unrolled: 22-line block ×7, first 2 shown]
	s_cmp_gt_i32 s5, 31
	s_cselect_b64 s[68:69], -1, 0
	s_cmp_lt_i32 s5, 32
	v_mov_b32_e32 v36, 0
	v_mov_b32_e32 v39, 0
	s_cbranch_scc1 .LBB662_90
; %bb.89:
	v_mad_i64_i32 v[4:5], s[4:5], s36, 62, v[4:5]
	flat_load_ushort v4, v[4:5]
	s_waitcnt vmcnt(0) lgkmcnt(0)
	v_lshlrev_b32_e32 v39, 16, v4
.LBB662_90:
	s_andn2_b64 vcc, exec, s[2:3]
	s_cbranch_vccnz .LBB662_92
; %bb.91:
	ds_read_b32 v4, v9
	s_waitcnt lgkmcnt(0)
	v_mul_f32_e32 v36, v1, v4
.LBB662_92:
	s_andn2_b64 vcc, exec, s[0:1]
	v_mov_b32_e32 v1, 0
	v_mov_b32_e32 v4, 0
	s_cbranch_vccz .LBB662_126
; %bb.93:
	s_andn2_b64 vcc, exec, s[6:7]
	s_cbranch_vccz .LBB662_127
.LBB662_94:
	s_andn2_b64 vcc, exec, s[8:9]
	v_mov_b32_e32 v0, 0
	v_mov_b32_e32 v5, 0
	s_cbranch_vccz .LBB662_128
.LBB662_95:
	s_andn2_b64 vcc, exec, s[10:11]
	s_cbranch_vccz .LBB662_129
.LBB662_96:
	s_andn2_b64 vcc, exec, s[12:13]
	v_mov_b32_e32 v7, 0
	v_mov_b32_e32 v15, 0
	s_cbranch_vccz .LBB662_130
.LBB662_97:
	s_andn2_b64 vcc, exec, s[14:15]
	s_cbranch_vccz .LBB662_131
.LBB662_98:
	s_andn2_b64 vcc, exec, s[16:17]
	v_mov_b32_e32 v10, 0
	v_mov_b32_e32 v16, 0
	s_cbranch_vccz .LBB662_132
.LBB662_99:
	s_andn2_b64 vcc, exec, s[18:19]
	s_cbranch_vccz .LBB662_133
.LBB662_100:
	s_andn2_b64 vcc, exec, s[20:21]
	v_mov_b32_e32 v11, 0
	v_mov_b32_e32 v18, 0
	s_cbranch_vccz .LBB662_134
.LBB662_101:
	s_andn2_b64 vcc, exec, s[22:23]
	s_cbranch_vccz .LBB662_135
.LBB662_102:
	s_andn2_b64 vcc, exec, s[24:25]
	v_mov_b32_e32 v12, 0
	v_mov_b32_e32 v20, 0
	s_cbranch_vccz .LBB662_136
.LBB662_103:
	s_andn2_b64 vcc, exec, s[26:27]
	s_cbranch_vccz .LBB662_137
.LBB662_104:
	s_andn2_b64 vcc, exec, s[28:29]
	v_mov_b32_e32 v13, 0
	v_mov_b32_e32 v22, 0
	s_cbranch_vccz .LBB662_138
.LBB662_105:
	s_andn2_b64 vcc, exec, s[30:31]
	s_cbranch_vccz .LBB662_139
.LBB662_106:
	s_andn2_b64 vcc, exec, s[34:35]
	v_mov_b32_e32 v14, 0
	v_mov_b32_e32 v24, 0
	s_cbranch_vccz .LBB662_140
.LBB662_107:
	s_andn2_b64 vcc, exec, s[38:39]
	s_cbranch_vccz .LBB662_141
.LBB662_108:
	s_andn2_b64 vcc, exec, s[40:41]
	v_mov_b32_e32 v17, 0
	v_mov_b32_e32 v26, 0
	s_cbranch_vccz .LBB662_142
.LBB662_109:
	s_andn2_b64 vcc, exec, s[42:43]
	s_cbranch_vccz .LBB662_143
.LBB662_110:
	s_andn2_b64 vcc, exec, s[44:45]
	v_mov_b32_e32 v19, 0
	v_mov_b32_e32 v28, 0
	s_cbranch_vccz .LBB662_144
.LBB662_111:
	s_andn2_b64 vcc, exec, s[46:47]
	s_cbranch_vccz .LBB662_145
.LBB662_112:
	s_andn2_b64 vcc, exec, s[48:49]
	v_mov_b32_e32 v21, 0
	v_mov_b32_e32 v31, 0
	s_cbranch_vccz .LBB662_146
.LBB662_113:
	s_andn2_b64 vcc, exec, s[50:51]
	s_cbranch_vccz .LBB662_147
.LBB662_114:
	s_andn2_b64 vcc, exec, s[52:53]
	v_mov_b32_e32 v23, 0
	v_mov_b32_e32 v32, 0
	s_cbranch_vccz .LBB662_148
.LBB662_115:
	s_andn2_b64 vcc, exec, s[54:55]
	s_cbranch_vccz .LBB662_149
.LBB662_116:
	s_andn2_b64 vcc, exec, s[56:57]
	v_mov_b32_e32 v25, 0
	v_mov_b32_e32 v33, 0
	s_cbranch_vccz .LBB662_150
.LBB662_117:
	s_andn2_b64 vcc, exec, s[58:59]
	s_cbranch_vccz .LBB662_151
.LBB662_118:
	s_andn2_b64 vcc, exec, s[60:61]
	v_mov_b32_e32 v27, 0
	v_mov_b32_e32 v34, 0
	s_cbranch_vccz .LBB662_152
.LBB662_119:
	s_andn2_b64 vcc, exec, s[62:63]
	s_cbranch_vccz .LBB662_153
.LBB662_120:
	s_andn2_b64 vcc, exec, s[64:65]
	v_mov_b32_e32 v29, 0
	v_mov_b32_e32 v35, 0
	s_cbranch_vccz .LBB662_154
.LBB662_121:
	s_andn2_b64 vcc, exec, s[66:67]
	s_cbranch_vccz .LBB662_155
.LBB662_122:
	s_andn2_b64 vcc, exec, s[68:69]
	v_mov_b32_e32 v30, 0
	s_cbranch_vccnz .LBB662_124
.LBB662_123:
	ds_read_b32 v9, v9 offset:124
	s_waitcnt lgkmcnt(0)
	v_mul_f32_e32 v30, v39, v9
.LBB662_124:
	v_add_f32_e32 v6, v6, v36
	v_add_f32_e32 v4, v6, v4
	;; [unrolled: 1-line block ×32, first 2 shown]
	v_mad_i64_i32 v[0:1], s[0:1], s33, v8, 0
	v_lshl_add_u64 v[0:1], v[0:1], 2, v[2:3]
	global_store_dword v[0:1], v4, off
.LBB662_125:
	s_endpgm
.LBB662_126:
	ds_read_b32 v4, v9 offset:4
	s_waitcnt lgkmcnt(0)
	v_mul_f32_e32 v4, v15, v4
	s_andn2_b64 vcc, exec, s[6:7]
	s_cbranch_vccnz .LBB662_94
.LBB662_127:
	ds_read_b32 v1, v9 offset:8
	s_waitcnt lgkmcnt(0)
	v_mul_f32_e32 v1, v0, v1
	s_andn2_b64 vcc, exec, s[8:9]
	v_mov_b32_e32 v0, 0
	v_mov_b32_e32 v5, 0
	s_cbranch_vccnz .LBB662_95
.LBB662_128:
	ds_read_b32 v5, v9 offset:12
	s_waitcnt lgkmcnt(0)
	v_mul_f32_e32 v5, v16, v5
	s_andn2_b64 vcc, exec, s[10:11]
	s_cbranch_vccnz .LBB662_96
.LBB662_129:
	ds_read_b32 v0, v9 offset:16
	s_waitcnt lgkmcnt(0)
	v_mul_f32_e32 v0, v7, v0
	s_andn2_b64 vcc, exec, s[12:13]
	v_mov_b32_e32 v7, 0
	v_mov_b32_e32 v15, 0
	s_cbranch_vccnz .LBB662_97
.LBB662_130:
	ds_read_b32 v15, v9 offset:20
	s_waitcnt lgkmcnt(0)
	v_mul_f32_e32 v15, v18, v15
	s_andn2_b64 vcc, exec, s[14:15]
	s_cbranch_vccnz .LBB662_98
.LBB662_131:
	ds_read_b32 v7, v9 offset:24
	s_waitcnt lgkmcnt(0)
	v_mul_f32_e32 v7, v10, v7
	s_andn2_b64 vcc, exec, s[16:17]
	v_mov_b32_e32 v10, 0
	v_mov_b32_e32 v16, 0
	s_cbranch_vccnz .LBB662_99
.LBB662_132:
	ds_read_b32 v16, v9 offset:28
	s_waitcnt lgkmcnt(0)
	v_mul_f32_e32 v16, v20, v16
	s_andn2_b64 vcc, exec, s[18:19]
	s_cbranch_vccnz .LBB662_100
.LBB662_133:
	ds_read_b32 v10, v9 offset:32
	s_waitcnt lgkmcnt(0)
	v_mul_f32_e32 v10, v11, v10
	s_andn2_b64 vcc, exec, s[20:21]
	v_mov_b32_e32 v11, 0
	v_mov_b32_e32 v18, 0
	s_cbranch_vccnz .LBB662_101
.LBB662_134:
	ds_read_b32 v18, v9 offset:36
	s_waitcnt lgkmcnt(0)
	v_mul_f32_e32 v18, v22, v18
	s_andn2_b64 vcc, exec, s[22:23]
	s_cbranch_vccnz .LBB662_102
.LBB662_135:
	ds_read_b32 v11, v9 offset:40
	s_waitcnt lgkmcnt(0)
	v_mul_f32_e32 v11, v12, v11
	s_andn2_b64 vcc, exec, s[24:25]
	v_mov_b32_e32 v12, 0
	v_mov_b32_e32 v20, 0
	s_cbranch_vccnz .LBB662_103
.LBB662_136:
	ds_read_b32 v20, v9 offset:44
	s_waitcnt lgkmcnt(0)
	v_mul_f32_e32 v20, v24, v20
	s_andn2_b64 vcc, exec, s[26:27]
	s_cbranch_vccnz .LBB662_104
.LBB662_137:
	ds_read_b32 v12, v9 offset:48
	s_waitcnt lgkmcnt(0)
	v_mul_f32_e32 v12, v13, v12
	s_andn2_b64 vcc, exec, s[28:29]
	v_mov_b32_e32 v13, 0
	v_mov_b32_e32 v22, 0
	s_cbranch_vccnz .LBB662_105
.LBB662_138:
	ds_read_b32 v22, v9 offset:52
	s_waitcnt lgkmcnt(0)
	v_mul_f32_e32 v22, v26, v22
	s_andn2_b64 vcc, exec, s[30:31]
	s_cbranch_vccnz .LBB662_106
.LBB662_139:
	ds_read_b32 v13, v9 offset:56
	s_waitcnt lgkmcnt(0)
	v_mul_f32_e32 v13, v14, v13
	s_andn2_b64 vcc, exec, s[34:35]
	v_mov_b32_e32 v14, 0
	v_mov_b32_e32 v24, 0
	s_cbranch_vccnz .LBB662_107
.LBB662_140:
	ds_read_b32 v24, v9 offset:60
	s_waitcnt lgkmcnt(0)
	v_mul_f32_e32 v24, v28, v24
	s_andn2_b64 vcc, exec, s[38:39]
	s_cbranch_vccnz .LBB662_108
.LBB662_141:
	ds_read_b32 v14, v9 offset:64
	s_waitcnt lgkmcnt(0)
	v_mul_f32_e32 v14, v17, v14
	s_andn2_b64 vcc, exec, s[40:41]
	v_mov_b32_e32 v17, 0
	v_mov_b32_e32 v26, 0
	s_cbranch_vccnz .LBB662_109
.LBB662_142:
	ds_read_b32 v26, v9 offset:68
	s_waitcnt lgkmcnt(0)
	v_mul_f32_e32 v26, v31, v26
	s_andn2_b64 vcc, exec, s[42:43]
	s_cbranch_vccnz .LBB662_110
.LBB662_143:
	ds_read_b32 v17, v9 offset:72
	s_waitcnt lgkmcnt(0)
	v_mul_f32_e32 v17, v19, v17
	s_andn2_b64 vcc, exec, s[44:45]
	v_mov_b32_e32 v19, 0
	v_mov_b32_e32 v28, 0
	s_cbranch_vccnz .LBB662_111
.LBB662_144:
	ds_read_b32 v28, v9 offset:76
	s_waitcnt lgkmcnt(0)
	v_mul_f32_e32 v28, v32, v28
	s_andn2_b64 vcc, exec, s[46:47]
	s_cbranch_vccnz .LBB662_112
.LBB662_145:
	ds_read_b32 v19, v9 offset:80
	s_waitcnt lgkmcnt(0)
	v_mul_f32_e32 v19, v21, v19
	s_andn2_b64 vcc, exec, s[48:49]
	v_mov_b32_e32 v21, 0
	v_mov_b32_e32 v31, 0
	s_cbranch_vccnz .LBB662_113
.LBB662_146:
	ds_read_b32 v31, v9 offset:84
	s_waitcnt lgkmcnt(0)
	v_mul_f32_e32 v31, v33, v31
	s_andn2_b64 vcc, exec, s[50:51]
	s_cbranch_vccnz .LBB662_114
.LBB662_147:
	ds_read_b32 v21, v9 offset:88
	s_waitcnt lgkmcnt(0)
	v_mul_f32_e32 v21, v23, v21
	s_andn2_b64 vcc, exec, s[52:53]
	v_mov_b32_e32 v23, 0
	v_mov_b32_e32 v32, 0
	s_cbranch_vccnz .LBB662_115
.LBB662_148:
	ds_read_b32 v32, v9 offset:92
	s_waitcnt lgkmcnt(0)
	v_mul_f32_e32 v32, v34, v32
	s_andn2_b64 vcc, exec, s[54:55]
	s_cbranch_vccnz .LBB662_116
.LBB662_149:
	ds_read_b32 v23, v9 offset:96
	s_waitcnt lgkmcnt(0)
	v_mul_f32_e32 v23, v25, v23
	s_andn2_b64 vcc, exec, s[56:57]
	v_mov_b32_e32 v25, 0
	v_mov_b32_e32 v33, 0
	s_cbranch_vccnz .LBB662_117
.LBB662_150:
	ds_read_b32 v33, v9 offset:100
	s_waitcnt lgkmcnt(0)
	v_mul_f32_e32 v33, v35, v33
	s_andn2_b64 vcc, exec, s[58:59]
	s_cbranch_vccnz .LBB662_118
.LBB662_151:
	ds_read_b32 v25, v9 offset:104
	s_waitcnt lgkmcnt(0)
	v_mul_f32_e32 v25, v27, v25
	s_andn2_b64 vcc, exec, s[60:61]
	v_mov_b32_e32 v27, 0
	v_mov_b32_e32 v34, 0
	s_cbranch_vccnz .LBB662_119
.LBB662_152:
	ds_read_b32 v34, v9 offset:108
	s_waitcnt lgkmcnt(0)
	v_mul_f32_e32 v34, v37, v34
	s_andn2_b64 vcc, exec, s[62:63]
	s_cbranch_vccnz .LBB662_120
.LBB662_153:
	ds_read_b32 v27, v9 offset:112
	s_waitcnt lgkmcnt(0)
	v_mul_f32_e32 v27, v29, v27
	s_andn2_b64 vcc, exec, s[64:65]
	v_mov_b32_e32 v29, 0
	v_mov_b32_e32 v35, 0
	s_cbranch_vccnz .LBB662_121
.LBB662_154:
	ds_read_b32 v35, v9 offset:116
	s_waitcnt lgkmcnt(0)
	v_mul_f32_e32 v35, v38, v35
	s_andn2_b64 vcc, exec, s[66:67]
	s_cbranch_vccnz .LBB662_122
.LBB662_155:
	ds_read_b32 v29, v9 offset:120
	s_waitcnt lgkmcnt(0)
	v_mul_f32_e32 v29, v30, v29
	s_andn2_b64 vcc, exec, s[68:69]
	v_mov_b32_e32 v30, 0
	s_cbranch_vccz .LBB662_123
	s_branch .LBB662_124
	.section	.rodata,"a",@progbits
	.p2align	6, 0x0
	.amdhsa_kernel _ZL34rocblas_gemvn_sm_mn_batched_kernelILi32ELi24EPK16rocblas_bfloat16PKfKPfEviiT2_lPKT1_lilSA_lilS7_lPT3_lili
		.amdhsa_group_segment_fixed_size 3072
		.amdhsa_private_segment_fixed_size 0
		.amdhsa_kernarg_size 400
		.amdhsa_user_sgpr_count 2
		.amdhsa_user_sgpr_dispatch_ptr 0
		.amdhsa_user_sgpr_queue_ptr 0
		.amdhsa_user_sgpr_kernarg_segment_ptr 1
		.amdhsa_user_sgpr_dispatch_id 0
		.amdhsa_user_sgpr_kernarg_preload_length 0
		.amdhsa_user_sgpr_kernarg_preload_offset 0
		.amdhsa_user_sgpr_private_segment_size 0
		.amdhsa_uses_dynamic_stack 0
		.amdhsa_enable_private_segment 0
		.amdhsa_system_sgpr_workgroup_id_x 1
		.amdhsa_system_sgpr_workgroup_id_y 0
		.amdhsa_system_sgpr_workgroup_id_z 0
		.amdhsa_system_sgpr_workgroup_info 0
		.amdhsa_system_vgpr_workitem_id 1
		.amdhsa_next_free_vgpr 42
		.amdhsa_next_free_sgpr 70
		.amdhsa_accum_offset 44
		.amdhsa_reserve_vcc 1
		.amdhsa_float_round_mode_32 0
		.amdhsa_float_round_mode_16_64 0
		.amdhsa_float_denorm_mode_32 3
		.amdhsa_float_denorm_mode_16_64 3
		.amdhsa_dx10_clamp 1
		.amdhsa_ieee_mode 1
		.amdhsa_fp16_overflow 0
		.amdhsa_tg_split 0
		.amdhsa_exception_fp_ieee_invalid_op 0
		.amdhsa_exception_fp_denorm_src 0
		.amdhsa_exception_fp_ieee_div_zero 0
		.amdhsa_exception_fp_ieee_overflow 0
		.amdhsa_exception_fp_ieee_underflow 0
		.amdhsa_exception_fp_ieee_inexact 0
		.amdhsa_exception_int_div_zero 0
	.end_amdhsa_kernel
	.section	.text._ZL34rocblas_gemvn_sm_mn_batched_kernelILi32ELi24EPK16rocblas_bfloat16PKfKPfEviiT2_lPKT1_lilSA_lilS7_lPT3_lili,"axG",@progbits,_ZL34rocblas_gemvn_sm_mn_batched_kernelILi32ELi24EPK16rocblas_bfloat16PKfKPfEviiT2_lPKT1_lilSA_lilS7_lPT3_lili,comdat
.Lfunc_end662:
	.size	_ZL34rocblas_gemvn_sm_mn_batched_kernelILi32ELi24EPK16rocblas_bfloat16PKfKPfEviiT2_lPKT1_lilSA_lilS7_lPT3_lili, .Lfunc_end662-_ZL34rocblas_gemvn_sm_mn_batched_kernelILi32ELi24EPK16rocblas_bfloat16PKfKPfEviiT2_lPKT1_lilSA_lilS7_lPT3_lili
                                        ; -- End function
	.section	.AMDGPU.csdata,"",@progbits
; Kernel info:
; codeLenInByte = 3640
; NumSgprs: 76
; NumVgprs: 42
; NumAgprs: 0
; TotalNumVgprs: 42
; ScratchSize: 0
; MemoryBound: 0
; FloatMode: 240
; IeeeMode: 1
; LDSByteSize: 3072 bytes/workgroup (compile time only)
; SGPRBlocks: 9
; VGPRBlocks: 5
; NumSGPRsForWavesPerEU: 76
; NumVGPRsForWavesPerEU: 42
; AccumOffset: 44
; Occupancy: 6
; WaveLimiterHint : 1
; COMPUTE_PGM_RSRC2:SCRATCH_EN: 0
; COMPUTE_PGM_RSRC2:USER_SGPR: 2
; COMPUTE_PGM_RSRC2:TRAP_HANDLER: 0
; COMPUTE_PGM_RSRC2:TGID_X_EN: 1
; COMPUTE_PGM_RSRC2:TGID_Y_EN: 0
; COMPUTE_PGM_RSRC2:TGID_Z_EN: 0
; COMPUTE_PGM_RSRC2:TIDIG_COMP_CNT: 1
; COMPUTE_PGM_RSRC3_GFX90A:ACCUM_OFFSET: 10
; COMPUTE_PGM_RSRC3_GFX90A:TG_SPLIT: 0
	.section	.text._ZL34rocblas_gemvn_sm_mn_batched_kernelILi32ELi24EPK16rocblas_bfloat16fKPfEviiT2_lPKT1_lilS8_lilS5_lPT3_lili,"axG",@progbits,_ZL34rocblas_gemvn_sm_mn_batched_kernelILi32ELi24EPK16rocblas_bfloat16fKPfEviiT2_lPKT1_lilS8_lilS5_lPT3_lili,comdat
	.globl	_ZL34rocblas_gemvn_sm_mn_batched_kernelILi32ELi24EPK16rocblas_bfloat16fKPfEviiT2_lPKT1_lilS8_lilS5_lPT3_lili ; -- Begin function _ZL34rocblas_gemvn_sm_mn_batched_kernelILi32ELi24EPK16rocblas_bfloat16fKPfEviiT2_lPKT1_lilS8_lilS5_lPT3_lili
	.p2align	8
	.type	_ZL34rocblas_gemvn_sm_mn_batched_kernelILi32ELi24EPK16rocblas_bfloat16fKPfEviiT2_lPKT1_lilS8_lilS5_lPT3_lili,@function
_ZL34rocblas_gemvn_sm_mn_batched_kernelILi32ELi24EPK16rocblas_bfloat16fKPfEviiT2_lPKT1_lilS8_lilS5_lPT3_lili: ; @_ZL34rocblas_gemvn_sm_mn_batched_kernelILi32ELi24EPK16rocblas_bfloat16fKPfEviiT2_lPKT1_lilS8_lilS5_lPT3_lili
; %bb.0:
	s_load_dword s3, s[0:1], 0x9c
	s_load_dword s4, s[0:1], 0x88
	v_bfe_u32 v9, v0, 10, 10
	s_waitcnt lgkmcnt(0)
	s_lshr_b32 s3, s3, 16
	s_mul_i32 s2, s2, s3
	v_add_u32_e32 v2, s2, v9
	v_cmp_gt_i32_e32 vcc, s4, v2
	s_and_saveexec_b64 s[2:3], vcc
	s_cbranch_execz .LBB663_128
; %bb.1:
	s_load_dwordx4 s[4:7], s[0:1], 0x0
	s_load_dword s14, s[0:1], 0x58
	s_waitcnt lgkmcnt(0)
	v_cmp_eq_f32_e64 s[2:3], s6, 0
	v_cmp_eq_f32_e64 s[8:9], s14, 1.0
	s_and_b64 s[8:9], s[2:3], s[8:9]
	s_and_b64 vcc, exec, s[8:9]
	s_cbranch_vccnz .LBB663_128
; %bb.2:
	v_cmp_neq_f32_e64 s[8:9], s6, 0
	s_and_b64 vcc, exec, s[8:9]
	s_cbranch_vccnz .LBB663_4
; %bb.3:
	v_mov_b32_e32 v3, 0
	s_mov_b64 s[12:13], 0
	v_mov_b64_e32 v[4:5], s[12:13]
	s_cbranch_execz .LBB663_5
	s_branch .LBB663_6
.LBB663_4:
                                        ; implicit-def: $sgpr12_sgpr13
	v_mov_b64_e32 v[4:5], s[12:13]
.LBB663_5:
	s_load_dwordx4 s[16:19], s[0:1], 0x18
	v_mov_b32_e32 v3, 0
	s_waitcnt lgkmcnt(0)
	v_mov_b32_e32 v4, s16
	v_mov_b32_e32 v5, s17
	v_lshl_add_u64 v[4:5], v[2:3], 3, v[4:5]
	global_load_dwordx2 v[4:5], v[4:5], off
	s_waitcnt vmcnt(0)
	v_lshl_add_u64 v[4:5], s[18:19], 1, v[4:5]
.LBB663_6:
	s_andn2_b64 vcc, exec, s[8:9]
	s_cbranch_vccnz .LBB663_8
; %bb.7:
	s_load_dwordx4 s[8:11], s[0:1], 0x38
	s_waitcnt lgkmcnt(0)
	v_mov_b32_e32 v6, s8
	v_mov_b32_e32 v7, s9
	v_lshl_add_u64 v[6:7], v[2:3], 3, v[6:7]
	global_load_dwordx2 v[6:7], v[6:7], off
	s_waitcnt vmcnt(0)
	v_lshl_add_u64 v[6:7], s[10:11], 1, v[6:7]
	s_branch .LBB663_9
.LBB663_8:
	v_mov_b64_e32 v[6:7], 0
.LBB663_9:
	s_load_dwordx4 s[8:11], s[0:1], 0x68
	s_load_dword s33, s[0:1], 0x78
	v_and_b32_e32 v8, 0x3ff, v0
	s_andn2_b64 vcc, exec, s[2:3]
	v_cmp_gt_i32_e64 s[2:3], s4, v8
	s_waitcnt lgkmcnt(0)
	v_mov_b32_e32 v10, s8
	v_mov_b32_e32 v11, s9
	v_lshl_add_u64 v[2:3], v[2:3], 3, v[10:11]
	global_load_dwordx2 v[2:3], v[2:3], off
	s_mov_b64 s[8:9], -1
	s_waitcnt vmcnt(0)
	v_lshl_add_u64 v[0:1], s[10:11], 2, v[2:3]
	s_cbranch_vccnz .LBB663_19
; %bb.10:
	v_cmp_eq_f32_e64 s[8:9], s14, 0
	s_and_b64 vcc, exec, s[8:9]
	s_cbranch_vccz .LBB663_14
; %bb.11:
	s_and_saveexec_b64 s[8:9], s[2:3]
	s_cbranch_execz .LBB663_13
; %bb.12:
	v_mad_i64_i32 v[2:3], s[10:11], s33, v8, 0
	v_lshl_add_u64 v[2:3], v[2:3], 2, v[0:1]
	v_mov_b32_e32 v10, 0
	global_store_dword v[2:3], v10, off
.LBB663_13:
	s_or_b64 exec, exec, s[8:9]
	s_cbranch_execz .LBB663_15
	s_branch .LBB663_18
.LBB663_14:
.LBB663_15:
	s_and_saveexec_b64 s[8:9], s[2:3]
	s_cbranch_execz .LBB663_17
; %bb.16:
	v_mad_i64_i32 v[2:3], s[2:3], s33, v8, 0
	v_lshl_add_u64 v[2:3], v[2:3], 2, v[0:1]
	global_load_dword v10, v[2:3], off
	s_waitcnt vmcnt(0)
	v_mul_f32_e32 v10, s14, v10
	global_store_dword v[2:3], v10, off
.LBB663_17:
	s_or_b64 exec, exec, s[8:9]
.LBB663_18:
	s_mov_b64 s[8:9], 0
.LBB663_19:
	s_andn2_b64 vcc, exec, s[8:9]
	s_cbranch_vccnz .LBB663_128
; %bb.20:
	v_lshlrev_b32_e32 v9, 7, v9
	v_cmp_gt_i32_e32 vcc, s5, v8
	s_and_saveexec_b64 s[2:3], vcc
	s_cbranch_execz .LBB663_26
; %bb.21:
	s_load_dword s7, s[0:1], 0x48
	s_waitcnt lgkmcnt(0)
	v_mad_i64_i32 v[2:3], s[8:9], s7, v8, 0
	v_lshl_add_u64 v[2:3], v[2:3], 1, v[6:7]
	flat_load_ushort v2, v[2:3]
	s_waitcnt vmcnt(0) lgkmcnt(0)
	v_lshlrev_b32_e32 v2, 16, v2
	v_mul_f32_e32 v2, s6, v2
	s_mov_b32 s6, 0x7f800000
	v_and_b32_e32 v3, 0x7f800000, v2
	v_cmp_ne_u32_e32 vcc, s6, v3
                                        ; implicit-def: $vgpr3
	s_and_saveexec_b64 s[6:7], vcc
	s_xor_b64 s[6:7], exec, s[6:7]
; %bb.22:
	v_bfe_u32 v3, v2, 16, 1
	s_movk_i32 s8, 0x7fff
	v_add3_u32 v3, v2, v3, s8
                                        ; implicit-def: $vgpr2
; %bb.23:
	s_andn2_saveexec_b64 s[6:7], s[6:7]
; %bb.24:
	v_mov_b32_e32 v3, 0
	v_or_b32_e32 v6, 0x10000, v2
	v_cmp_eq_u32_sdwa vcc, v2, v3 src0_sel:WORD_0 src1_sel:DWORD
	s_nop 1
	v_cndmask_b32_e32 v3, v6, v2, vcc
; %bb.25:
	s_or_b64 exec, exec, s[6:7]
	v_and_b32_e32 v2, 0xffff0000, v3
	v_lshl_add_u32 v3, v8, 2, v9
	ds_write_b32 v3, v2
.LBB663_26:
	s_or_b64 exec, exec, s[2:3]
	v_cmp_gt_i32_e32 vcc, s4, v8
	s_waitcnt lgkmcnt(0)
	s_barrier
	s_and_b64 exec, exec, vcc
	s_cbranch_execz .LBB663_128
; %bb.27:
	v_cmp_eq_f32_e64 s[2:3], s14, 0
	v_mov_b32_e32 v6, 0
	v_mov_b32_e32 v3, 0
	s_and_b64 vcc, exec, s[2:3]
	s_cbranch_vccnz .LBB663_29
; %bb.28:
	v_mad_i64_i32 v[6:7], s[2:3], s33, v8, 0
	v_lshl_add_u64 v[6:7], v[6:7], 2, v[0:1]
	global_load_dword v2, v[6:7], off
	s_waitcnt vmcnt(0)
	v_mul_f32_e32 v6, s14, v2
.LBB663_29:
	v_lshlrev_b32_e32 v2, 1, v8
	s_cmp_gt_i32 s5, 0
	s_cselect_b64 s[2:3], -1, 0
	s_cmp_lt_i32 s5, 1
	v_lshl_add_u64 v[4:5], v[4:5], 0, v[2:3]
	s_cbranch_scc1 .LBB663_31
; %bb.30:
	flat_load_ushort v2, v[4:5]
	s_waitcnt vmcnt(0) lgkmcnt(0)
	v_lshlrev_b32_e32 v3, 16, v2
.LBB663_31:
	s_load_dword s36, s[0:1], 0x28
	v_mov_b32_e32 v2, 0
	v_mov_b32_e32 v15, 0
	s_waitcnt lgkmcnt(0)
	s_ashr_i32 s37, s36, 31
	s_cmp_gt_i32 s5, 1
	s_cselect_b64 s[0:1], -1, 0
	s_cmp_lt_i32 s5, 2
	s_cbranch_scc1 .LBB663_33
; %bb.32:
	v_lshl_add_u64 v[10:11], s[36:37], 1, v[4:5]
	flat_load_ushort v7, v[10:11]
	s_waitcnt vmcnt(0) lgkmcnt(0)
	v_lshlrev_b32_e32 v15, 16, v7
.LBB663_33:
	s_cmp_gt_i32 s5, 2
	s_cselect_b64 s[6:7], -1, 0
	s_cmp_lt_i32 s5, 3
	s_cbranch_scc1 .LBB663_35
; %bb.34:
	v_lshl_add_u64 v[10:11], s[36:37], 2, v[4:5]
	flat_load_ushort v2, v[10:11]
	s_waitcnt vmcnt(0) lgkmcnt(0)
	v_lshlrev_b32_e32 v2, 16, v2
.LBB663_35:
	s_cmp_gt_i32 s5, 3
	s_cselect_b64 s[8:9], -1, 0
	s_cmp_lt_i32 s5, 4
	v_mov_b32_e32 v7, 0
	v_mov_b32_e32 v16, 0
	s_cbranch_scc1 .LBB663_37
; %bb.36:
	v_mad_i64_i32 v[10:11], s[10:11], s36, 6, v[4:5]
	flat_load_ushort v10, v[10:11]
	s_waitcnt vmcnt(0) lgkmcnt(0)
	v_lshlrev_b32_e32 v16, 16, v10
.LBB663_37:
	s_cmp_gt_i32 s5, 4
	s_cselect_b64 s[10:11], -1, 0
	s_cmp_lt_i32 s5, 5
	s_cbranch_scc1 .LBB663_39
; %bb.38:
	v_lshl_add_u64 v[10:11], s[36:37], 3, v[4:5]
	flat_load_ushort v7, v[10:11]
	s_waitcnt vmcnt(0) lgkmcnt(0)
	v_lshlrev_b32_e32 v7, 16, v7
.LBB663_39:
	s_cmp_gt_i32 s5, 5
	s_cselect_b64 s[12:13], -1, 0
	s_cmp_lt_i32 s5, 6
	v_mov_b32_e32 v10, 0
	v_mov_b32_e32 v18, 0
	s_cbranch_scc1 .LBB663_41
; %bb.40:
	v_mad_i64_i32 v[12:13], s[14:15], s36, 10, v[4:5]
	flat_load_ushort v11, v[12:13]
	s_waitcnt vmcnt(0) lgkmcnt(0)
	v_lshlrev_b32_e32 v18, 16, v11
.LBB663_41:
	s_cmp_gt_i32 s5, 6
	s_cselect_b64 s[14:15], -1, 0
	s_cmp_lt_i32 s5, 7
	s_cbranch_scc1 .LBB663_43
; %bb.42:
	v_mad_i64_i32 v[10:11], s[16:17], s36, 12, v[4:5]
	flat_load_ushort v10, v[10:11]
	s_waitcnt vmcnt(0) lgkmcnt(0)
	v_lshlrev_b32_e32 v10, 16, v10
.LBB663_43:
	s_cmp_gt_i32 s5, 7
	s_cselect_b64 s[16:17], -1, 0
	s_cmp_lt_i32 s5, 8
	v_mov_b32_e32 v11, 0
	v_mov_b32_e32 v20, 0
	s_cbranch_scc1 .LBB663_45
; %bb.44:
	v_mad_i64_i32 v[12:13], s[18:19], s36, 14, v[4:5]
	flat_load_ushort v12, v[12:13]
	s_waitcnt vmcnt(0) lgkmcnt(0)
	v_lshlrev_b32_e32 v20, 16, v12
.LBB663_45:
	s_cmp_gt_i32 s5, 8
	s_cselect_b64 s[18:19], -1, 0
	s_cmp_lt_i32 s5, 9
	s_cbranch_scc1 .LBB663_47
; %bb.46:
	v_lshl_add_u64 v[12:13], s[36:37], 4, v[4:5]
	flat_load_ushort v11, v[12:13]
	s_waitcnt vmcnt(0) lgkmcnt(0)
	v_lshlrev_b32_e32 v11, 16, v11
.LBB663_47:
	s_cmp_gt_i32 s5, 9
	s_cselect_b64 s[20:21], -1, 0
	s_cmp_lt_i32 s5, 10
	v_mov_b32_e32 v12, 0
	v_mov_b32_e32 v22, 0
	s_cbranch_scc1 .LBB663_49
; %bb.48:
	v_mad_i64_i32 v[22:23], s[22:23], s36, 18, v[4:5]
	flat_load_ushort v13, v[22:23]
	s_waitcnt vmcnt(0) lgkmcnt(0)
	v_lshlrev_b32_e32 v22, 16, v13
.LBB663_49:
	s_cmp_gt_i32 s5, 10
	s_cselect_b64 s[22:23], -1, 0
	s_cmp_lt_i32 s5, 11
	s_cbranch_scc1 .LBB663_51
; %bb.50:
	v_mad_i64_i32 v[12:13], s[24:25], s36, 20, v[4:5]
	flat_load_ushort v12, v[12:13]
	s_waitcnt vmcnt(0) lgkmcnt(0)
	v_lshlrev_b32_e32 v12, 16, v12
.LBB663_51:
	s_cmp_gt_i32 s5, 11
	s_cselect_b64 s[24:25], -1, 0
	s_cmp_lt_i32 s5, 12
	v_mov_b32_e32 v13, 0
	v_mov_b32_e32 v24, 0
	s_cbranch_scc1 .LBB663_53
; %bb.52:
	v_mad_i64_i32 v[24:25], s[26:27], s36, 22, v[4:5]
	flat_load_ushort v14, v[24:25]
	s_waitcnt vmcnt(0) lgkmcnt(0)
	v_lshlrev_b32_e32 v24, 16, v14
.LBB663_53:
	s_cmp_gt_i32 s5, 12
	s_cselect_b64 s[26:27], -1, 0
	s_cmp_lt_i32 s5, 13
	s_cbranch_scc1 .LBB663_55
; %bb.54:
	v_mad_i64_i32 v[26:27], s[28:29], s36, 24, v[4:5]
	flat_load_ushort v13, v[26:27]
	s_waitcnt vmcnt(0) lgkmcnt(0)
	v_lshlrev_b32_e32 v13, 16, v13
.LBB663_55:
	s_cmp_gt_i32 s5, 13
	s_cselect_b64 s[28:29], -1, 0
	s_cmp_lt_i32 s5, 14
	v_mov_b32_e32 v14, 0
	v_mov_b32_e32 v26, 0
	s_cbranch_scc1 .LBB663_57
; %bb.56:
	v_mad_i64_i32 v[26:27], s[30:31], s36, 26, v[4:5]
	flat_load_ushort v17, v[26:27]
	s_waitcnt vmcnt(0) lgkmcnt(0)
	v_lshlrev_b32_e32 v26, 16, v17
.LBB663_57:
	s_cmp_gt_i32 s5, 14
	s_cselect_b64 s[30:31], -1, 0
	s_cmp_lt_i32 s5, 15
	s_cbranch_scc1 .LBB663_59
; %bb.58:
	v_mad_i64_i32 v[28:29], s[34:35], s36, 28, v[4:5]
	flat_load_ushort v14, v[28:29]
	s_waitcnt vmcnt(0) lgkmcnt(0)
	v_lshlrev_b32_e32 v14, 16, v14
.LBB663_59:
	s_cmp_gt_i32 s5, 15
	s_cselect_b64 s[34:35], -1, 0
	s_cmp_lt_i32 s5, 16
	v_mov_b32_e32 v17, 0
	v_mov_b32_e32 v28, 0
	s_cbranch_scc1 .LBB663_61
; %bb.60:
	v_mad_i64_i32 v[28:29], s[38:39], s36, 30, v[4:5]
	flat_load_ushort v19, v[28:29]
	s_waitcnt vmcnt(0) lgkmcnt(0)
	v_lshlrev_b32_e32 v28, 16, v19
.LBB663_61:
	s_cmp_gt_i32 s5, 16
	s_cselect_b64 s[38:39], -1, 0
	s_cmp_lt_i32 s5, 17
	s_cbranch_scc1 .LBB663_63
; %bb.62:
	s_lshl_b64 s[40:41], s[36:37], 5
	v_lshl_add_u64 v[30:31], v[4:5], 0, s[40:41]
	flat_load_ushort v17, v[30:31]
	s_waitcnt vmcnt(0) lgkmcnt(0)
	v_lshlrev_b32_e32 v17, 16, v17
.LBB663_63:
	s_cmp_gt_i32 s5, 17
	s_cselect_b64 s[40:41], -1, 0
	s_cmp_lt_i32 s5, 18
	v_mov_b32_e32 v19, 0
	v_mov_b32_e32 v31, 0
	s_cbranch_scc1 .LBB663_65
; %bb.64:
	v_mad_i64_i32 v[30:31], s[42:43], s36, 34, v[4:5]
	flat_load_ushort v21, v[30:31]
	s_waitcnt vmcnt(0) lgkmcnt(0)
	v_lshlrev_b32_e32 v31, 16, v21
.LBB663_65:
	s_cmp_gt_i32 s5, 18
	s_cselect_b64 s[42:43], -1, 0
	s_cmp_lt_i32 s5, 19
	s_cbranch_scc1 .LBB663_67
; %bb.66:
	v_mad_i64_i32 v[32:33], s[44:45], s36, 36, v[4:5]
	flat_load_ushort v19, v[32:33]
	s_waitcnt vmcnt(0) lgkmcnt(0)
	v_lshlrev_b32_e32 v19, 16, v19
.LBB663_67:
	s_cmp_gt_i32 s5, 19
	s_cselect_b64 s[44:45], -1, 0
	s_cmp_lt_i32 s5, 20
	v_mov_b32_e32 v21, 0
	v_mov_b32_e32 v32, 0
	s_cbranch_scc1 .LBB663_69
; %bb.68:
	v_mad_i64_i32 v[32:33], s[46:47], s36, 38, v[4:5]
	flat_load_ushort v23, v[32:33]
	s_waitcnt vmcnt(0) lgkmcnt(0)
	v_lshlrev_b32_e32 v32, 16, v23
.LBB663_69:
	s_cmp_gt_i32 s5, 20
	s_cselect_b64 s[46:47], -1, 0
	s_cmp_lt_i32 s5, 21
	s_cbranch_scc1 .LBB663_71
; %bb.70:
	v_mad_i64_i32 v[34:35], s[48:49], s36, 40, v[4:5]
	flat_load_ushort v21, v[34:35]
	s_waitcnt vmcnt(0) lgkmcnt(0)
	v_lshlrev_b32_e32 v21, 16, v21
.LBB663_71:
	;; [unrolled: 22-line block ×7, first 2 shown]
	s_cmp_gt_i32 s5, 31
	s_cselect_b64 s[68:69], -1, 0
	s_cmp_lt_i32 s5, 32
	v_mov_b32_e32 v36, 0
	v_mov_b32_e32 v39, 0
	s_cbranch_scc1 .LBB663_93
; %bb.92:
	v_mad_i64_i32 v[4:5], s[4:5], s36, 62, v[4:5]
	flat_load_ushort v4, v[4:5]
	s_waitcnt vmcnt(0) lgkmcnt(0)
	v_lshlrev_b32_e32 v39, 16, v4
.LBB663_93:
	s_andn2_b64 vcc, exec, s[2:3]
	s_cbranch_vccnz .LBB663_95
; %bb.94:
	ds_read_b32 v4, v9
	s_waitcnt lgkmcnt(0)
	v_mul_f32_e32 v36, v3, v4
.LBB663_95:
	s_andn2_b64 vcc, exec, s[0:1]
	v_mov_b32_e32 v3, 0
	v_mov_b32_e32 v4, 0
	s_cbranch_vccz .LBB663_129
; %bb.96:
	s_andn2_b64 vcc, exec, s[6:7]
	s_cbranch_vccz .LBB663_130
.LBB663_97:
	s_andn2_b64 vcc, exec, s[8:9]
	v_mov_b32_e32 v2, 0
	v_mov_b32_e32 v5, 0
	s_cbranch_vccz .LBB663_131
.LBB663_98:
	s_andn2_b64 vcc, exec, s[10:11]
	s_cbranch_vccz .LBB663_132
.LBB663_99:
	s_andn2_b64 vcc, exec, s[12:13]
	v_mov_b32_e32 v7, 0
	v_mov_b32_e32 v15, 0
	s_cbranch_vccz .LBB663_133
.LBB663_100:
	s_andn2_b64 vcc, exec, s[14:15]
	s_cbranch_vccz .LBB663_134
.LBB663_101:
	s_andn2_b64 vcc, exec, s[16:17]
	v_mov_b32_e32 v10, 0
	v_mov_b32_e32 v16, 0
	s_cbranch_vccz .LBB663_135
.LBB663_102:
	s_andn2_b64 vcc, exec, s[18:19]
	s_cbranch_vccz .LBB663_136
.LBB663_103:
	s_andn2_b64 vcc, exec, s[20:21]
	v_mov_b32_e32 v11, 0
	v_mov_b32_e32 v18, 0
	s_cbranch_vccz .LBB663_137
.LBB663_104:
	s_andn2_b64 vcc, exec, s[22:23]
	s_cbranch_vccz .LBB663_138
.LBB663_105:
	s_andn2_b64 vcc, exec, s[24:25]
	v_mov_b32_e32 v12, 0
	v_mov_b32_e32 v20, 0
	s_cbranch_vccz .LBB663_139
.LBB663_106:
	s_andn2_b64 vcc, exec, s[26:27]
	s_cbranch_vccz .LBB663_140
.LBB663_107:
	s_andn2_b64 vcc, exec, s[28:29]
	v_mov_b32_e32 v13, 0
	v_mov_b32_e32 v22, 0
	s_cbranch_vccz .LBB663_141
.LBB663_108:
	s_andn2_b64 vcc, exec, s[30:31]
	s_cbranch_vccz .LBB663_142
.LBB663_109:
	s_andn2_b64 vcc, exec, s[34:35]
	v_mov_b32_e32 v14, 0
	v_mov_b32_e32 v24, 0
	s_cbranch_vccz .LBB663_143
.LBB663_110:
	s_andn2_b64 vcc, exec, s[38:39]
	s_cbranch_vccz .LBB663_144
.LBB663_111:
	s_andn2_b64 vcc, exec, s[40:41]
	v_mov_b32_e32 v17, 0
	v_mov_b32_e32 v26, 0
	s_cbranch_vccz .LBB663_145
.LBB663_112:
	s_andn2_b64 vcc, exec, s[42:43]
	s_cbranch_vccz .LBB663_146
.LBB663_113:
	s_andn2_b64 vcc, exec, s[44:45]
	v_mov_b32_e32 v19, 0
	v_mov_b32_e32 v28, 0
	s_cbranch_vccz .LBB663_147
.LBB663_114:
	s_andn2_b64 vcc, exec, s[46:47]
	s_cbranch_vccz .LBB663_148
.LBB663_115:
	s_andn2_b64 vcc, exec, s[48:49]
	v_mov_b32_e32 v21, 0
	v_mov_b32_e32 v31, 0
	s_cbranch_vccz .LBB663_149
.LBB663_116:
	s_andn2_b64 vcc, exec, s[50:51]
	s_cbranch_vccz .LBB663_150
.LBB663_117:
	s_andn2_b64 vcc, exec, s[52:53]
	v_mov_b32_e32 v23, 0
	v_mov_b32_e32 v32, 0
	s_cbranch_vccz .LBB663_151
.LBB663_118:
	s_andn2_b64 vcc, exec, s[54:55]
	s_cbranch_vccz .LBB663_152
.LBB663_119:
	s_andn2_b64 vcc, exec, s[56:57]
	v_mov_b32_e32 v25, 0
	v_mov_b32_e32 v33, 0
	s_cbranch_vccz .LBB663_153
.LBB663_120:
	s_andn2_b64 vcc, exec, s[58:59]
	s_cbranch_vccz .LBB663_154
.LBB663_121:
	s_andn2_b64 vcc, exec, s[60:61]
	v_mov_b32_e32 v27, 0
	v_mov_b32_e32 v34, 0
	s_cbranch_vccz .LBB663_155
.LBB663_122:
	s_andn2_b64 vcc, exec, s[62:63]
	s_cbranch_vccz .LBB663_156
.LBB663_123:
	s_andn2_b64 vcc, exec, s[64:65]
	v_mov_b32_e32 v29, 0
	v_mov_b32_e32 v35, 0
	s_cbranch_vccz .LBB663_157
.LBB663_124:
	s_andn2_b64 vcc, exec, s[66:67]
	s_cbranch_vccz .LBB663_158
.LBB663_125:
	s_andn2_b64 vcc, exec, s[68:69]
	v_mov_b32_e32 v30, 0
	s_cbranch_vccnz .LBB663_127
.LBB663_126:
	ds_read_b32 v9, v9 offset:124
	s_waitcnt lgkmcnt(0)
	v_mul_f32_e32 v30, v39, v9
.LBB663_127:
	v_add_f32_e32 v6, v6, v36
	v_add_f32_e32 v4, v6, v4
	;; [unrolled: 1-line block ×32, first 2 shown]
	v_mad_i64_i32 v[2:3], s[0:1], s33, v8, 0
	v_lshl_add_u64 v[0:1], v[2:3], 2, v[0:1]
	global_store_dword v[0:1], v4, off
.LBB663_128:
	s_endpgm
.LBB663_129:
	ds_read_b32 v4, v9 offset:4
	s_waitcnt lgkmcnt(0)
	v_mul_f32_e32 v4, v15, v4
	s_andn2_b64 vcc, exec, s[6:7]
	s_cbranch_vccnz .LBB663_97
.LBB663_130:
	ds_read_b32 v3, v9 offset:8
	s_waitcnt lgkmcnt(0)
	v_mul_f32_e32 v3, v2, v3
	s_andn2_b64 vcc, exec, s[8:9]
	v_mov_b32_e32 v2, 0
	v_mov_b32_e32 v5, 0
	s_cbranch_vccnz .LBB663_98
.LBB663_131:
	ds_read_b32 v5, v9 offset:12
	s_waitcnt lgkmcnt(0)
	v_mul_f32_e32 v5, v16, v5
	s_andn2_b64 vcc, exec, s[10:11]
	s_cbranch_vccnz .LBB663_99
.LBB663_132:
	ds_read_b32 v2, v9 offset:16
	s_waitcnt lgkmcnt(0)
	v_mul_f32_e32 v2, v7, v2
	s_andn2_b64 vcc, exec, s[12:13]
	v_mov_b32_e32 v7, 0
	v_mov_b32_e32 v15, 0
	s_cbranch_vccnz .LBB663_100
.LBB663_133:
	ds_read_b32 v15, v9 offset:20
	s_waitcnt lgkmcnt(0)
	v_mul_f32_e32 v15, v18, v15
	s_andn2_b64 vcc, exec, s[14:15]
	s_cbranch_vccnz .LBB663_101
.LBB663_134:
	ds_read_b32 v7, v9 offset:24
	s_waitcnt lgkmcnt(0)
	v_mul_f32_e32 v7, v10, v7
	s_andn2_b64 vcc, exec, s[16:17]
	v_mov_b32_e32 v10, 0
	v_mov_b32_e32 v16, 0
	s_cbranch_vccnz .LBB663_102
.LBB663_135:
	ds_read_b32 v16, v9 offset:28
	s_waitcnt lgkmcnt(0)
	v_mul_f32_e32 v16, v20, v16
	s_andn2_b64 vcc, exec, s[18:19]
	s_cbranch_vccnz .LBB663_103
.LBB663_136:
	ds_read_b32 v10, v9 offset:32
	s_waitcnt lgkmcnt(0)
	v_mul_f32_e32 v10, v11, v10
	s_andn2_b64 vcc, exec, s[20:21]
	v_mov_b32_e32 v11, 0
	v_mov_b32_e32 v18, 0
	s_cbranch_vccnz .LBB663_104
.LBB663_137:
	ds_read_b32 v18, v9 offset:36
	s_waitcnt lgkmcnt(0)
	v_mul_f32_e32 v18, v22, v18
	s_andn2_b64 vcc, exec, s[22:23]
	s_cbranch_vccnz .LBB663_105
.LBB663_138:
	ds_read_b32 v11, v9 offset:40
	s_waitcnt lgkmcnt(0)
	v_mul_f32_e32 v11, v12, v11
	s_andn2_b64 vcc, exec, s[24:25]
	v_mov_b32_e32 v12, 0
	v_mov_b32_e32 v20, 0
	s_cbranch_vccnz .LBB663_106
.LBB663_139:
	ds_read_b32 v20, v9 offset:44
	s_waitcnt lgkmcnt(0)
	v_mul_f32_e32 v20, v24, v20
	s_andn2_b64 vcc, exec, s[26:27]
	s_cbranch_vccnz .LBB663_107
.LBB663_140:
	ds_read_b32 v12, v9 offset:48
	s_waitcnt lgkmcnt(0)
	v_mul_f32_e32 v12, v13, v12
	s_andn2_b64 vcc, exec, s[28:29]
	v_mov_b32_e32 v13, 0
	v_mov_b32_e32 v22, 0
	s_cbranch_vccnz .LBB663_108
.LBB663_141:
	ds_read_b32 v22, v9 offset:52
	s_waitcnt lgkmcnt(0)
	v_mul_f32_e32 v22, v26, v22
	s_andn2_b64 vcc, exec, s[30:31]
	s_cbranch_vccnz .LBB663_109
.LBB663_142:
	ds_read_b32 v13, v9 offset:56
	s_waitcnt lgkmcnt(0)
	v_mul_f32_e32 v13, v14, v13
	s_andn2_b64 vcc, exec, s[34:35]
	v_mov_b32_e32 v14, 0
	v_mov_b32_e32 v24, 0
	s_cbranch_vccnz .LBB663_110
.LBB663_143:
	ds_read_b32 v24, v9 offset:60
	s_waitcnt lgkmcnt(0)
	v_mul_f32_e32 v24, v28, v24
	s_andn2_b64 vcc, exec, s[38:39]
	s_cbranch_vccnz .LBB663_111
.LBB663_144:
	ds_read_b32 v14, v9 offset:64
	s_waitcnt lgkmcnt(0)
	v_mul_f32_e32 v14, v17, v14
	s_andn2_b64 vcc, exec, s[40:41]
	v_mov_b32_e32 v17, 0
	v_mov_b32_e32 v26, 0
	s_cbranch_vccnz .LBB663_112
.LBB663_145:
	ds_read_b32 v26, v9 offset:68
	s_waitcnt lgkmcnt(0)
	v_mul_f32_e32 v26, v31, v26
	s_andn2_b64 vcc, exec, s[42:43]
	s_cbranch_vccnz .LBB663_113
.LBB663_146:
	ds_read_b32 v17, v9 offset:72
	s_waitcnt lgkmcnt(0)
	v_mul_f32_e32 v17, v19, v17
	s_andn2_b64 vcc, exec, s[44:45]
	v_mov_b32_e32 v19, 0
	v_mov_b32_e32 v28, 0
	s_cbranch_vccnz .LBB663_114
.LBB663_147:
	ds_read_b32 v28, v9 offset:76
	s_waitcnt lgkmcnt(0)
	v_mul_f32_e32 v28, v32, v28
	s_andn2_b64 vcc, exec, s[46:47]
	s_cbranch_vccnz .LBB663_115
.LBB663_148:
	ds_read_b32 v19, v9 offset:80
	s_waitcnt lgkmcnt(0)
	v_mul_f32_e32 v19, v21, v19
	s_andn2_b64 vcc, exec, s[48:49]
	v_mov_b32_e32 v21, 0
	v_mov_b32_e32 v31, 0
	s_cbranch_vccnz .LBB663_116
.LBB663_149:
	ds_read_b32 v31, v9 offset:84
	s_waitcnt lgkmcnt(0)
	v_mul_f32_e32 v31, v33, v31
	s_andn2_b64 vcc, exec, s[50:51]
	s_cbranch_vccnz .LBB663_117
.LBB663_150:
	ds_read_b32 v21, v9 offset:88
	s_waitcnt lgkmcnt(0)
	v_mul_f32_e32 v21, v23, v21
	s_andn2_b64 vcc, exec, s[52:53]
	v_mov_b32_e32 v23, 0
	v_mov_b32_e32 v32, 0
	s_cbranch_vccnz .LBB663_118
.LBB663_151:
	ds_read_b32 v32, v9 offset:92
	s_waitcnt lgkmcnt(0)
	v_mul_f32_e32 v32, v34, v32
	s_andn2_b64 vcc, exec, s[54:55]
	s_cbranch_vccnz .LBB663_119
.LBB663_152:
	ds_read_b32 v23, v9 offset:96
	s_waitcnt lgkmcnt(0)
	v_mul_f32_e32 v23, v25, v23
	s_andn2_b64 vcc, exec, s[56:57]
	v_mov_b32_e32 v25, 0
	v_mov_b32_e32 v33, 0
	s_cbranch_vccnz .LBB663_120
.LBB663_153:
	ds_read_b32 v33, v9 offset:100
	s_waitcnt lgkmcnt(0)
	v_mul_f32_e32 v33, v35, v33
	s_andn2_b64 vcc, exec, s[58:59]
	s_cbranch_vccnz .LBB663_121
.LBB663_154:
	ds_read_b32 v25, v9 offset:104
	s_waitcnt lgkmcnt(0)
	v_mul_f32_e32 v25, v27, v25
	s_andn2_b64 vcc, exec, s[60:61]
	v_mov_b32_e32 v27, 0
	v_mov_b32_e32 v34, 0
	s_cbranch_vccnz .LBB663_122
.LBB663_155:
	ds_read_b32 v34, v9 offset:108
	s_waitcnt lgkmcnt(0)
	v_mul_f32_e32 v34, v37, v34
	s_andn2_b64 vcc, exec, s[62:63]
	s_cbranch_vccnz .LBB663_123
.LBB663_156:
	ds_read_b32 v27, v9 offset:112
	s_waitcnt lgkmcnt(0)
	v_mul_f32_e32 v27, v29, v27
	s_andn2_b64 vcc, exec, s[64:65]
	v_mov_b32_e32 v29, 0
	v_mov_b32_e32 v35, 0
	s_cbranch_vccnz .LBB663_124
.LBB663_157:
	ds_read_b32 v35, v9 offset:116
	s_waitcnt lgkmcnt(0)
	v_mul_f32_e32 v35, v38, v35
	s_andn2_b64 vcc, exec, s[66:67]
	s_cbranch_vccnz .LBB663_125
.LBB663_158:
	ds_read_b32 v29, v9 offset:120
	s_waitcnt lgkmcnt(0)
	v_mul_f32_e32 v29, v30, v29
	s_andn2_b64 vcc, exec, s[68:69]
	v_mov_b32_e32 v30, 0
	s_cbranch_vccz .LBB663_126
	s_branch .LBB663_127
	.section	.rodata,"a",@progbits
	.p2align	6, 0x0
	.amdhsa_kernel _ZL34rocblas_gemvn_sm_mn_batched_kernelILi32ELi24EPK16rocblas_bfloat16fKPfEviiT2_lPKT1_lilS8_lilS5_lPT3_lili
		.amdhsa_group_segment_fixed_size 3072
		.amdhsa_private_segment_fixed_size 0
		.amdhsa_kernarg_size 400
		.amdhsa_user_sgpr_count 2
		.amdhsa_user_sgpr_dispatch_ptr 0
		.amdhsa_user_sgpr_queue_ptr 0
		.amdhsa_user_sgpr_kernarg_segment_ptr 1
		.amdhsa_user_sgpr_dispatch_id 0
		.amdhsa_user_sgpr_kernarg_preload_length 0
		.amdhsa_user_sgpr_kernarg_preload_offset 0
		.amdhsa_user_sgpr_private_segment_size 0
		.amdhsa_uses_dynamic_stack 0
		.amdhsa_enable_private_segment 0
		.amdhsa_system_sgpr_workgroup_id_x 1
		.amdhsa_system_sgpr_workgroup_id_y 0
		.amdhsa_system_sgpr_workgroup_id_z 0
		.amdhsa_system_sgpr_workgroup_info 0
		.amdhsa_system_vgpr_workitem_id 1
		.amdhsa_next_free_vgpr 42
		.amdhsa_next_free_sgpr 70
		.amdhsa_accum_offset 44
		.amdhsa_reserve_vcc 1
		.amdhsa_float_round_mode_32 0
		.amdhsa_float_round_mode_16_64 0
		.amdhsa_float_denorm_mode_32 3
		.amdhsa_float_denorm_mode_16_64 3
		.amdhsa_dx10_clamp 1
		.amdhsa_ieee_mode 1
		.amdhsa_fp16_overflow 0
		.amdhsa_tg_split 0
		.amdhsa_exception_fp_ieee_invalid_op 0
		.amdhsa_exception_fp_denorm_src 0
		.amdhsa_exception_fp_ieee_div_zero 0
		.amdhsa_exception_fp_ieee_overflow 0
		.amdhsa_exception_fp_ieee_underflow 0
		.amdhsa_exception_fp_ieee_inexact 0
		.amdhsa_exception_int_div_zero 0
	.end_amdhsa_kernel
	.section	.text._ZL34rocblas_gemvn_sm_mn_batched_kernelILi32ELi24EPK16rocblas_bfloat16fKPfEviiT2_lPKT1_lilS8_lilS5_lPT3_lili,"axG",@progbits,_ZL34rocblas_gemvn_sm_mn_batched_kernelILi32ELi24EPK16rocblas_bfloat16fKPfEviiT2_lPKT1_lilS8_lilS5_lPT3_lili,comdat
.Lfunc_end663:
	.size	_ZL34rocblas_gemvn_sm_mn_batched_kernelILi32ELi24EPK16rocblas_bfloat16fKPfEviiT2_lPKT1_lilS8_lilS5_lPT3_lili, .Lfunc_end663-_ZL34rocblas_gemvn_sm_mn_batched_kernelILi32ELi24EPK16rocblas_bfloat16fKPfEviiT2_lPKT1_lilS8_lilS5_lPT3_lili
                                        ; -- End function
	.section	.AMDGPU.csdata,"",@progbits
; Kernel info:
; codeLenInByte = 3560
; NumSgprs: 76
; NumVgprs: 42
; NumAgprs: 0
; TotalNumVgprs: 42
; ScratchSize: 0
; MemoryBound: 0
; FloatMode: 240
; IeeeMode: 1
; LDSByteSize: 3072 bytes/workgroup (compile time only)
; SGPRBlocks: 9
; VGPRBlocks: 5
; NumSGPRsForWavesPerEU: 76
; NumVGPRsForWavesPerEU: 42
; AccumOffset: 44
; Occupancy: 6
; WaveLimiterHint : 1
; COMPUTE_PGM_RSRC2:SCRATCH_EN: 0
; COMPUTE_PGM_RSRC2:USER_SGPR: 2
; COMPUTE_PGM_RSRC2:TRAP_HANDLER: 0
; COMPUTE_PGM_RSRC2:TGID_X_EN: 1
; COMPUTE_PGM_RSRC2:TGID_Y_EN: 0
; COMPUTE_PGM_RSRC2:TGID_Z_EN: 0
; COMPUTE_PGM_RSRC2:TIDIG_COMP_CNT: 1
; COMPUTE_PGM_RSRC3_GFX90A:ACCUM_OFFSET: 10
; COMPUTE_PGM_RSRC3_GFX90A:TG_SPLIT: 0
	.section	.text._ZL20rocblas_gemvn_kernelILi64ELi4EiPK16rocblas_bfloat16PKfKPfEviiT3_lPKT2_lT1_lSA_lSB_lS7_lPT4_lSB_li,"axG",@progbits,_ZL20rocblas_gemvn_kernelILi64ELi4EiPK16rocblas_bfloat16PKfKPfEviiT3_lPKT2_lT1_lSA_lSB_lS7_lPT4_lSB_li,comdat
	.globl	_ZL20rocblas_gemvn_kernelILi64ELi4EiPK16rocblas_bfloat16PKfKPfEviiT3_lPKT2_lT1_lSA_lSB_lS7_lPT4_lSB_li ; -- Begin function _ZL20rocblas_gemvn_kernelILi64ELi4EiPK16rocblas_bfloat16PKfKPfEviiT3_lPKT2_lT1_lSA_lSB_lS7_lPT4_lSB_li
	.p2align	8
	.type	_ZL20rocblas_gemvn_kernelILi64ELi4EiPK16rocblas_bfloat16PKfKPfEviiT3_lPKT2_lT1_lSA_lSB_lS7_lPT4_lSB_li,@function
_ZL20rocblas_gemvn_kernelILi64ELi4EiPK16rocblas_bfloat16PKfKPfEviiT3_lPKT2_lT1_lSA_lSB_lS7_lPT4_lSB_li: ; @_ZL20rocblas_gemvn_kernelILi64ELi4EiPK16rocblas_bfloat16PKfKPfEviiT3_lPKT2_lT1_lSA_lSB_lS7_lPT4_lSB_li
; %bb.0:
	s_load_dwordx2 s[4:5], s[0:1], 0x9c
	s_mov_b32 s22, s3
	s_waitcnt lgkmcnt(0)
	s_and_b32 s3, s5, 0xffff
	s_lshr_b32 s5, s4, 16
	s_and_b32 s4, s4, 0xffff
	s_mul_i32 s4, s5, s4
	s_mul_i32 s4, s4, s3
	s_cmpk_lg_i32 s4, 0x100
	s_cbranch_scc1 .LBB664_54
; %bb.1:
	s_load_dwordx8 s[12:19], s[0:1], 0x8
	s_load_dwordx8 s[4:11], s[0:1], 0x58
	s_waitcnt lgkmcnt(0)
	s_mul_i32 s3, s22, s15
	s_mul_hi_u32 s15, s22, s14
	s_mul_i32 s14, s22, s14
	s_add_i32 s15, s15, s3
	s_lshl_b64 s[14:15], s[14:15], 2
	s_mul_i32 s7, s22, s7
	s_add_u32 s12, s12, s14
	s_mul_hi_u32 s3, s22, s6
	s_addc_u32 s13, s13, s15
	s_add_i32 s7, s3, s7
	s_mul_i32 s6, s22, s6
	s_lshl_b64 s[6:7], s[6:7], 2
	s_add_u32 s4, s4, s6
	s_addc_u32 s5, s5, s7
	s_load_dword s29, s[12:13], 0x0
	s_load_dword s28, s[4:5], 0x0
	s_waitcnt lgkmcnt(0)
	v_cmp_eq_f32_e64 s[4:5], s29, 0
	v_cmp_eq_f32_e64 s[6:7], s28, 1.0
	s_and_b64 s[6:7], s[4:5], s[6:7]
	s_and_b64 vcc, exec, s[6:7]
	s_cbranch_vccnz .LBB664_54
; %bb.2:
	s_mov_b32 s23, 0
	v_cmp_neq_f32_e64 s[6:7], s29, 0
	s_mov_b64 s[20:21], 0
	s_and_b64 vcc, exec, s[4:5]
	s_mov_b64 s[14:15], 0
	s_cbranch_vccnz .LBB664_4
; %bb.3:
	s_lshl_b64 s[12:13], s[22:23], 3
	s_add_u32 s12, s16, s12
	s_addc_u32 s13, s17, s13
	s_load_dwordx2 s[12:13], s[12:13], 0x0
	s_lshl_b64 s[14:15], s[18:19], 1
	s_waitcnt lgkmcnt(0)
	s_add_u32 s14, s12, s14
	s_addc_u32 s15, s13, s15
.LBB664_4:
	s_andn2_b64 vcc, exec, s[6:7]
	s_cbranch_vccnz .LBB664_6
; %bb.5:
	s_load_dwordx4 s[16:19], s[0:1], 0x38
	s_lshl_b64 s[6:7], s[22:23], 3
	s_waitcnt lgkmcnt(0)
	s_add_u32 s6, s16, s6
	s_addc_u32 s7, s17, s7
	s_load_dwordx2 s[6:7], s[6:7], 0x0
	s_lshl_b64 s[12:13], s[18:19], 1
	s_waitcnt lgkmcnt(0)
	s_add_u32 s20, s6, s12
	s_addc_u32 s21, s7, s13
.LBB664_6:
	s_lshl_b64 s[6:7], s[22:23], 3
	s_add_u32 s6, s8, s6
	s_addc_u32 s7, s9, s7
	s_load_dwordx2 s[8:9], s[6:7], 0x0
	s_load_dwordx2 s[12:13], s[0:1], 0x0
	s_load_dword s30, s[0:1], 0x78
	s_lshl_b64 s[6:7], s[10:11], 2
	v_and_b32_e32 v2, 0x3ff, v0
	s_waitcnt lgkmcnt(0)
	s_add_u32 s8, s8, s6
	v_bfe_u32 v18, v0, 10, 10
	s_addc_u32 s9, s9, s7
	s_andn2_b64 vcc, exec, s[4:5]
	v_lshl_add_u32 v3, v18, 6, v2
	s_cbranch_vccnz .LBB664_13
; %bb.7:
	s_movk_i32 s3, 0x100
	v_cmp_gt_u32_e32 vcc, s3, v3
	s_mov_b64 s[4:5], 0
	s_mov_b64 s[10:11], 0
                                        ; implicit-def: $vgpr1
                                        ; implicit-def: $vgpr4_vgpr5
	s_and_saveexec_b64 s[6:7], vcc
	s_cbranch_execz .LBB664_14
; %bb.8:
	v_lshl_or_b32 v0, s2, 8, v3
	v_mov_b32_e32 v1, 0
	s_ashr_i32 s11, s12, 31
	s_mov_b32 s10, s12
	v_cmp_gt_i64_e32 vcc, s[10:11], v[0:1]
	s_mov_b64 s[16:17], 0
                                        ; implicit-def: $vgpr4_vgpr5
	s_and_saveexec_b64 s[10:11], vcc
	s_cbranch_execz .LBB664_12
; %bb.9:
	v_mad_u64_u32 v[4:5], s[18:19], s30, v0, 0
	s_ashr_i32 s3, s30, 31
	v_mov_b32_e32 v6, v5
	v_cmp_eq_f32_e64 s[16:17], s28, 0
	v_mad_u64_u32 v[6:7], s[18:19], s3, v0, v[6:7]
	v_mov_b32_e32 v5, v6
	s_and_b64 vcc, exec, s[16:17]
	s_cbranch_vccnz .LBB664_11
; %bb.10:
	v_lshl_add_u64 v[0:1], v[4:5], 2, s[8:9]
	global_load_dword v0, v[0:1], off
	s_waitcnt vmcnt(0)
	v_mul_f32_e32 v1, s28, v0
.LBB664_11:
	s_mov_b64 s[16:17], exec
.LBB664_12:
	s_or_b64 exec, exec, s[10:11]
	s_and_b64 s[10:11], s[16:17], exec
	s_or_b64 exec, exec, s[6:7]
	s_and_b64 vcc, exec, s[4:5]
	s_cbranch_vccnz .LBB664_15
	s_branch .LBB664_52
.LBB664_13:
	s_mov_b64 s[10:11], 0
                                        ; implicit-def: $vgpr1
                                        ; implicit-def: $vgpr4_vgpr5
	s_cbranch_execnz .LBB664_15
	s_branch .LBB664_52
.LBB664_14:
	s_or_b64 exec, exec, s[6:7]
	s_and_b64 vcc, exec, s[4:5]
	s_cbranch_vccz .LBB664_52
.LBB664_15:
	s_load_dword s33, s[0:1], 0x28
	s_load_dword s34, s[0:1], 0x48
	s_ashr_i32 s0, s13, 31
	s_lshr_b32 s0, s0, 28
	s_add_i32 s0, s13, s0
	s_lshl_b32 s31, s2, 8
	s_and_b32 s35, s0, -16
	v_lshlrev_b32_e32 v24, 2, v18
	v_add_u32_e32 v23, s31, v2
	v_cmp_gt_i32_e32 vcc, s35, v24
	v_mov_b32_e32 v19, 0
	v_mov_b32_e32 v20, 0
	;; [unrolled: 1-line block ×4, first 2 shown]
	s_and_saveexec_b64 s[16:17], vcc
	s_cbranch_execz .LBB664_27
; %bb.16:
	v_add_u32_e32 v0, 64, v23
	v_cmp_gt_i32_e64 s[0:1], s12, v0
	v_add_u32_e32 v0, 0x80, v23
	v_cmp_gt_i32_e64 s[2:3], s12, v0
	;; [unrolled: 2-line block ×3, first 2 shown]
	s_waitcnt lgkmcnt(0)
	v_mul_lo_u32 v0, s33, v24
	v_add_u32_e32 v6, 2, v24
	v_add_u32_e32 v7, 3, v24
	v_add3_u32 v25, v0, s33, v2
	v_mad_u64_u32 v[0:1], s[6:7], s33, v6, v[2:3]
	v_mad_u64_u32 v[4:5], s[6:7], s33, v7, v[2:3]
	v_mul_lo_u32 v1, v18, s33
	v_mul_lo_u32 v5, s34, v24
	v_mul_lo_u32 v26, s34, v6
	v_mul_lo_u32 v6, v18, s34
	v_cmp_gt_i32_e32 vcc, s12, v23
	s_lshl_b32 s36, s33, 4
	v_lshl_add_u32 v1, v1, 2, v2
	v_add_u32_e32 v5, s34, v5
	s_lshl_b32 s37, s34, 4
	v_mul_lo_u32 v27, s34, v7
	v_lshlrev_b32_e32 v28, 2, v6
	s_mov_b32 s38, 0
	s_mov_b64 s[18:19], 0
	v_mov_b32_e32 v19, 0
	v_mov_b32_e32 v20, 0
	;; [unrolled: 1-line block ×4, first 2 shown]
	s_branch .LBB664_21
.LBB664_17:                             ;   in Loop: Header=BB664_21 Depth=1
	s_or_b64 exec, exec, s[26:27]
	s_waitcnt vmcnt(0) lgkmcnt(0)
	v_lshlrev_b32_e32 v10, 16, v40
	v_fmac_f32_e32 v21, v8, v10
	v_lshlrev_b32_e32 v10, 16, v39
	v_fmac_f32_e32 v21, v9, v10
	v_lshlrev_b32_e32 v10, 16, v38
	v_fmac_f32_e32 v21, v6, v10
	v_lshlrev_b32_e32 v10, 16, v37
	v_fmac_f32_e32 v21, v7, v10
.LBB664_18:                             ;   in Loop: Header=BB664_21 Depth=1
	s_or_b64 exec, exec, s[24:25]
	s_waitcnt vmcnt(0) lgkmcnt(0)
	v_lshlrev_b32_e32 v10, 16, v36
	v_fmac_f32_e32 v20, v8, v10
	v_lshlrev_b32_e32 v10, 16, v35
	v_fmac_f32_e32 v20, v9, v10
	;; [unrolled: 2-line block ×4, first 2 shown]
.LBB664_19:                             ;   in Loop: Header=BB664_21 Depth=1
	s_or_b64 exec, exec, s[22:23]
	v_lshlrev_b32_e32 v10, 16, v32
	v_fmac_f32_e32 v19, v8, v10
	v_lshlrev_b32_e32 v8, 16, v31
	v_fmac_f32_e32 v19, v9, v8
	;; [unrolled: 2-line block ×4, first 2 shown]
.LBB664_20:                             ;   in Loop: Header=BB664_21 Depth=1
	s_or_b64 exec, exec, s[6:7]
	v_add_u32_e32 v24, 16, v24
	s_add_i32 s38, s38, s37
	v_cmp_le_i32_e64 s[6:7], s35, v24
	v_add_u32_e32 v25, s36, v25
	v_add_u32_e32 v0, s36, v0
	;; [unrolled: 1-line block ×3, first 2 shown]
	s_or_b64 s[18:19], s[6:7], s[18:19]
	v_add_u32_e32 v1, s36, v1
	s_andn2_b64 exec, exec, s[18:19]
	s_cbranch_execz .LBB664_26
.LBB664_21:                             ; =>This Inner Loop Header: Depth=1
	s_and_saveexec_b64 s[6:7], vcc
	s_cbranch_execz .LBB664_20
; %bb.22:                               ;   in Loop: Header=BB664_21 Depth=1
	v_add_u32_e32 v6, s38, v28
	v_ashrrev_i32_e32 v7, 31, v6
	v_add_u32_e32 v8, s38, v5
	v_add_u32_e32 v10, s38, v26
	;; [unrolled: 1-line block ×3, first 2 shown]
	v_lshl_add_u64 v[6:7], v[6:7], 1, s[20:21]
	v_ashrrev_i32_e32 v9, 31, v8
	v_ashrrev_i32_e32 v11, 31, v10
	;; [unrolled: 1-line block ×3, first 2 shown]
	v_lshl_add_u64 v[8:9], v[8:9], 1, s[20:21]
	v_lshl_add_u64 v[10:11], v[10:11], 1, s[20:21]
	;; [unrolled: 1-line block ×3, first 2 shown]
	flat_load_ushort v33, v[6:7]
	flat_load_ushort v34, v[8:9]
	;; [unrolled: 1-line block ×4, first 2 shown]
	v_add_u32_e32 v6, s31, v1
	v_ashrrev_i32_e32 v7, 31, v6
	v_lshl_add_u64 v[10:11], v[6:7], 1, s[14:15]
	v_add_u32_e32 v6, s31, v25
	v_ashrrev_i32_e32 v7, 31, v6
	v_lshl_add_u64 v[12:13], v[6:7], 1, s[14:15]
	;; [unrolled: 3-line block ×4, first 2 shown]
	flat_load_ushort v32, v[10:11]
	flat_load_ushort v31, v[12:13]
	;; [unrolled: 1-line block ×4, first 2 shown]
	s_waitcnt vmcnt(0) lgkmcnt(0)
	v_lshlrev_b32_e32 v8, 16, v33
	v_lshlrev_b32_e32 v9, 16, v34
	;; [unrolled: 1-line block ×4, first 2 shown]
	s_and_saveexec_b64 s[22:23], s[0:1]
	s_cbranch_execz .LBB664_19
; %bb.23:                               ;   in Loop: Header=BB664_21 Depth=1
	flat_load_ushort v36, v[10:11] offset:128
	flat_load_ushort v35, v[12:13] offset:128
	flat_load_ushort v34, v[14:15] offset:128
	flat_load_ushort v33, v[16:17] offset:128
	s_and_saveexec_b64 s[24:25], s[2:3]
	s_cbranch_execz .LBB664_18
; %bb.24:                               ;   in Loop: Header=BB664_21 Depth=1
	flat_load_ushort v40, v[10:11] offset:256
	flat_load_ushort v39, v[12:13] offset:256
	flat_load_ushort v38, v[14:15] offset:256
	flat_load_ushort v37, v[16:17] offset:256
	;; [unrolled: 7-line block ×3, first 2 shown]
	s_waitcnt vmcnt(0) lgkmcnt(0)
	v_lshlrev_b32_e32 v11, 16, v41
	v_lshlrev_b32_e32 v10, 16, v42
	v_pk_mul_f32 v[10:11], v[8:9], v[10:11]
	v_lshlrev_b32_e32 v13, 16, v43
	v_lshlrev_b32_e32 v12, 16, v44
	v_add_f32_e32 v10, v22, v10
	v_add_f32_e32 v14, v10, v11
	v_pk_mul_f32 v[10:11], v[6:7], v[12:13]
	s_nop 0
	v_add_f32_e32 v10, v14, v10
	v_add_f32_e32 v22, v10, v11
	s_branch .LBB664_17
.LBB664_26:
	s_or_b64 exec, exec, s[18:19]
.LBB664_27:
	s_or_b64 exec, exec, s[16:17]
	s_sub_i32 s0, s13, s35
	s_cmp_lt_i32 s0, 1
	s_cbranch_scc1 .LBB664_45
; %bb.28:
	v_cmp_gt_i32_e32 vcc, s13, v24
	v_mov_b32_e32 v10, 0
	v_or_b32_e32 v4, 1, v24
	v_mov_b32_e32 v11, 0
	v_mov_b32_e32 v12, 0
	;; [unrolled: 1-line block ×3, first 2 shown]
	s_and_saveexec_b64 s[2:3], vcc
	s_cbranch_execz .LBB664_36
; %bb.29:
	s_waitcnt lgkmcnt(0)
	v_mul_lo_u32 v0, v24, s34
	v_ashrrev_i32_e32 v1, 31, v0
	v_lshl_add_u64 v[0:1], v[0:1], 1, s[20:21]
	flat_load_ushort v0, v[0:1]
	v_cmp_gt_i32_e64 s[0:1], s13, v4
	v_mov_b32_e32 v12, 0
	v_mov_b32_e32 v11, 0
	;; [unrolled: 1-line block ×3, first 2 shown]
	s_and_saveexec_b64 s[4:5], s[0:1]
	s_cbranch_execz .LBB664_35
; %bb.30:
	v_mul_lo_u32 v6, v4, s34
	v_ashrrev_i32_e32 v7, 31, v6
	v_lshl_add_u64 v[6:7], v[6:7], 1, s[20:21]
	flat_load_ushort v1, v[6:7]
	v_or_b32_e32 v5, 2, v24
	v_cmp_gt_i32_e64 s[0:1], s13, v5
	v_mov_b32_e32 v11, 0
	v_mov_b32_e32 v10, 0
	s_and_saveexec_b64 s[6:7], s[0:1]
	s_cbranch_execz .LBB664_34
; %bb.31:
	v_mul_lo_u32 v6, v5, s34
	v_ashrrev_i32_e32 v7, 31, v6
	v_lshl_add_u64 v[6:7], v[6:7], 1, s[20:21]
	flat_load_ushort v5, v[6:7]
	v_or_b32_e32 v6, 3, v24
	v_cmp_gt_i32_e64 s[0:1], s13, v6
	v_mov_b32_e32 v10, 0
	s_and_saveexec_b64 s[16:17], s[0:1]
	s_cbranch_execz .LBB664_33
; %bb.32:
	v_mul_lo_u32 v6, v6, s34
	v_ashrrev_i32_e32 v7, 31, v6
	v_lshl_add_u64 v[6:7], v[6:7], 1, s[20:21]
	flat_load_ushort v6, v[6:7]
	s_waitcnt vmcnt(0) lgkmcnt(0)
	v_lshlrev_b32_e32 v10, 16, v6
.LBB664_33:
	s_or_b64 exec, exec, s[16:17]
	s_waitcnt vmcnt(0) lgkmcnt(0)
	v_lshlrev_b32_e32 v11, 16, v5
.LBB664_34:
	s_or_b64 exec, exec, s[6:7]
	s_waitcnt vmcnt(0) lgkmcnt(0)
	v_lshlrev_b32_e32 v12, 16, v1
.LBB664_35:
	s_or_b64 exec, exec, s[4:5]
	s_waitcnt vmcnt(0) lgkmcnt(0)
	v_lshlrev_b32_e32 v13, 16, v0
.LBB664_36:
	s_or_b64 exec, exec, s[2:3]
	v_cmp_gt_i32_e64 s[0:1], s12, v23
	s_and_saveexec_b64 s[2:3], s[0:1]
	s_cbranch_execz .LBB664_44
; %bb.37:
	s_waitcnt lgkmcnt(0)
	v_mul_lo_u32 v0, v24, s33
	v_cndmask_b32_e32 v0, 0, v0, vcc
	v_mul_lo_u32 v5, v4, s33
	v_cmp_gt_i32_e32 vcc, s13, v4
	v_or_b32_e32 v6, 2, v24
	v_add_u32_e32 v0, v0, v23
	v_cndmask_b32_e32 v4, 0, v5, vcc
	v_mul_lo_u32 v7, v6, s33
	v_cmp_gt_i32_e32 vcc, s13, v6
	v_or_b32_e32 v8, 3, v24
	v_ashrrev_i32_e32 v1, 31, v0
	v_add_u32_e32 v4, v4, v23
	v_cndmask_b32_e32 v6, 0, v7, vcc
	v_mul_lo_u32 v9, v8, s33
	v_cmp_gt_i32_e32 vcc, s13, v8
	v_lshl_add_u64 v[0:1], v[0:1], 1, s[14:15]
	v_ashrrev_i32_e32 v5, 31, v4
	v_add_u32_e32 v6, v6, v23
	v_cndmask_b32_e32 v8, 0, v9, vcc
	v_lshl_add_u64 v[4:5], v[4:5], 1, s[14:15]
	v_ashrrev_i32_e32 v7, 31, v6
	v_add_u32_e32 v8, v8, v23
	flat_load_ushort v14, v[0:1]
	flat_load_ushort v15, v[4:5]
	v_lshl_add_u64 v[6:7], v[6:7], 1, s[14:15]
	v_ashrrev_i32_e32 v9, 31, v8
	v_lshl_add_u64 v[8:9], v[8:9], 1, s[14:15]
	flat_load_ushort v16, v[6:7]
	flat_load_ushort v17, v[8:9]
	v_add_u32_e32 v24, 64, v23
	v_cmp_gt_i32_e32 vcc, s12, v24
	s_waitcnt vmcnt(0) lgkmcnt(0)
	v_lshlrev_b32_e32 v14, 16, v14
	v_lshlrev_b32_e32 v15, 16, v15
	v_fmac_f32_e32 v19, v13, v14
	v_fmac_f32_e32 v19, v12, v15
	v_lshlrev_b32_e32 v16, 16, v16
	v_lshlrev_b32_e32 v14, 16, v17
	v_fmac_f32_e32 v19, v11, v16
	s_and_saveexec_b64 s[0:1], vcc
	s_cbranch_execz .LBB664_43
; %bb.38:
	flat_load_ushort v15, v[0:1] offset:128
	flat_load_ushort v16, v[4:5] offset:128
	;; [unrolled: 1-line block ×4, first 2 shown]
	v_add_u32_e32 v25, 0x80, v23
	v_cmp_gt_i32_e32 vcc, s12, v25
	s_waitcnt vmcnt(0) lgkmcnt(0)
	v_lshlrev_b32_e32 v26, 16, v15
	v_lshlrev_b32_e32 v16, 16, v16
	v_fmac_f32_e32 v20, v13, v26
	v_lshlrev_b32_e32 v17, 16, v17
	v_fmac_f32_e32 v20, v12, v16
	;; [unrolled: 2-line block ×3, first 2 shown]
	s_and_saveexec_b64 s[4:5], vcc
	s_cbranch_execz .LBB664_42
; %bb.39:
	flat_load_ushort v16, v[0:1] offset:256
	flat_load_ushort v17, v[4:5] offset:256
	flat_load_ushort v24, v[6:7] offset:256
	flat_load_ushort v25, v[8:9] offset:256
	v_add_u32_e32 v23, 0xc0, v23
	v_cmp_gt_i32_e32 vcc, s12, v23
	s_waitcnt vmcnt(0) lgkmcnt(0)
	v_lshlrev_b32_e32 v26, 16, v16
	v_lshlrev_b32_e32 v17, 16, v17
	v_fmac_f32_e32 v21, v13, v26
	v_lshlrev_b32_e32 v24, 16, v24
	v_fmac_f32_e32 v21, v12, v17
	;; [unrolled: 2-line block ×3, first 2 shown]
	s_and_saveexec_b64 s[6:7], vcc
	s_cbranch_execz .LBB664_41
; %bb.40:
	flat_load_ushort v17, v[0:1] offset:384
	flat_load_ushort v23, v[4:5] offset:384
	;; [unrolled: 1-line block ×4, first 2 shown]
	s_waitcnt vmcnt(0) lgkmcnt(0)
	v_lshlrev_b32_e32 v0, 16, v17
	v_lshlrev_b32_e32 v1, 16, v23
	v_fmac_f32_e32 v22, v13, v0
	v_lshlrev_b32_e32 v4, 16, v24
	v_fmac_f32_e32 v22, v12, v1
	v_fmac_f32_e32 v22, v11, v4
	v_lshlrev_b32_e32 v0, 16, v25
	v_fmac_f32_e32 v22, v10, v0
.LBB664_41:
	s_or_b64 exec, exec, s[6:7]
	v_fmac_f32_e32 v21, v10, v16
.LBB664_42:
	s_or_b64 exec, exec, s[4:5]
	v_fmac_f32_e32 v20, v10, v15
.LBB664_43:
	s_or_b64 exec, exec, s[0:1]
	v_fmac_f32_e32 v19, v10, v14
.LBB664_44:
	s_or_b64 exec, exec, s[2:3]
.LBB664_45:
	v_lshlrev_b32_e32 v0, 8, v18
	s_movk_i32 s0, 0x100
	v_add_lshl_u32 v0, v0, v2, 2
	v_cmp_gt_u32_e32 vcc, s0, v3
	ds_write2st64_b32 v0, v19, v20 offset1:1
	ds_write2st64_b32 v0, v21, v22 offset0:2 offset1:3
	s_waitcnt lgkmcnt(0)
	s_barrier
	s_waitcnt lgkmcnt(0)
                                        ; implicit-def: $vgpr1
                                        ; implicit-def: $vgpr4_vgpr5
	s_and_saveexec_b64 s[0:1], vcc
	s_cbranch_execz .LBB664_51
; %bb.46:
	v_lshlrev_b32_e32 v1, 2, v3
	ds_read2st64_b32 v[4:5], v1 offset1:4
	ds_read2st64_b32 v[6:7], v1 offset0:8 offset1:12
	v_or_b32_e32 v0, s31, v3
	v_cmp_gt_i32_e32 vcc, s12, v0
	s_mov_b64 s[4:5], s[10:11]
	s_waitcnt lgkmcnt(1)
	v_add_f32_e32 v2, v4, v5
	s_waitcnt lgkmcnt(0)
	v_add_f32_e32 v2, v6, v2
	v_add_f32_e32 v2, v7, v2
	ds_write_b32 v1, v2
                                        ; implicit-def: $vgpr1
                                        ; implicit-def: $vgpr4_vgpr5
	s_and_saveexec_b64 s[2:3], vcc
	s_cbranch_execz .LBB664_50
; %bb.47:
	v_cmp_eq_f32_e64 s[4:5], s28, 0
	v_mul_lo_u32 v4, v0, s30
	v_mul_f32_e32 v1, s29, v2
	v_ashrrev_i32_e32 v5, 31, v4
	s_and_b64 vcc, exec, s[4:5]
	s_cbranch_vccnz .LBB664_49
; %bb.48:
	v_lshl_add_u64 v[2:3], v[4:5], 2, s[8:9]
	global_load_dword v0, v[2:3], off
	s_waitcnt vmcnt(0)
	v_fmac_f32_e32 v1, s28, v0
.LBB664_49:
	s_or_b64 s[4:5], s[10:11], exec
.LBB664_50:
	s_or_b64 exec, exec, s[2:3]
	s_andn2_b64 s[2:3], s[10:11], exec
	s_and_b64 s[4:5], s[4:5], exec
	s_or_b64 s[10:11], s[2:3], s[4:5]
.LBB664_51:
	s_or_b64 exec, exec, s[0:1]
.LBB664_52:
	s_and_saveexec_b64 s[0:1], s[10:11]
	s_cbranch_execz .LBB664_54
; %bb.53:
	v_lshl_add_u64 v[2:3], v[4:5], 2, s[8:9]
	global_store_dword v[2:3], v1, off
.LBB664_54:
	s_endpgm
	.section	.rodata,"a",@progbits
	.p2align	6, 0x0
	.amdhsa_kernel _ZL20rocblas_gemvn_kernelILi64ELi4EiPK16rocblas_bfloat16PKfKPfEviiT3_lPKT2_lT1_lSA_lSB_lS7_lPT4_lSB_li
		.amdhsa_group_segment_fixed_size 4096
		.amdhsa_private_segment_fixed_size 0
		.amdhsa_kernarg_size 400
		.amdhsa_user_sgpr_count 2
		.amdhsa_user_sgpr_dispatch_ptr 0
		.amdhsa_user_sgpr_queue_ptr 0
		.amdhsa_user_sgpr_kernarg_segment_ptr 1
		.amdhsa_user_sgpr_dispatch_id 0
		.amdhsa_user_sgpr_kernarg_preload_length 0
		.amdhsa_user_sgpr_kernarg_preload_offset 0
		.amdhsa_user_sgpr_private_segment_size 0
		.amdhsa_uses_dynamic_stack 0
		.amdhsa_enable_private_segment 0
		.amdhsa_system_sgpr_workgroup_id_x 1
		.amdhsa_system_sgpr_workgroup_id_y 0
		.amdhsa_system_sgpr_workgroup_id_z 1
		.amdhsa_system_sgpr_workgroup_info 0
		.amdhsa_system_vgpr_workitem_id 1
		.amdhsa_next_free_vgpr 45
		.amdhsa_next_free_sgpr 39
		.amdhsa_accum_offset 48
		.amdhsa_reserve_vcc 1
		.amdhsa_float_round_mode_32 0
		.amdhsa_float_round_mode_16_64 0
		.amdhsa_float_denorm_mode_32 3
		.amdhsa_float_denorm_mode_16_64 3
		.amdhsa_dx10_clamp 1
		.amdhsa_ieee_mode 1
		.amdhsa_fp16_overflow 0
		.amdhsa_tg_split 0
		.amdhsa_exception_fp_ieee_invalid_op 0
		.amdhsa_exception_fp_denorm_src 0
		.amdhsa_exception_fp_ieee_div_zero 0
		.amdhsa_exception_fp_ieee_overflow 0
		.amdhsa_exception_fp_ieee_underflow 0
		.amdhsa_exception_fp_ieee_inexact 0
		.amdhsa_exception_int_div_zero 0
	.end_amdhsa_kernel
	.section	.text._ZL20rocblas_gemvn_kernelILi64ELi4EiPK16rocblas_bfloat16PKfKPfEviiT3_lPKT2_lT1_lSA_lSB_lS7_lPT4_lSB_li,"axG",@progbits,_ZL20rocblas_gemvn_kernelILi64ELi4EiPK16rocblas_bfloat16PKfKPfEviiT3_lPKT2_lT1_lSA_lSB_lS7_lPT4_lSB_li,comdat
.Lfunc_end664:
	.size	_ZL20rocblas_gemvn_kernelILi64ELi4EiPK16rocblas_bfloat16PKfKPfEviiT3_lPKT2_lT1_lSA_lSB_lS7_lPT4_lSB_li, .Lfunc_end664-_ZL20rocblas_gemvn_kernelILi64ELi4EiPK16rocblas_bfloat16PKfKPfEviiT3_lPKT2_lT1_lSA_lSB_lS7_lPT4_lSB_li
                                        ; -- End function
	.section	.AMDGPU.csdata,"",@progbits
; Kernel info:
; codeLenInByte = 2404
; NumSgprs: 45
; NumVgprs: 45
; NumAgprs: 0
; TotalNumVgprs: 45
; ScratchSize: 0
; MemoryBound: 0
; FloatMode: 240
; IeeeMode: 1
; LDSByteSize: 4096 bytes/workgroup (compile time only)
; SGPRBlocks: 5
; VGPRBlocks: 5
; NumSGPRsForWavesPerEU: 45
; NumVGPRsForWavesPerEU: 45
; AccumOffset: 48
; Occupancy: 8
; WaveLimiterHint : 1
; COMPUTE_PGM_RSRC2:SCRATCH_EN: 0
; COMPUTE_PGM_RSRC2:USER_SGPR: 2
; COMPUTE_PGM_RSRC2:TRAP_HANDLER: 0
; COMPUTE_PGM_RSRC2:TGID_X_EN: 1
; COMPUTE_PGM_RSRC2:TGID_Y_EN: 0
; COMPUTE_PGM_RSRC2:TGID_Z_EN: 1
; COMPUTE_PGM_RSRC2:TIDIG_COMP_CNT: 1
; COMPUTE_PGM_RSRC3_GFX90A:ACCUM_OFFSET: 11
; COMPUTE_PGM_RSRC3_GFX90A:TG_SPLIT: 0
	.section	.text._ZL20rocblas_gemvn_kernelILi64ELi4ElPK16rocblas_bfloat16PKfKPfEviiT3_lPKT2_lT1_lSA_lSB_lS7_lPT4_lSB_li,"axG",@progbits,_ZL20rocblas_gemvn_kernelILi64ELi4ElPK16rocblas_bfloat16PKfKPfEviiT3_lPKT2_lT1_lSA_lSB_lS7_lPT4_lSB_li,comdat
	.globl	_ZL20rocblas_gemvn_kernelILi64ELi4ElPK16rocblas_bfloat16PKfKPfEviiT3_lPKT2_lT1_lSA_lSB_lS7_lPT4_lSB_li ; -- Begin function _ZL20rocblas_gemvn_kernelILi64ELi4ElPK16rocblas_bfloat16PKfKPfEviiT3_lPKT2_lT1_lSA_lSB_lS7_lPT4_lSB_li
	.p2align	8
	.type	_ZL20rocblas_gemvn_kernelILi64ELi4ElPK16rocblas_bfloat16PKfKPfEviiT3_lPKT2_lT1_lSA_lSB_lS7_lPT4_lSB_li,@function
_ZL20rocblas_gemvn_kernelILi64ELi4ElPK16rocblas_bfloat16PKfKPfEviiT3_lPKT2_lT1_lSA_lSB_lS7_lPT4_lSB_li: ; @_ZL20rocblas_gemvn_kernelILi64ELi4ElPK16rocblas_bfloat16PKfKPfEviiT3_lPKT2_lT1_lSA_lSB_lS7_lPT4_lSB_li
; %bb.0:
	s_load_dwordx2 s[4:5], s[0:1], 0x9c
	s_mov_b32 s26, s3
	s_waitcnt lgkmcnt(0)
	s_and_b32 s3, s5, 0xffff
	s_lshr_b32 s5, s4, 16
	s_and_b32 s4, s4, 0xffff
	s_mul_i32 s4, s5, s4
	s_mul_i32 s4, s4, s3
	s_cmpk_lg_i32 s4, 0x100
	s_cbranch_scc1 .LBB665_54
; %bb.1:
	s_load_dwordx8 s[12:19], s[0:1], 0x8
	s_load_dwordx8 s[4:11], s[0:1], 0x58
	s_waitcnt lgkmcnt(0)
	s_mul_i32 s3, s26, s15
	s_mul_hi_u32 s15, s26, s14
	s_mul_i32 s14, s26, s14
	s_add_i32 s15, s15, s3
	s_lshl_b64 s[14:15], s[14:15], 2
	s_mul_i32 s7, s26, s7
	s_add_u32 s12, s12, s14
	s_mul_hi_u32 s3, s26, s6
	s_addc_u32 s13, s13, s15
	s_add_i32 s7, s3, s7
	s_mul_i32 s6, s26, s6
	s_lshl_b64 s[6:7], s[6:7], 2
	s_add_u32 s4, s4, s6
	s_addc_u32 s5, s5, s7
	s_load_dword s42, s[12:13], 0x0
	s_load_dword s33, s[4:5], 0x0
	s_waitcnt lgkmcnt(0)
	v_cmp_eq_f32_e64 s[28:29], s42, 0
	v_cmp_eq_f32_e64 s[4:5], s33, 1.0
	s_and_b64 s[4:5], s[28:29], s[4:5]
	s_and_b64 vcc, exec, s[4:5]
	s_cbranch_vccnz .LBB665_54
; %bb.2:
	s_load_dwordx2 s[20:21], s[0:1], 0x28
	s_load_dwordx2 s[12:13], s[0:1], 0x78
	s_mov_b32 s27, 0
	v_cmp_neq_f32_e64 s[14:15], s42, 0
	s_mov_b64 s[24:25], 0
	s_and_b64 vcc, exec, s[28:29]
	s_mov_b64 s[22:23], 0
	s_cbranch_vccnz .LBB665_4
; %bb.3:
	s_lshl_b64 s[4:5], s[26:27], 3
	s_add_u32 s4, s16, s4
	s_addc_u32 s5, s17, s5
	s_load_dwordx2 s[4:5], s[4:5], 0x0
	s_lshl_b64 s[6:7], s[18:19], 1
	s_waitcnt lgkmcnt(0)
	s_add_u32 s22, s4, s6
	s_addc_u32 s23, s5, s7
.LBB665_4:
	s_load_dwordx4 s[4:7], s[0:1], 0x38
	s_load_dwordx2 s[16:17], s[0:1], 0x48
	s_andn2_b64 vcc, exec, s[14:15]
	s_cbranch_vccnz .LBB665_6
; %bb.5:
	s_lshl_b64 s[14:15], s[26:27], 3
	s_waitcnt lgkmcnt(0)
	s_add_u32 s4, s4, s14
	s_addc_u32 s5, s5, s15
	s_load_dwordx2 s[4:5], s[4:5], 0x0
	s_lshl_b64 s[6:7], s[6:7], 1
	s_waitcnt lgkmcnt(0)
	s_add_u32 s24, s4, s6
	s_addc_u32 s25, s5, s7
.LBB665_6:
	s_waitcnt lgkmcnt(0)
	s_lshl_b64 s[4:5], s[26:27], 3
	s_add_u32 s4, s8, s4
	s_addc_u32 s5, s9, s5
	s_load_dwordx2 s[6:7], s[4:5], 0x0
	s_load_dwordx2 s[14:15], s[0:1], 0x0
	s_lshl_b64 s[0:1], s[10:11], 2
	v_and_b32_e32 v33, 0x3ff, v0
	v_bfe_u32 v34, v0, 10, 10
	s_waitcnt lgkmcnt(0)
	s_add_u32 s8, s6, s0
	s_addc_u32 s9, s7, s1
	s_andn2_b64 vcc, exec, s[28:29]
	v_lshl_add_u32 v32, v34, 6, v33
	s_cbranch_vccnz .LBB665_13
; %bb.7:
	s_movk_i32 s0, 0x100
	v_cmp_gt_u32_e32 vcc, s0, v32
	s_mov_b64 s[0:1], 0
	s_mov_b64 s[10:11], 0
                                        ; implicit-def: $vgpr1
                                        ; implicit-def: $vgpr2_vgpr3
	s_and_saveexec_b64 s[4:5], vcc
	s_cbranch_execz .LBB665_14
; %bb.8:
	v_lshl_or_b32 v0, s2, 8, v32
	v_mov_b32_e32 v1, 0
	s_ashr_i32 s7, s14, 31
	s_mov_b32 s6, s14
	v_cmp_gt_i64_e32 vcc, s[6:7], v[0:1]
                                        ; implicit-def: $vgpr2_vgpr3
	s_and_saveexec_b64 s[6:7], vcc
	s_cbranch_execz .LBB665_12
; %bb.9:
	v_mad_u64_u32 v[2:3], s[18:19], v0, s12, 0
	v_mov_b32_e32 v4, v3
	v_cmp_eq_f32_e64 s[10:11], s33, 0
	v_mad_u64_u32 v[4:5], s[18:19], v0, s13, v[4:5]
	v_mov_b32_e32 v3, v4
	s_and_b64 vcc, exec, s[10:11]
	s_cbranch_vccnz .LBB665_11
; %bb.10:
	v_lshl_add_u64 v[0:1], v[2:3], 2, s[8:9]
	global_load_dword v0, v[0:1], off
	s_waitcnt vmcnt(0)
	v_mul_f32_e32 v1, s33, v0
.LBB665_11:
	s_mov_b64 s[10:11], exec
.LBB665_12:
	s_or_b64 exec, exec, s[6:7]
	s_and_b64 s[10:11], s[10:11], exec
	s_or_b64 exec, exec, s[4:5]
	s_and_b64 vcc, exec, s[0:1]
	s_cbranch_vccnz .LBB665_15
	s_branch .LBB665_52
.LBB665_13:
	s_mov_b64 s[10:11], 0
                                        ; implicit-def: $vgpr1
                                        ; implicit-def: $vgpr2_vgpr3
	s_cbranch_execnz .LBB665_15
	s_branch .LBB665_52
.LBB665_14:
	s_or_b64 exec, exec, s[4:5]
	s_and_b64 vcc, exec, s[0:1]
	s_cbranch_vccz .LBB665_52
.LBB665_15:
	s_ashr_i32 s0, s15, 31
	s_lshr_b32 s0, s0, 28
	s_add_i32 s0, s15, s0
	s_lshl_b32 s43, s2, 8
	s_and_b32 s44, s0, -16
	v_lshlrev_b32_e32 v39, 2, v34
	v_add_u32_e32 v0, s43, v33
	v_cmp_gt_i32_e32 vcc, s44, v39
	v_mov_b32_e32 v35, 0
	v_mov_b32_e32 v36, 0
	;; [unrolled: 1-line block ×4, first 2 shown]
	s_and_saveexec_b64 s[18:19], vcc
	s_cbranch_execz .LBB665_27
; %bb.16:
	v_add_u32_e32 v2, 64, v0
	v_cmp_gt_i32_e64 s[0:1], s14, v2
	v_add_u32_e32 v2, 0x80, v0
	v_ashrrev_i32_e32 v1, 31, v0
	v_cmp_gt_i32_e64 s[2:3], s14, v2
	v_add_u32_e32 v2, 0xc0, v0
	v_cmp_gt_i32_e64 s[4:5], s14, v2
	v_lshlrev_b64 v[2:3], 1, v[0:1]
	v_lshlrev_b32_e32 v1, 2, v34
	v_or_b32_e32 v15, 3, v1
	v_mad_u64_u32 v[4:5], s[6:7], s20, v15, 0
	v_mov_b32_e32 v6, v5
	v_mad_u64_u32 v[6:7], s[6:7], s21, v15, v[6:7]
	v_mov_b32_e32 v5, v6
	;; [unrolled: 2-line block ×6, first 2 shown]
	v_mov_b64_e32 v[10:11], s[16:17]
	v_mad_u64_u32 v[10:11], s[6:7], s16, v1, v[10:11]
	v_mov_b32_e32 v12, v11
	v_mad_u64_u32 v[12:13], s[6:7], s17, v1, v[12:13]
	v_mov_b32_e32 v11, v12
	;; [unrolled: 2-line block ×3, first 2 shown]
	v_mad_u64_u32 v[14:15], s[6:7], s17, v15, v[14:15]
	v_or_b32_e32 v21, 2, v1
	v_mov_b32_e32 v13, v14
	v_mad_u64_u32 v[14:15], s[6:7], s20, v21, 0
	v_mov_b32_e32 v16, v15
	v_mad_u64_u32 v[16:17], s[6:7], s21, v21, v[16:17]
	v_mov_b32_e32 v15, v16
	v_mov_b64_e32 v[16:17], s[20:21]
	v_mad_u64_u32 v[16:17], s[6:7], s20, v1, v[16:17]
	v_mov_b32_e32 v18, v17
	v_mad_u64_u32 v[18:19], s[6:7], s21, v1, v[18:19]
	v_mov_b32_e32 v17, v18
	;; [unrolled: 2-line block ×4, first 2 shown]
	v_cmp_gt_i32_e32 vcc, s14, v0
	v_lshl_add_u64 v[4:5], v[4:5], 1, s[22:23]
	s_lshl_b64 s[26:27], s[20:21], 5
	v_lshlrev_b64 v[6:7], 3, v[6:7]
	s_lshl_b64 s[28:29], s[16:17], 5
	v_lshl_add_u64 v[8:9], v[8:9], 3, s[22:23]
	v_lshlrev_b64 v[10:11], 1, v[10:11]
	v_lshlrev_b64 v[12:13], 1, v[12:13]
	v_lshl_add_u64 v[14:15], v[14:15], 1, s[22:23]
	v_lshl_add_u64 v[16:17], v[16:17], 1, s[22:23]
	v_lshlrev_b64 v[18:19], 1, v[18:19]
	s_mov_b64 s[30:31], 0
	v_mov_b32_e32 v35, 0
	s_mov_b64 s[34:35], s[24:25]
	v_mov_b32_e32 v36, 0
	v_mov_b32_e32 v37, 0
	;; [unrolled: 1-line block ×3, first 2 shown]
	s_branch .LBB665_21
.LBB665_17:                             ;   in Loop: Header=BB665_21 Depth=1
	s_or_b64 exec, exec, s[40:41]
	s_waitcnt vmcnt(0) lgkmcnt(0)
	v_lshlrev_b32_e32 v24, 16, v50
	v_fmac_f32_e32 v37, v22, v24
	v_lshlrev_b32_e32 v24, 16, v49
	v_fmac_f32_e32 v37, v23, v24
	;; [unrolled: 2-line block ×4, first 2 shown]
.LBB665_18:                             ;   in Loop: Header=BB665_21 Depth=1
	s_or_b64 exec, exec, s[38:39]
	s_waitcnt vmcnt(0) lgkmcnt(0)
	v_lshlrev_b32_e32 v24, 16, v46
	v_fmac_f32_e32 v36, v22, v24
	v_lshlrev_b32_e32 v24, 16, v45
	v_fmac_f32_e32 v36, v23, v24
	v_lshlrev_b32_e32 v24, 16, v44
	v_fmac_f32_e32 v36, v20, v24
	v_lshlrev_b32_e32 v24, 16, v43
	v_fmac_f32_e32 v36, v21, v24
.LBB665_19:                             ;   in Loop: Header=BB665_21 Depth=1
	s_or_b64 exec, exec, s[36:37]
	v_lshlrev_b32_e32 v24, 16, v42
	v_fmac_f32_e32 v35, v22, v24
	v_lshlrev_b32_e32 v22, 16, v41
	v_fmac_f32_e32 v35, v23, v22
	;; [unrolled: 2-line block ×4, first 2 shown]
.LBB665_20:                             ;   in Loop: Header=BB665_21 Depth=1
	s_or_b64 exec, exec, s[6:7]
	v_add_u32_e32 v39, 16, v39
	s_add_u32 s34, s34, s28
	s_addc_u32 s35, s35, s29
	v_cmp_le_i32_e64 s[6:7], s44, v39
	v_lshl_add_u64 v[4:5], v[4:5], 0, s[26:27]
	v_lshl_add_u64 v[8:9], v[8:9], 0, s[26:27]
	v_lshl_add_u64 v[14:15], v[14:15], 0, s[26:27]
	s_or_b64 s[30:31], s[6:7], s[30:31]
	v_lshl_add_u64 v[16:17], v[16:17], 0, s[26:27]
	s_andn2_b64 exec, exec, s[30:31]
	s_cbranch_execz .LBB665_26
.LBB665_21:                             ; =>This Inner Loop Header: Depth=1
	s_and_saveexec_b64 s[6:7], vcc
	s_cbranch_execz .LBB665_20
; %bb.22:                               ;   in Loop: Header=BB665_21 Depth=1
	v_lshl_add_u64 v[20:21], s[34:35], 0, v[6:7]
	v_lshl_add_u64 v[24:25], s[34:35], 0, v[18:19]
	;; [unrolled: 1-line block ×4, first 2 shown]
	flat_load_ushort v43, v[20:21]
	flat_load_ushort v44, v[22:23]
	;; [unrolled: 1-line block ×4, first 2 shown]
	v_lshl_add_u64 v[24:25], v[8:9], 0, v[2:3]
	v_lshl_add_u64 v[26:27], v[16:17], 0, v[2:3]
	;; [unrolled: 1-line block ×4, first 2 shown]
	flat_load_ushort v42, v[24:25]
	flat_load_ushort v41, v[26:27]
	;; [unrolled: 1-line block ×4, first 2 shown]
	s_waitcnt vmcnt(0) lgkmcnt(0)
	v_lshlrev_b32_e32 v22, 16, v43
	v_lshlrev_b32_e32 v23, 16, v44
	;; [unrolled: 1-line block ×4, first 2 shown]
	s_and_saveexec_b64 s[36:37], s[0:1]
	s_cbranch_execz .LBB665_19
; %bb.23:                               ;   in Loop: Header=BB665_21 Depth=1
	flat_load_ushort v46, v[24:25] offset:128
	flat_load_ushort v45, v[26:27] offset:128
	flat_load_ushort v44, v[28:29] offset:128
	flat_load_ushort v43, v[30:31] offset:128
	s_and_saveexec_b64 s[38:39], s[2:3]
	s_cbranch_execz .LBB665_18
; %bb.24:                               ;   in Loop: Header=BB665_21 Depth=1
	flat_load_ushort v50, v[24:25] offset:256
	flat_load_ushort v49, v[26:27] offset:256
	flat_load_ushort v48, v[28:29] offset:256
	flat_load_ushort v47, v[30:31] offset:256
	;; [unrolled: 7-line block ×3, first 2 shown]
	s_waitcnt vmcnt(0) lgkmcnt(0)
	v_lshlrev_b32_e32 v25, 16, v51
	v_lshlrev_b32_e32 v24, 16, v52
	v_pk_mul_f32 v[24:25], v[22:23], v[24:25]
	v_lshlrev_b32_e32 v27, 16, v53
	v_lshlrev_b32_e32 v26, 16, v54
	v_add_f32_e32 v24, v38, v24
	v_add_f32_e32 v28, v24, v25
	v_pk_mul_f32 v[24:25], v[20:21], v[26:27]
	s_nop 0
	v_add_f32_e32 v24, v28, v24
	v_add_f32_e32 v38, v24, v25
	s_branch .LBB665_17
.LBB665_26:
	s_or_b64 exec, exec, s[30:31]
.LBB665_27:
	s_or_b64 exec, exec, s[18:19]
	s_sub_i32 s0, s15, s44
	s_cmp_lt_i32 s0, 1
	s_cbranch_scc1 .LBB665_45
; %bb.28:
	v_cmp_gt_i32_e32 vcc, s15, v39
	v_mov_b32_e32 v10, 0
	v_or_b32_e32 v4, 1, v39
	v_mov_b32_e32 v11, 0
	v_mov_b32_e32 v12, 0
	;; [unrolled: 1-line block ×3, first 2 shown]
	s_and_saveexec_b64 s[2:3], vcc
	s_cbranch_execz .LBB665_36
; %bb.29:
	v_mad_u64_u32 v[2:3], s[0:1], v39, s16, 0
	v_mov_b32_e32 v6, v3
	v_mad_u64_u32 v[6:7], s[0:1], v39, s17, v[6:7]
	v_mov_b32_e32 v3, v6
	v_lshl_add_u64 v[2:3], v[2:3], 1, s[24:25]
	flat_load_ushort v1, v[2:3]
	v_cmp_gt_i32_e64 s[0:1], s15, v4
	v_mov_b32_e32 v12, 0
	v_mov_b32_e32 v11, 0
	;; [unrolled: 1-line block ×3, first 2 shown]
	s_and_saveexec_b64 s[4:5], s[0:1]
	s_cbranch_execz .LBB665_35
; %bb.30:
	v_mad_u64_u32 v[2:3], s[0:1], v4, s16, 0
	v_mov_b32_e32 v6, v3
	v_mad_u64_u32 v[6:7], s[0:1], v4, s17, v[6:7]
	v_mov_b32_e32 v3, v6
	v_lshl_add_u64 v[2:3], v[2:3], 1, s[24:25]
	flat_load_ushort v2, v[2:3]
	v_or_b32_e32 v3, 2, v39
	v_cmp_gt_i32_e64 s[0:1], s15, v3
	v_mov_b32_e32 v11, 0
	v_mov_b32_e32 v10, 0
	s_and_saveexec_b64 s[6:7], s[0:1]
	s_cbranch_execz .LBB665_34
; %bb.31:
	v_mad_u64_u32 v[6:7], s[0:1], v3, s16, 0
	v_mov_b32_e32 v8, v7
	v_mad_u64_u32 v[8:9], s[0:1], v3, s17, v[8:9]
	v_mov_b32_e32 v7, v8
	v_lshl_add_u64 v[6:7], v[6:7], 1, s[24:25]
	flat_load_ushort v3, v[6:7]
	v_or_b32_e32 v5, 3, v39
	v_cmp_gt_i32_e64 s[0:1], s15, v5
	v_mov_b32_e32 v10, 0
	s_and_saveexec_b64 s[18:19], s[0:1]
	s_cbranch_execz .LBB665_33
; %bb.32:
	v_mad_u64_u32 v[6:7], s[0:1], v5, s16, 0
	v_mov_b32_e32 v8, v7
	v_mad_u64_u32 v[8:9], s[0:1], v5, s17, v[8:9]
	v_mov_b32_e32 v7, v8
	v_lshl_add_u64 v[6:7], v[6:7], 1, s[24:25]
	flat_load_ushort v5, v[6:7]
	s_waitcnt vmcnt(0) lgkmcnt(0)
	v_lshlrev_b32_e32 v10, 16, v5
.LBB665_33:
	s_or_b64 exec, exec, s[18:19]
	s_waitcnt vmcnt(0) lgkmcnt(0)
	v_lshlrev_b32_e32 v11, 16, v3
.LBB665_34:
	s_or_b64 exec, exec, s[6:7]
	s_waitcnt vmcnt(0) lgkmcnt(0)
	v_lshlrev_b32_e32 v12, 16, v2
.LBB665_35:
	s_or_b64 exec, exec, s[4:5]
	s_waitcnt vmcnt(0) lgkmcnt(0)
	v_lshlrev_b32_e32 v13, 16, v1
.LBB665_36:
	s_or_b64 exec, exec, s[2:3]
	v_cmp_gt_i32_e64 s[0:1], s14, v0
	s_and_saveexec_b64 s[2:3], s[0:1]
	s_cbranch_execz .LBB665_44
; %bb.37:
	v_mad_u64_u32 v[2:3], s[0:1], v39, s20, 0
	v_mov_b32_e32 v6, v3
	v_mad_u64_u32 v[6:7], s[0:1], v39, s21, v[6:7]
	v_ashrrev_i32_e32 v1, 31, v0
	v_cndmask_b32_e32 v3, 0, v6, vcc
	v_mad_u64_u32 v[6:7], s[0:1], v4, s20, 0
	v_cndmask_b32_e32 v2, 0, v2, vcc
	v_lshlrev_b64 v[8:9], 1, v[0:1]
	v_mov_b32_e32 v14, v7
	v_cmp_gt_i32_e32 vcc, s15, v4
	v_or_b32_e32 v1, 2, v39
	v_mad_u64_u32 v[14:15], s[0:1], v4, s21, v[14:15]
	v_cndmask_b32_e32 v4, 0, v6, vcc
	v_mad_u64_u32 v[6:7], s[0:1], v1, s20, 0
	v_cndmask_b32_e32 v5, 0, v14, vcc
	v_mov_b32_e32 v14, v7
	v_mad_u64_u32 v[14:15], s[0:1], v1, s21, v[14:15]
	v_cmp_gt_i32_e32 vcc, s15, v1
	v_or_b32_e32 v1, 3, v39
	v_lshl_add_u64 v[2:3], v[2:3], 1, s[22:23]
	v_cndmask_b32_e32 v7, 0, v14, vcc
	v_mad_u64_u32 v[14:15], s[0:1], v1, s20, 0
	v_mov_b32_e32 v16, v15
	v_lshl_add_u64 v[2:3], v[2:3], 0, v[8:9]
	v_lshl_add_u64 v[4:5], v[4:5], 1, s[22:23]
	v_cndmask_b32_e32 v6, 0, v6, vcc
	v_mad_u64_u32 v[16:17], s[0:1], v1, s21, v[16:17]
	v_cmp_gt_i32_e32 vcc, s15, v1
	v_lshl_add_u64 v[4:5], v[4:5], 0, v[8:9]
	v_lshl_add_u64 v[6:7], v[6:7], 1, s[22:23]
	v_cndmask_b32_e32 v14, 0, v14, vcc
	v_cndmask_b32_e32 v15, 0, v16, vcc
	flat_load_ushort v1, v[2:3]
	flat_load_ushort v16, v[4:5]
	v_lshl_add_u64 v[6:7], v[6:7], 0, v[8:9]
	v_lshl_add_u64 v[14:15], v[14:15], 1, s[22:23]
	;; [unrolled: 1-line block ×3, first 2 shown]
	flat_load_ushort v14, v[6:7]
	flat_load_ushort v15, v[8:9]
	v_add_u32_e32 v17, 64, v0
	v_cmp_gt_i32_e32 vcc, s14, v17
	s_waitcnt vmcnt(0) lgkmcnt(0)
	v_lshlrev_b32_e32 v1, 16, v1
	v_lshlrev_b32_e32 v16, 16, v16
	v_fmac_f32_e32 v35, v13, v1
	v_fmac_f32_e32 v35, v12, v16
	v_lshlrev_b32_e32 v14, 16, v14
	v_lshlrev_b32_e32 v1, 16, v15
	v_fmac_f32_e32 v35, v11, v14
	s_and_saveexec_b64 s[0:1], vcc
	s_cbranch_execz .LBB665_43
; %bb.38:
	flat_load_ushort v14, v[2:3] offset:128
	flat_load_ushort v15, v[4:5] offset:128
	;; [unrolled: 1-line block ×4, first 2 shown]
	v_add_u32_e32 v18, 0x80, v0
	v_cmp_gt_i32_e32 vcc, s14, v18
	s_waitcnt vmcnt(0) lgkmcnt(0)
	v_lshlrev_b32_e32 v19, 16, v14
	v_lshlrev_b32_e32 v15, 16, v15
	v_fmac_f32_e32 v36, v13, v19
	v_lshlrev_b32_e32 v16, 16, v16
	v_fmac_f32_e32 v36, v12, v15
	;; [unrolled: 2-line block ×3, first 2 shown]
	s_and_saveexec_b64 s[4:5], vcc
	s_cbranch_execz .LBB665_42
; %bb.39:
	flat_load_ushort v15, v[2:3] offset:256
	flat_load_ushort v16, v[4:5] offset:256
	;; [unrolled: 1-line block ×4, first 2 shown]
	v_add_u32_e32 v19, 0xc0, v0
	v_cmp_gt_i32_e32 vcc, s14, v19
	s_waitcnt vmcnt(0) lgkmcnt(0)
	v_lshlrev_b32_e32 v15, 16, v15
	v_lshlrev_b32_e32 v16, 16, v16
	v_fmac_f32_e32 v37, v13, v15
	v_lshlrev_b32_e32 v17, 16, v17
	v_fmac_f32_e32 v37, v12, v16
	;; [unrolled: 2-line block ×3, first 2 shown]
	s_and_saveexec_b64 s[6:7], vcc
	s_cbranch_execz .LBB665_41
; %bb.40:
	flat_load_ushort v15, v[2:3] offset:384
	flat_load_ushort v16, v[4:5] offset:384
	flat_load_ushort v17, v[6:7] offset:384
	flat_load_ushort v18, v[8:9] offset:384
	s_waitcnt vmcnt(0) lgkmcnt(0)
	v_lshlrev_b32_e32 v2, 16, v15
	v_lshlrev_b32_e32 v3, 16, v16
	v_fmac_f32_e32 v38, v13, v2
	v_lshlrev_b32_e32 v4, 16, v17
	v_fmac_f32_e32 v38, v12, v3
	v_fmac_f32_e32 v38, v11, v4
	v_lshlrev_b32_e32 v2, 16, v18
	v_fmac_f32_e32 v38, v10, v2
.LBB665_41:
	s_or_b64 exec, exec, s[6:7]
	v_fmac_f32_e32 v37, v10, v0
.LBB665_42:
	s_or_b64 exec, exec, s[4:5]
	v_fmac_f32_e32 v36, v10, v14
.LBB665_43:
	s_or_b64 exec, exec, s[0:1]
	v_fmac_f32_e32 v35, v10, v1
.LBB665_44:
	s_or_b64 exec, exec, s[2:3]
.LBB665_45:
	v_lshlrev_b32_e32 v0, 8, v34
	s_movk_i32 s0, 0x100
	v_add_lshl_u32 v0, v0, v33, 2
	v_cmp_gt_u32_e32 vcc, s0, v32
	ds_write2st64_b32 v0, v35, v36 offset1:1
	ds_write2st64_b32 v0, v37, v38 offset0:2 offset1:3
	s_waitcnt lgkmcnt(0)
	s_barrier
	s_waitcnt lgkmcnt(0)
                                        ; implicit-def: $vgpr1
                                        ; implicit-def: $vgpr2_vgpr3
	s_and_saveexec_b64 s[0:1], vcc
	s_cbranch_execz .LBB665_51
; %bb.46:
	v_lshlrev_b32_e32 v1, 2, v32
	ds_read2st64_b32 v[2:3], v1 offset1:4
	ds_read2st64_b32 v[4:5], v1 offset0:8 offset1:12
	v_or_b32_e32 v0, s43, v32
	v_cmp_gt_i32_e32 vcc, s14, v0
	s_mov_b64 s[4:5], s[10:11]
	s_waitcnt lgkmcnt(1)
	v_add_f32_e32 v2, v2, v3
	s_waitcnt lgkmcnt(0)
	v_add_f32_e32 v2, v4, v2
	v_add_f32_e32 v4, v5, v2
	ds_write_b32 v1, v4
                                        ; implicit-def: $vgpr1
                                        ; implicit-def: $vgpr2_vgpr3
	s_and_saveexec_b64 s[2:3], vcc
	s_cbranch_execz .LBB665_50
; %bb.47:
	v_ashrrev_i32_e32 v2, 31, v0
	v_cmp_eq_f32_e64 s[4:5], s33, 0
	v_mul_f32_e32 v1, s42, v4
	v_mul_lo_u32 v4, v0, s13
	v_mul_lo_u32 v5, v2, s12
	v_mad_u64_u32 v[2:3], s[6:7], v0, s12, 0
	v_add3_u32 v3, v3, v4, v5
	s_and_b64 vcc, exec, s[4:5]
	s_cbranch_vccnz .LBB665_49
; %bb.48:
	v_lshl_add_u64 v[4:5], v[2:3], 2, s[8:9]
	global_load_dword v0, v[4:5], off
	s_waitcnt vmcnt(0)
	v_fmac_f32_e32 v1, s33, v0
.LBB665_49:
	s_or_b64 s[4:5], s[10:11], exec
.LBB665_50:
	s_or_b64 exec, exec, s[2:3]
	s_andn2_b64 s[2:3], s[10:11], exec
	s_and_b64 s[4:5], s[4:5], exec
	s_or_b64 s[10:11], s[2:3], s[4:5]
.LBB665_51:
	s_or_b64 exec, exec, s[0:1]
.LBB665_52:
	s_and_saveexec_b64 s[0:1], s[10:11]
	s_cbranch_execz .LBB665_54
; %bb.53:
	v_lshl_add_u64 v[2:3], v[2:3], 2, s[8:9]
	global_store_dword v[2:3], v1, off
.LBB665_54:
	s_endpgm
	.section	.rodata,"a",@progbits
	.p2align	6, 0x0
	.amdhsa_kernel _ZL20rocblas_gemvn_kernelILi64ELi4ElPK16rocblas_bfloat16PKfKPfEviiT3_lPKT2_lT1_lSA_lSB_lS7_lPT4_lSB_li
		.amdhsa_group_segment_fixed_size 4096
		.amdhsa_private_segment_fixed_size 0
		.amdhsa_kernarg_size 400
		.amdhsa_user_sgpr_count 2
		.amdhsa_user_sgpr_dispatch_ptr 0
		.amdhsa_user_sgpr_queue_ptr 0
		.amdhsa_user_sgpr_kernarg_segment_ptr 1
		.amdhsa_user_sgpr_dispatch_id 0
		.amdhsa_user_sgpr_kernarg_preload_length 0
		.amdhsa_user_sgpr_kernarg_preload_offset 0
		.amdhsa_user_sgpr_private_segment_size 0
		.amdhsa_uses_dynamic_stack 0
		.amdhsa_enable_private_segment 0
		.amdhsa_system_sgpr_workgroup_id_x 1
		.amdhsa_system_sgpr_workgroup_id_y 0
		.amdhsa_system_sgpr_workgroup_id_z 1
		.amdhsa_system_sgpr_workgroup_info 0
		.amdhsa_system_vgpr_workitem_id 1
		.amdhsa_next_free_vgpr 55
		.amdhsa_next_free_sgpr 45
		.amdhsa_accum_offset 56
		.amdhsa_reserve_vcc 1
		.amdhsa_float_round_mode_32 0
		.amdhsa_float_round_mode_16_64 0
		.amdhsa_float_denorm_mode_32 3
		.amdhsa_float_denorm_mode_16_64 3
		.amdhsa_dx10_clamp 1
		.amdhsa_ieee_mode 1
		.amdhsa_fp16_overflow 0
		.amdhsa_tg_split 0
		.amdhsa_exception_fp_ieee_invalid_op 0
		.amdhsa_exception_fp_denorm_src 0
		.amdhsa_exception_fp_ieee_div_zero 0
		.amdhsa_exception_fp_ieee_overflow 0
		.amdhsa_exception_fp_ieee_underflow 0
		.amdhsa_exception_fp_ieee_inexact 0
		.amdhsa_exception_int_div_zero 0
	.end_amdhsa_kernel
	.section	.text._ZL20rocblas_gemvn_kernelILi64ELi4ElPK16rocblas_bfloat16PKfKPfEviiT3_lPKT2_lT1_lSA_lSB_lS7_lPT4_lSB_li,"axG",@progbits,_ZL20rocblas_gemvn_kernelILi64ELi4ElPK16rocblas_bfloat16PKfKPfEviiT3_lPKT2_lT1_lSA_lSB_lS7_lPT4_lSB_li,comdat
.Lfunc_end665:
	.size	_ZL20rocblas_gemvn_kernelILi64ELi4ElPK16rocblas_bfloat16PKfKPfEviiT3_lPKT2_lT1_lSA_lSB_lS7_lPT4_lSB_li, .Lfunc_end665-_ZL20rocblas_gemvn_kernelILi64ELi4ElPK16rocblas_bfloat16PKfKPfEviiT3_lPKT2_lT1_lSA_lSB_lS7_lPT4_lSB_li
                                        ; -- End function
	.section	.AMDGPU.csdata,"",@progbits
; Kernel info:
; codeLenInByte = 2684
; NumSgprs: 51
; NumVgprs: 55
; NumAgprs: 0
; TotalNumVgprs: 55
; ScratchSize: 0
; MemoryBound: 0
; FloatMode: 240
; IeeeMode: 1
; LDSByteSize: 4096 bytes/workgroup (compile time only)
; SGPRBlocks: 6
; VGPRBlocks: 6
; NumSGPRsForWavesPerEU: 51
; NumVGPRsForWavesPerEU: 55
; AccumOffset: 56
; Occupancy: 8
; WaveLimiterHint : 1
; COMPUTE_PGM_RSRC2:SCRATCH_EN: 0
; COMPUTE_PGM_RSRC2:USER_SGPR: 2
; COMPUTE_PGM_RSRC2:TRAP_HANDLER: 0
; COMPUTE_PGM_RSRC2:TGID_X_EN: 1
; COMPUTE_PGM_RSRC2:TGID_Y_EN: 0
; COMPUTE_PGM_RSRC2:TGID_Z_EN: 1
; COMPUTE_PGM_RSRC2:TIDIG_COMP_CNT: 1
; COMPUTE_PGM_RSRC3_GFX90A:ACCUM_OFFSET: 13
; COMPUTE_PGM_RSRC3_GFX90A:TG_SPLIT: 0
	.section	.text._ZL20rocblas_gemvn_kernelILi64ELi4EiPK16rocblas_bfloat16fKPfEviiT3_lPKT2_lT1_lS8_lS9_lS5_lPT4_lS9_li,"axG",@progbits,_ZL20rocblas_gemvn_kernelILi64ELi4EiPK16rocblas_bfloat16fKPfEviiT3_lPKT2_lT1_lS8_lS9_lS5_lPT4_lS9_li,comdat
	.globl	_ZL20rocblas_gemvn_kernelILi64ELi4EiPK16rocblas_bfloat16fKPfEviiT3_lPKT2_lT1_lS8_lS9_lS5_lPT4_lS9_li ; -- Begin function _ZL20rocblas_gemvn_kernelILi64ELi4EiPK16rocblas_bfloat16fKPfEviiT3_lPKT2_lT1_lS8_lS9_lS5_lPT4_lS9_li
	.p2align	8
	.type	_ZL20rocblas_gemvn_kernelILi64ELi4EiPK16rocblas_bfloat16fKPfEviiT3_lPKT2_lT1_lS8_lS9_lS5_lPT4_lS9_li,@function
_ZL20rocblas_gemvn_kernelILi64ELi4EiPK16rocblas_bfloat16fKPfEviiT3_lPKT2_lT1_lS8_lS9_lS5_lPT4_lS9_li: ; @_ZL20rocblas_gemvn_kernelILi64ELi4EiPK16rocblas_bfloat16fKPfEviiT3_lPKT2_lT1_lS8_lS9_lS5_lPT4_lS9_li
; %bb.0:
	s_load_dwordx2 s[4:5], s[0:1], 0x9c
	s_mov_b32 s6, s3
	s_waitcnt lgkmcnt(0)
	s_and_b32 s3, s5, 0xffff
	s_lshr_b32 s5, s4, 16
	s_and_b32 s4, s4, 0xffff
	s_mul_i32 s4, s5, s4
	s_mul_i32 s4, s4, s3
	s_cmpk_lg_i32 s4, 0x100
	s_cbranch_scc1 .LBB666_56
; %bb.1:
	s_load_dwordx4 s[8:11], s[0:1], 0x0
	s_waitcnt lgkmcnt(0)
	s_load_dword s11, s[0:1], 0x58
	v_cmp_eq_f32_e64 s[4:5], s10, 0
	s_waitcnt lgkmcnt(0)
	v_cmp_eq_f32_e64 s[12:13], s11, 1.0
	s_and_b64 s[12:13], s[4:5], s[12:13]
	s_and_b64 vcc, exec, s[12:13]
	s_cbranch_vccnz .LBB666_56
; %bb.2:
	v_cmp_neq_f32_e64 s[12:13], s10, 0
	s_mov_b32 s7, 0
	s_and_b64 vcc, exec, s[12:13]
	s_cbranch_vccnz .LBB666_4
; %bb.3:
	s_mov_b64 s[16:17], 0
	s_cbranch_execz .LBB666_5
	s_branch .LBB666_6
.LBB666_4:
                                        ; implicit-def: $sgpr16_sgpr17
.LBB666_5:
	s_load_dwordx4 s[16:19], s[0:1], 0x18
	s_lshl_b64 s[14:15], s[6:7], 3
	s_waitcnt lgkmcnt(0)
	s_add_u32 s14, s16, s14
	s_addc_u32 s15, s17, s15
	s_load_dwordx2 s[14:15], s[14:15], 0x0
	s_lshl_b64 s[16:17], s[18:19], 1
	s_waitcnt lgkmcnt(0)
	s_add_u32 s16, s14, s16
	s_addc_u32 s17, s15, s17
.LBB666_6:
	s_mov_b64 s[14:15], 0
	s_andn2_b64 vcc, exec, s[12:13]
	s_mov_b64 s[18:19], 0
	s_cbranch_vccnz .LBB666_8
; %bb.7:
	s_load_dwordx4 s[20:23], s[0:1], 0x38
	s_lshl_b64 s[12:13], s[6:7], 3
	s_waitcnt lgkmcnt(0)
	s_add_u32 s12, s20, s12
	s_addc_u32 s13, s21, s13
	s_load_dwordx2 s[12:13], s[12:13], 0x0
	s_lshl_b64 s[18:19], s[22:23], 1
	s_waitcnt lgkmcnt(0)
	s_add_u32 s18, s12, s18
	s_addc_u32 s19, s13, s19
.LBB666_8:
	s_load_dwordx4 s[20:23], s[0:1], 0x68
	s_load_dword s30, s[0:1], 0x78
	s_lshl_b64 s[6:7], s[6:7], 3
	v_and_b32_e32 v2, 0x3ff, v0
	v_bfe_u32 v18, v0, 10, 10
	s_waitcnt lgkmcnt(0)
	s_add_u32 s6, s20, s6
	s_addc_u32 s7, s21, s7
	s_load_dwordx2 s[6:7], s[6:7], 0x0
	s_lshl_b64 s[12:13], s[22:23], 2
	v_lshl_add_u32 v3, v18, 6, v2
	s_waitcnt lgkmcnt(0)
	s_add_u32 s12, s6, s12
	s_addc_u32 s13, s7, s13
	s_andn2_b64 vcc, exec, s[4:5]
	s_cbranch_vccnz .LBB666_15
; %bb.9:
	s_movk_i32 s3, 0x100
	v_cmp_gt_u32_e32 vcc, s3, v3
	s_mov_b64 s[4:5], 0
                                        ; implicit-def: $vgpr1
                                        ; implicit-def: $vgpr4_vgpr5
	s_and_saveexec_b64 s[6:7], vcc
	s_cbranch_execz .LBB666_16
; %bb.10:
	v_lshl_or_b32 v0, s2, 8, v3
	v_mov_b32_e32 v1, 0
	s_ashr_i32 s15, s8, 31
	s_mov_b32 s14, s8
	v_cmp_gt_i64_e32 vcc, s[14:15], v[0:1]
	s_mov_b64 s[20:21], 0
                                        ; implicit-def: $vgpr4_vgpr5
	s_and_saveexec_b64 s[14:15], vcc
	s_cbranch_execz .LBB666_14
; %bb.11:
	v_mad_u64_u32 v[4:5], s[22:23], s30, v0, 0
	s_ashr_i32 s3, s30, 31
	v_mov_b32_e32 v6, v5
	v_cmp_eq_f32_e64 s[20:21], s11, 0
	v_mad_u64_u32 v[6:7], s[22:23], s3, v0, v[6:7]
	v_mov_b32_e32 v5, v6
	s_and_b64 vcc, exec, s[20:21]
	s_cbranch_vccnz .LBB666_13
; %bb.12:
	v_lshl_add_u64 v[0:1], v[4:5], 2, s[12:13]
	global_load_dword v0, v[0:1], off
	s_waitcnt vmcnt(0)
	v_mul_f32_e32 v1, s11, v0
.LBB666_13:
	s_mov_b64 s[20:21], exec
.LBB666_14:
	s_or_b64 exec, exec, s[14:15]
	s_and_b64 s[14:15], s[20:21], exec
	s_or_b64 exec, exec, s[6:7]
	s_and_b64 vcc, exec, s[4:5]
	s_cbranch_vccnz .LBB666_17
	s_branch .LBB666_54
.LBB666_15:
                                        ; implicit-def: $vgpr1
                                        ; implicit-def: $vgpr4_vgpr5
	s_cbranch_execnz .LBB666_17
	s_branch .LBB666_54
.LBB666_16:
	s_or_b64 exec, exec, s[6:7]
	s_and_b64 vcc, exec, s[4:5]
	s_cbranch_vccz .LBB666_54
.LBB666_17:
	s_load_dword s33, s[0:1], 0x28
	s_load_dword s34, s[0:1], 0x48
	s_ashr_i32 s0, s9, 31
	s_lshr_b32 s0, s0, 28
	s_add_i32 s0, s9, s0
	s_lshl_b32 s31, s2, 8
	s_and_b32 s35, s0, -16
	v_lshlrev_b32_e32 v24, 2, v18
	v_add_u32_e32 v23, s31, v2
	v_cmp_gt_i32_e32 vcc, s35, v24
	v_mov_b32_e32 v19, 0
	v_mov_b32_e32 v20, 0
	;; [unrolled: 1-line block ×4, first 2 shown]
	s_and_saveexec_b64 s[20:21], vcc
	s_cbranch_execz .LBB666_29
; %bb.18:
	v_add_u32_e32 v0, 64, v23
	v_cmp_gt_i32_e64 s[0:1], s8, v0
	v_add_u32_e32 v0, 0x80, v23
	v_cmp_gt_i32_e64 s[2:3], s8, v0
	;; [unrolled: 2-line block ×3, first 2 shown]
	s_waitcnt lgkmcnt(0)
	v_mul_lo_u32 v0, s33, v24
	v_add_u32_e32 v6, 2, v24
	v_add_u32_e32 v7, 3, v24
	v_add3_u32 v25, v0, s33, v2
	v_mad_u64_u32 v[0:1], s[6:7], s33, v6, v[2:3]
	v_mad_u64_u32 v[4:5], s[6:7], s33, v7, v[2:3]
	v_mul_lo_u32 v1, v18, s33
	v_mul_lo_u32 v5, s34, v24
	;; [unrolled: 1-line block ×4, first 2 shown]
	v_cmp_gt_i32_e32 vcc, s8, v23
	s_lshl_b32 s36, s33, 4
	v_lshl_add_u32 v1, v1, 2, v2
	v_add_u32_e32 v5, s34, v5
	s_lshl_b32 s37, s34, 4
	v_mul_lo_u32 v27, s34, v7
	v_lshlrev_b32_e32 v28, 2, v6
	s_mov_b32 s38, 0
	s_mov_b64 s[22:23], 0
	v_mov_b32_e32 v19, 0
	v_mov_b32_e32 v20, 0
	;; [unrolled: 1-line block ×4, first 2 shown]
	s_branch .LBB666_23
.LBB666_19:                             ;   in Loop: Header=BB666_23 Depth=1
	s_or_b64 exec, exec, s[28:29]
	s_waitcnt vmcnt(0) lgkmcnt(0)
	v_lshlrev_b32_e32 v10, 16, v40
	v_fmac_f32_e32 v21, v8, v10
	v_lshlrev_b32_e32 v10, 16, v39
	v_fmac_f32_e32 v21, v9, v10
	;; [unrolled: 2-line block ×4, first 2 shown]
.LBB666_20:                             ;   in Loop: Header=BB666_23 Depth=1
	s_or_b64 exec, exec, s[26:27]
	s_waitcnt vmcnt(0) lgkmcnt(0)
	v_lshlrev_b32_e32 v10, 16, v36
	v_fmac_f32_e32 v20, v8, v10
	v_lshlrev_b32_e32 v10, 16, v35
	v_fmac_f32_e32 v20, v9, v10
	v_lshlrev_b32_e32 v10, 16, v34
	v_fmac_f32_e32 v20, v6, v10
	v_lshlrev_b32_e32 v10, 16, v33
	v_fmac_f32_e32 v20, v7, v10
.LBB666_21:                             ;   in Loop: Header=BB666_23 Depth=1
	s_or_b64 exec, exec, s[24:25]
	v_lshlrev_b32_e32 v10, 16, v32
	v_fmac_f32_e32 v19, v8, v10
	v_lshlrev_b32_e32 v8, 16, v31
	v_fmac_f32_e32 v19, v9, v8
	;; [unrolled: 2-line block ×4, first 2 shown]
.LBB666_22:                             ;   in Loop: Header=BB666_23 Depth=1
	s_or_b64 exec, exec, s[6:7]
	v_add_u32_e32 v24, 16, v24
	s_add_i32 s38, s38, s37
	v_cmp_le_i32_e64 s[6:7], s35, v24
	v_add_u32_e32 v25, s36, v25
	v_add_u32_e32 v0, s36, v0
	;; [unrolled: 1-line block ×3, first 2 shown]
	s_or_b64 s[22:23], s[6:7], s[22:23]
	v_add_u32_e32 v1, s36, v1
	s_andn2_b64 exec, exec, s[22:23]
	s_cbranch_execz .LBB666_28
.LBB666_23:                             ; =>This Inner Loop Header: Depth=1
	s_and_saveexec_b64 s[6:7], vcc
	s_cbranch_execz .LBB666_22
; %bb.24:                               ;   in Loop: Header=BB666_23 Depth=1
	v_add_u32_e32 v6, s38, v28
	v_ashrrev_i32_e32 v7, 31, v6
	v_add_u32_e32 v8, s38, v5
	v_add_u32_e32 v10, s38, v26
	;; [unrolled: 1-line block ×3, first 2 shown]
	v_lshl_add_u64 v[6:7], v[6:7], 1, s[18:19]
	v_ashrrev_i32_e32 v9, 31, v8
	v_ashrrev_i32_e32 v11, 31, v10
	;; [unrolled: 1-line block ×3, first 2 shown]
	v_lshl_add_u64 v[8:9], v[8:9], 1, s[18:19]
	v_lshl_add_u64 v[10:11], v[10:11], 1, s[18:19]
	;; [unrolled: 1-line block ×3, first 2 shown]
	flat_load_ushort v33, v[6:7]
	flat_load_ushort v34, v[8:9]
	;; [unrolled: 1-line block ×4, first 2 shown]
	v_add_u32_e32 v6, s31, v1
	v_ashrrev_i32_e32 v7, 31, v6
	v_lshl_add_u64 v[10:11], v[6:7], 1, s[16:17]
	v_add_u32_e32 v6, s31, v25
	v_ashrrev_i32_e32 v7, 31, v6
	v_lshl_add_u64 v[12:13], v[6:7], 1, s[16:17]
	;; [unrolled: 3-line block ×4, first 2 shown]
	flat_load_ushort v32, v[10:11]
	flat_load_ushort v31, v[12:13]
	;; [unrolled: 1-line block ×4, first 2 shown]
	s_waitcnt vmcnt(0) lgkmcnt(0)
	v_lshlrev_b32_e32 v8, 16, v33
	v_lshlrev_b32_e32 v9, 16, v34
	v_lshlrev_b32_e32 v6, 16, v35
	v_lshlrev_b32_e32 v7, 16, v36
	s_and_saveexec_b64 s[24:25], s[0:1]
	s_cbranch_execz .LBB666_21
; %bb.25:                               ;   in Loop: Header=BB666_23 Depth=1
	flat_load_ushort v36, v[10:11] offset:128
	flat_load_ushort v35, v[12:13] offset:128
	flat_load_ushort v34, v[14:15] offset:128
	flat_load_ushort v33, v[16:17] offset:128
	s_and_saveexec_b64 s[26:27], s[2:3]
	s_cbranch_execz .LBB666_20
; %bb.26:                               ;   in Loop: Header=BB666_23 Depth=1
	flat_load_ushort v40, v[10:11] offset:256
	flat_load_ushort v39, v[12:13] offset:256
	flat_load_ushort v38, v[14:15] offset:256
	flat_load_ushort v37, v[16:17] offset:256
	;; [unrolled: 7-line block ×3, first 2 shown]
	s_waitcnt vmcnt(0) lgkmcnt(0)
	v_lshlrev_b32_e32 v11, 16, v41
	v_lshlrev_b32_e32 v10, 16, v42
	v_pk_mul_f32 v[10:11], v[8:9], v[10:11]
	v_lshlrev_b32_e32 v13, 16, v43
	v_lshlrev_b32_e32 v12, 16, v44
	v_add_f32_e32 v10, v22, v10
	v_add_f32_e32 v14, v10, v11
	v_pk_mul_f32 v[10:11], v[6:7], v[12:13]
	s_nop 0
	v_add_f32_e32 v10, v14, v10
	v_add_f32_e32 v22, v10, v11
	s_branch .LBB666_19
.LBB666_28:
	s_or_b64 exec, exec, s[22:23]
.LBB666_29:
	s_or_b64 exec, exec, s[20:21]
	s_sub_i32 s0, s9, s35
	s_cmp_lt_i32 s0, 1
	s_cbranch_scc1 .LBB666_47
; %bb.30:
	v_cmp_gt_i32_e32 vcc, s9, v24
	v_mov_b32_e32 v10, 0
	v_or_b32_e32 v4, 1, v24
	v_mov_b32_e32 v11, 0
	v_mov_b32_e32 v12, 0
	;; [unrolled: 1-line block ×3, first 2 shown]
	s_and_saveexec_b64 s[2:3], vcc
	s_cbranch_execz .LBB666_38
; %bb.31:
	s_waitcnt lgkmcnt(0)
	v_mul_lo_u32 v0, v24, s34
	v_ashrrev_i32_e32 v1, 31, v0
	v_lshl_add_u64 v[0:1], v[0:1], 1, s[18:19]
	flat_load_ushort v0, v[0:1]
	v_cmp_gt_i32_e64 s[0:1], s9, v4
	v_mov_b32_e32 v12, 0
	v_mov_b32_e32 v11, 0
	;; [unrolled: 1-line block ×3, first 2 shown]
	s_and_saveexec_b64 s[4:5], s[0:1]
	s_cbranch_execz .LBB666_37
; %bb.32:
	v_mul_lo_u32 v6, v4, s34
	v_ashrrev_i32_e32 v7, 31, v6
	v_lshl_add_u64 v[6:7], v[6:7], 1, s[18:19]
	flat_load_ushort v1, v[6:7]
	v_or_b32_e32 v5, 2, v24
	v_cmp_gt_i32_e64 s[0:1], s9, v5
	v_mov_b32_e32 v11, 0
	v_mov_b32_e32 v10, 0
	s_and_saveexec_b64 s[6:7], s[0:1]
	s_cbranch_execz .LBB666_36
; %bb.33:
	v_mul_lo_u32 v6, v5, s34
	v_ashrrev_i32_e32 v7, 31, v6
	v_lshl_add_u64 v[6:7], v[6:7], 1, s[18:19]
	flat_load_ushort v5, v[6:7]
	v_or_b32_e32 v6, 3, v24
	v_cmp_gt_i32_e64 s[0:1], s9, v6
	v_mov_b32_e32 v10, 0
	s_and_saveexec_b64 s[20:21], s[0:1]
	s_cbranch_execz .LBB666_35
; %bb.34:
	v_mul_lo_u32 v6, v6, s34
	v_ashrrev_i32_e32 v7, 31, v6
	v_lshl_add_u64 v[6:7], v[6:7], 1, s[18:19]
	flat_load_ushort v6, v[6:7]
	s_waitcnt vmcnt(0) lgkmcnt(0)
	v_lshlrev_b32_e32 v10, 16, v6
.LBB666_35:
	s_or_b64 exec, exec, s[20:21]
	s_waitcnt vmcnt(0) lgkmcnt(0)
	v_lshlrev_b32_e32 v11, 16, v5
.LBB666_36:
	s_or_b64 exec, exec, s[6:7]
	s_waitcnt vmcnt(0) lgkmcnt(0)
	v_lshlrev_b32_e32 v12, 16, v1
.LBB666_37:
	s_or_b64 exec, exec, s[4:5]
	s_waitcnt vmcnt(0) lgkmcnt(0)
	v_lshlrev_b32_e32 v13, 16, v0
.LBB666_38:
	s_or_b64 exec, exec, s[2:3]
	v_cmp_gt_i32_e64 s[0:1], s8, v23
	s_and_saveexec_b64 s[2:3], s[0:1]
	s_cbranch_execz .LBB666_46
; %bb.39:
	s_waitcnt lgkmcnt(0)
	v_mul_lo_u32 v0, v24, s33
	v_cndmask_b32_e32 v0, 0, v0, vcc
	v_mul_lo_u32 v5, v4, s33
	v_cmp_gt_i32_e32 vcc, s9, v4
	v_or_b32_e32 v6, 2, v24
	v_add_u32_e32 v0, v0, v23
	v_cndmask_b32_e32 v4, 0, v5, vcc
	v_mul_lo_u32 v7, v6, s33
	v_cmp_gt_i32_e32 vcc, s9, v6
	v_or_b32_e32 v8, 3, v24
	v_ashrrev_i32_e32 v1, 31, v0
	v_add_u32_e32 v4, v4, v23
	v_cndmask_b32_e32 v6, 0, v7, vcc
	v_mul_lo_u32 v9, v8, s33
	v_cmp_gt_i32_e32 vcc, s9, v8
	v_lshl_add_u64 v[0:1], v[0:1], 1, s[16:17]
	v_ashrrev_i32_e32 v5, 31, v4
	v_add_u32_e32 v6, v6, v23
	v_cndmask_b32_e32 v8, 0, v9, vcc
	v_lshl_add_u64 v[4:5], v[4:5], 1, s[16:17]
	v_ashrrev_i32_e32 v7, 31, v6
	v_add_u32_e32 v8, v8, v23
	flat_load_ushort v14, v[0:1]
	flat_load_ushort v15, v[4:5]
	v_lshl_add_u64 v[6:7], v[6:7], 1, s[16:17]
	v_ashrrev_i32_e32 v9, 31, v8
	v_lshl_add_u64 v[8:9], v[8:9], 1, s[16:17]
	flat_load_ushort v16, v[6:7]
	flat_load_ushort v17, v[8:9]
	v_add_u32_e32 v24, 64, v23
	v_cmp_gt_i32_e32 vcc, s8, v24
	s_waitcnt vmcnt(0) lgkmcnt(0)
	v_lshlrev_b32_e32 v14, 16, v14
	v_lshlrev_b32_e32 v15, 16, v15
	v_fmac_f32_e32 v19, v13, v14
	v_fmac_f32_e32 v19, v12, v15
	v_lshlrev_b32_e32 v16, 16, v16
	v_lshlrev_b32_e32 v14, 16, v17
	v_fmac_f32_e32 v19, v11, v16
	s_and_saveexec_b64 s[0:1], vcc
	s_cbranch_execz .LBB666_45
; %bb.40:
	flat_load_ushort v15, v[0:1] offset:128
	flat_load_ushort v16, v[4:5] offset:128
	;; [unrolled: 1-line block ×4, first 2 shown]
	v_add_u32_e32 v25, 0x80, v23
	v_cmp_gt_i32_e32 vcc, s8, v25
	s_waitcnt vmcnt(0) lgkmcnt(0)
	v_lshlrev_b32_e32 v26, 16, v15
	v_lshlrev_b32_e32 v16, 16, v16
	v_fmac_f32_e32 v20, v13, v26
	v_lshlrev_b32_e32 v17, 16, v17
	v_fmac_f32_e32 v20, v12, v16
	;; [unrolled: 2-line block ×3, first 2 shown]
	s_and_saveexec_b64 s[4:5], vcc
	s_cbranch_execz .LBB666_44
; %bb.41:
	flat_load_ushort v16, v[0:1] offset:256
	flat_load_ushort v17, v[4:5] offset:256
	flat_load_ushort v24, v[6:7] offset:256
	flat_load_ushort v25, v[8:9] offset:256
	v_add_u32_e32 v23, 0xc0, v23
	v_cmp_gt_i32_e32 vcc, s8, v23
	s_waitcnt vmcnt(0) lgkmcnt(0)
	v_lshlrev_b32_e32 v26, 16, v16
	v_lshlrev_b32_e32 v17, 16, v17
	v_fmac_f32_e32 v21, v13, v26
	v_lshlrev_b32_e32 v24, 16, v24
	v_fmac_f32_e32 v21, v12, v17
	;; [unrolled: 2-line block ×3, first 2 shown]
	s_and_saveexec_b64 s[6:7], vcc
	s_cbranch_execz .LBB666_43
; %bb.42:
	flat_load_ushort v17, v[0:1] offset:384
	flat_load_ushort v23, v[4:5] offset:384
	;; [unrolled: 1-line block ×4, first 2 shown]
	s_waitcnt vmcnt(0) lgkmcnt(0)
	v_lshlrev_b32_e32 v0, 16, v17
	v_lshlrev_b32_e32 v1, 16, v23
	v_fmac_f32_e32 v22, v13, v0
	v_lshlrev_b32_e32 v4, 16, v24
	v_fmac_f32_e32 v22, v12, v1
	v_fmac_f32_e32 v22, v11, v4
	v_lshlrev_b32_e32 v0, 16, v25
	v_fmac_f32_e32 v22, v10, v0
.LBB666_43:
	s_or_b64 exec, exec, s[6:7]
	v_fmac_f32_e32 v21, v10, v16
.LBB666_44:
	s_or_b64 exec, exec, s[4:5]
	v_fmac_f32_e32 v20, v10, v15
.LBB666_45:
	s_or_b64 exec, exec, s[0:1]
	v_fmac_f32_e32 v19, v10, v14
.LBB666_46:
	s_or_b64 exec, exec, s[2:3]
.LBB666_47:
	v_lshlrev_b32_e32 v0, 8, v18
	s_movk_i32 s0, 0x100
	v_add_lshl_u32 v0, v0, v2, 2
	v_cmp_gt_u32_e32 vcc, s0, v3
	ds_write2st64_b32 v0, v19, v20 offset1:1
	ds_write2st64_b32 v0, v21, v22 offset0:2 offset1:3
	s_waitcnt lgkmcnt(0)
	s_barrier
	s_waitcnt lgkmcnt(0)
                                        ; implicit-def: $vgpr1
                                        ; implicit-def: $vgpr4_vgpr5
	s_and_saveexec_b64 s[0:1], vcc
	s_cbranch_execz .LBB666_53
; %bb.48:
	v_lshlrev_b32_e32 v1, 2, v3
	ds_read2st64_b32 v[4:5], v1 offset1:4
	ds_read2st64_b32 v[6:7], v1 offset0:8 offset1:12
	v_or_b32_e32 v0, s31, v3
	v_cmp_gt_i32_e32 vcc, s8, v0
	s_mov_b64 s[4:5], s[14:15]
	s_waitcnt lgkmcnt(1)
	v_add_f32_e32 v2, v4, v5
	s_waitcnt lgkmcnt(0)
	v_add_f32_e32 v2, v6, v2
	v_add_f32_e32 v2, v7, v2
	ds_write_b32 v1, v2
                                        ; implicit-def: $vgpr1
                                        ; implicit-def: $vgpr4_vgpr5
	s_and_saveexec_b64 s[2:3], vcc
	s_cbranch_execz .LBB666_52
; %bb.49:
	v_cmp_eq_f32_e64 s[4:5], s11, 0
	v_mul_lo_u32 v4, v0, s30
	v_mul_f32_e32 v1, s10, v2
	v_ashrrev_i32_e32 v5, 31, v4
	s_and_b64 vcc, exec, s[4:5]
	s_cbranch_vccnz .LBB666_51
; %bb.50:
	v_lshl_add_u64 v[2:3], v[4:5], 2, s[12:13]
	global_load_dword v0, v[2:3], off
	s_waitcnt vmcnt(0)
	v_fmac_f32_e32 v1, s11, v0
.LBB666_51:
	s_or_b64 s[4:5], s[14:15], exec
.LBB666_52:
	s_or_b64 exec, exec, s[2:3]
	s_andn2_b64 s[2:3], s[14:15], exec
	s_and_b64 s[4:5], s[4:5], exec
	s_or_b64 s[14:15], s[2:3], s[4:5]
.LBB666_53:
	s_or_b64 exec, exec, s[0:1]
.LBB666_54:
	s_and_saveexec_b64 s[0:1], s[14:15]
	s_cbranch_execz .LBB666_56
; %bb.55:
	v_lshl_add_u64 v[2:3], v[4:5], 2, s[12:13]
	global_store_dword v[2:3], v1, off
.LBB666_56:
	s_endpgm
	.section	.rodata,"a",@progbits
	.p2align	6, 0x0
	.amdhsa_kernel _ZL20rocblas_gemvn_kernelILi64ELi4EiPK16rocblas_bfloat16fKPfEviiT3_lPKT2_lT1_lS8_lS9_lS5_lPT4_lS9_li
		.amdhsa_group_segment_fixed_size 4096
		.amdhsa_private_segment_fixed_size 0
		.amdhsa_kernarg_size 400
		.amdhsa_user_sgpr_count 2
		.amdhsa_user_sgpr_dispatch_ptr 0
		.amdhsa_user_sgpr_queue_ptr 0
		.amdhsa_user_sgpr_kernarg_segment_ptr 1
		.amdhsa_user_sgpr_dispatch_id 0
		.amdhsa_user_sgpr_kernarg_preload_length 0
		.amdhsa_user_sgpr_kernarg_preload_offset 0
		.amdhsa_user_sgpr_private_segment_size 0
		.amdhsa_uses_dynamic_stack 0
		.amdhsa_enable_private_segment 0
		.amdhsa_system_sgpr_workgroup_id_x 1
		.amdhsa_system_sgpr_workgroup_id_y 0
		.amdhsa_system_sgpr_workgroup_id_z 1
		.amdhsa_system_sgpr_workgroup_info 0
		.amdhsa_system_vgpr_workitem_id 1
		.amdhsa_next_free_vgpr 45
		.amdhsa_next_free_sgpr 39
		.amdhsa_accum_offset 48
		.amdhsa_reserve_vcc 1
		.amdhsa_float_round_mode_32 0
		.amdhsa_float_round_mode_16_64 0
		.amdhsa_float_denorm_mode_32 3
		.amdhsa_float_denorm_mode_16_64 3
		.amdhsa_dx10_clamp 1
		.amdhsa_ieee_mode 1
		.amdhsa_fp16_overflow 0
		.amdhsa_tg_split 0
		.amdhsa_exception_fp_ieee_invalid_op 0
		.amdhsa_exception_fp_denorm_src 0
		.amdhsa_exception_fp_ieee_div_zero 0
		.amdhsa_exception_fp_ieee_overflow 0
		.amdhsa_exception_fp_ieee_underflow 0
		.amdhsa_exception_fp_ieee_inexact 0
		.amdhsa_exception_int_div_zero 0
	.end_amdhsa_kernel
	.section	.text._ZL20rocblas_gemvn_kernelILi64ELi4EiPK16rocblas_bfloat16fKPfEviiT3_lPKT2_lT1_lS8_lS9_lS5_lPT4_lS9_li,"axG",@progbits,_ZL20rocblas_gemvn_kernelILi64ELi4EiPK16rocblas_bfloat16fKPfEviiT3_lPKT2_lT1_lS8_lS9_lS5_lPT4_lS9_li,comdat
.Lfunc_end666:
	.size	_ZL20rocblas_gemvn_kernelILi64ELi4EiPK16rocblas_bfloat16fKPfEviiT3_lPKT2_lT1_lS8_lS9_lS5_lPT4_lS9_li, .Lfunc_end666-_ZL20rocblas_gemvn_kernelILi64ELi4EiPK16rocblas_bfloat16fKPfEviiT3_lPKT2_lT1_lS8_lS9_lS5_lPT4_lS9_li
                                        ; -- End function
	.section	.AMDGPU.csdata,"",@progbits
; Kernel info:
; codeLenInByte = 2352
; NumSgprs: 45
; NumVgprs: 45
; NumAgprs: 0
; TotalNumVgprs: 45
; ScratchSize: 0
; MemoryBound: 0
; FloatMode: 240
; IeeeMode: 1
; LDSByteSize: 4096 bytes/workgroup (compile time only)
; SGPRBlocks: 5
; VGPRBlocks: 5
; NumSGPRsForWavesPerEU: 45
; NumVGPRsForWavesPerEU: 45
; AccumOffset: 48
; Occupancy: 8
; WaveLimiterHint : 1
; COMPUTE_PGM_RSRC2:SCRATCH_EN: 0
; COMPUTE_PGM_RSRC2:USER_SGPR: 2
; COMPUTE_PGM_RSRC2:TRAP_HANDLER: 0
; COMPUTE_PGM_RSRC2:TGID_X_EN: 1
; COMPUTE_PGM_RSRC2:TGID_Y_EN: 0
; COMPUTE_PGM_RSRC2:TGID_Z_EN: 1
; COMPUTE_PGM_RSRC2:TIDIG_COMP_CNT: 1
; COMPUTE_PGM_RSRC3_GFX90A:ACCUM_OFFSET: 11
; COMPUTE_PGM_RSRC3_GFX90A:TG_SPLIT: 0
	.section	.text._ZL20rocblas_gemvn_kernelILi64ELi4ElPK16rocblas_bfloat16fKPfEviiT3_lPKT2_lT1_lS8_lS9_lS5_lPT4_lS9_li,"axG",@progbits,_ZL20rocblas_gemvn_kernelILi64ELi4ElPK16rocblas_bfloat16fKPfEviiT3_lPKT2_lT1_lS8_lS9_lS5_lPT4_lS9_li,comdat
	.globl	_ZL20rocblas_gemvn_kernelILi64ELi4ElPK16rocblas_bfloat16fKPfEviiT3_lPKT2_lT1_lS8_lS9_lS5_lPT4_lS9_li ; -- Begin function _ZL20rocblas_gemvn_kernelILi64ELi4ElPK16rocblas_bfloat16fKPfEviiT3_lPKT2_lT1_lS8_lS9_lS5_lPT4_lS9_li
	.p2align	8
	.type	_ZL20rocblas_gemvn_kernelILi64ELi4ElPK16rocblas_bfloat16fKPfEviiT3_lPKT2_lT1_lS8_lS9_lS5_lPT4_lS9_li,@function
_ZL20rocblas_gemvn_kernelILi64ELi4ElPK16rocblas_bfloat16fKPfEviiT3_lPKT2_lT1_lS8_lS9_lS5_lPT4_lS9_li: ; @_ZL20rocblas_gemvn_kernelILi64ELi4ElPK16rocblas_bfloat16fKPfEviiT3_lPKT2_lT1_lS8_lS9_lS5_lPT4_lS9_li
; %bb.0:
	s_load_dwordx2 s[4:5], s[0:1], 0x9c
	s_mov_b32 s12, s3
	s_waitcnt lgkmcnt(0)
	s_and_b32 s3, s5, 0xffff
	s_lshr_b32 s5, s4, 16
	s_and_b32 s4, s4, 0xffff
	s_mul_i32 s4, s5, s4
	s_mul_i32 s4, s4, s3
	s_cmpk_lg_i32 s4, 0x100
	s_cbranch_scc1 .LBB667_56
; %bb.1:
	s_load_dwordx4 s[8:11], s[0:1], 0x0
	s_waitcnt lgkmcnt(0)
	s_load_dword s11, s[0:1], 0x58
	v_cmp_eq_f32_e64 s[26:27], s10, 0
	s_waitcnt lgkmcnt(0)
	v_cmp_eq_f32_e64 s[4:5], s11, 1.0
	s_and_b64 s[4:5], s[26:27], s[4:5]
	s_and_b64 vcc, exec, s[4:5]
	s_cbranch_vccnz .LBB667_56
; %bb.2:
	s_load_dwordx4 s[4:7], s[0:1], 0x18
	s_load_dwordx2 s[18:19], s[0:1], 0x28
	v_cmp_neq_f32_e64 s[16:17], s10, 0
	s_mov_b32 s13, 0
	s_and_b64 vcc, exec, s[16:17]
	s_cbranch_vccnz .LBB667_4
; %bb.3:
	s_mov_b64 s[20:21], 0
	s_cbranch_execz .LBB667_5
	s_branch .LBB667_6
.LBB667_4:
                                        ; implicit-def: $sgpr20_sgpr21
.LBB667_5:
	s_lshl_b64 s[14:15], s[12:13], 3
	s_waitcnt lgkmcnt(0)
	s_add_u32 s4, s4, s14
	s_addc_u32 s5, s5, s15
	s_load_dwordx2 s[4:5], s[4:5], 0x0
	s_lshl_b64 s[6:7], s[6:7], 1
	s_waitcnt lgkmcnt(0)
	s_add_u32 s20, s4, s6
	s_addc_u32 s21, s5, s7
.LBB667_6:
	s_waitcnt lgkmcnt(0)
	s_load_dwordx4 s[4:7], s[0:1], 0x38
	s_load_dwordx2 s[22:23], s[0:1], 0x48
	s_mov_b64 s[14:15], 0
	s_andn2_b64 vcc, exec, s[16:17]
	s_mov_b64 s[24:25], 0
	s_cbranch_vccnz .LBB667_8
; %bb.7:
	s_lshl_b64 s[16:17], s[12:13], 3
	s_waitcnt lgkmcnt(0)
	s_add_u32 s4, s4, s16
	s_addc_u32 s5, s5, s17
	s_load_dwordx2 s[4:5], s[4:5], 0x0
	s_lshl_b64 s[6:7], s[6:7], 1
	s_waitcnt lgkmcnt(0)
	s_add_u32 s24, s4, s6
	s_addc_u32 s25, s5, s7
.LBB667_8:
	s_waitcnt lgkmcnt(0)
	s_load_dwordx4 s[4:7], s[0:1], 0x68
	s_load_dwordx2 s[16:17], s[0:1], 0x78
	s_lshl_b64 s[0:1], s[12:13], 3
	v_and_b32_e32 v33, 0x3ff, v0
	v_bfe_u32 v34, v0, 10, 10
	s_waitcnt lgkmcnt(0)
	s_add_u32 s0, s4, s0
	s_addc_u32 s1, s5, s1
	s_load_dwordx2 s[0:1], s[0:1], 0x0
	s_lshl_b64 s[4:5], s[6:7], 2
	v_lshl_add_u32 v32, v34, 6, v33
	s_waitcnt lgkmcnt(0)
	s_add_u32 s12, s0, s4
	s_addc_u32 s13, s1, s5
	s_andn2_b64 vcc, exec, s[26:27]
	s_cbranch_vccnz .LBB667_15
; %bb.9:
	s_movk_i32 s0, 0x100
	v_cmp_gt_u32_e32 vcc, s0, v32
	s_mov_b64 s[0:1], 0
                                        ; implicit-def: $vgpr1
                                        ; implicit-def: $vgpr2_vgpr3
	s_and_saveexec_b64 s[4:5], vcc
	s_cbranch_execz .LBB667_16
; %bb.10:
	v_lshl_or_b32 v0, s2, 8, v32
	v_mov_b32_e32 v1, 0
	s_ashr_i32 s7, s8, 31
	s_mov_b32 s6, s8
	v_cmp_gt_i64_e32 vcc, s[6:7], v[0:1]
                                        ; implicit-def: $vgpr2_vgpr3
	s_and_saveexec_b64 s[6:7], vcc
	s_cbranch_execz .LBB667_14
; %bb.11:
	v_mad_u64_u32 v[2:3], s[26:27], v0, s16, 0
	v_mov_b32_e32 v4, v3
	v_cmp_eq_f32_e64 s[14:15], s11, 0
	v_mad_u64_u32 v[4:5], s[26:27], v0, s17, v[4:5]
	v_mov_b32_e32 v3, v4
	s_and_b64 vcc, exec, s[14:15]
	s_cbranch_vccnz .LBB667_13
; %bb.12:
	v_lshl_add_u64 v[0:1], v[2:3], 2, s[12:13]
	global_load_dword v0, v[0:1], off
	s_waitcnt vmcnt(0)
	v_mul_f32_e32 v1, s11, v0
.LBB667_13:
	s_mov_b64 s[14:15], exec
.LBB667_14:
	s_or_b64 exec, exec, s[6:7]
	s_and_b64 s[14:15], s[14:15], exec
	s_or_b64 exec, exec, s[4:5]
	s_and_b64 vcc, exec, s[0:1]
	s_cbranch_vccnz .LBB667_17
	s_branch .LBB667_54
.LBB667_15:
                                        ; implicit-def: $vgpr1
                                        ; implicit-def: $vgpr2_vgpr3
	s_cbranch_execnz .LBB667_17
	s_branch .LBB667_54
.LBB667_16:
	s_or_b64 exec, exec, s[4:5]
	s_and_b64 vcc, exec, s[0:1]
	s_cbranch_vccz .LBB667_54
.LBB667_17:
	s_ashr_i32 s0, s9, 31
	s_lshr_b32 s0, s0, 28
	s_add_i32 s0, s9, s0
	s_lshl_b32 s33, s2, 8
	s_and_b32 s44, s0, -16
	v_lshlrev_b32_e32 v39, 2, v34
	v_add_u32_e32 v0, s33, v33
	v_cmp_gt_i32_e32 vcc, s44, v39
	v_mov_b32_e32 v35, 0
	v_mov_b32_e32 v36, 0
	;; [unrolled: 1-line block ×4, first 2 shown]
	s_and_saveexec_b64 s[26:27], vcc
	s_cbranch_execz .LBB667_29
; %bb.18:
	v_add_u32_e32 v2, 64, v0
	v_cmp_gt_i32_e64 s[0:1], s8, v2
	v_add_u32_e32 v2, 0x80, v0
	v_ashrrev_i32_e32 v1, 31, v0
	v_cmp_gt_i32_e64 s[2:3], s8, v2
	v_add_u32_e32 v2, 0xc0, v0
	v_cmp_gt_i32_e64 s[4:5], s8, v2
	v_lshlrev_b64 v[2:3], 1, v[0:1]
	v_lshlrev_b32_e32 v1, 2, v34
	v_or_b32_e32 v15, 3, v1
	v_mad_u64_u32 v[4:5], s[6:7], s18, v15, 0
	v_mov_b32_e32 v6, v5
	v_mad_u64_u32 v[6:7], s[6:7], s19, v15, v[6:7]
	v_mov_b32_e32 v5, v6
	;; [unrolled: 2-line block ×6, first 2 shown]
	v_mov_b64_e32 v[10:11], s[22:23]
	v_mad_u64_u32 v[10:11], s[6:7], s22, v1, v[10:11]
	v_mov_b32_e32 v12, v11
	v_mad_u64_u32 v[12:13], s[6:7], s23, v1, v[12:13]
	v_mov_b32_e32 v11, v12
	;; [unrolled: 2-line block ×3, first 2 shown]
	v_mad_u64_u32 v[14:15], s[6:7], s23, v15, v[14:15]
	v_or_b32_e32 v21, 2, v1
	v_mov_b32_e32 v13, v14
	v_mad_u64_u32 v[14:15], s[6:7], s18, v21, 0
	v_mov_b32_e32 v16, v15
	v_mad_u64_u32 v[16:17], s[6:7], s19, v21, v[16:17]
	v_mov_b32_e32 v15, v16
	v_mov_b64_e32 v[16:17], s[18:19]
	v_mad_u64_u32 v[16:17], s[6:7], s18, v1, v[16:17]
	v_mov_b32_e32 v18, v17
	v_mad_u64_u32 v[18:19], s[6:7], s19, v1, v[18:19]
	v_mov_b32_e32 v17, v18
	;; [unrolled: 2-line block ×4, first 2 shown]
	v_cmp_gt_i32_e32 vcc, s8, v0
	v_lshl_add_u64 v[4:5], v[4:5], 1, s[20:21]
	s_lshl_b64 s[28:29], s[18:19], 5
	v_lshlrev_b64 v[6:7], 3, v[6:7]
	s_lshl_b64 s[30:31], s[22:23], 5
	v_lshl_add_u64 v[8:9], v[8:9], 3, s[20:21]
	v_lshlrev_b64 v[10:11], 1, v[10:11]
	v_lshlrev_b64 v[12:13], 1, v[12:13]
	v_lshl_add_u64 v[14:15], v[14:15], 1, s[20:21]
	v_lshl_add_u64 v[16:17], v[16:17], 1, s[20:21]
	v_lshlrev_b64 v[18:19], 1, v[18:19]
	s_mov_b64 s[34:35], 0
	v_mov_b32_e32 v35, 0
	s_mov_b64 s[36:37], s[24:25]
	v_mov_b32_e32 v36, 0
	v_mov_b32_e32 v37, 0
	;; [unrolled: 1-line block ×3, first 2 shown]
	s_branch .LBB667_23
.LBB667_19:                             ;   in Loop: Header=BB667_23 Depth=1
	s_or_b64 exec, exec, s[42:43]
	s_waitcnt vmcnt(0) lgkmcnt(0)
	v_lshlrev_b32_e32 v24, 16, v50
	v_fmac_f32_e32 v37, v22, v24
	v_lshlrev_b32_e32 v24, 16, v49
	v_fmac_f32_e32 v37, v23, v24
	;; [unrolled: 2-line block ×4, first 2 shown]
.LBB667_20:                             ;   in Loop: Header=BB667_23 Depth=1
	s_or_b64 exec, exec, s[40:41]
	s_waitcnt vmcnt(0) lgkmcnt(0)
	v_lshlrev_b32_e32 v24, 16, v46
	v_fmac_f32_e32 v36, v22, v24
	v_lshlrev_b32_e32 v24, 16, v45
	v_fmac_f32_e32 v36, v23, v24
	;; [unrolled: 2-line block ×4, first 2 shown]
.LBB667_21:                             ;   in Loop: Header=BB667_23 Depth=1
	s_or_b64 exec, exec, s[38:39]
	v_lshlrev_b32_e32 v24, 16, v42
	v_fmac_f32_e32 v35, v22, v24
	v_lshlrev_b32_e32 v22, 16, v41
	v_fmac_f32_e32 v35, v23, v22
	;; [unrolled: 2-line block ×4, first 2 shown]
.LBB667_22:                             ;   in Loop: Header=BB667_23 Depth=1
	s_or_b64 exec, exec, s[6:7]
	v_add_u32_e32 v39, 16, v39
	s_add_u32 s36, s36, s30
	s_addc_u32 s37, s37, s31
	v_cmp_le_i32_e64 s[6:7], s44, v39
	v_lshl_add_u64 v[4:5], v[4:5], 0, s[28:29]
	v_lshl_add_u64 v[8:9], v[8:9], 0, s[28:29]
	v_lshl_add_u64 v[14:15], v[14:15], 0, s[28:29]
	s_or_b64 s[34:35], s[6:7], s[34:35]
	v_lshl_add_u64 v[16:17], v[16:17], 0, s[28:29]
	s_andn2_b64 exec, exec, s[34:35]
	s_cbranch_execz .LBB667_28
.LBB667_23:                             ; =>This Inner Loop Header: Depth=1
	s_and_saveexec_b64 s[6:7], vcc
	s_cbranch_execz .LBB667_22
; %bb.24:                               ;   in Loop: Header=BB667_23 Depth=1
	v_lshl_add_u64 v[20:21], s[36:37], 0, v[6:7]
	v_lshl_add_u64 v[24:25], s[36:37], 0, v[18:19]
	;; [unrolled: 1-line block ×4, first 2 shown]
	flat_load_ushort v43, v[20:21]
	flat_load_ushort v44, v[22:23]
	;; [unrolled: 1-line block ×4, first 2 shown]
	v_lshl_add_u64 v[26:27], v[8:9], 0, v[2:3]
	v_lshl_add_u64 v[24:25], v[16:17], 0, v[2:3]
	;; [unrolled: 1-line block ×4, first 2 shown]
	flat_load_ushort v42, v[26:27]
	flat_load_ushort v41, v[24:25]
	;; [unrolled: 1-line block ×4, first 2 shown]
	s_waitcnt vmcnt(0) lgkmcnt(0)
	v_lshlrev_b32_e32 v22, 16, v43
	v_lshlrev_b32_e32 v23, 16, v44
	;; [unrolled: 1-line block ×4, first 2 shown]
	s_and_saveexec_b64 s[38:39], s[0:1]
	s_cbranch_execz .LBB667_21
; %bb.25:                               ;   in Loop: Header=BB667_23 Depth=1
	flat_load_ushort v46, v[26:27] offset:128
	flat_load_ushort v45, v[24:25] offset:128
	flat_load_ushort v44, v[28:29] offset:128
	flat_load_ushort v43, v[30:31] offset:128
	s_and_saveexec_b64 s[40:41], s[2:3]
	s_cbranch_execz .LBB667_20
; %bb.26:                               ;   in Loop: Header=BB667_23 Depth=1
	flat_load_ushort v50, v[26:27] offset:256
	flat_load_ushort v49, v[24:25] offset:256
	flat_load_ushort v48, v[28:29] offset:256
	flat_load_ushort v47, v[30:31] offset:256
	;; [unrolled: 7-line block ×3, first 2 shown]
	s_waitcnt vmcnt(0) lgkmcnt(0)
	v_lshlrev_b32_e32 v25, 16, v51
	v_lshlrev_b32_e32 v24, 16, v52
	v_pk_mul_f32 v[24:25], v[22:23], v[24:25]
	v_lshlrev_b32_e32 v27, 16, v53
	v_lshlrev_b32_e32 v26, 16, v54
	v_add_f32_e32 v24, v38, v24
	v_add_f32_e32 v28, v24, v25
	v_pk_mul_f32 v[24:25], v[20:21], v[26:27]
	s_nop 0
	v_add_f32_e32 v24, v28, v24
	v_add_f32_e32 v38, v24, v25
	s_branch .LBB667_19
.LBB667_28:
	s_or_b64 exec, exec, s[34:35]
.LBB667_29:
	s_or_b64 exec, exec, s[26:27]
	s_sub_i32 s0, s9, s44
	s_cmp_lt_i32 s0, 1
	s_cbranch_scc1 .LBB667_47
; %bb.30:
	v_cmp_gt_i32_e32 vcc, s9, v39
	v_mov_b32_e32 v10, 0
	v_or_b32_e32 v4, 1, v39
	v_mov_b32_e32 v11, 0
	v_mov_b32_e32 v12, 0
	;; [unrolled: 1-line block ×3, first 2 shown]
	s_and_saveexec_b64 s[2:3], vcc
	s_cbranch_execz .LBB667_38
; %bb.31:
	v_mad_u64_u32 v[2:3], s[0:1], v39, s22, 0
	v_mov_b32_e32 v6, v3
	v_mad_u64_u32 v[6:7], s[0:1], v39, s23, v[6:7]
	v_mov_b32_e32 v3, v6
	v_lshl_add_u64 v[2:3], v[2:3], 1, s[24:25]
	flat_load_ushort v1, v[2:3]
	v_cmp_gt_i32_e64 s[0:1], s9, v4
	v_mov_b32_e32 v12, 0
	v_mov_b32_e32 v11, 0
	;; [unrolled: 1-line block ×3, first 2 shown]
	s_and_saveexec_b64 s[4:5], s[0:1]
	s_cbranch_execz .LBB667_37
; %bb.32:
	v_mad_u64_u32 v[2:3], s[0:1], v4, s22, 0
	v_mov_b32_e32 v6, v3
	v_mad_u64_u32 v[6:7], s[0:1], v4, s23, v[6:7]
	v_mov_b32_e32 v3, v6
	v_lshl_add_u64 v[2:3], v[2:3], 1, s[24:25]
	flat_load_ushort v2, v[2:3]
	v_or_b32_e32 v3, 2, v39
	v_cmp_gt_i32_e64 s[0:1], s9, v3
	v_mov_b32_e32 v11, 0
	v_mov_b32_e32 v10, 0
	s_and_saveexec_b64 s[6:7], s[0:1]
	s_cbranch_execz .LBB667_36
; %bb.33:
	v_mad_u64_u32 v[6:7], s[0:1], v3, s22, 0
	v_mov_b32_e32 v8, v7
	v_mad_u64_u32 v[8:9], s[0:1], v3, s23, v[8:9]
	v_mov_b32_e32 v7, v8
	v_lshl_add_u64 v[6:7], v[6:7], 1, s[24:25]
	flat_load_ushort v3, v[6:7]
	v_or_b32_e32 v5, 3, v39
	v_cmp_gt_i32_e64 s[0:1], s9, v5
	v_mov_b32_e32 v10, 0
	s_and_saveexec_b64 s[26:27], s[0:1]
	s_cbranch_execz .LBB667_35
; %bb.34:
	v_mad_u64_u32 v[6:7], s[0:1], v5, s22, 0
	v_mov_b32_e32 v8, v7
	v_mad_u64_u32 v[8:9], s[0:1], v5, s23, v[8:9]
	v_mov_b32_e32 v7, v8
	v_lshl_add_u64 v[6:7], v[6:7], 1, s[24:25]
	flat_load_ushort v5, v[6:7]
	s_waitcnt vmcnt(0) lgkmcnt(0)
	v_lshlrev_b32_e32 v10, 16, v5
.LBB667_35:
	s_or_b64 exec, exec, s[26:27]
	s_waitcnt vmcnt(0) lgkmcnt(0)
	v_lshlrev_b32_e32 v11, 16, v3
.LBB667_36:
	s_or_b64 exec, exec, s[6:7]
	s_waitcnt vmcnt(0) lgkmcnt(0)
	v_lshlrev_b32_e32 v12, 16, v2
.LBB667_37:
	s_or_b64 exec, exec, s[4:5]
	s_waitcnt vmcnt(0) lgkmcnt(0)
	v_lshlrev_b32_e32 v13, 16, v1
.LBB667_38:
	s_or_b64 exec, exec, s[2:3]
	v_cmp_gt_i32_e64 s[0:1], s8, v0
	s_and_saveexec_b64 s[2:3], s[0:1]
	s_cbranch_execz .LBB667_46
; %bb.39:
	v_mad_u64_u32 v[2:3], s[0:1], v39, s18, 0
	v_mov_b32_e32 v6, v3
	v_mad_u64_u32 v[6:7], s[0:1], v39, s19, v[6:7]
	v_ashrrev_i32_e32 v1, 31, v0
	v_cndmask_b32_e32 v3, 0, v6, vcc
	v_mad_u64_u32 v[6:7], s[0:1], v4, s18, 0
	v_cndmask_b32_e32 v2, 0, v2, vcc
	v_lshlrev_b64 v[8:9], 1, v[0:1]
	v_mov_b32_e32 v14, v7
	v_cmp_gt_i32_e32 vcc, s9, v4
	v_or_b32_e32 v1, 2, v39
	v_mad_u64_u32 v[14:15], s[0:1], v4, s19, v[14:15]
	v_cndmask_b32_e32 v4, 0, v6, vcc
	v_mad_u64_u32 v[6:7], s[0:1], v1, s18, 0
	v_cndmask_b32_e32 v5, 0, v14, vcc
	v_mov_b32_e32 v14, v7
	v_mad_u64_u32 v[14:15], s[0:1], v1, s19, v[14:15]
	v_cmp_gt_i32_e32 vcc, s9, v1
	v_or_b32_e32 v1, 3, v39
	v_lshl_add_u64 v[2:3], v[2:3], 1, s[20:21]
	v_cndmask_b32_e32 v7, 0, v14, vcc
	v_mad_u64_u32 v[14:15], s[0:1], v1, s18, 0
	v_mov_b32_e32 v16, v15
	v_lshl_add_u64 v[2:3], v[2:3], 0, v[8:9]
	v_lshl_add_u64 v[4:5], v[4:5], 1, s[20:21]
	v_cndmask_b32_e32 v6, 0, v6, vcc
	v_mad_u64_u32 v[16:17], s[0:1], v1, s19, v[16:17]
	v_cmp_gt_i32_e32 vcc, s9, v1
	v_lshl_add_u64 v[4:5], v[4:5], 0, v[8:9]
	v_lshl_add_u64 v[6:7], v[6:7], 1, s[20:21]
	v_cndmask_b32_e32 v14, 0, v14, vcc
	v_cndmask_b32_e32 v15, 0, v16, vcc
	flat_load_ushort v1, v[2:3]
	flat_load_ushort v16, v[4:5]
	v_lshl_add_u64 v[6:7], v[6:7], 0, v[8:9]
	v_lshl_add_u64 v[14:15], v[14:15], 1, s[20:21]
	;; [unrolled: 1-line block ×3, first 2 shown]
	flat_load_ushort v14, v[6:7]
	flat_load_ushort v15, v[8:9]
	v_add_u32_e32 v17, 64, v0
	v_cmp_gt_i32_e32 vcc, s8, v17
	s_waitcnt vmcnt(0) lgkmcnt(0)
	v_lshlrev_b32_e32 v1, 16, v1
	v_lshlrev_b32_e32 v16, 16, v16
	v_fmac_f32_e32 v35, v13, v1
	v_fmac_f32_e32 v35, v12, v16
	v_lshlrev_b32_e32 v14, 16, v14
	v_lshlrev_b32_e32 v1, 16, v15
	v_fmac_f32_e32 v35, v11, v14
	s_and_saveexec_b64 s[0:1], vcc
	s_cbranch_execz .LBB667_45
; %bb.40:
	flat_load_ushort v14, v[2:3] offset:128
	flat_load_ushort v15, v[4:5] offset:128
	;; [unrolled: 1-line block ×4, first 2 shown]
	v_add_u32_e32 v18, 0x80, v0
	v_cmp_gt_i32_e32 vcc, s8, v18
	s_waitcnt vmcnt(0) lgkmcnt(0)
	v_lshlrev_b32_e32 v19, 16, v14
	v_lshlrev_b32_e32 v15, 16, v15
	v_fmac_f32_e32 v36, v13, v19
	v_lshlrev_b32_e32 v16, 16, v16
	v_fmac_f32_e32 v36, v12, v15
	;; [unrolled: 2-line block ×3, first 2 shown]
	s_and_saveexec_b64 s[4:5], vcc
	s_cbranch_execz .LBB667_44
; %bb.41:
	flat_load_ushort v15, v[2:3] offset:256
	flat_load_ushort v16, v[4:5] offset:256
	flat_load_ushort v17, v[6:7] offset:256
	flat_load_ushort v18, v[8:9] offset:256
	v_add_u32_e32 v19, 0xc0, v0
	v_cmp_gt_i32_e32 vcc, s8, v19
	s_waitcnt vmcnt(0) lgkmcnt(0)
	v_lshlrev_b32_e32 v15, 16, v15
	v_lshlrev_b32_e32 v16, 16, v16
	v_fmac_f32_e32 v37, v13, v15
	v_lshlrev_b32_e32 v17, 16, v17
	v_fmac_f32_e32 v37, v12, v16
	;; [unrolled: 2-line block ×3, first 2 shown]
	s_and_saveexec_b64 s[6:7], vcc
	s_cbranch_execz .LBB667_43
; %bb.42:
	flat_load_ushort v15, v[2:3] offset:384
	flat_load_ushort v16, v[4:5] offset:384
	;; [unrolled: 1-line block ×4, first 2 shown]
	s_waitcnt vmcnt(0) lgkmcnt(0)
	v_lshlrev_b32_e32 v2, 16, v15
	v_lshlrev_b32_e32 v3, 16, v16
	v_fmac_f32_e32 v38, v13, v2
	v_lshlrev_b32_e32 v4, 16, v17
	v_fmac_f32_e32 v38, v12, v3
	v_fmac_f32_e32 v38, v11, v4
	v_lshlrev_b32_e32 v2, 16, v18
	v_fmac_f32_e32 v38, v10, v2
.LBB667_43:
	s_or_b64 exec, exec, s[6:7]
	v_fmac_f32_e32 v37, v10, v0
.LBB667_44:
	s_or_b64 exec, exec, s[4:5]
	v_fmac_f32_e32 v36, v10, v14
.LBB667_45:
	s_or_b64 exec, exec, s[0:1]
	v_fmac_f32_e32 v35, v10, v1
.LBB667_46:
	s_or_b64 exec, exec, s[2:3]
.LBB667_47:
	v_lshlrev_b32_e32 v0, 8, v34
	s_movk_i32 s0, 0x100
	v_add_lshl_u32 v0, v0, v33, 2
	v_cmp_gt_u32_e32 vcc, s0, v32
	ds_write2st64_b32 v0, v35, v36 offset1:1
	ds_write2st64_b32 v0, v37, v38 offset0:2 offset1:3
	s_waitcnt lgkmcnt(0)
	s_barrier
	s_waitcnt lgkmcnt(0)
                                        ; implicit-def: $vgpr1
                                        ; implicit-def: $vgpr2_vgpr3
	s_and_saveexec_b64 s[0:1], vcc
	s_cbranch_execz .LBB667_53
; %bb.48:
	v_lshlrev_b32_e32 v1, 2, v32
	ds_read2st64_b32 v[2:3], v1 offset1:4
	ds_read2st64_b32 v[4:5], v1 offset0:8 offset1:12
	v_or_b32_e32 v0, s33, v32
	v_cmp_gt_i32_e32 vcc, s8, v0
	s_mov_b64 s[4:5], s[14:15]
	s_waitcnt lgkmcnt(1)
	v_add_f32_e32 v2, v2, v3
	s_waitcnt lgkmcnt(0)
	v_add_f32_e32 v2, v4, v2
	v_add_f32_e32 v4, v5, v2
	ds_write_b32 v1, v4
                                        ; implicit-def: $vgpr1
                                        ; implicit-def: $vgpr2_vgpr3
	s_and_saveexec_b64 s[2:3], vcc
	s_cbranch_execz .LBB667_52
; %bb.49:
	v_ashrrev_i32_e32 v2, 31, v0
	v_cmp_eq_f32_e64 s[4:5], s11, 0
	v_mul_f32_e32 v1, s10, v4
	v_mul_lo_u32 v4, v0, s17
	v_mul_lo_u32 v5, v2, s16
	v_mad_u64_u32 v[2:3], s[6:7], v0, s16, 0
	v_add3_u32 v3, v3, v4, v5
	s_and_b64 vcc, exec, s[4:5]
	s_cbranch_vccnz .LBB667_51
; %bb.50:
	v_lshl_add_u64 v[4:5], v[2:3], 2, s[12:13]
	global_load_dword v0, v[4:5], off
	s_waitcnt vmcnt(0)
	v_fmac_f32_e32 v1, s11, v0
.LBB667_51:
	s_or_b64 s[4:5], s[14:15], exec
.LBB667_52:
	s_or_b64 exec, exec, s[2:3]
	s_andn2_b64 s[2:3], s[14:15], exec
	s_and_b64 s[4:5], s[4:5], exec
	s_or_b64 s[14:15], s[2:3], s[4:5]
.LBB667_53:
	s_or_b64 exec, exec, s[0:1]
.LBB667_54:
	s_and_saveexec_b64 s[0:1], s[14:15]
	s_cbranch_execz .LBB667_56
; %bb.55:
	v_lshl_add_u64 v[2:3], v[2:3], 2, s[12:13]
	global_store_dword v[2:3], v1, off
.LBB667_56:
	s_endpgm
	.section	.rodata,"a",@progbits
	.p2align	6, 0x0
	.amdhsa_kernel _ZL20rocblas_gemvn_kernelILi64ELi4ElPK16rocblas_bfloat16fKPfEviiT3_lPKT2_lT1_lS8_lS9_lS5_lPT4_lS9_li
		.amdhsa_group_segment_fixed_size 4096
		.amdhsa_private_segment_fixed_size 0
		.amdhsa_kernarg_size 400
		.amdhsa_user_sgpr_count 2
		.amdhsa_user_sgpr_dispatch_ptr 0
		.amdhsa_user_sgpr_queue_ptr 0
		.amdhsa_user_sgpr_kernarg_segment_ptr 1
		.amdhsa_user_sgpr_dispatch_id 0
		.amdhsa_user_sgpr_kernarg_preload_length 0
		.amdhsa_user_sgpr_kernarg_preload_offset 0
		.amdhsa_user_sgpr_private_segment_size 0
		.amdhsa_uses_dynamic_stack 0
		.amdhsa_enable_private_segment 0
		.amdhsa_system_sgpr_workgroup_id_x 1
		.amdhsa_system_sgpr_workgroup_id_y 0
		.amdhsa_system_sgpr_workgroup_id_z 1
		.amdhsa_system_sgpr_workgroup_info 0
		.amdhsa_system_vgpr_workitem_id 1
		.amdhsa_next_free_vgpr 55
		.amdhsa_next_free_sgpr 45
		.amdhsa_accum_offset 56
		.amdhsa_reserve_vcc 1
		.amdhsa_float_round_mode_32 0
		.amdhsa_float_round_mode_16_64 0
		.amdhsa_float_denorm_mode_32 3
		.amdhsa_float_denorm_mode_16_64 3
		.amdhsa_dx10_clamp 1
		.amdhsa_ieee_mode 1
		.amdhsa_fp16_overflow 0
		.amdhsa_tg_split 0
		.amdhsa_exception_fp_ieee_invalid_op 0
		.amdhsa_exception_fp_denorm_src 0
		.amdhsa_exception_fp_ieee_div_zero 0
		.amdhsa_exception_fp_ieee_overflow 0
		.amdhsa_exception_fp_ieee_underflow 0
		.amdhsa_exception_fp_ieee_inexact 0
		.amdhsa_exception_int_div_zero 0
	.end_amdhsa_kernel
	.section	.text._ZL20rocblas_gemvn_kernelILi64ELi4ElPK16rocblas_bfloat16fKPfEviiT3_lPKT2_lT1_lS8_lS9_lS5_lPT4_lS9_li,"axG",@progbits,_ZL20rocblas_gemvn_kernelILi64ELi4ElPK16rocblas_bfloat16fKPfEviiT3_lPKT2_lT1_lS8_lS9_lS5_lPT4_lS9_li,comdat
.Lfunc_end667:
	.size	_ZL20rocblas_gemvn_kernelILi64ELi4ElPK16rocblas_bfloat16fKPfEviiT3_lPKT2_lT1_lS8_lS9_lS5_lPT4_lS9_li, .Lfunc_end667-_ZL20rocblas_gemvn_kernelILi64ELi4ElPK16rocblas_bfloat16fKPfEviiT3_lPKT2_lT1_lS8_lS9_lS5_lPT4_lS9_li
                                        ; -- End function
	.section	.AMDGPU.csdata,"",@progbits
; Kernel info:
; codeLenInByte = 2636
; NumSgprs: 51
; NumVgprs: 55
; NumAgprs: 0
; TotalNumVgprs: 55
; ScratchSize: 0
; MemoryBound: 0
; FloatMode: 240
; IeeeMode: 1
; LDSByteSize: 4096 bytes/workgroup (compile time only)
; SGPRBlocks: 6
; VGPRBlocks: 6
; NumSGPRsForWavesPerEU: 51
; NumVGPRsForWavesPerEU: 55
; AccumOffset: 56
; Occupancy: 8
; WaveLimiterHint : 1
; COMPUTE_PGM_RSRC2:SCRATCH_EN: 0
; COMPUTE_PGM_RSRC2:USER_SGPR: 2
; COMPUTE_PGM_RSRC2:TRAP_HANDLER: 0
; COMPUTE_PGM_RSRC2:TGID_X_EN: 1
; COMPUTE_PGM_RSRC2:TGID_Y_EN: 0
; COMPUTE_PGM_RSRC2:TGID_Z_EN: 1
; COMPUTE_PGM_RSRC2:TIDIG_COMP_CNT: 1
; COMPUTE_PGM_RSRC3_GFX90A:ACCUM_OFFSET: 13
; COMPUTE_PGM_RSRC3_GFX90A:TG_SPLIT: 0
	.section	.text._ZL20rocblas_gemvn_kernelILi32ELi16EiPK16rocblas_bfloat16PKfKPfEviiT3_lPKT2_lT1_lSA_lSB_lS7_lPT4_lSB_li,"axG",@progbits,_ZL20rocblas_gemvn_kernelILi32ELi16EiPK16rocblas_bfloat16PKfKPfEviiT3_lPKT2_lT1_lSA_lSB_lS7_lPT4_lSB_li,comdat
	.globl	_ZL20rocblas_gemvn_kernelILi32ELi16EiPK16rocblas_bfloat16PKfKPfEviiT3_lPKT2_lT1_lSA_lSB_lS7_lPT4_lSB_li ; -- Begin function _ZL20rocblas_gemvn_kernelILi32ELi16EiPK16rocblas_bfloat16PKfKPfEviiT3_lPKT2_lT1_lSA_lSB_lS7_lPT4_lSB_li
	.p2align	8
	.type	_ZL20rocblas_gemvn_kernelILi32ELi16EiPK16rocblas_bfloat16PKfKPfEviiT3_lPKT2_lT1_lSA_lSB_lS7_lPT4_lSB_li,@function
_ZL20rocblas_gemvn_kernelILi32ELi16EiPK16rocblas_bfloat16PKfKPfEviiT3_lPKT2_lT1_lSA_lSB_lS7_lPT4_lSB_li: ; @_ZL20rocblas_gemvn_kernelILi32ELi16EiPK16rocblas_bfloat16PKfKPfEviiT3_lPKT2_lT1_lSA_lSB_lS7_lPT4_lSB_li
; %bb.0:
	s_load_dwordx2 s[4:5], s[0:1], 0x9c
	s_mov_b32 s22, s3
	s_waitcnt lgkmcnt(0)
	s_and_b32 s3, s5, 0xffff
	s_lshr_b32 s5, s4, 16
	s_and_b32 s4, s4, 0xffff
	s_mul_i32 s4, s5, s4
	s_mul_i32 s4, s4, s3
	s_cmpk_lg_i32 s4, 0x200
	s_cbranch_scc1 .LBB668_54
; %bb.1:
	s_load_dwordx8 s[12:19], s[0:1], 0x8
	s_load_dwordx8 s[4:11], s[0:1], 0x58
	s_waitcnt lgkmcnt(0)
	s_mul_i32 s3, s22, s15
	s_mul_hi_u32 s15, s22, s14
	s_mul_i32 s14, s22, s14
	s_add_i32 s15, s15, s3
	s_lshl_b64 s[14:15], s[14:15], 2
	s_mul_i32 s7, s22, s7
	s_add_u32 s12, s12, s14
	s_mul_hi_u32 s3, s22, s6
	s_addc_u32 s13, s13, s15
	s_add_i32 s7, s3, s7
	s_mul_i32 s6, s22, s6
	s_lshl_b64 s[6:7], s[6:7], 2
	s_add_u32 s4, s4, s6
	s_addc_u32 s5, s5, s7
	s_load_dword s29, s[12:13], 0x0
	s_load_dword s28, s[4:5], 0x0
	s_waitcnt lgkmcnt(0)
	v_cmp_eq_f32_e64 s[4:5], s29, 0
	v_cmp_eq_f32_e64 s[6:7], s28, 1.0
	s_and_b64 s[6:7], s[4:5], s[6:7]
	s_and_b64 vcc, exec, s[6:7]
	s_cbranch_vccnz .LBB668_54
; %bb.2:
	s_mov_b32 s23, 0
	v_cmp_neq_f32_e64 s[6:7], s29, 0
	s_mov_b64 s[20:21], 0
	s_and_b64 vcc, exec, s[4:5]
	s_mov_b64 s[14:15], 0
	s_cbranch_vccnz .LBB668_4
; %bb.3:
	s_lshl_b64 s[12:13], s[22:23], 3
	s_add_u32 s12, s16, s12
	s_addc_u32 s13, s17, s13
	s_load_dwordx2 s[12:13], s[12:13], 0x0
	s_lshl_b64 s[14:15], s[18:19], 1
	s_waitcnt lgkmcnt(0)
	s_add_u32 s14, s12, s14
	s_addc_u32 s15, s13, s15
.LBB668_4:
	s_andn2_b64 vcc, exec, s[6:7]
	s_cbranch_vccnz .LBB668_6
; %bb.5:
	s_load_dwordx4 s[16:19], s[0:1], 0x38
	s_lshl_b64 s[6:7], s[22:23], 3
	s_waitcnt lgkmcnt(0)
	s_add_u32 s6, s16, s6
	s_addc_u32 s7, s17, s7
	s_load_dwordx2 s[6:7], s[6:7], 0x0
	s_lshl_b64 s[12:13], s[18:19], 1
	s_waitcnt lgkmcnt(0)
	s_add_u32 s20, s6, s12
	s_addc_u32 s21, s7, s13
.LBB668_6:
	s_lshl_b64 s[6:7], s[22:23], 3
	s_add_u32 s6, s8, s6
	s_addc_u32 s7, s9, s7
	s_load_dwordx2 s[8:9], s[6:7], 0x0
	s_load_dwordx2 s[12:13], s[0:1], 0x0
	s_load_dword s30, s[0:1], 0x78
	s_lshl_b64 s[6:7], s[10:11], 2
	v_and_b32_e32 v2, 0x3ff, v0
	s_waitcnt lgkmcnt(0)
	s_add_u32 s8, s8, s6
	v_bfe_u32 v18, v0, 10, 10
	s_addc_u32 s9, s9, s7
	s_andn2_b64 vcc, exec, s[4:5]
	v_lshl_add_u32 v3, v18, 5, v2
	s_cbranch_vccnz .LBB668_13
; %bb.7:
	s_movk_i32 s3, 0x80
	v_cmp_gt_u32_e32 vcc, s3, v3
	s_mov_b64 s[4:5], 0
	s_mov_b64 s[10:11], 0
                                        ; implicit-def: $vgpr1
                                        ; implicit-def: $vgpr4_vgpr5
	s_and_saveexec_b64 s[6:7], vcc
	s_cbranch_execz .LBB668_14
; %bb.8:
	v_lshl_or_b32 v0, s2, 7, v3
	v_mov_b32_e32 v1, 0
	s_ashr_i32 s11, s12, 31
	s_mov_b32 s10, s12
	v_cmp_gt_i64_e32 vcc, s[10:11], v[0:1]
	s_mov_b64 s[16:17], 0
                                        ; implicit-def: $vgpr4_vgpr5
	s_and_saveexec_b64 s[10:11], vcc
	s_cbranch_execz .LBB668_12
; %bb.9:
	v_mad_u64_u32 v[4:5], s[18:19], s30, v0, 0
	s_ashr_i32 s3, s30, 31
	v_mov_b32_e32 v6, v5
	v_cmp_eq_f32_e64 s[16:17], s28, 0
	v_mad_u64_u32 v[6:7], s[18:19], s3, v0, v[6:7]
	v_mov_b32_e32 v5, v6
	s_and_b64 vcc, exec, s[16:17]
	s_cbranch_vccnz .LBB668_11
; %bb.10:
	v_lshl_add_u64 v[0:1], v[4:5], 2, s[8:9]
	global_load_dword v0, v[0:1], off
	s_waitcnt vmcnt(0)
	v_mul_f32_e32 v1, s28, v0
.LBB668_11:
	s_mov_b64 s[16:17], exec
.LBB668_12:
	s_or_b64 exec, exec, s[10:11]
	s_and_b64 s[10:11], s[16:17], exec
	s_or_b64 exec, exec, s[6:7]
	s_and_b64 vcc, exec, s[4:5]
	s_cbranch_vccnz .LBB668_15
	s_branch .LBB668_52
.LBB668_13:
	s_mov_b64 s[10:11], 0
                                        ; implicit-def: $vgpr1
                                        ; implicit-def: $vgpr4_vgpr5
	s_cbranch_execnz .LBB668_15
	s_branch .LBB668_52
.LBB668_14:
	s_or_b64 exec, exec, s[6:7]
	s_and_b64 vcc, exec, s[4:5]
	s_cbranch_vccz .LBB668_52
.LBB668_15:
	s_load_dword s33, s[0:1], 0x28
	s_load_dword s34, s[0:1], 0x48
	s_ashr_i32 s0, s13, 31
	s_lshr_b32 s0, s0, 26
	s_add_i32 s35, s13, s0
	s_lshl_b32 s31, s2, 7
	s_andn2_b32 s35, s35, 63
	v_lshlrev_b32_e32 v24, 2, v18
	v_add_u32_e32 v23, s31, v2
	v_cmp_gt_i32_e32 vcc, s35, v24
	v_mov_b32_e32 v19, 0
	v_mov_b32_e32 v20, 0
	;; [unrolled: 1-line block ×4, first 2 shown]
	s_and_saveexec_b64 s[16:17], vcc
	s_cbranch_execz .LBB668_27
; %bb.16:
	v_add_u32_e32 v0, 32, v23
	v_cmp_gt_i32_e64 s[0:1], s12, v0
	v_add_u32_e32 v0, 64, v23
	v_cmp_gt_i32_e64 s[2:3], s12, v0
	;; [unrolled: 2-line block ×3, first 2 shown]
	s_waitcnt lgkmcnt(0)
	v_mul_lo_u32 v0, s33, v24
	v_add_u32_e32 v6, 2, v24
	v_add_u32_e32 v7, 3, v24
	v_add3_u32 v25, v0, s33, v2
	v_mad_u64_u32 v[0:1], s[6:7], s33, v6, v[2:3]
	v_mad_u64_u32 v[4:5], s[6:7], s33, v7, v[2:3]
	v_mul_lo_u32 v1, v18, s33
	v_mul_lo_u32 v5, s34, v24
	;; [unrolled: 1-line block ×4, first 2 shown]
	v_cmp_gt_i32_e32 vcc, s12, v23
	s_lshl_b32 s36, s33, 6
	v_lshl_add_u32 v1, v1, 2, v2
	v_add_u32_e32 v5, s34, v5
	s_lshl_b32 s37, s34, 6
	v_mul_lo_u32 v27, s34, v7
	v_lshlrev_b32_e32 v28, 2, v6
	s_mov_b32 s38, 0
	s_mov_b64 s[18:19], 0
	v_mov_b32_e32 v19, 0
	v_mov_b32_e32 v20, 0
	;; [unrolled: 1-line block ×4, first 2 shown]
	s_branch .LBB668_21
.LBB668_17:                             ;   in Loop: Header=BB668_21 Depth=1
	s_or_b64 exec, exec, s[26:27]
	s_waitcnt vmcnt(0) lgkmcnt(0)
	v_lshlrev_b32_e32 v10, 16, v40
	v_fmac_f32_e32 v21, v8, v10
	v_lshlrev_b32_e32 v10, 16, v39
	v_fmac_f32_e32 v21, v9, v10
	;; [unrolled: 2-line block ×4, first 2 shown]
.LBB668_18:                             ;   in Loop: Header=BB668_21 Depth=1
	s_or_b64 exec, exec, s[24:25]
	s_waitcnt vmcnt(0) lgkmcnt(0)
	v_lshlrev_b32_e32 v10, 16, v36
	v_fmac_f32_e32 v20, v8, v10
	v_lshlrev_b32_e32 v10, 16, v35
	v_fmac_f32_e32 v20, v9, v10
	;; [unrolled: 2-line block ×4, first 2 shown]
.LBB668_19:                             ;   in Loop: Header=BB668_21 Depth=1
	s_or_b64 exec, exec, s[22:23]
	v_lshlrev_b32_e32 v10, 16, v32
	v_fmac_f32_e32 v19, v8, v10
	v_lshlrev_b32_e32 v8, 16, v31
	v_fmac_f32_e32 v19, v9, v8
	;; [unrolled: 2-line block ×4, first 2 shown]
.LBB668_20:                             ;   in Loop: Header=BB668_21 Depth=1
	s_or_b64 exec, exec, s[6:7]
	v_add_u32_e32 v24, 64, v24
	s_add_i32 s38, s38, s37
	v_cmp_le_i32_e64 s[6:7], s35, v24
	v_add_u32_e32 v25, s36, v25
	v_add_u32_e32 v0, s36, v0
	;; [unrolled: 1-line block ×3, first 2 shown]
	s_or_b64 s[18:19], s[6:7], s[18:19]
	v_add_u32_e32 v1, s36, v1
	s_andn2_b64 exec, exec, s[18:19]
	s_cbranch_execz .LBB668_26
.LBB668_21:                             ; =>This Inner Loop Header: Depth=1
	s_and_saveexec_b64 s[6:7], vcc
	s_cbranch_execz .LBB668_20
; %bb.22:                               ;   in Loop: Header=BB668_21 Depth=1
	v_add_u32_e32 v6, s38, v28
	v_ashrrev_i32_e32 v7, 31, v6
	v_add_u32_e32 v8, s38, v5
	v_add_u32_e32 v10, s38, v26
	;; [unrolled: 1-line block ×3, first 2 shown]
	v_lshl_add_u64 v[6:7], v[6:7], 1, s[20:21]
	v_ashrrev_i32_e32 v9, 31, v8
	v_ashrrev_i32_e32 v11, 31, v10
	;; [unrolled: 1-line block ×3, first 2 shown]
	v_lshl_add_u64 v[8:9], v[8:9], 1, s[20:21]
	v_lshl_add_u64 v[10:11], v[10:11], 1, s[20:21]
	;; [unrolled: 1-line block ×3, first 2 shown]
	flat_load_ushort v33, v[6:7]
	flat_load_ushort v34, v[8:9]
	;; [unrolled: 1-line block ×4, first 2 shown]
	v_add_u32_e32 v6, s31, v1
	v_ashrrev_i32_e32 v7, 31, v6
	v_lshl_add_u64 v[10:11], v[6:7], 1, s[14:15]
	v_add_u32_e32 v6, s31, v25
	v_ashrrev_i32_e32 v7, 31, v6
	v_lshl_add_u64 v[12:13], v[6:7], 1, s[14:15]
	;; [unrolled: 3-line block ×4, first 2 shown]
	flat_load_ushort v32, v[10:11]
	flat_load_ushort v31, v[12:13]
	;; [unrolled: 1-line block ×4, first 2 shown]
	s_waitcnt vmcnt(0) lgkmcnt(0)
	v_lshlrev_b32_e32 v8, 16, v33
	v_lshlrev_b32_e32 v9, 16, v34
	;; [unrolled: 1-line block ×4, first 2 shown]
	s_and_saveexec_b64 s[22:23], s[0:1]
	s_cbranch_execz .LBB668_19
; %bb.23:                               ;   in Loop: Header=BB668_21 Depth=1
	flat_load_ushort v36, v[10:11] offset:64
	flat_load_ushort v35, v[12:13] offset:64
	flat_load_ushort v34, v[14:15] offset:64
	flat_load_ushort v33, v[16:17] offset:64
	s_and_saveexec_b64 s[24:25], s[2:3]
	s_cbranch_execz .LBB668_18
; %bb.24:                               ;   in Loop: Header=BB668_21 Depth=1
	flat_load_ushort v40, v[10:11] offset:128
	flat_load_ushort v39, v[12:13] offset:128
	flat_load_ushort v38, v[14:15] offset:128
	flat_load_ushort v37, v[16:17] offset:128
	;; [unrolled: 7-line block ×3, first 2 shown]
	s_waitcnt vmcnt(0) lgkmcnt(0)
	v_lshlrev_b32_e32 v11, 16, v41
	v_lshlrev_b32_e32 v10, 16, v42
	v_pk_mul_f32 v[10:11], v[8:9], v[10:11]
	v_lshlrev_b32_e32 v13, 16, v43
	v_lshlrev_b32_e32 v12, 16, v44
	v_add_f32_e32 v10, v22, v10
	v_add_f32_e32 v14, v10, v11
	v_pk_mul_f32 v[10:11], v[6:7], v[12:13]
	s_nop 0
	v_add_f32_e32 v10, v14, v10
	v_add_f32_e32 v22, v10, v11
	s_branch .LBB668_17
.LBB668_26:
	s_or_b64 exec, exec, s[18:19]
.LBB668_27:
	s_or_b64 exec, exec, s[16:17]
	s_sub_i32 s0, s13, s35
	s_cmp_lt_i32 s0, 1
	s_cbranch_scc1 .LBB668_45
; %bb.28:
	v_cmp_gt_i32_e32 vcc, s13, v24
	v_mov_b32_e32 v10, 0
	v_or_b32_e32 v4, 1, v24
	v_mov_b32_e32 v11, 0
	v_mov_b32_e32 v12, 0
	;; [unrolled: 1-line block ×3, first 2 shown]
	s_and_saveexec_b64 s[2:3], vcc
	s_cbranch_execz .LBB668_36
; %bb.29:
	s_waitcnt lgkmcnt(0)
	v_mul_lo_u32 v0, v24, s34
	v_ashrrev_i32_e32 v1, 31, v0
	v_lshl_add_u64 v[0:1], v[0:1], 1, s[20:21]
	flat_load_ushort v0, v[0:1]
	v_cmp_gt_i32_e64 s[0:1], s13, v4
	v_mov_b32_e32 v12, 0
	v_mov_b32_e32 v11, 0
	v_mov_b32_e32 v10, 0
	s_and_saveexec_b64 s[4:5], s[0:1]
	s_cbranch_execz .LBB668_35
; %bb.30:
	v_mul_lo_u32 v6, v4, s34
	v_ashrrev_i32_e32 v7, 31, v6
	v_lshl_add_u64 v[6:7], v[6:7], 1, s[20:21]
	flat_load_ushort v1, v[6:7]
	v_or_b32_e32 v5, 2, v24
	v_cmp_gt_i32_e64 s[0:1], s13, v5
	v_mov_b32_e32 v11, 0
	v_mov_b32_e32 v10, 0
	s_and_saveexec_b64 s[6:7], s[0:1]
	s_cbranch_execz .LBB668_34
; %bb.31:
	v_mul_lo_u32 v6, v5, s34
	v_ashrrev_i32_e32 v7, 31, v6
	v_lshl_add_u64 v[6:7], v[6:7], 1, s[20:21]
	flat_load_ushort v5, v[6:7]
	v_or_b32_e32 v6, 3, v24
	v_cmp_gt_i32_e64 s[0:1], s13, v6
	v_mov_b32_e32 v10, 0
	s_and_saveexec_b64 s[16:17], s[0:1]
	s_cbranch_execz .LBB668_33
; %bb.32:
	v_mul_lo_u32 v6, v6, s34
	v_ashrrev_i32_e32 v7, 31, v6
	v_lshl_add_u64 v[6:7], v[6:7], 1, s[20:21]
	flat_load_ushort v6, v[6:7]
	s_waitcnt vmcnt(0) lgkmcnt(0)
	v_lshlrev_b32_e32 v10, 16, v6
.LBB668_33:
	s_or_b64 exec, exec, s[16:17]
	s_waitcnt vmcnt(0) lgkmcnt(0)
	v_lshlrev_b32_e32 v11, 16, v5
.LBB668_34:
	s_or_b64 exec, exec, s[6:7]
	s_waitcnt vmcnt(0) lgkmcnt(0)
	v_lshlrev_b32_e32 v12, 16, v1
.LBB668_35:
	s_or_b64 exec, exec, s[4:5]
	s_waitcnt vmcnt(0) lgkmcnt(0)
	v_lshlrev_b32_e32 v13, 16, v0
.LBB668_36:
	s_or_b64 exec, exec, s[2:3]
	v_cmp_gt_i32_e64 s[0:1], s12, v23
	s_and_saveexec_b64 s[2:3], s[0:1]
	s_cbranch_execz .LBB668_44
; %bb.37:
	s_waitcnt lgkmcnt(0)
	v_mul_lo_u32 v0, v24, s33
	v_cndmask_b32_e32 v0, 0, v0, vcc
	v_mul_lo_u32 v5, v4, s33
	v_cmp_gt_i32_e32 vcc, s13, v4
	v_or_b32_e32 v6, 2, v24
	v_add_u32_e32 v0, v0, v23
	v_cndmask_b32_e32 v4, 0, v5, vcc
	v_mul_lo_u32 v7, v6, s33
	v_cmp_gt_i32_e32 vcc, s13, v6
	v_or_b32_e32 v8, 3, v24
	v_ashrrev_i32_e32 v1, 31, v0
	v_add_u32_e32 v4, v4, v23
	v_cndmask_b32_e32 v6, 0, v7, vcc
	v_mul_lo_u32 v9, v8, s33
	v_cmp_gt_i32_e32 vcc, s13, v8
	v_lshl_add_u64 v[0:1], v[0:1], 1, s[14:15]
	v_ashrrev_i32_e32 v5, 31, v4
	v_add_u32_e32 v6, v6, v23
	v_cndmask_b32_e32 v8, 0, v9, vcc
	v_lshl_add_u64 v[4:5], v[4:5], 1, s[14:15]
	v_ashrrev_i32_e32 v7, 31, v6
	v_add_u32_e32 v8, v8, v23
	flat_load_ushort v14, v[0:1]
	flat_load_ushort v15, v[4:5]
	v_lshl_add_u64 v[6:7], v[6:7], 1, s[14:15]
	v_ashrrev_i32_e32 v9, 31, v8
	v_lshl_add_u64 v[8:9], v[8:9], 1, s[14:15]
	flat_load_ushort v16, v[6:7]
	flat_load_ushort v17, v[8:9]
	v_add_u32_e32 v24, 32, v23
	v_cmp_gt_i32_e32 vcc, s12, v24
	s_waitcnt vmcnt(0) lgkmcnt(0)
	v_lshlrev_b32_e32 v14, 16, v14
	v_lshlrev_b32_e32 v15, 16, v15
	v_fmac_f32_e32 v19, v13, v14
	v_fmac_f32_e32 v19, v12, v15
	v_lshlrev_b32_e32 v16, 16, v16
	v_lshlrev_b32_e32 v14, 16, v17
	v_fmac_f32_e32 v19, v11, v16
	s_and_saveexec_b64 s[0:1], vcc
	s_cbranch_execz .LBB668_43
; %bb.38:
	flat_load_ushort v15, v[0:1] offset:64
	flat_load_ushort v16, v[4:5] offset:64
	;; [unrolled: 1-line block ×4, first 2 shown]
	v_add_u32_e32 v25, 64, v23
	v_cmp_gt_i32_e32 vcc, s12, v25
	s_waitcnt vmcnt(0) lgkmcnt(0)
	v_lshlrev_b32_e32 v26, 16, v15
	v_lshlrev_b32_e32 v16, 16, v16
	v_fmac_f32_e32 v20, v13, v26
	v_lshlrev_b32_e32 v17, 16, v17
	v_fmac_f32_e32 v20, v12, v16
	;; [unrolled: 2-line block ×3, first 2 shown]
	s_and_saveexec_b64 s[4:5], vcc
	s_cbranch_execz .LBB668_42
; %bb.39:
	flat_load_ushort v16, v[0:1] offset:128
	flat_load_ushort v17, v[4:5] offset:128
	flat_load_ushort v24, v[6:7] offset:128
	flat_load_ushort v25, v[8:9] offset:128
	v_add_u32_e32 v23, 0x60, v23
	v_cmp_gt_i32_e32 vcc, s12, v23
	s_waitcnt vmcnt(0) lgkmcnt(0)
	v_lshlrev_b32_e32 v26, 16, v16
	v_lshlrev_b32_e32 v17, 16, v17
	v_fmac_f32_e32 v21, v13, v26
	v_lshlrev_b32_e32 v24, 16, v24
	v_fmac_f32_e32 v21, v12, v17
	;; [unrolled: 2-line block ×3, first 2 shown]
	s_and_saveexec_b64 s[6:7], vcc
	s_cbranch_execz .LBB668_41
; %bb.40:
	flat_load_ushort v17, v[0:1] offset:192
	flat_load_ushort v23, v[4:5] offset:192
	;; [unrolled: 1-line block ×4, first 2 shown]
	s_waitcnt vmcnt(0) lgkmcnt(0)
	v_lshlrev_b32_e32 v0, 16, v17
	v_lshlrev_b32_e32 v1, 16, v23
	v_fmac_f32_e32 v22, v13, v0
	v_lshlrev_b32_e32 v4, 16, v24
	v_fmac_f32_e32 v22, v12, v1
	v_fmac_f32_e32 v22, v11, v4
	v_lshlrev_b32_e32 v0, 16, v25
	v_fmac_f32_e32 v22, v10, v0
.LBB668_41:
	s_or_b64 exec, exec, s[6:7]
	v_fmac_f32_e32 v21, v10, v16
.LBB668_42:
	s_or_b64 exec, exec, s[4:5]
	v_fmac_f32_e32 v20, v10, v15
.LBB668_43:
	s_or_b64 exec, exec, s[0:1]
	v_fmac_f32_e32 v19, v10, v14
.LBB668_44:
	s_or_b64 exec, exec, s[2:3]
.LBB668_45:
	v_lshlrev_b32_e32 v0, 7, v18
	s_movk_i32 s0, 0x80
	v_add_lshl_u32 v0, v0, v2, 2
	v_cmp_gt_u32_e32 vcc, s0, v3
	ds_write2_b32 v0, v19, v20 offset1:32
	ds_write2_b32 v0, v21, v22 offset0:64 offset1:96
	s_waitcnt lgkmcnt(0)
	s_barrier
	s_waitcnt lgkmcnt(0)
                                        ; implicit-def: $vgpr1
                                        ; implicit-def: $vgpr4_vgpr5
	s_and_saveexec_b64 s[0:1], vcc
	s_cbranch_execz .LBB668_51
; %bb.46:
	v_lshlrev_b32_e32 v2, 2, v3
	ds_read2st64_b32 v[0:1], v2 offset1:2
	ds_read2st64_b32 v[4:5], v2 offset0:4 offset1:6
	ds_read2st64_b32 v[6:7], v2 offset0:8 offset1:10
	;; [unrolled: 1-line block ×4, first 2 shown]
	s_waitcnt lgkmcnt(4)
	v_add_f32_e32 v0, v0, v1
	s_waitcnt lgkmcnt(3)
	v_add_f32_e32 v0, v4, v0
	v_add_f32_e32 v0, v5, v0
	s_waitcnt lgkmcnt(2)
	v_add_f32_e32 v0, v6, v0
	;; [unrolled: 3-line block ×3, first 2 shown]
	v_add_f32_e32 v4, v9, v0
	ds_read2st64_b32 v[0:1], v2 offset0:20 offset1:22
	s_waitcnt lgkmcnt(1)
	v_add_f32_e32 v6, v10, v4
	ds_read2st64_b32 v[4:5], v2 offset0:24 offset1:26
	v_add_f32_e32 v8, v11, v6
	ds_read2st64_b32 v[6:7], v2 offset0:28 offset1:30
	s_waitcnt lgkmcnt(2)
	v_add_f32_e32 v0, v0, v8
	v_add_f32_e32 v0, v1, v0
	s_waitcnt lgkmcnt(1)
	v_add_f32_e32 v0, v4, v0
	v_add_f32_e32 v0, v5, v0
	s_waitcnt lgkmcnt(0)
	v_add_f32_e32 v0, v6, v0
	v_add_f32_e32 v0, v7, v0
	ds_write_b32 v2, v0
	v_or_b32_e32 v2, s31, v3
	v_cmp_gt_i32_e32 vcc, s12, v2
	s_mov_b64 s[4:5], s[10:11]
                                        ; implicit-def: $vgpr1
                                        ; implicit-def: $vgpr4_vgpr5
	s_and_saveexec_b64 s[2:3], vcc
	s_cbranch_execz .LBB668_50
; %bb.47:
	v_cmp_eq_f32_e64 s[4:5], s28, 0
	v_mul_lo_u32 v4, v2, s30
	v_mul_f32_e32 v1, s29, v0
	v_ashrrev_i32_e32 v5, 31, v4
	s_and_b64 vcc, exec, s[4:5]
	s_cbranch_vccnz .LBB668_49
; %bb.48:
	v_lshl_add_u64 v[2:3], v[4:5], 2, s[8:9]
	global_load_dword v0, v[2:3], off
	s_waitcnt vmcnt(0)
	v_fmac_f32_e32 v1, s28, v0
.LBB668_49:
	s_or_b64 s[4:5], s[10:11], exec
.LBB668_50:
	s_or_b64 exec, exec, s[2:3]
	s_andn2_b64 s[2:3], s[10:11], exec
	s_and_b64 s[4:5], s[4:5], exec
	s_or_b64 s[10:11], s[2:3], s[4:5]
.LBB668_51:
	s_or_b64 exec, exec, s[0:1]
.LBB668_52:
	s_and_saveexec_b64 s[0:1], s[10:11]
	s_cbranch_execz .LBB668_54
; %bb.53:
	v_lshl_add_u64 v[2:3], v[4:5], 2, s[8:9]
	global_store_dword v[2:3], v1, off
.LBB668_54:
	s_endpgm
	.section	.rodata,"a",@progbits
	.p2align	6, 0x0
	.amdhsa_kernel _ZL20rocblas_gemvn_kernelILi32ELi16EiPK16rocblas_bfloat16PKfKPfEviiT3_lPKT2_lT1_lSA_lSB_lS7_lPT4_lSB_li
		.amdhsa_group_segment_fixed_size 8192
		.amdhsa_private_segment_fixed_size 0
		.amdhsa_kernarg_size 400
		.amdhsa_user_sgpr_count 2
		.amdhsa_user_sgpr_dispatch_ptr 0
		.amdhsa_user_sgpr_queue_ptr 0
		.amdhsa_user_sgpr_kernarg_segment_ptr 1
		.amdhsa_user_sgpr_dispatch_id 0
		.amdhsa_user_sgpr_kernarg_preload_length 0
		.amdhsa_user_sgpr_kernarg_preload_offset 0
		.amdhsa_user_sgpr_private_segment_size 0
		.amdhsa_uses_dynamic_stack 0
		.amdhsa_enable_private_segment 0
		.amdhsa_system_sgpr_workgroup_id_x 1
		.amdhsa_system_sgpr_workgroup_id_y 0
		.amdhsa_system_sgpr_workgroup_id_z 1
		.amdhsa_system_sgpr_workgroup_info 0
		.amdhsa_system_vgpr_workitem_id 1
		.amdhsa_next_free_vgpr 45
		.amdhsa_next_free_sgpr 39
		.amdhsa_accum_offset 48
		.amdhsa_reserve_vcc 1
		.amdhsa_float_round_mode_32 0
		.amdhsa_float_round_mode_16_64 0
		.amdhsa_float_denorm_mode_32 3
		.amdhsa_float_denorm_mode_16_64 3
		.amdhsa_dx10_clamp 1
		.amdhsa_ieee_mode 1
		.amdhsa_fp16_overflow 0
		.amdhsa_tg_split 0
		.amdhsa_exception_fp_ieee_invalid_op 0
		.amdhsa_exception_fp_denorm_src 0
		.amdhsa_exception_fp_ieee_div_zero 0
		.amdhsa_exception_fp_ieee_overflow 0
		.amdhsa_exception_fp_ieee_underflow 0
		.amdhsa_exception_fp_ieee_inexact 0
		.amdhsa_exception_int_div_zero 0
	.end_amdhsa_kernel
	.section	.text._ZL20rocblas_gemvn_kernelILi32ELi16EiPK16rocblas_bfloat16PKfKPfEviiT3_lPKT2_lT1_lSA_lSB_lS7_lPT4_lSB_li,"axG",@progbits,_ZL20rocblas_gemvn_kernelILi32ELi16EiPK16rocblas_bfloat16PKfKPfEviiT3_lPKT2_lT1_lSA_lSB_lS7_lPT4_lSB_li,comdat
.Lfunc_end668:
	.size	_ZL20rocblas_gemvn_kernelILi32ELi16EiPK16rocblas_bfloat16PKfKPfEviiT3_lPKT2_lT1_lSA_lSB_lS7_lPT4_lSB_li, .Lfunc_end668-_ZL20rocblas_gemvn_kernelILi32ELi16EiPK16rocblas_bfloat16PKfKPfEviiT3_lPKT2_lT1_lSA_lSB_lS7_lPT4_lSB_li
                                        ; -- End function
	.section	.AMDGPU.csdata,"",@progbits
; Kernel info:
; codeLenInByte = 2516
; NumSgprs: 45
; NumVgprs: 45
; NumAgprs: 0
; TotalNumVgprs: 45
; ScratchSize: 0
; MemoryBound: 0
; FloatMode: 240
; IeeeMode: 1
; LDSByteSize: 8192 bytes/workgroup (compile time only)
; SGPRBlocks: 5
; VGPRBlocks: 5
; NumSGPRsForWavesPerEU: 45
; NumVGPRsForWavesPerEU: 45
; AccumOffset: 48
; Occupancy: 8
; WaveLimiterHint : 1
; COMPUTE_PGM_RSRC2:SCRATCH_EN: 0
; COMPUTE_PGM_RSRC2:USER_SGPR: 2
; COMPUTE_PGM_RSRC2:TRAP_HANDLER: 0
; COMPUTE_PGM_RSRC2:TGID_X_EN: 1
; COMPUTE_PGM_RSRC2:TGID_Y_EN: 0
; COMPUTE_PGM_RSRC2:TGID_Z_EN: 1
; COMPUTE_PGM_RSRC2:TIDIG_COMP_CNT: 1
; COMPUTE_PGM_RSRC3_GFX90A:ACCUM_OFFSET: 11
; COMPUTE_PGM_RSRC3_GFX90A:TG_SPLIT: 0
	.section	.text._ZL20rocblas_gemvn_kernelILi32ELi16ElPK16rocblas_bfloat16PKfKPfEviiT3_lPKT2_lT1_lSA_lSB_lS7_lPT4_lSB_li,"axG",@progbits,_ZL20rocblas_gemvn_kernelILi32ELi16ElPK16rocblas_bfloat16PKfKPfEviiT3_lPKT2_lT1_lSA_lSB_lS7_lPT4_lSB_li,comdat
	.globl	_ZL20rocblas_gemvn_kernelILi32ELi16ElPK16rocblas_bfloat16PKfKPfEviiT3_lPKT2_lT1_lSA_lSB_lS7_lPT4_lSB_li ; -- Begin function _ZL20rocblas_gemvn_kernelILi32ELi16ElPK16rocblas_bfloat16PKfKPfEviiT3_lPKT2_lT1_lSA_lSB_lS7_lPT4_lSB_li
	.p2align	8
	.type	_ZL20rocblas_gemvn_kernelILi32ELi16ElPK16rocblas_bfloat16PKfKPfEviiT3_lPKT2_lT1_lSA_lSB_lS7_lPT4_lSB_li,@function
_ZL20rocblas_gemvn_kernelILi32ELi16ElPK16rocblas_bfloat16PKfKPfEviiT3_lPKT2_lT1_lSA_lSB_lS7_lPT4_lSB_li: ; @_ZL20rocblas_gemvn_kernelILi32ELi16ElPK16rocblas_bfloat16PKfKPfEviiT3_lPKT2_lT1_lSA_lSB_lS7_lPT4_lSB_li
; %bb.0:
	s_load_dwordx2 s[4:5], s[0:1], 0x9c
	s_mov_b32 s26, s3
	s_waitcnt lgkmcnt(0)
	s_and_b32 s3, s5, 0xffff
	s_lshr_b32 s5, s4, 16
	s_and_b32 s4, s4, 0xffff
	s_mul_i32 s4, s5, s4
	s_mul_i32 s4, s4, s3
	s_cmpk_lg_i32 s4, 0x200
	s_cbranch_scc1 .LBB669_54
; %bb.1:
	s_load_dwordx8 s[12:19], s[0:1], 0x8
	s_load_dwordx8 s[4:11], s[0:1], 0x58
	s_waitcnt lgkmcnt(0)
	s_mul_i32 s3, s26, s15
	s_mul_hi_u32 s15, s26, s14
	s_mul_i32 s14, s26, s14
	s_add_i32 s15, s15, s3
	s_lshl_b64 s[14:15], s[14:15], 2
	s_mul_i32 s7, s26, s7
	s_add_u32 s12, s12, s14
	s_mul_hi_u32 s3, s26, s6
	s_addc_u32 s13, s13, s15
	s_add_i32 s7, s3, s7
	s_mul_i32 s6, s26, s6
	s_lshl_b64 s[6:7], s[6:7], 2
	s_add_u32 s4, s4, s6
	s_addc_u32 s5, s5, s7
	s_load_dword s42, s[12:13], 0x0
	s_load_dword s33, s[4:5], 0x0
	s_waitcnt lgkmcnt(0)
	v_cmp_eq_f32_e64 s[28:29], s42, 0
	v_cmp_eq_f32_e64 s[4:5], s33, 1.0
	s_and_b64 s[4:5], s[28:29], s[4:5]
	s_and_b64 vcc, exec, s[4:5]
	s_cbranch_vccnz .LBB669_54
; %bb.2:
	s_load_dwordx2 s[20:21], s[0:1], 0x28
	s_load_dwordx2 s[12:13], s[0:1], 0x78
	s_mov_b32 s27, 0
	v_cmp_neq_f32_e64 s[14:15], s42, 0
	s_mov_b64 s[24:25], 0
	s_and_b64 vcc, exec, s[28:29]
	s_mov_b64 s[22:23], 0
	s_cbranch_vccnz .LBB669_4
; %bb.3:
	s_lshl_b64 s[4:5], s[26:27], 3
	s_add_u32 s4, s16, s4
	s_addc_u32 s5, s17, s5
	s_load_dwordx2 s[4:5], s[4:5], 0x0
	s_lshl_b64 s[6:7], s[18:19], 1
	s_waitcnt lgkmcnt(0)
	s_add_u32 s22, s4, s6
	s_addc_u32 s23, s5, s7
.LBB669_4:
	s_load_dwordx4 s[4:7], s[0:1], 0x38
	s_load_dwordx2 s[16:17], s[0:1], 0x48
	s_andn2_b64 vcc, exec, s[14:15]
	s_cbranch_vccnz .LBB669_6
; %bb.5:
	s_lshl_b64 s[14:15], s[26:27], 3
	s_waitcnt lgkmcnt(0)
	s_add_u32 s4, s4, s14
	s_addc_u32 s5, s5, s15
	s_load_dwordx2 s[4:5], s[4:5], 0x0
	s_lshl_b64 s[6:7], s[6:7], 1
	s_waitcnt lgkmcnt(0)
	s_add_u32 s24, s4, s6
	s_addc_u32 s25, s5, s7
.LBB669_6:
	s_waitcnt lgkmcnt(0)
	s_lshl_b64 s[4:5], s[26:27], 3
	s_add_u32 s4, s8, s4
	s_addc_u32 s5, s9, s5
	s_load_dwordx2 s[6:7], s[4:5], 0x0
	s_load_dwordx2 s[14:15], s[0:1], 0x0
	s_lshl_b64 s[0:1], s[10:11], 2
	v_and_b32_e32 v33, 0x3ff, v0
	v_bfe_u32 v34, v0, 10, 10
	s_waitcnt lgkmcnt(0)
	s_add_u32 s8, s6, s0
	s_addc_u32 s9, s7, s1
	s_andn2_b64 vcc, exec, s[28:29]
	v_lshl_add_u32 v32, v34, 5, v33
	s_cbranch_vccnz .LBB669_13
; %bb.7:
	s_movk_i32 s0, 0x80
	v_cmp_gt_u32_e32 vcc, s0, v32
	s_mov_b64 s[0:1], 0
	s_mov_b64 s[10:11], 0
                                        ; implicit-def: $vgpr1
                                        ; implicit-def: $vgpr2_vgpr3
	s_and_saveexec_b64 s[4:5], vcc
	s_cbranch_execz .LBB669_14
; %bb.8:
	v_lshl_or_b32 v0, s2, 7, v32
	v_mov_b32_e32 v1, 0
	s_ashr_i32 s7, s14, 31
	s_mov_b32 s6, s14
	v_cmp_gt_i64_e32 vcc, s[6:7], v[0:1]
                                        ; implicit-def: $vgpr2_vgpr3
	s_and_saveexec_b64 s[6:7], vcc
	s_cbranch_execz .LBB669_12
; %bb.9:
	v_mad_u64_u32 v[2:3], s[18:19], v0, s12, 0
	v_mov_b32_e32 v4, v3
	v_cmp_eq_f32_e64 s[10:11], s33, 0
	v_mad_u64_u32 v[4:5], s[18:19], v0, s13, v[4:5]
	v_mov_b32_e32 v3, v4
	s_and_b64 vcc, exec, s[10:11]
	s_cbranch_vccnz .LBB669_11
; %bb.10:
	v_lshl_add_u64 v[0:1], v[2:3], 2, s[8:9]
	global_load_dword v0, v[0:1], off
	s_waitcnt vmcnt(0)
	v_mul_f32_e32 v1, s33, v0
.LBB669_11:
	s_mov_b64 s[10:11], exec
.LBB669_12:
	s_or_b64 exec, exec, s[6:7]
	s_and_b64 s[10:11], s[10:11], exec
	s_or_b64 exec, exec, s[4:5]
	s_and_b64 vcc, exec, s[0:1]
	s_cbranch_vccnz .LBB669_15
	s_branch .LBB669_52
.LBB669_13:
	s_mov_b64 s[10:11], 0
                                        ; implicit-def: $vgpr1
                                        ; implicit-def: $vgpr2_vgpr3
	s_cbranch_execnz .LBB669_15
	s_branch .LBB669_52
.LBB669_14:
	s_or_b64 exec, exec, s[4:5]
	s_and_b64 vcc, exec, s[0:1]
	s_cbranch_vccz .LBB669_52
.LBB669_15:
	s_ashr_i32 s0, s15, 31
	s_lshr_b32 s0, s0, 26
	s_add_i32 s44, s15, s0
	s_lshl_b32 s43, s2, 7
	s_andn2_b32 s44, s44, 63
	v_lshlrev_b32_e32 v39, 2, v34
	v_add_u32_e32 v0, s43, v33
	v_cmp_gt_i32_e32 vcc, s44, v39
	v_mov_b32_e32 v35, 0
	v_mov_b32_e32 v36, 0
	;; [unrolled: 1-line block ×4, first 2 shown]
	s_and_saveexec_b64 s[18:19], vcc
	s_cbranch_execz .LBB669_27
; %bb.16:
	v_add_u32_e32 v2, 32, v0
	v_cmp_gt_i32_e64 s[0:1], s14, v2
	v_add_u32_e32 v2, 64, v0
	v_ashrrev_i32_e32 v1, 31, v0
	v_cmp_gt_i32_e64 s[2:3], s14, v2
	v_add_u32_e32 v2, 0x60, v0
	v_cmp_gt_i32_e64 s[4:5], s14, v2
	v_lshlrev_b64 v[2:3], 1, v[0:1]
	v_lshlrev_b32_e32 v1, 2, v34
	v_or_b32_e32 v15, 3, v1
	v_mad_u64_u32 v[4:5], s[6:7], s20, v15, 0
	v_mov_b32_e32 v6, v5
	v_mad_u64_u32 v[6:7], s[6:7], s21, v15, v[6:7]
	v_mov_b32_e32 v5, v6
	;; [unrolled: 2-line block ×6, first 2 shown]
	v_mov_b64_e32 v[10:11], s[16:17]
	v_mad_u64_u32 v[10:11], s[6:7], s16, v1, v[10:11]
	v_mov_b32_e32 v12, v11
	v_mad_u64_u32 v[12:13], s[6:7], s17, v1, v[12:13]
	v_mov_b32_e32 v11, v12
	;; [unrolled: 2-line block ×3, first 2 shown]
	v_mad_u64_u32 v[14:15], s[6:7], s17, v15, v[14:15]
	v_or_b32_e32 v21, 2, v1
	v_mov_b32_e32 v13, v14
	v_mad_u64_u32 v[14:15], s[6:7], s20, v21, 0
	v_mov_b32_e32 v16, v15
	v_mad_u64_u32 v[16:17], s[6:7], s21, v21, v[16:17]
	v_mov_b32_e32 v15, v16
	v_mov_b64_e32 v[16:17], s[20:21]
	v_mad_u64_u32 v[16:17], s[6:7], s20, v1, v[16:17]
	v_mov_b32_e32 v18, v17
	v_mad_u64_u32 v[18:19], s[6:7], s21, v1, v[18:19]
	v_mov_b32_e32 v17, v18
	;; [unrolled: 2-line block ×4, first 2 shown]
	v_cmp_gt_i32_e32 vcc, s14, v0
	v_lshl_add_u64 v[4:5], v[4:5], 1, s[22:23]
	s_lshl_b64 s[26:27], s[20:21], 7
	v_lshlrev_b64 v[6:7], 3, v[6:7]
	s_lshl_b64 s[28:29], s[16:17], 7
	v_lshl_add_u64 v[8:9], v[8:9], 3, s[22:23]
	v_lshlrev_b64 v[10:11], 1, v[10:11]
	v_lshlrev_b64 v[12:13], 1, v[12:13]
	v_lshl_add_u64 v[14:15], v[14:15], 1, s[22:23]
	v_lshl_add_u64 v[16:17], v[16:17], 1, s[22:23]
	v_lshlrev_b64 v[18:19], 1, v[18:19]
	s_mov_b64 s[30:31], 0
	v_mov_b32_e32 v35, 0
	s_mov_b64 s[34:35], s[24:25]
	v_mov_b32_e32 v36, 0
	v_mov_b32_e32 v37, 0
	;; [unrolled: 1-line block ×3, first 2 shown]
	s_branch .LBB669_21
.LBB669_17:                             ;   in Loop: Header=BB669_21 Depth=1
	s_or_b64 exec, exec, s[40:41]
	s_waitcnt vmcnt(0) lgkmcnt(0)
	v_lshlrev_b32_e32 v24, 16, v50
	v_fmac_f32_e32 v37, v22, v24
	v_lshlrev_b32_e32 v24, 16, v49
	v_fmac_f32_e32 v37, v23, v24
	;; [unrolled: 2-line block ×4, first 2 shown]
.LBB669_18:                             ;   in Loop: Header=BB669_21 Depth=1
	s_or_b64 exec, exec, s[38:39]
	s_waitcnt vmcnt(0) lgkmcnt(0)
	v_lshlrev_b32_e32 v24, 16, v46
	v_fmac_f32_e32 v36, v22, v24
	v_lshlrev_b32_e32 v24, 16, v45
	v_fmac_f32_e32 v36, v23, v24
	;; [unrolled: 2-line block ×4, first 2 shown]
.LBB669_19:                             ;   in Loop: Header=BB669_21 Depth=1
	s_or_b64 exec, exec, s[36:37]
	v_lshlrev_b32_e32 v24, 16, v42
	v_fmac_f32_e32 v35, v22, v24
	v_lshlrev_b32_e32 v22, 16, v41
	v_fmac_f32_e32 v35, v23, v22
	;; [unrolled: 2-line block ×4, first 2 shown]
.LBB669_20:                             ;   in Loop: Header=BB669_21 Depth=1
	s_or_b64 exec, exec, s[6:7]
	v_add_u32_e32 v39, 64, v39
	s_add_u32 s34, s34, s28
	s_addc_u32 s35, s35, s29
	v_cmp_le_i32_e64 s[6:7], s44, v39
	v_lshl_add_u64 v[4:5], v[4:5], 0, s[26:27]
	v_lshl_add_u64 v[8:9], v[8:9], 0, s[26:27]
	;; [unrolled: 1-line block ×3, first 2 shown]
	s_or_b64 s[30:31], s[6:7], s[30:31]
	v_lshl_add_u64 v[16:17], v[16:17], 0, s[26:27]
	s_andn2_b64 exec, exec, s[30:31]
	s_cbranch_execz .LBB669_26
.LBB669_21:                             ; =>This Inner Loop Header: Depth=1
	s_and_saveexec_b64 s[6:7], vcc
	s_cbranch_execz .LBB669_20
; %bb.22:                               ;   in Loop: Header=BB669_21 Depth=1
	v_lshl_add_u64 v[20:21], s[34:35], 0, v[6:7]
	v_lshl_add_u64 v[24:25], s[34:35], 0, v[18:19]
	v_lshl_add_u64 v[26:27], s[34:35], 0, v[12:13]
	v_lshl_add_u64 v[22:23], s[34:35], 0, v[10:11]
	flat_load_ushort v43, v[20:21]
	flat_load_ushort v44, v[22:23]
	;; [unrolled: 1-line block ×4, first 2 shown]
	v_lshl_add_u64 v[24:25], v[8:9], 0, v[2:3]
	v_lshl_add_u64 v[26:27], v[16:17], 0, v[2:3]
	;; [unrolled: 1-line block ×4, first 2 shown]
	flat_load_ushort v42, v[24:25]
	flat_load_ushort v41, v[26:27]
	;; [unrolled: 1-line block ×4, first 2 shown]
	s_waitcnt vmcnt(0) lgkmcnt(0)
	v_lshlrev_b32_e32 v22, 16, v43
	v_lshlrev_b32_e32 v23, 16, v44
	;; [unrolled: 1-line block ×4, first 2 shown]
	s_and_saveexec_b64 s[36:37], s[0:1]
	s_cbranch_execz .LBB669_19
; %bb.23:                               ;   in Loop: Header=BB669_21 Depth=1
	flat_load_ushort v46, v[24:25] offset:64
	flat_load_ushort v45, v[26:27] offset:64
	flat_load_ushort v44, v[28:29] offset:64
	flat_load_ushort v43, v[30:31] offset:64
	s_and_saveexec_b64 s[38:39], s[2:3]
	s_cbranch_execz .LBB669_18
; %bb.24:                               ;   in Loop: Header=BB669_21 Depth=1
	flat_load_ushort v50, v[24:25] offset:128
	flat_load_ushort v49, v[26:27] offset:128
	flat_load_ushort v48, v[28:29] offset:128
	flat_load_ushort v47, v[30:31] offset:128
	;; [unrolled: 7-line block ×3, first 2 shown]
	s_waitcnt vmcnt(0) lgkmcnt(0)
	v_lshlrev_b32_e32 v25, 16, v51
	v_lshlrev_b32_e32 v24, 16, v52
	v_pk_mul_f32 v[24:25], v[22:23], v[24:25]
	v_lshlrev_b32_e32 v27, 16, v53
	v_lshlrev_b32_e32 v26, 16, v54
	v_add_f32_e32 v24, v38, v24
	v_add_f32_e32 v28, v24, v25
	v_pk_mul_f32 v[24:25], v[20:21], v[26:27]
	s_nop 0
	v_add_f32_e32 v24, v28, v24
	v_add_f32_e32 v38, v24, v25
	s_branch .LBB669_17
.LBB669_26:
	s_or_b64 exec, exec, s[30:31]
.LBB669_27:
	s_or_b64 exec, exec, s[18:19]
	s_sub_i32 s0, s15, s44
	s_cmp_lt_i32 s0, 1
	s_cbranch_scc1 .LBB669_45
; %bb.28:
	v_cmp_gt_i32_e32 vcc, s15, v39
	v_mov_b32_e32 v10, 0
	v_or_b32_e32 v4, 1, v39
	v_mov_b32_e32 v11, 0
	v_mov_b32_e32 v12, 0
	;; [unrolled: 1-line block ×3, first 2 shown]
	s_and_saveexec_b64 s[2:3], vcc
	s_cbranch_execz .LBB669_36
; %bb.29:
	v_mad_u64_u32 v[2:3], s[0:1], v39, s16, 0
	v_mov_b32_e32 v6, v3
	v_mad_u64_u32 v[6:7], s[0:1], v39, s17, v[6:7]
	v_mov_b32_e32 v3, v6
	v_lshl_add_u64 v[2:3], v[2:3], 1, s[24:25]
	flat_load_ushort v1, v[2:3]
	v_cmp_gt_i32_e64 s[0:1], s15, v4
	v_mov_b32_e32 v12, 0
	v_mov_b32_e32 v11, 0
	;; [unrolled: 1-line block ×3, first 2 shown]
	s_and_saveexec_b64 s[4:5], s[0:1]
	s_cbranch_execz .LBB669_35
; %bb.30:
	v_mad_u64_u32 v[2:3], s[0:1], v4, s16, 0
	v_mov_b32_e32 v6, v3
	v_mad_u64_u32 v[6:7], s[0:1], v4, s17, v[6:7]
	v_mov_b32_e32 v3, v6
	v_lshl_add_u64 v[2:3], v[2:3], 1, s[24:25]
	flat_load_ushort v2, v[2:3]
	v_or_b32_e32 v3, 2, v39
	v_cmp_gt_i32_e64 s[0:1], s15, v3
	v_mov_b32_e32 v11, 0
	v_mov_b32_e32 v10, 0
	s_and_saveexec_b64 s[6:7], s[0:1]
	s_cbranch_execz .LBB669_34
; %bb.31:
	v_mad_u64_u32 v[6:7], s[0:1], v3, s16, 0
	v_mov_b32_e32 v8, v7
	v_mad_u64_u32 v[8:9], s[0:1], v3, s17, v[8:9]
	v_mov_b32_e32 v7, v8
	v_lshl_add_u64 v[6:7], v[6:7], 1, s[24:25]
	flat_load_ushort v3, v[6:7]
	v_or_b32_e32 v5, 3, v39
	v_cmp_gt_i32_e64 s[0:1], s15, v5
	v_mov_b32_e32 v10, 0
	s_and_saveexec_b64 s[18:19], s[0:1]
	s_cbranch_execz .LBB669_33
; %bb.32:
	v_mad_u64_u32 v[6:7], s[0:1], v5, s16, 0
	v_mov_b32_e32 v8, v7
	v_mad_u64_u32 v[8:9], s[0:1], v5, s17, v[8:9]
	v_mov_b32_e32 v7, v8
	v_lshl_add_u64 v[6:7], v[6:7], 1, s[24:25]
	flat_load_ushort v5, v[6:7]
	s_waitcnt vmcnt(0) lgkmcnt(0)
	v_lshlrev_b32_e32 v10, 16, v5
.LBB669_33:
	s_or_b64 exec, exec, s[18:19]
	s_waitcnt vmcnt(0) lgkmcnt(0)
	v_lshlrev_b32_e32 v11, 16, v3
.LBB669_34:
	s_or_b64 exec, exec, s[6:7]
	s_waitcnt vmcnt(0) lgkmcnt(0)
	v_lshlrev_b32_e32 v12, 16, v2
.LBB669_35:
	s_or_b64 exec, exec, s[4:5]
	s_waitcnt vmcnt(0) lgkmcnt(0)
	v_lshlrev_b32_e32 v13, 16, v1
.LBB669_36:
	s_or_b64 exec, exec, s[2:3]
	v_cmp_gt_i32_e64 s[0:1], s14, v0
	s_and_saveexec_b64 s[2:3], s[0:1]
	s_cbranch_execz .LBB669_44
; %bb.37:
	v_mad_u64_u32 v[2:3], s[0:1], v39, s20, 0
	v_mov_b32_e32 v6, v3
	v_mad_u64_u32 v[6:7], s[0:1], v39, s21, v[6:7]
	v_ashrrev_i32_e32 v1, 31, v0
	v_cndmask_b32_e32 v3, 0, v6, vcc
	v_mad_u64_u32 v[6:7], s[0:1], v4, s20, 0
	v_cndmask_b32_e32 v2, 0, v2, vcc
	v_lshlrev_b64 v[8:9], 1, v[0:1]
	v_mov_b32_e32 v14, v7
	v_cmp_gt_i32_e32 vcc, s15, v4
	v_or_b32_e32 v1, 2, v39
	v_mad_u64_u32 v[14:15], s[0:1], v4, s21, v[14:15]
	v_cndmask_b32_e32 v4, 0, v6, vcc
	v_mad_u64_u32 v[6:7], s[0:1], v1, s20, 0
	v_cndmask_b32_e32 v5, 0, v14, vcc
	v_mov_b32_e32 v14, v7
	v_mad_u64_u32 v[14:15], s[0:1], v1, s21, v[14:15]
	v_cmp_gt_i32_e32 vcc, s15, v1
	v_or_b32_e32 v1, 3, v39
	v_lshl_add_u64 v[2:3], v[2:3], 1, s[22:23]
	v_cndmask_b32_e32 v7, 0, v14, vcc
	v_mad_u64_u32 v[14:15], s[0:1], v1, s20, 0
	v_mov_b32_e32 v16, v15
	v_lshl_add_u64 v[2:3], v[2:3], 0, v[8:9]
	v_lshl_add_u64 v[4:5], v[4:5], 1, s[22:23]
	v_cndmask_b32_e32 v6, 0, v6, vcc
	v_mad_u64_u32 v[16:17], s[0:1], v1, s21, v[16:17]
	v_cmp_gt_i32_e32 vcc, s15, v1
	v_lshl_add_u64 v[4:5], v[4:5], 0, v[8:9]
	v_lshl_add_u64 v[6:7], v[6:7], 1, s[22:23]
	v_cndmask_b32_e32 v14, 0, v14, vcc
	v_cndmask_b32_e32 v15, 0, v16, vcc
	flat_load_ushort v1, v[2:3]
	flat_load_ushort v16, v[4:5]
	v_lshl_add_u64 v[6:7], v[6:7], 0, v[8:9]
	v_lshl_add_u64 v[14:15], v[14:15], 1, s[22:23]
	;; [unrolled: 1-line block ×3, first 2 shown]
	flat_load_ushort v14, v[6:7]
	flat_load_ushort v15, v[8:9]
	v_add_u32_e32 v17, 32, v0
	v_cmp_gt_i32_e32 vcc, s14, v17
	s_waitcnt vmcnt(0) lgkmcnt(0)
	v_lshlrev_b32_e32 v1, 16, v1
	v_lshlrev_b32_e32 v16, 16, v16
	v_fmac_f32_e32 v35, v13, v1
	v_fmac_f32_e32 v35, v12, v16
	v_lshlrev_b32_e32 v14, 16, v14
	v_lshlrev_b32_e32 v1, 16, v15
	v_fmac_f32_e32 v35, v11, v14
	s_and_saveexec_b64 s[0:1], vcc
	s_cbranch_execz .LBB669_43
; %bb.38:
	flat_load_ushort v14, v[2:3] offset:64
	flat_load_ushort v15, v[4:5] offset:64
	;; [unrolled: 1-line block ×4, first 2 shown]
	v_add_u32_e32 v18, 64, v0
	v_cmp_gt_i32_e32 vcc, s14, v18
	s_waitcnt vmcnt(0) lgkmcnt(0)
	v_lshlrev_b32_e32 v19, 16, v14
	v_lshlrev_b32_e32 v15, 16, v15
	v_fmac_f32_e32 v36, v13, v19
	v_lshlrev_b32_e32 v16, 16, v16
	v_fmac_f32_e32 v36, v12, v15
	v_lshlrev_b32_e32 v14, 16, v17
	v_fmac_f32_e32 v36, v11, v16
	s_and_saveexec_b64 s[4:5], vcc
	s_cbranch_execz .LBB669_42
; %bb.39:
	flat_load_ushort v15, v[2:3] offset:128
	flat_load_ushort v16, v[4:5] offset:128
	;; [unrolled: 1-line block ×4, first 2 shown]
	v_add_u32_e32 v19, 0x60, v0
	v_cmp_gt_i32_e32 vcc, s14, v19
	s_waitcnt vmcnt(0) lgkmcnt(0)
	v_lshlrev_b32_e32 v15, 16, v15
	v_lshlrev_b32_e32 v16, 16, v16
	v_fmac_f32_e32 v37, v13, v15
	v_lshlrev_b32_e32 v17, 16, v17
	v_fmac_f32_e32 v37, v12, v16
	;; [unrolled: 2-line block ×3, first 2 shown]
	s_and_saveexec_b64 s[6:7], vcc
	s_cbranch_execz .LBB669_41
; %bb.40:
	flat_load_ushort v15, v[2:3] offset:192
	flat_load_ushort v16, v[4:5] offset:192
	;; [unrolled: 1-line block ×4, first 2 shown]
	s_waitcnt vmcnt(0) lgkmcnt(0)
	v_lshlrev_b32_e32 v2, 16, v15
	v_lshlrev_b32_e32 v3, 16, v16
	v_fmac_f32_e32 v38, v13, v2
	v_lshlrev_b32_e32 v4, 16, v17
	v_fmac_f32_e32 v38, v12, v3
	v_fmac_f32_e32 v38, v11, v4
	v_lshlrev_b32_e32 v2, 16, v18
	v_fmac_f32_e32 v38, v10, v2
.LBB669_41:
	s_or_b64 exec, exec, s[6:7]
	v_fmac_f32_e32 v37, v10, v0
.LBB669_42:
	s_or_b64 exec, exec, s[4:5]
	v_fmac_f32_e32 v36, v10, v14
.LBB669_43:
	s_or_b64 exec, exec, s[0:1]
	v_fmac_f32_e32 v35, v10, v1
.LBB669_44:
	s_or_b64 exec, exec, s[2:3]
.LBB669_45:
	v_lshlrev_b32_e32 v0, 7, v34
	s_movk_i32 s0, 0x80
	v_add_lshl_u32 v0, v0, v33, 2
	v_cmp_gt_u32_e32 vcc, s0, v32
	ds_write2_b32 v0, v35, v36 offset1:32
	ds_write2_b32 v0, v37, v38 offset0:64 offset1:96
	s_waitcnt lgkmcnt(0)
	s_barrier
	s_waitcnt lgkmcnt(0)
                                        ; implicit-def: $vgpr1
                                        ; implicit-def: $vgpr2_vgpr3
	s_and_saveexec_b64 s[0:1], vcc
	s_cbranch_execz .LBB669_51
; %bb.46:
	v_lshlrev_b32_e32 v10, 2, v32
	ds_read2st64_b32 v[0:1], v10 offset1:2
	ds_read2st64_b32 v[2:3], v10 offset0:4 offset1:6
	ds_read2st64_b32 v[4:5], v10 offset0:8 offset1:10
	;; [unrolled: 1-line block ×4, first 2 shown]
	s_waitcnt lgkmcnt(4)
	v_add_f32_e32 v0, v0, v1
	s_waitcnt lgkmcnt(3)
	v_add_f32_e32 v0, v2, v0
	v_add_f32_e32 v0, v3, v0
	s_waitcnt lgkmcnt(2)
	v_add_f32_e32 v0, v4, v0
	v_add_f32_e32 v0, v5, v0
	s_waitcnt lgkmcnt(1)
	v_add_f32_e32 v0, v6, v0
	v_add_f32_e32 v2, v7, v0
	ds_read2st64_b32 v[0:1], v10 offset0:20 offset1:22
	s_waitcnt lgkmcnt(1)
	v_add_f32_e32 v4, v8, v2
	ds_read2st64_b32 v[2:3], v10 offset0:24 offset1:26
	v_add_f32_e32 v6, v9, v4
	ds_read2st64_b32 v[4:5], v10 offset0:28 offset1:30
	s_waitcnt lgkmcnt(2)
	v_add_f32_e32 v0, v0, v6
	v_add_f32_e32 v0, v1, v0
	s_waitcnt lgkmcnt(1)
	v_add_f32_e32 v0, v2, v0
	v_add_f32_e32 v0, v3, v0
	;; [unrolled: 3-line block ×3, first 2 shown]
	v_or_b32_e32 v0, s43, v32
	v_cmp_gt_i32_e32 vcc, s14, v0
	s_mov_b64 s[4:5], s[10:11]
	ds_write_b32 v10, v4
                                        ; implicit-def: $vgpr1
                                        ; implicit-def: $vgpr2_vgpr3
	s_and_saveexec_b64 s[2:3], vcc
	s_cbranch_execz .LBB669_50
; %bb.47:
	v_ashrrev_i32_e32 v2, 31, v0
	v_cmp_eq_f32_e64 s[4:5], s33, 0
	v_mul_f32_e32 v1, s42, v4
	v_mul_lo_u32 v4, v0, s13
	v_mul_lo_u32 v5, v2, s12
	v_mad_u64_u32 v[2:3], s[6:7], v0, s12, 0
	v_add3_u32 v3, v3, v4, v5
	s_and_b64 vcc, exec, s[4:5]
	s_cbranch_vccnz .LBB669_49
; %bb.48:
	v_lshl_add_u64 v[4:5], v[2:3], 2, s[8:9]
	global_load_dword v0, v[4:5], off
	s_waitcnt vmcnt(0)
	v_fmac_f32_e32 v1, s33, v0
.LBB669_49:
	s_or_b64 s[4:5], s[10:11], exec
.LBB669_50:
	s_or_b64 exec, exec, s[2:3]
	s_andn2_b64 s[2:3], s[10:11], exec
	s_and_b64 s[4:5], s[4:5], exec
	s_or_b64 s[10:11], s[2:3], s[4:5]
.LBB669_51:
	s_or_b64 exec, exec, s[0:1]
.LBB669_52:
	s_and_saveexec_b64 s[0:1], s[10:11]
	s_cbranch_execz .LBB669_54
; %bb.53:
	v_lshl_add_u64 v[2:3], v[2:3], 2, s[8:9]
	global_store_dword v[2:3], v1, off
.LBB669_54:
	s_endpgm
	.section	.rodata,"a",@progbits
	.p2align	6, 0x0
	.amdhsa_kernel _ZL20rocblas_gemvn_kernelILi32ELi16ElPK16rocblas_bfloat16PKfKPfEviiT3_lPKT2_lT1_lSA_lSB_lS7_lPT4_lSB_li
		.amdhsa_group_segment_fixed_size 8192
		.amdhsa_private_segment_fixed_size 0
		.amdhsa_kernarg_size 400
		.amdhsa_user_sgpr_count 2
		.amdhsa_user_sgpr_dispatch_ptr 0
		.amdhsa_user_sgpr_queue_ptr 0
		.amdhsa_user_sgpr_kernarg_segment_ptr 1
		.amdhsa_user_sgpr_dispatch_id 0
		.amdhsa_user_sgpr_kernarg_preload_length 0
		.amdhsa_user_sgpr_kernarg_preload_offset 0
		.amdhsa_user_sgpr_private_segment_size 0
		.amdhsa_uses_dynamic_stack 0
		.amdhsa_enable_private_segment 0
		.amdhsa_system_sgpr_workgroup_id_x 1
		.amdhsa_system_sgpr_workgroup_id_y 0
		.amdhsa_system_sgpr_workgroup_id_z 1
		.amdhsa_system_sgpr_workgroup_info 0
		.amdhsa_system_vgpr_workitem_id 1
		.amdhsa_next_free_vgpr 55
		.amdhsa_next_free_sgpr 45
		.amdhsa_accum_offset 56
		.amdhsa_reserve_vcc 1
		.amdhsa_float_round_mode_32 0
		.amdhsa_float_round_mode_16_64 0
		.amdhsa_float_denorm_mode_32 3
		.amdhsa_float_denorm_mode_16_64 3
		.amdhsa_dx10_clamp 1
		.amdhsa_ieee_mode 1
		.amdhsa_fp16_overflow 0
		.amdhsa_tg_split 0
		.amdhsa_exception_fp_ieee_invalid_op 0
		.amdhsa_exception_fp_denorm_src 0
		.amdhsa_exception_fp_ieee_div_zero 0
		.amdhsa_exception_fp_ieee_overflow 0
		.amdhsa_exception_fp_ieee_underflow 0
		.amdhsa_exception_fp_ieee_inexact 0
		.amdhsa_exception_int_div_zero 0
	.end_amdhsa_kernel
	.section	.text._ZL20rocblas_gemvn_kernelILi32ELi16ElPK16rocblas_bfloat16PKfKPfEviiT3_lPKT2_lT1_lSA_lSB_lS7_lPT4_lSB_li,"axG",@progbits,_ZL20rocblas_gemvn_kernelILi32ELi16ElPK16rocblas_bfloat16PKfKPfEviiT3_lPKT2_lT1_lSA_lSB_lS7_lPT4_lSB_li,comdat
.Lfunc_end669:
	.size	_ZL20rocblas_gemvn_kernelILi32ELi16ElPK16rocblas_bfloat16PKfKPfEviiT3_lPKT2_lT1_lSA_lSB_lS7_lPT4_lSB_li, .Lfunc_end669-_ZL20rocblas_gemvn_kernelILi32ELi16ElPK16rocblas_bfloat16PKfKPfEviiT3_lPKT2_lT1_lSA_lSB_lS7_lPT4_lSB_li
                                        ; -- End function
	.section	.AMDGPU.csdata,"",@progbits
; Kernel info:
; codeLenInByte = 2796
; NumSgprs: 51
; NumVgprs: 55
; NumAgprs: 0
; TotalNumVgprs: 55
; ScratchSize: 0
; MemoryBound: 0
; FloatMode: 240
; IeeeMode: 1
; LDSByteSize: 8192 bytes/workgroup (compile time only)
; SGPRBlocks: 6
; VGPRBlocks: 6
; NumSGPRsForWavesPerEU: 51
; NumVGPRsForWavesPerEU: 55
; AccumOffset: 56
; Occupancy: 8
; WaveLimiterHint : 1
; COMPUTE_PGM_RSRC2:SCRATCH_EN: 0
; COMPUTE_PGM_RSRC2:USER_SGPR: 2
; COMPUTE_PGM_RSRC2:TRAP_HANDLER: 0
; COMPUTE_PGM_RSRC2:TGID_X_EN: 1
; COMPUTE_PGM_RSRC2:TGID_Y_EN: 0
; COMPUTE_PGM_RSRC2:TGID_Z_EN: 1
; COMPUTE_PGM_RSRC2:TIDIG_COMP_CNT: 1
; COMPUTE_PGM_RSRC3_GFX90A:ACCUM_OFFSET: 13
; COMPUTE_PGM_RSRC3_GFX90A:TG_SPLIT: 0
	.section	.text._ZL20rocblas_gemvn_kernelILi32ELi16EiPK16rocblas_bfloat16fKPfEviiT3_lPKT2_lT1_lS8_lS9_lS5_lPT4_lS9_li,"axG",@progbits,_ZL20rocblas_gemvn_kernelILi32ELi16EiPK16rocblas_bfloat16fKPfEviiT3_lPKT2_lT1_lS8_lS9_lS5_lPT4_lS9_li,comdat
	.globl	_ZL20rocblas_gemvn_kernelILi32ELi16EiPK16rocblas_bfloat16fKPfEviiT3_lPKT2_lT1_lS8_lS9_lS5_lPT4_lS9_li ; -- Begin function _ZL20rocblas_gemvn_kernelILi32ELi16EiPK16rocblas_bfloat16fKPfEviiT3_lPKT2_lT1_lS8_lS9_lS5_lPT4_lS9_li
	.p2align	8
	.type	_ZL20rocblas_gemvn_kernelILi32ELi16EiPK16rocblas_bfloat16fKPfEviiT3_lPKT2_lT1_lS8_lS9_lS5_lPT4_lS9_li,@function
_ZL20rocblas_gemvn_kernelILi32ELi16EiPK16rocblas_bfloat16fKPfEviiT3_lPKT2_lT1_lS8_lS9_lS5_lPT4_lS9_li: ; @_ZL20rocblas_gemvn_kernelILi32ELi16EiPK16rocblas_bfloat16fKPfEviiT3_lPKT2_lT1_lS8_lS9_lS5_lPT4_lS9_li
; %bb.0:
	s_load_dwordx2 s[4:5], s[0:1], 0x9c
	s_mov_b32 s6, s3
	s_waitcnt lgkmcnt(0)
	s_and_b32 s3, s5, 0xffff
	s_lshr_b32 s5, s4, 16
	s_and_b32 s4, s4, 0xffff
	s_mul_i32 s4, s5, s4
	s_mul_i32 s4, s4, s3
	s_cmpk_lg_i32 s4, 0x200
	s_cbranch_scc1 .LBB670_56
; %bb.1:
	s_load_dwordx4 s[8:11], s[0:1], 0x0
	s_waitcnt lgkmcnt(0)
	s_load_dword s11, s[0:1], 0x58
	v_cmp_eq_f32_e64 s[4:5], s10, 0
	s_waitcnt lgkmcnt(0)
	v_cmp_eq_f32_e64 s[12:13], s11, 1.0
	s_and_b64 s[12:13], s[4:5], s[12:13]
	s_and_b64 vcc, exec, s[12:13]
	s_cbranch_vccnz .LBB670_56
; %bb.2:
	v_cmp_neq_f32_e64 s[12:13], s10, 0
	s_mov_b32 s7, 0
	s_and_b64 vcc, exec, s[12:13]
	s_cbranch_vccnz .LBB670_4
; %bb.3:
	s_mov_b64 s[16:17], 0
	s_cbranch_execz .LBB670_5
	s_branch .LBB670_6
.LBB670_4:
                                        ; implicit-def: $sgpr16_sgpr17
.LBB670_5:
	s_load_dwordx4 s[16:19], s[0:1], 0x18
	s_lshl_b64 s[14:15], s[6:7], 3
	s_waitcnt lgkmcnt(0)
	s_add_u32 s14, s16, s14
	s_addc_u32 s15, s17, s15
	s_load_dwordx2 s[14:15], s[14:15], 0x0
	s_lshl_b64 s[16:17], s[18:19], 1
	s_waitcnt lgkmcnt(0)
	s_add_u32 s16, s14, s16
	s_addc_u32 s17, s15, s17
.LBB670_6:
	s_mov_b64 s[14:15], 0
	s_andn2_b64 vcc, exec, s[12:13]
	s_mov_b64 s[18:19], 0
	s_cbranch_vccnz .LBB670_8
; %bb.7:
	s_load_dwordx4 s[20:23], s[0:1], 0x38
	s_lshl_b64 s[12:13], s[6:7], 3
	s_waitcnt lgkmcnt(0)
	s_add_u32 s12, s20, s12
	s_addc_u32 s13, s21, s13
	s_load_dwordx2 s[12:13], s[12:13], 0x0
	s_lshl_b64 s[18:19], s[22:23], 1
	s_waitcnt lgkmcnt(0)
	s_add_u32 s18, s12, s18
	s_addc_u32 s19, s13, s19
.LBB670_8:
	s_load_dwordx4 s[20:23], s[0:1], 0x68
	s_load_dword s30, s[0:1], 0x78
	s_lshl_b64 s[6:7], s[6:7], 3
	v_and_b32_e32 v2, 0x3ff, v0
	v_bfe_u32 v18, v0, 10, 10
	s_waitcnt lgkmcnt(0)
	s_add_u32 s6, s20, s6
	s_addc_u32 s7, s21, s7
	s_load_dwordx2 s[6:7], s[6:7], 0x0
	s_lshl_b64 s[12:13], s[22:23], 2
	v_lshl_add_u32 v3, v18, 5, v2
	s_waitcnt lgkmcnt(0)
	s_add_u32 s12, s6, s12
	s_addc_u32 s13, s7, s13
	s_andn2_b64 vcc, exec, s[4:5]
	s_cbranch_vccnz .LBB670_15
; %bb.9:
	s_movk_i32 s3, 0x80
	v_cmp_gt_u32_e32 vcc, s3, v3
	s_mov_b64 s[4:5], 0
                                        ; implicit-def: $vgpr1
                                        ; implicit-def: $vgpr4_vgpr5
	s_and_saveexec_b64 s[6:7], vcc
	s_cbranch_execz .LBB670_16
; %bb.10:
	v_lshl_or_b32 v0, s2, 7, v3
	v_mov_b32_e32 v1, 0
	s_ashr_i32 s15, s8, 31
	s_mov_b32 s14, s8
	v_cmp_gt_i64_e32 vcc, s[14:15], v[0:1]
	s_mov_b64 s[20:21], 0
                                        ; implicit-def: $vgpr4_vgpr5
	s_and_saveexec_b64 s[14:15], vcc
	s_cbranch_execz .LBB670_14
; %bb.11:
	v_mad_u64_u32 v[4:5], s[22:23], s30, v0, 0
	s_ashr_i32 s3, s30, 31
	v_mov_b32_e32 v6, v5
	v_cmp_eq_f32_e64 s[20:21], s11, 0
	v_mad_u64_u32 v[6:7], s[22:23], s3, v0, v[6:7]
	v_mov_b32_e32 v5, v6
	s_and_b64 vcc, exec, s[20:21]
	s_cbranch_vccnz .LBB670_13
; %bb.12:
	v_lshl_add_u64 v[0:1], v[4:5], 2, s[12:13]
	global_load_dword v0, v[0:1], off
	s_waitcnt vmcnt(0)
	v_mul_f32_e32 v1, s11, v0
.LBB670_13:
	s_mov_b64 s[20:21], exec
.LBB670_14:
	s_or_b64 exec, exec, s[14:15]
	s_and_b64 s[14:15], s[20:21], exec
	s_or_b64 exec, exec, s[6:7]
	s_and_b64 vcc, exec, s[4:5]
	s_cbranch_vccnz .LBB670_17
	s_branch .LBB670_54
.LBB670_15:
                                        ; implicit-def: $vgpr1
                                        ; implicit-def: $vgpr4_vgpr5
	s_cbranch_execnz .LBB670_17
	s_branch .LBB670_54
.LBB670_16:
	s_or_b64 exec, exec, s[6:7]
	s_and_b64 vcc, exec, s[4:5]
	s_cbranch_vccz .LBB670_54
.LBB670_17:
	s_load_dword s33, s[0:1], 0x28
	s_load_dword s34, s[0:1], 0x48
	s_ashr_i32 s0, s9, 31
	s_lshr_b32 s0, s0, 26
	s_add_i32 s35, s9, s0
	s_lshl_b32 s31, s2, 7
	s_andn2_b32 s35, s35, 63
	v_lshlrev_b32_e32 v24, 2, v18
	v_add_u32_e32 v23, s31, v2
	v_cmp_gt_i32_e32 vcc, s35, v24
	v_mov_b32_e32 v19, 0
	v_mov_b32_e32 v20, 0
	;; [unrolled: 1-line block ×4, first 2 shown]
	s_and_saveexec_b64 s[20:21], vcc
	s_cbranch_execz .LBB670_29
; %bb.18:
	v_add_u32_e32 v0, 32, v23
	v_cmp_gt_i32_e64 s[0:1], s8, v0
	v_add_u32_e32 v0, 64, v23
	v_cmp_gt_i32_e64 s[2:3], s8, v0
	;; [unrolled: 2-line block ×3, first 2 shown]
	s_waitcnt lgkmcnt(0)
	v_mul_lo_u32 v0, s33, v24
	v_add_u32_e32 v6, 2, v24
	v_add_u32_e32 v7, 3, v24
	v_add3_u32 v25, v0, s33, v2
	v_mad_u64_u32 v[0:1], s[6:7], s33, v6, v[2:3]
	v_mad_u64_u32 v[4:5], s[6:7], s33, v7, v[2:3]
	v_mul_lo_u32 v1, v18, s33
	v_mul_lo_u32 v5, s34, v24
	;; [unrolled: 1-line block ×4, first 2 shown]
	v_cmp_gt_i32_e32 vcc, s8, v23
	s_lshl_b32 s36, s33, 6
	v_lshl_add_u32 v1, v1, 2, v2
	v_add_u32_e32 v5, s34, v5
	s_lshl_b32 s37, s34, 6
	v_mul_lo_u32 v27, s34, v7
	v_lshlrev_b32_e32 v28, 2, v6
	s_mov_b32 s38, 0
	s_mov_b64 s[22:23], 0
	v_mov_b32_e32 v19, 0
	v_mov_b32_e32 v20, 0
	;; [unrolled: 1-line block ×4, first 2 shown]
	s_branch .LBB670_23
.LBB670_19:                             ;   in Loop: Header=BB670_23 Depth=1
	s_or_b64 exec, exec, s[28:29]
	s_waitcnt vmcnt(0) lgkmcnt(0)
	v_lshlrev_b32_e32 v10, 16, v40
	v_fmac_f32_e32 v21, v8, v10
	v_lshlrev_b32_e32 v10, 16, v39
	v_fmac_f32_e32 v21, v9, v10
	;; [unrolled: 2-line block ×4, first 2 shown]
.LBB670_20:                             ;   in Loop: Header=BB670_23 Depth=1
	s_or_b64 exec, exec, s[26:27]
	s_waitcnt vmcnt(0) lgkmcnt(0)
	v_lshlrev_b32_e32 v10, 16, v36
	v_fmac_f32_e32 v20, v8, v10
	v_lshlrev_b32_e32 v10, 16, v35
	v_fmac_f32_e32 v20, v9, v10
	;; [unrolled: 2-line block ×4, first 2 shown]
.LBB670_21:                             ;   in Loop: Header=BB670_23 Depth=1
	s_or_b64 exec, exec, s[24:25]
	v_lshlrev_b32_e32 v10, 16, v32
	v_fmac_f32_e32 v19, v8, v10
	v_lshlrev_b32_e32 v8, 16, v31
	v_fmac_f32_e32 v19, v9, v8
	;; [unrolled: 2-line block ×4, first 2 shown]
.LBB670_22:                             ;   in Loop: Header=BB670_23 Depth=1
	s_or_b64 exec, exec, s[6:7]
	v_add_u32_e32 v24, 64, v24
	s_add_i32 s38, s38, s37
	v_cmp_le_i32_e64 s[6:7], s35, v24
	v_add_u32_e32 v25, s36, v25
	v_add_u32_e32 v0, s36, v0
	;; [unrolled: 1-line block ×3, first 2 shown]
	s_or_b64 s[22:23], s[6:7], s[22:23]
	v_add_u32_e32 v1, s36, v1
	s_andn2_b64 exec, exec, s[22:23]
	s_cbranch_execz .LBB670_28
.LBB670_23:                             ; =>This Inner Loop Header: Depth=1
	s_and_saveexec_b64 s[6:7], vcc
	s_cbranch_execz .LBB670_22
; %bb.24:                               ;   in Loop: Header=BB670_23 Depth=1
	v_add_u32_e32 v6, s38, v28
	v_ashrrev_i32_e32 v7, 31, v6
	v_add_u32_e32 v8, s38, v5
	v_add_u32_e32 v10, s38, v26
	;; [unrolled: 1-line block ×3, first 2 shown]
	v_lshl_add_u64 v[6:7], v[6:7], 1, s[18:19]
	v_ashrrev_i32_e32 v9, 31, v8
	v_ashrrev_i32_e32 v11, 31, v10
	;; [unrolled: 1-line block ×3, first 2 shown]
	v_lshl_add_u64 v[8:9], v[8:9], 1, s[18:19]
	v_lshl_add_u64 v[10:11], v[10:11], 1, s[18:19]
	;; [unrolled: 1-line block ×3, first 2 shown]
	flat_load_ushort v33, v[6:7]
	flat_load_ushort v34, v[8:9]
	;; [unrolled: 1-line block ×4, first 2 shown]
	v_add_u32_e32 v6, s31, v1
	v_ashrrev_i32_e32 v7, 31, v6
	v_lshl_add_u64 v[10:11], v[6:7], 1, s[16:17]
	v_add_u32_e32 v6, s31, v25
	v_ashrrev_i32_e32 v7, 31, v6
	v_lshl_add_u64 v[12:13], v[6:7], 1, s[16:17]
	;; [unrolled: 3-line block ×4, first 2 shown]
	flat_load_ushort v32, v[10:11]
	flat_load_ushort v31, v[12:13]
	;; [unrolled: 1-line block ×4, first 2 shown]
	s_waitcnt vmcnt(0) lgkmcnt(0)
	v_lshlrev_b32_e32 v8, 16, v33
	v_lshlrev_b32_e32 v9, 16, v34
	;; [unrolled: 1-line block ×4, first 2 shown]
	s_and_saveexec_b64 s[24:25], s[0:1]
	s_cbranch_execz .LBB670_21
; %bb.25:                               ;   in Loop: Header=BB670_23 Depth=1
	flat_load_ushort v36, v[10:11] offset:64
	flat_load_ushort v35, v[12:13] offset:64
	flat_load_ushort v34, v[14:15] offset:64
	flat_load_ushort v33, v[16:17] offset:64
	s_and_saveexec_b64 s[26:27], s[2:3]
	s_cbranch_execz .LBB670_20
; %bb.26:                               ;   in Loop: Header=BB670_23 Depth=1
	flat_load_ushort v40, v[10:11] offset:128
	flat_load_ushort v39, v[12:13] offset:128
	flat_load_ushort v38, v[14:15] offset:128
	flat_load_ushort v37, v[16:17] offset:128
	;; [unrolled: 7-line block ×3, first 2 shown]
	s_waitcnt vmcnt(0) lgkmcnt(0)
	v_lshlrev_b32_e32 v11, 16, v41
	v_lshlrev_b32_e32 v10, 16, v42
	v_pk_mul_f32 v[10:11], v[8:9], v[10:11]
	v_lshlrev_b32_e32 v13, 16, v43
	v_lshlrev_b32_e32 v12, 16, v44
	v_add_f32_e32 v10, v22, v10
	v_add_f32_e32 v14, v10, v11
	v_pk_mul_f32 v[10:11], v[6:7], v[12:13]
	s_nop 0
	v_add_f32_e32 v10, v14, v10
	v_add_f32_e32 v22, v10, v11
	s_branch .LBB670_19
.LBB670_28:
	s_or_b64 exec, exec, s[22:23]
.LBB670_29:
	s_or_b64 exec, exec, s[20:21]
	s_sub_i32 s0, s9, s35
	s_cmp_lt_i32 s0, 1
	s_cbranch_scc1 .LBB670_47
; %bb.30:
	v_cmp_gt_i32_e32 vcc, s9, v24
	v_mov_b32_e32 v10, 0
	v_or_b32_e32 v4, 1, v24
	v_mov_b32_e32 v11, 0
	v_mov_b32_e32 v12, 0
	;; [unrolled: 1-line block ×3, first 2 shown]
	s_and_saveexec_b64 s[2:3], vcc
	s_cbranch_execz .LBB670_38
; %bb.31:
	s_waitcnt lgkmcnt(0)
	v_mul_lo_u32 v0, v24, s34
	v_ashrrev_i32_e32 v1, 31, v0
	v_lshl_add_u64 v[0:1], v[0:1], 1, s[18:19]
	flat_load_ushort v0, v[0:1]
	v_cmp_gt_i32_e64 s[0:1], s9, v4
	v_mov_b32_e32 v12, 0
	v_mov_b32_e32 v11, 0
	;; [unrolled: 1-line block ×3, first 2 shown]
	s_and_saveexec_b64 s[4:5], s[0:1]
	s_cbranch_execz .LBB670_37
; %bb.32:
	v_mul_lo_u32 v6, v4, s34
	v_ashrrev_i32_e32 v7, 31, v6
	v_lshl_add_u64 v[6:7], v[6:7], 1, s[18:19]
	flat_load_ushort v1, v[6:7]
	v_or_b32_e32 v5, 2, v24
	v_cmp_gt_i32_e64 s[0:1], s9, v5
	v_mov_b32_e32 v11, 0
	v_mov_b32_e32 v10, 0
	s_and_saveexec_b64 s[6:7], s[0:1]
	s_cbranch_execz .LBB670_36
; %bb.33:
	v_mul_lo_u32 v6, v5, s34
	v_ashrrev_i32_e32 v7, 31, v6
	v_lshl_add_u64 v[6:7], v[6:7], 1, s[18:19]
	flat_load_ushort v5, v[6:7]
	v_or_b32_e32 v6, 3, v24
	v_cmp_gt_i32_e64 s[0:1], s9, v6
	v_mov_b32_e32 v10, 0
	s_and_saveexec_b64 s[20:21], s[0:1]
	s_cbranch_execz .LBB670_35
; %bb.34:
	v_mul_lo_u32 v6, v6, s34
	v_ashrrev_i32_e32 v7, 31, v6
	v_lshl_add_u64 v[6:7], v[6:7], 1, s[18:19]
	flat_load_ushort v6, v[6:7]
	s_waitcnt vmcnt(0) lgkmcnt(0)
	v_lshlrev_b32_e32 v10, 16, v6
.LBB670_35:
	s_or_b64 exec, exec, s[20:21]
	s_waitcnt vmcnt(0) lgkmcnt(0)
	v_lshlrev_b32_e32 v11, 16, v5
.LBB670_36:
	s_or_b64 exec, exec, s[6:7]
	s_waitcnt vmcnt(0) lgkmcnt(0)
	v_lshlrev_b32_e32 v12, 16, v1
.LBB670_37:
	s_or_b64 exec, exec, s[4:5]
	s_waitcnt vmcnt(0) lgkmcnt(0)
	v_lshlrev_b32_e32 v13, 16, v0
.LBB670_38:
	s_or_b64 exec, exec, s[2:3]
	v_cmp_gt_i32_e64 s[0:1], s8, v23
	s_and_saveexec_b64 s[2:3], s[0:1]
	s_cbranch_execz .LBB670_46
; %bb.39:
	s_waitcnt lgkmcnt(0)
	v_mul_lo_u32 v0, v24, s33
	v_cndmask_b32_e32 v0, 0, v0, vcc
	v_mul_lo_u32 v5, v4, s33
	v_cmp_gt_i32_e32 vcc, s9, v4
	v_or_b32_e32 v6, 2, v24
	v_add_u32_e32 v0, v0, v23
	v_cndmask_b32_e32 v4, 0, v5, vcc
	v_mul_lo_u32 v7, v6, s33
	v_cmp_gt_i32_e32 vcc, s9, v6
	v_or_b32_e32 v8, 3, v24
	v_ashrrev_i32_e32 v1, 31, v0
	v_add_u32_e32 v4, v4, v23
	v_cndmask_b32_e32 v6, 0, v7, vcc
	v_mul_lo_u32 v9, v8, s33
	v_cmp_gt_i32_e32 vcc, s9, v8
	v_lshl_add_u64 v[0:1], v[0:1], 1, s[16:17]
	v_ashrrev_i32_e32 v5, 31, v4
	v_add_u32_e32 v6, v6, v23
	v_cndmask_b32_e32 v8, 0, v9, vcc
	v_lshl_add_u64 v[4:5], v[4:5], 1, s[16:17]
	v_ashrrev_i32_e32 v7, 31, v6
	v_add_u32_e32 v8, v8, v23
	flat_load_ushort v14, v[0:1]
	flat_load_ushort v15, v[4:5]
	v_lshl_add_u64 v[6:7], v[6:7], 1, s[16:17]
	v_ashrrev_i32_e32 v9, 31, v8
	v_lshl_add_u64 v[8:9], v[8:9], 1, s[16:17]
	flat_load_ushort v16, v[6:7]
	flat_load_ushort v17, v[8:9]
	v_add_u32_e32 v24, 32, v23
	v_cmp_gt_i32_e32 vcc, s8, v24
	s_waitcnt vmcnt(0) lgkmcnt(0)
	v_lshlrev_b32_e32 v14, 16, v14
	v_lshlrev_b32_e32 v15, 16, v15
	v_fmac_f32_e32 v19, v13, v14
	v_fmac_f32_e32 v19, v12, v15
	v_lshlrev_b32_e32 v16, 16, v16
	v_lshlrev_b32_e32 v14, 16, v17
	v_fmac_f32_e32 v19, v11, v16
	s_and_saveexec_b64 s[0:1], vcc
	s_cbranch_execz .LBB670_45
; %bb.40:
	flat_load_ushort v15, v[0:1] offset:64
	flat_load_ushort v16, v[4:5] offset:64
	;; [unrolled: 1-line block ×4, first 2 shown]
	v_add_u32_e32 v25, 64, v23
	v_cmp_gt_i32_e32 vcc, s8, v25
	s_waitcnt vmcnt(0) lgkmcnt(0)
	v_lshlrev_b32_e32 v26, 16, v15
	v_lshlrev_b32_e32 v16, 16, v16
	v_fmac_f32_e32 v20, v13, v26
	v_lshlrev_b32_e32 v17, 16, v17
	v_fmac_f32_e32 v20, v12, v16
	;; [unrolled: 2-line block ×3, first 2 shown]
	s_and_saveexec_b64 s[4:5], vcc
	s_cbranch_execz .LBB670_44
; %bb.41:
	flat_load_ushort v16, v[0:1] offset:128
	flat_load_ushort v17, v[4:5] offset:128
	;; [unrolled: 1-line block ×4, first 2 shown]
	v_add_u32_e32 v23, 0x60, v23
	v_cmp_gt_i32_e32 vcc, s8, v23
	s_waitcnt vmcnt(0) lgkmcnt(0)
	v_lshlrev_b32_e32 v26, 16, v16
	v_lshlrev_b32_e32 v17, 16, v17
	v_fmac_f32_e32 v21, v13, v26
	v_lshlrev_b32_e32 v24, 16, v24
	v_fmac_f32_e32 v21, v12, v17
	;; [unrolled: 2-line block ×3, first 2 shown]
	s_and_saveexec_b64 s[6:7], vcc
	s_cbranch_execz .LBB670_43
; %bb.42:
	flat_load_ushort v17, v[0:1] offset:192
	flat_load_ushort v23, v[4:5] offset:192
	flat_load_ushort v24, v[6:7] offset:192
	flat_load_ushort v25, v[8:9] offset:192
	s_waitcnt vmcnt(0) lgkmcnt(0)
	v_lshlrev_b32_e32 v0, 16, v17
	v_lshlrev_b32_e32 v1, 16, v23
	v_fmac_f32_e32 v22, v13, v0
	v_lshlrev_b32_e32 v4, 16, v24
	v_fmac_f32_e32 v22, v12, v1
	v_fmac_f32_e32 v22, v11, v4
	v_lshlrev_b32_e32 v0, 16, v25
	v_fmac_f32_e32 v22, v10, v0
.LBB670_43:
	s_or_b64 exec, exec, s[6:7]
	v_fmac_f32_e32 v21, v10, v16
.LBB670_44:
	s_or_b64 exec, exec, s[4:5]
	v_fmac_f32_e32 v20, v10, v15
.LBB670_45:
	s_or_b64 exec, exec, s[0:1]
	v_fmac_f32_e32 v19, v10, v14
.LBB670_46:
	s_or_b64 exec, exec, s[2:3]
.LBB670_47:
	v_lshlrev_b32_e32 v0, 7, v18
	s_movk_i32 s0, 0x80
	v_add_lshl_u32 v0, v0, v2, 2
	v_cmp_gt_u32_e32 vcc, s0, v3
	ds_write2_b32 v0, v19, v20 offset1:32
	ds_write2_b32 v0, v21, v22 offset0:64 offset1:96
	s_waitcnt lgkmcnt(0)
	s_barrier
	s_waitcnt lgkmcnt(0)
                                        ; implicit-def: $vgpr1
                                        ; implicit-def: $vgpr4_vgpr5
	s_and_saveexec_b64 s[0:1], vcc
	s_cbranch_execz .LBB670_53
; %bb.48:
	v_lshlrev_b32_e32 v2, 2, v3
	ds_read2st64_b32 v[0:1], v2 offset1:2
	ds_read2st64_b32 v[4:5], v2 offset0:4 offset1:6
	ds_read2st64_b32 v[6:7], v2 offset0:8 offset1:10
	;; [unrolled: 1-line block ×4, first 2 shown]
	s_waitcnt lgkmcnt(4)
	v_add_f32_e32 v0, v0, v1
	s_waitcnt lgkmcnt(3)
	v_add_f32_e32 v0, v4, v0
	v_add_f32_e32 v0, v5, v0
	s_waitcnt lgkmcnt(2)
	v_add_f32_e32 v0, v6, v0
	;; [unrolled: 3-line block ×3, first 2 shown]
	v_add_f32_e32 v4, v9, v0
	ds_read2st64_b32 v[0:1], v2 offset0:20 offset1:22
	s_waitcnt lgkmcnt(1)
	v_add_f32_e32 v6, v10, v4
	ds_read2st64_b32 v[4:5], v2 offset0:24 offset1:26
	v_add_f32_e32 v8, v11, v6
	ds_read2st64_b32 v[6:7], v2 offset0:28 offset1:30
	s_waitcnt lgkmcnt(2)
	v_add_f32_e32 v0, v0, v8
	v_add_f32_e32 v0, v1, v0
	s_waitcnt lgkmcnt(1)
	v_add_f32_e32 v0, v4, v0
	v_add_f32_e32 v0, v5, v0
	;; [unrolled: 3-line block ×3, first 2 shown]
	ds_write_b32 v2, v0
	v_or_b32_e32 v2, s31, v3
	v_cmp_gt_i32_e32 vcc, s8, v2
	s_mov_b64 s[4:5], s[14:15]
                                        ; implicit-def: $vgpr1
                                        ; implicit-def: $vgpr4_vgpr5
	s_and_saveexec_b64 s[2:3], vcc
	s_cbranch_execz .LBB670_52
; %bb.49:
	v_cmp_eq_f32_e64 s[4:5], s11, 0
	v_mul_lo_u32 v4, v2, s30
	v_mul_f32_e32 v1, s10, v0
	v_ashrrev_i32_e32 v5, 31, v4
	s_and_b64 vcc, exec, s[4:5]
	s_cbranch_vccnz .LBB670_51
; %bb.50:
	v_lshl_add_u64 v[2:3], v[4:5], 2, s[12:13]
	global_load_dword v0, v[2:3], off
	s_waitcnt vmcnt(0)
	v_fmac_f32_e32 v1, s11, v0
.LBB670_51:
	s_or_b64 s[4:5], s[14:15], exec
.LBB670_52:
	s_or_b64 exec, exec, s[2:3]
	s_andn2_b64 s[2:3], s[14:15], exec
	s_and_b64 s[4:5], s[4:5], exec
	s_or_b64 s[14:15], s[2:3], s[4:5]
.LBB670_53:
	s_or_b64 exec, exec, s[0:1]
.LBB670_54:
	s_and_saveexec_b64 s[0:1], s[14:15]
	s_cbranch_execz .LBB670_56
; %bb.55:
	v_lshl_add_u64 v[2:3], v[4:5], 2, s[12:13]
	global_store_dword v[2:3], v1, off
.LBB670_56:
	s_endpgm
	.section	.rodata,"a",@progbits
	.p2align	6, 0x0
	.amdhsa_kernel _ZL20rocblas_gemvn_kernelILi32ELi16EiPK16rocblas_bfloat16fKPfEviiT3_lPKT2_lT1_lS8_lS9_lS5_lPT4_lS9_li
		.amdhsa_group_segment_fixed_size 8192
		.amdhsa_private_segment_fixed_size 0
		.amdhsa_kernarg_size 400
		.amdhsa_user_sgpr_count 2
		.amdhsa_user_sgpr_dispatch_ptr 0
		.amdhsa_user_sgpr_queue_ptr 0
		.amdhsa_user_sgpr_kernarg_segment_ptr 1
		.amdhsa_user_sgpr_dispatch_id 0
		.amdhsa_user_sgpr_kernarg_preload_length 0
		.amdhsa_user_sgpr_kernarg_preload_offset 0
		.amdhsa_user_sgpr_private_segment_size 0
		.amdhsa_uses_dynamic_stack 0
		.amdhsa_enable_private_segment 0
		.amdhsa_system_sgpr_workgroup_id_x 1
		.amdhsa_system_sgpr_workgroup_id_y 0
		.amdhsa_system_sgpr_workgroup_id_z 1
		.amdhsa_system_sgpr_workgroup_info 0
		.amdhsa_system_vgpr_workitem_id 1
		.amdhsa_next_free_vgpr 45
		.amdhsa_next_free_sgpr 39
		.amdhsa_accum_offset 48
		.amdhsa_reserve_vcc 1
		.amdhsa_float_round_mode_32 0
		.amdhsa_float_round_mode_16_64 0
		.amdhsa_float_denorm_mode_32 3
		.amdhsa_float_denorm_mode_16_64 3
		.amdhsa_dx10_clamp 1
		.amdhsa_ieee_mode 1
		.amdhsa_fp16_overflow 0
		.amdhsa_tg_split 0
		.amdhsa_exception_fp_ieee_invalid_op 0
		.amdhsa_exception_fp_denorm_src 0
		.amdhsa_exception_fp_ieee_div_zero 0
		.amdhsa_exception_fp_ieee_overflow 0
		.amdhsa_exception_fp_ieee_underflow 0
		.amdhsa_exception_fp_ieee_inexact 0
		.amdhsa_exception_int_div_zero 0
	.end_amdhsa_kernel
	.section	.text._ZL20rocblas_gemvn_kernelILi32ELi16EiPK16rocblas_bfloat16fKPfEviiT3_lPKT2_lT1_lS8_lS9_lS5_lPT4_lS9_li,"axG",@progbits,_ZL20rocblas_gemvn_kernelILi32ELi16EiPK16rocblas_bfloat16fKPfEviiT3_lPKT2_lT1_lS8_lS9_lS5_lPT4_lS9_li,comdat
.Lfunc_end670:
	.size	_ZL20rocblas_gemvn_kernelILi32ELi16EiPK16rocblas_bfloat16fKPfEviiT3_lPKT2_lT1_lS8_lS9_lS5_lPT4_lS9_li, .Lfunc_end670-_ZL20rocblas_gemvn_kernelILi32ELi16EiPK16rocblas_bfloat16fKPfEviiT3_lPKT2_lT1_lS8_lS9_lS5_lPT4_lS9_li
                                        ; -- End function
	.section	.AMDGPU.csdata,"",@progbits
; Kernel info:
; codeLenInByte = 2464
; NumSgprs: 45
; NumVgprs: 45
; NumAgprs: 0
; TotalNumVgprs: 45
; ScratchSize: 0
; MemoryBound: 0
; FloatMode: 240
; IeeeMode: 1
; LDSByteSize: 8192 bytes/workgroup (compile time only)
; SGPRBlocks: 5
; VGPRBlocks: 5
; NumSGPRsForWavesPerEU: 45
; NumVGPRsForWavesPerEU: 45
; AccumOffset: 48
; Occupancy: 8
; WaveLimiterHint : 1
; COMPUTE_PGM_RSRC2:SCRATCH_EN: 0
; COMPUTE_PGM_RSRC2:USER_SGPR: 2
; COMPUTE_PGM_RSRC2:TRAP_HANDLER: 0
; COMPUTE_PGM_RSRC2:TGID_X_EN: 1
; COMPUTE_PGM_RSRC2:TGID_Y_EN: 0
; COMPUTE_PGM_RSRC2:TGID_Z_EN: 1
; COMPUTE_PGM_RSRC2:TIDIG_COMP_CNT: 1
; COMPUTE_PGM_RSRC3_GFX90A:ACCUM_OFFSET: 11
; COMPUTE_PGM_RSRC3_GFX90A:TG_SPLIT: 0
	.section	.text._ZL20rocblas_gemvn_kernelILi32ELi16ElPK16rocblas_bfloat16fKPfEviiT3_lPKT2_lT1_lS8_lS9_lS5_lPT4_lS9_li,"axG",@progbits,_ZL20rocblas_gemvn_kernelILi32ELi16ElPK16rocblas_bfloat16fKPfEviiT3_lPKT2_lT1_lS8_lS9_lS5_lPT4_lS9_li,comdat
	.globl	_ZL20rocblas_gemvn_kernelILi32ELi16ElPK16rocblas_bfloat16fKPfEviiT3_lPKT2_lT1_lS8_lS9_lS5_lPT4_lS9_li ; -- Begin function _ZL20rocblas_gemvn_kernelILi32ELi16ElPK16rocblas_bfloat16fKPfEviiT3_lPKT2_lT1_lS8_lS9_lS5_lPT4_lS9_li
	.p2align	8
	.type	_ZL20rocblas_gemvn_kernelILi32ELi16ElPK16rocblas_bfloat16fKPfEviiT3_lPKT2_lT1_lS8_lS9_lS5_lPT4_lS9_li,@function
_ZL20rocblas_gemvn_kernelILi32ELi16ElPK16rocblas_bfloat16fKPfEviiT3_lPKT2_lT1_lS8_lS9_lS5_lPT4_lS9_li: ; @_ZL20rocblas_gemvn_kernelILi32ELi16ElPK16rocblas_bfloat16fKPfEviiT3_lPKT2_lT1_lS8_lS9_lS5_lPT4_lS9_li
; %bb.0:
	s_load_dwordx2 s[4:5], s[0:1], 0x9c
	s_mov_b32 s12, s3
	s_waitcnt lgkmcnt(0)
	s_and_b32 s3, s5, 0xffff
	s_lshr_b32 s5, s4, 16
	s_and_b32 s4, s4, 0xffff
	s_mul_i32 s4, s5, s4
	s_mul_i32 s4, s4, s3
	s_cmpk_lg_i32 s4, 0x200
	s_cbranch_scc1 .LBB671_56
; %bb.1:
	s_load_dwordx4 s[8:11], s[0:1], 0x0
	s_waitcnt lgkmcnt(0)
	s_load_dword s11, s[0:1], 0x58
	v_cmp_eq_f32_e64 s[26:27], s10, 0
	s_waitcnt lgkmcnt(0)
	v_cmp_eq_f32_e64 s[4:5], s11, 1.0
	s_and_b64 s[4:5], s[26:27], s[4:5]
	s_and_b64 vcc, exec, s[4:5]
	s_cbranch_vccnz .LBB671_56
; %bb.2:
	s_load_dwordx4 s[4:7], s[0:1], 0x18
	s_load_dwordx2 s[18:19], s[0:1], 0x28
	v_cmp_neq_f32_e64 s[16:17], s10, 0
	s_mov_b32 s13, 0
	s_and_b64 vcc, exec, s[16:17]
	s_cbranch_vccnz .LBB671_4
; %bb.3:
	s_mov_b64 s[20:21], 0
	s_cbranch_execz .LBB671_5
	s_branch .LBB671_6
.LBB671_4:
                                        ; implicit-def: $sgpr20_sgpr21
.LBB671_5:
	s_lshl_b64 s[14:15], s[12:13], 3
	s_waitcnt lgkmcnt(0)
	s_add_u32 s4, s4, s14
	s_addc_u32 s5, s5, s15
	s_load_dwordx2 s[4:5], s[4:5], 0x0
	s_lshl_b64 s[6:7], s[6:7], 1
	s_waitcnt lgkmcnt(0)
	s_add_u32 s20, s4, s6
	s_addc_u32 s21, s5, s7
.LBB671_6:
	s_waitcnt lgkmcnt(0)
	s_load_dwordx4 s[4:7], s[0:1], 0x38
	s_load_dwordx2 s[22:23], s[0:1], 0x48
	s_mov_b64 s[14:15], 0
	s_andn2_b64 vcc, exec, s[16:17]
	s_mov_b64 s[24:25], 0
	s_cbranch_vccnz .LBB671_8
; %bb.7:
	s_lshl_b64 s[16:17], s[12:13], 3
	s_waitcnt lgkmcnt(0)
	s_add_u32 s4, s4, s16
	s_addc_u32 s5, s5, s17
	s_load_dwordx2 s[4:5], s[4:5], 0x0
	s_lshl_b64 s[6:7], s[6:7], 1
	s_waitcnt lgkmcnt(0)
	s_add_u32 s24, s4, s6
	s_addc_u32 s25, s5, s7
.LBB671_8:
	s_waitcnt lgkmcnt(0)
	s_load_dwordx4 s[4:7], s[0:1], 0x68
	s_load_dwordx2 s[16:17], s[0:1], 0x78
	s_lshl_b64 s[0:1], s[12:13], 3
	v_and_b32_e32 v33, 0x3ff, v0
	v_bfe_u32 v34, v0, 10, 10
	s_waitcnt lgkmcnt(0)
	s_add_u32 s0, s4, s0
	s_addc_u32 s1, s5, s1
	s_load_dwordx2 s[0:1], s[0:1], 0x0
	s_lshl_b64 s[4:5], s[6:7], 2
	v_lshl_add_u32 v32, v34, 5, v33
	s_waitcnt lgkmcnt(0)
	s_add_u32 s12, s0, s4
	s_addc_u32 s13, s1, s5
	s_andn2_b64 vcc, exec, s[26:27]
	s_cbranch_vccnz .LBB671_15
; %bb.9:
	s_movk_i32 s0, 0x80
	v_cmp_gt_u32_e32 vcc, s0, v32
	s_mov_b64 s[0:1], 0
                                        ; implicit-def: $vgpr1
                                        ; implicit-def: $vgpr2_vgpr3
	s_and_saveexec_b64 s[4:5], vcc
	s_cbranch_execz .LBB671_16
; %bb.10:
	v_lshl_or_b32 v0, s2, 7, v32
	v_mov_b32_e32 v1, 0
	s_ashr_i32 s7, s8, 31
	s_mov_b32 s6, s8
	v_cmp_gt_i64_e32 vcc, s[6:7], v[0:1]
                                        ; implicit-def: $vgpr2_vgpr3
	s_and_saveexec_b64 s[6:7], vcc
	s_cbranch_execz .LBB671_14
; %bb.11:
	v_mad_u64_u32 v[2:3], s[26:27], v0, s16, 0
	v_mov_b32_e32 v4, v3
	v_cmp_eq_f32_e64 s[14:15], s11, 0
	v_mad_u64_u32 v[4:5], s[26:27], v0, s17, v[4:5]
	v_mov_b32_e32 v3, v4
	s_and_b64 vcc, exec, s[14:15]
	s_cbranch_vccnz .LBB671_13
; %bb.12:
	v_lshl_add_u64 v[0:1], v[2:3], 2, s[12:13]
	global_load_dword v0, v[0:1], off
	s_waitcnt vmcnt(0)
	v_mul_f32_e32 v1, s11, v0
.LBB671_13:
	s_mov_b64 s[14:15], exec
.LBB671_14:
	s_or_b64 exec, exec, s[6:7]
	s_and_b64 s[14:15], s[14:15], exec
	s_or_b64 exec, exec, s[4:5]
	s_and_b64 vcc, exec, s[0:1]
	s_cbranch_vccnz .LBB671_17
	s_branch .LBB671_54
.LBB671_15:
                                        ; implicit-def: $vgpr1
                                        ; implicit-def: $vgpr2_vgpr3
	s_cbranch_execnz .LBB671_17
	s_branch .LBB671_54
.LBB671_16:
	s_or_b64 exec, exec, s[4:5]
	s_and_b64 vcc, exec, s[0:1]
	s_cbranch_vccz .LBB671_54
.LBB671_17:
	s_ashr_i32 s0, s9, 31
	s_lshr_b32 s0, s0, 26
	s_add_i32 s44, s9, s0
	s_lshl_b32 s33, s2, 7
	s_andn2_b32 s44, s44, 63
	v_lshlrev_b32_e32 v39, 2, v34
	v_add_u32_e32 v0, s33, v33
	v_cmp_gt_i32_e32 vcc, s44, v39
	v_mov_b32_e32 v35, 0
	v_mov_b32_e32 v36, 0
	;; [unrolled: 1-line block ×4, first 2 shown]
	s_and_saveexec_b64 s[26:27], vcc
	s_cbranch_execz .LBB671_29
; %bb.18:
	v_add_u32_e32 v2, 32, v0
	v_cmp_gt_i32_e64 s[0:1], s8, v2
	v_add_u32_e32 v2, 64, v0
	v_ashrrev_i32_e32 v1, 31, v0
	v_cmp_gt_i32_e64 s[2:3], s8, v2
	v_add_u32_e32 v2, 0x60, v0
	v_cmp_gt_i32_e64 s[4:5], s8, v2
	v_lshlrev_b64 v[2:3], 1, v[0:1]
	v_lshlrev_b32_e32 v1, 2, v34
	v_or_b32_e32 v15, 3, v1
	v_mad_u64_u32 v[4:5], s[6:7], s18, v15, 0
	v_mov_b32_e32 v6, v5
	v_mad_u64_u32 v[6:7], s[6:7], s19, v15, v[6:7]
	v_mov_b32_e32 v5, v6
	;; [unrolled: 2-line block ×6, first 2 shown]
	v_mov_b64_e32 v[10:11], s[22:23]
	v_mad_u64_u32 v[10:11], s[6:7], s22, v1, v[10:11]
	v_mov_b32_e32 v12, v11
	v_mad_u64_u32 v[12:13], s[6:7], s23, v1, v[12:13]
	v_mov_b32_e32 v11, v12
	;; [unrolled: 2-line block ×3, first 2 shown]
	v_mad_u64_u32 v[14:15], s[6:7], s23, v15, v[14:15]
	v_or_b32_e32 v21, 2, v1
	v_mov_b32_e32 v13, v14
	v_mad_u64_u32 v[14:15], s[6:7], s18, v21, 0
	v_mov_b32_e32 v16, v15
	v_mad_u64_u32 v[16:17], s[6:7], s19, v21, v[16:17]
	v_mov_b32_e32 v15, v16
	v_mov_b64_e32 v[16:17], s[18:19]
	v_mad_u64_u32 v[16:17], s[6:7], s18, v1, v[16:17]
	v_mov_b32_e32 v18, v17
	v_mad_u64_u32 v[18:19], s[6:7], s19, v1, v[18:19]
	v_mov_b32_e32 v17, v18
	;; [unrolled: 2-line block ×4, first 2 shown]
	v_cmp_gt_i32_e32 vcc, s8, v0
	v_lshl_add_u64 v[4:5], v[4:5], 1, s[20:21]
	s_lshl_b64 s[28:29], s[18:19], 7
	v_lshlrev_b64 v[6:7], 3, v[6:7]
	s_lshl_b64 s[30:31], s[22:23], 7
	v_lshl_add_u64 v[8:9], v[8:9], 3, s[20:21]
	v_lshlrev_b64 v[10:11], 1, v[10:11]
	v_lshlrev_b64 v[12:13], 1, v[12:13]
	v_lshl_add_u64 v[14:15], v[14:15], 1, s[20:21]
	v_lshl_add_u64 v[16:17], v[16:17], 1, s[20:21]
	v_lshlrev_b64 v[18:19], 1, v[18:19]
	s_mov_b64 s[34:35], 0
	v_mov_b32_e32 v35, 0
	s_mov_b64 s[36:37], s[24:25]
	v_mov_b32_e32 v36, 0
	v_mov_b32_e32 v37, 0
	;; [unrolled: 1-line block ×3, first 2 shown]
	s_branch .LBB671_23
.LBB671_19:                             ;   in Loop: Header=BB671_23 Depth=1
	s_or_b64 exec, exec, s[42:43]
	s_waitcnt vmcnt(0) lgkmcnt(0)
	v_lshlrev_b32_e32 v24, 16, v50
	v_fmac_f32_e32 v37, v22, v24
	v_lshlrev_b32_e32 v24, 16, v49
	v_fmac_f32_e32 v37, v23, v24
	;; [unrolled: 2-line block ×4, first 2 shown]
.LBB671_20:                             ;   in Loop: Header=BB671_23 Depth=1
	s_or_b64 exec, exec, s[40:41]
	s_waitcnt vmcnt(0) lgkmcnt(0)
	v_lshlrev_b32_e32 v24, 16, v46
	v_fmac_f32_e32 v36, v22, v24
	v_lshlrev_b32_e32 v24, 16, v45
	v_fmac_f32_e32 v36, v23, v24
	;; [unrolled: 2-line block ×4, first 2 shown]
.LBB671_21:                             ;   in Loop: Header=BB671_23 Depth=1
	s_or_b64 exec, exec, s[38:39]
	v_lshlrev_b32_e32 v24, 16, v42
	v_fmac_f32_e32 v35, v22, v24
	v_lshlrev_b32_e32 v22, 16, v41
	v_fmac_f32_e32 v35, v23, v22
	;; [unrolled: 2-line block ×4, first 2 shown]
.LBB671_22:                             ;   in Loop: Header=BB671_23 Depth=1
	s_or_b64 exec, exec, s[6:7]
	v_add_u32_e32 v39, 64, v39
	s_add_u32 s36, s36, s30
	s_addc_u32 s37, s37, s31
	v_cmp_le_i32_e64 s[6:7], s44, v39
	v_lshl_add_u64 v[4:5], v[4:5], 0, s[28:29]
	v_lshl_add_u64 v[8:9], v[8:9], 0, s[28:29]
	;; [unrolled: 1-line block ×3, first 2 shown]
	s_or_b64 s[34:35], s[6:7], s[34:35]
	v_lshl_add_u64 v[16:17], v[16:17], 0, s[28:29]
	s_andn2_b64 exec, exec, s[34:35]
	s_cbranch_execz .LBB671_28
.LBB671_23:                             ; =>This Inner Loop Header: Depth=1
	s_and_saveexec_b64 s[6:7], vcc
	s_cbranch_execz .LBB671_22
; %bb.24:                               ;   in Loop: Header=BB671_23 Depth=1
	v_lshl_add_u64 v[20:21], s[36:37], 0, v[6:7]
	v_lshl_add_u64 v[24:25], s[36:37], 0, v[18:19]
	;; [unrolled: 1-line block ×4, first 2 shown]
	flat_load_ushort v43, v[20:21]
	flat_load_ushort v44, v[22:23]
	flat_load_ushort v45, v[24:25]
	flat_load_ushort v46, v[26:27]
	v_lshl_add_u64 v[26:27], v[8:9], 0, v[2:3]
	v_lshl_add_u64 v[24:25], v[16:17], 0, v[2:3]
	;; [unrolled: 1-line block ×4, first 2 shown]
	flat_load_ushort v42, v[26:27]
	flat_load_ushort v41, v[24:25]
	;; [unrolled: 1-line block ×4, first 2 shown]
	s_waitcnt vmcnt(0) lgkmcnt(0)
	v_lshlrev_b32_e32 v22, 16, v43
	v_lshlrev_b32_e32 v23, 16, v44
	;; [unrolled: 1-line block ×4, first 2 shown]
	s_and_saveexec_b64 s[38:39], s[0:1]
	s_cbranch_execz .LBB671_21
; %bb.25:                               ;   in Loop: Header=BB671_23 Depth=1
	flat_load_ushort v46, v[26:27] offset:64
	flat_load_ushort v45, v[24:25] offset:64
	flat_load_ushort v44, v[28:29] offset:64
	flat_load_ushort v43, v[30:31] offset:64
	s_and_saveexec_b64 s[40:41], s[2:3]
	s_cbranch_execz .LBB671_20
; %bb.26:                               ;   in Loop: Header=BB671_23 Depth=1
	flat_load_ushort v50, v[26:27] offset:128
	flat_load_ushort v49, v[24:25] offset:128
	flat_load_ushort v48, v[28:29] offset:128
	flat_load_ushort v47, v[30:31] offset:128
	;; [unrolled: 7-line block ×3, first 2 shown]
	s_waitcnt vmcnt(0) lgkmcnt(0)
	v_lshlrev_b32_e32 v25, 16, v51
	v_lshlrev_b32_e32 v24, 16, v52
	v_pk_mul_f32 v[24:25], v[22:23], v[24:25]
	v_lshlrev_b32_e32 v27, 16, v53
	v_lshlrev_b32_e32 v26, 16, v54
	v_add_f32_e32 v24, v38, v24
	v_add_f32_e32 v28, v24, v25
	v_pk_mul_f32 v[24:25], v[20:21], v[26:27]
	s_nop 0
	v_add_f32_e32 v24, v28, v24
	v_add_f32_e32 v38, v24, v25
	s_branch .LBB671_19
.LBB671_28:
	s_or_b64 exec, exec, s[34:35]
.LBB671_29:
	s_or_b64 exec, exec, s[26:27]
	s_sub_i32 s0, s9, s44
	s_cmp_lt_i32 s0, 1
	s_cbranch_scc1 .LBB671_47
; %bb.30:
	v_cmp_gt_i32_e32 vcc, s9, v39
	v_mov_b32_e32 v10, 0
	v_or_b32_e32 v4, 1, v39
	v_mov_b32_e32 v11, 0
	v_mov_b32_e32 v12, 0
	;; [unrolled: 1-line block ×3, first 2 shown]
	s_and_saveexec_b64 s[2:3], vcc
	s_cbranch_execz .LBB671_38
; %bb.31:
	v_mad_u64_u32 v[2:3], s[0:1], v39, s22, 0
	v_mov_b32_e32 v6, v3
	v_mad_u64_u32 v[6:7], s[0:1], v39, s23, v[6:7]
	v_mov_b32_e32 v3, v6
	v_lshl_add_u64 v[2:3], v[2:3], 1, s[24:25]
	flat_load_ushort v1, v[2:3]
	v_cmp_gt_i32_e64 s[0:1], s9, v4
	v_mov_b32_e32 v12, 0
	v_mov_b32_e32 v11, 0
	;; [unrolled: 1-line block ×3, first 2 shown]
	s_and_saveexec_b64 s[4:5], s[0:1]
	s_cbranch_execz .LBB671_37
; %bb.32:
	v_mad_u64_u32 v[2:3], s[0:1], v4, s22, 0
	v_mov_b32_e32 v6, v3
	v_mad_u64_u32 v[6:7], s[0:1], v4, s23, v[6:7]
	v_mov_b32_e32 v3, v6
	v_lshl_add_u64 v[2:3], v[2:3], 1, s[24:25]
	flat_load_ushort v2, v[2:3]
	v_or_b32_e32 v3, 2, v39
	v_cmp_gt_i32_e64 s[0:1], s9, v3
	v_mov_b32_e32 v11, 0
	v_mov_b32_e32 v10, 0
	s_and_saveexec_b64 s[6:7], s[0:1]
	s_cbranch_execz .LBB671_36
; %bb.33:
	v_mad_u64_u32 v[6:7], s[0:1], v3, s22, 0
	v_mov_b32_e32 v8, v7
	v_mad_u64_u32 v[8:9], s[0:1], v3, s23, v[8:9]
	v_mov_b32_e32 v7, v8
	v_lshl_add_u64 v[6:7], v[6:7], 1, s[24:25]
	flat_load_ushort v3, v[6:7]
	v_or_b32_e32 v5, 3, v39
	v_cmp_gt_i32_e64 s[0:1], s9, v5
	v_mov_b32_e32 v10, 0
	s_and_saveexec_b64 s[26:27], s[0:1]
	s_cbranch_execz .LBB671_35
; %bb.34:
	v_mad_u64_u32 v[6:7], s[0:1], v5, s22, 0
	v_mov_b32_e32 v8, v7
	v_mad_u64_u32 v[8:9], s[0:1], v5, s23, v[8:9]
	v_mov_b32_e32 v7, v8
	v_lshl_add_u64 v[6:7], v[6:7], 1, s[24:25]
	flat_load_ushort v5, v[6:7]
	s_waitcnt vmcnt(0) lgkmcnt(0)
	v_lshlrev_b32_e32 v10, 16, v5
.LBB671_35:
	s_or_b64 exec, exec, s[26:27]
	s_waitcnt vmcnt(0) lgkmcnt(0)
	v_lshlrev_b32_e32 v11, 16, v3
.LBB671_36:
	s_or_b64 exec, exec, s[6:7]
	s_waitcnt vmcnt(0) lgkmcnt(0)
	v_lshlrev_b32_e32 v12, 16, v2
.LBB671_37:
	s_or_b64 exec, exec, s[4:5]
	s_waitcnt vmcnt(0) lgkmcnt(0)
	v_lshlrev_b32_e32 v13, 16, v1
.LBB671_38:
	s_or_b64 exec, exec, s[2:3]
	v_cmp_gt_i32_e64 s[0:1], s8, v0
	s_and_saveexec_b64 s[2:3], s[0:1]
	s_cbranch_execz .LBB671_46
; %bb.39:
	v_mad_u64_u32 v[2:3], s[0:1], v39, s18, 0
	v_mov_b32_e32 v6, v3
	v_mad_u64_u32 v[6:7], s[0:1], v39, s19, v[6:7]
	v_ashrrev_i32_e32 v1, 31, v0
	v_cndmask_b32_e32 v3, 0, v6, vcc
	v_mad_u64_u32 v[6:7], s[0:1], v4, s18, 0
	v_cndmask_b32_e32 v2, 0, v2, vcc
	v_lshlrev_b64 v[8:9], 1, v[0:1]
	v_mov_b32_e32 v14, v7
	v_cmp_gt_i32_e32 vcc, s9, v4
	v_or_b32_e32 v1, 2, v39
	v_mad_u64_u32 v[14:15], s[0:1], v4, s19, v[14:15]
	v_cndmask_b32_e32 v4, 0, v6, vcc
	v_mad_u64_u32 v[6:7], s[0:1], v1, s18, 0
	v_cndmask_b32_e32 v5, 0, v14, vcc
	v_mov_b32_e32 v14, v7
	v_mad_u64_u32 v[14:15], s[0:1], v1, s19, v[14:15]
	v_cmp_gt_i32_e32 vcc, s9, v1
	v_or_b32_e32 v1, 3, v39
	v_lshl_add_u64 v[2:3], v[2:3], 1, s[20:21]
	v_cndmask_b32_e32 v7, 0, v14, vcc
	v_mad_u64_u32 v[14:15], s[0:1], v1, s18, 0
	v_mov_b32_e32 v16, v15
	v_lshl_add_u64 v[2:3], v[2:3], 0, v[8:9]
	v_lshl_add_u64 v[4:5], v[4:5], 1, s[20:21]
	v_cndmask_b32_e32 v6, 0, v6, vcc
	v_mad_u64_u32 v[16:17], s[0:1], v1, s19, v[16:17]
	v_cmp_gt_i32_e32 vcc, s9, v1
	v_lshl_add_u64 v[4:5], v[4:5], 0, v[8:9]
	v_lshl_add_u64 v[6:7], v[6:7], 1, s[20:21]
	v_cndmask_b32_e32 v14, 0, v14, vcc
	v_cndmask_b32_e32 v15, 0, v16, vcc
	flat_load_ushort v1, v[2:3]
	flat_load_ushort v16, v[4:5]
	v_lshl_add_u64 v[6:7], v[6:7], 0, v[8:9]
	v_lshl_add_u64 v[14:15], v[14:15], 1, s[20:21]
	;; [unrolled: 1-line block ×3, first 2 shown]
	flat_load_ushort v14, v[6:7]
	flat_load_ushort v15, v[8:9]
	v_add_u32_e32 v17, 32, v0
	v_cmp_gt_i32_e32 vcc, s8, v17
	s_waitcnt vmcnt(0) lgkmcnt(0)
	v_lshlrev_b32_e32 v1, 16, v1
	v_lshlrev_b32_e32 v16, 16, v16
	v_fmac_f32_e32 v35, v13, v1
	v_fmac_f32_e32 v35, v12, v16
	v_lshlrev_b32_e32 v14, 16, v14
	v_lshlrev_b32_e32 v1, 16, v15
	v_fmac_f32_e32 v35, v11, v14
	s_and_saveexec_b64 s[0:1], vcc
	s_cbranch_execz .LBB671_45
; %bb.40:
	flat_load_ushort v14, v[2:3] offset:64
	flat_load_ushort v15, v[4:5] offset:64
	;; [unrolled: 1-line block ×4, first 2 shown]
	v_add_u32_e32 v18, 64, v0
	v_cmp_gt_i32_e32 vcc, s8, v18
	s_waitcnt vmcnt(0) lgkmcnt(0)
	v_lshlrev_b32_e32 v19, 16, v14
	v_lshlrev_b32_e32 v15, 16, v15
	v_fmac_f32_e32 v36, v13, v19
	v_lshlrev_b32_e32 v16, 16, v16
	v_fmac_f32_e32 v36, v12, v15
	;; [unrolled: 2-line block ×3, first 2 shown]
	s_and_saveexec_b64 s[4:5], vcc
	s_cbranch_execz .LBB671_44
; %bb.41:
	flat_load_ushort v15, v[2:3] offset:128
	flat_load_ushort v16, v[4:5] offset:128
	;; [unrolled: 1-line block ×4, first 2 shown]
	v_add_u32_e32 v19, 0x60, v0
	v_cmp_gt_i32_e32 vcc, s8, v19
	s_waitcnt vmcnt(0) lgkmcnt(0)
	v_lshlrev_b32_e32 v15, 16, v15
	v_lshlrev_b32_e32 v16, 16, v16
	v_fmac_f32_e32 v37, v13, v15
	v_lshlrev_b32_e32 v17, 16, v17
	v_fmac_f32_e32 v37, v12, v16
	;; [unrolled: 2-line block ×3, first 2 shown]
	s_and_saveexec_b64 s[6:7], vcc
	s_cbranch_execz .LBB671_43
; %bb.42:
	flat_load_ushort v15, v[2:3] offset:192
	flat_load_ushort v16, v[4:5] offset:192
	;; [unrolled: 1-line block ×4, first 2 shown]
	s_waitcnt vmcnt(0) lgkmcnt(0)
	v_lshlrev_b32_e32 v2, 16, v15
	v_lshlrev_b32_e32 v3, 16, v16
	v_fmac_f32_e32 v38, v13, v2
	v_lshlrev_b32_e32 v4, 16, v17
	v_fmac_f32_e32 v38, v12, v3
	v_fmac_f32_e32 v38, v11, v4
	v_lshlrev_b32_e32 v2, 16, v18
	v_fmac_f32_e32 v38, v10, v2
.LBB671_43:
	s_or_b64 exec, exec, s[6:7]
	v_fmac_f32_e32 v37, v10, v0
.LBB671_44:
	s_or_b64 exec, exec, s[4:5]
	v_fmac_f32_e32 v36, v10, v14
.LBB671_45:
	s_or_b64 exec, exec, s[0:1]
	v_fmac_f32_e32 v35, v10, v1
.LBB671_46:
	s_or_b64 exec, exec, s[2:3]
.LBB671_47:
	v_lshlrev_b32_e32 v0, 7, v34
	s_movk_i32 s0, 0x80
	v_add_lshl_u32 v0, v0, v33, 2
	v_cmp_gt_u32_e32 vcc, s0, v32
	ds_write2_b32 v0, v35, v36 offset1:32
	ds_write2_b32 v0, v37, v38 offset0:64 offset1:96
	s_waitcnt lgkmcnt(0)
	s_barrier
	s_waitcnt lgkmcnt(0)
                                        ; implicit-def: $vgpr1
                                        ; implicit-def: $vgpr2_vgpr3
	s_and_saveexec_b64 s[0:1], vcc
	s_cbranch_execz .LBB671_53
; %bb.48:
	v_lshlrev_b32_e32 v10, 2, v32
	ds_read2st64_b32 v[0:1], v10 offset1:2
	ds_read2st64_b32 v[2:3], v10 offset0:4 offset1:6
	ds_read2st64_b32 v[4:5], v10 offset0:8 offset1:10
	;; [unrolled: 1-line block ×4, first 2 shown]
	s_waitcnt lgkmcnt(4)
	v_add_f32_e32 v0, v0, v1
	s_waitcnt lgkmcnt(3)
	v_add_f32_e32 v0, v2, v0
	v_add_f32_e32 v0, v3, v0
	s_waitcnt lgkmcnt(2)
	v_add_f32_e32 v0, v4, v0
	;; [unrolled: 3-line block ×3, first 2 shown]
	v_add_f32_e32 v2, v7, v0
	ds_read2st64_b32 v[0:1], v10 offset0:20 offset1:22
	s_waitcnt lgkmcnt(1)
	v_add_f32_e32 v4, v8, v2
	ds_read2st64_b32 v[2:3], v10 offset0:24 offset1:26
	v_add_f32_e32 v6, v9, v4
	ds_read2st64_b32 v[4:5], v10 offset0:28 offset1:30
	s_waitcnt lgkmcnt(2)
	v_add_f32_e32 v0, v0, v6
	v_add_f32_e32 v0, v1, v0
	s_waitcnt lgkmcnt(1)
	v_add_f32_e32 v0, v2, v0
	v_add_f32_e32 v0, v3, v0
	;; [unrolled: 3-line block ×3, first 2 shown]
	v_or_b32_e32 v0, s33, v32
	v_cmp_gt_i32_e32 vcc, s8, v0
	s_mov_b64 s[4:5], s[14:15]
	ds_write_b32 v10, v4
                                        ; implicit-def: $vgpr1
                                        ; implicit-def: $vgpr2_vgpr3
	s_and_saveexec_b64 s[2:3], vcc
	s_cbranch_execz .LBB671_52
; %bb.49:
	v_ashrrev_i32_e32 v2, 31, v0
	v_cmp_eq_f32_e64 s[4:5], s11, 0
	v_mul_f32_e32 v1, s10, v4
	v_mul_lo_u32 v4, v0, s17
	v_mul_lo_u32 v5, v2, s16
	v_mad_u64_u32 v[2:3], s[6:7], v0, s16, 0
	v_add3_u32 v3, v3, v4, v5
	s_and_b64 vcc, exec, s[4:5]
	s_cbranch_vccnz .LBB671_51
; %bb.50:
	v_lshl_add_u64 v[4:5], v[2:3], 2, s[12:13]
	global_load_dword v0, v[4:5], off
	s_waitcnt vmcnt(0)
	v_fmac_f32_e32 v1, s11, v0
.LBB671_51:
	s_or_b64 s[4:5], s[14:15], exec
.LBB671_52:
	s_or_b64 exec, exec, s[2:3]
	s_andn2_b64 s[2:3], s[14:15], exec
	s_and_b64 s[4:5], s[4:5], exec
	s_or_b64 s[14:15], s[2:3], s[4:5]
.LBB671_53:
	s_or_b64 exec, exec, s[0:1]
.LBB671_54:
	s_and_saveexec_b64 s[0:1], s[14:15]
	s_cbranch_execz .LBB671_56
; %bb.55:
	v_lshl_add_u64 v[2:3], v[2:3], 2, s[12:13]
	global_store_dword v[2:3], v1, off
.LBB671_56:
	s_endpgm
	.section	.rodata,"a",@progbits
	.p2align	6, 0x0
	.amdhsa_kernel _ZL20rocblas_gemvn_kernelILi32ELi16ElPK16rocblas_bfloat16fKPfEviiT3_lPKT2_lT1_lS8_lS9_lS5_lPT4_lS9_li
		.amdhsa_group_segment_fixed_size 8192
		.amdhsa_private_segment_fixed_size 0
		.amdhsa_kernarg_size 400
		.amdhsa_user_sgpr_count 2
		.amdhsa_user_sgpr_dispatch_ptr 0
		.amdhsa_user_sgpr_queue_ptr 0
		.amdhsa_user_sgpr_kernarg_segment_ptr 1
		.amdhsa_user_sgpr_dispatch_id 0
		.amdhsa_user_sgpr_kernarg_preload_length 0
		.amdhsa_user_sgpr_kernarg_preload_offset 0
		.amdhsa_user_sgpr_private_segment_size 0
		.amdhsa_uses_dynamic_stack 0
		.amdhsa_enable_private_segment 0
		.amdhsa_system_sgpr_workgroup_id_x 1
		.amdhsa_system_sgpr_workgroup_id_y 0
		.amdhsa_system_sgpr_workgroup_id_z 1
		.amdhsa_system_sgpr_workgroup_info 0
		.amdhsa_system_vgpr_workitem_id 1
		.amdhsa_next_free_vgpr 55
		.amdhsa_next_free_sgpr 45
		.amdhsa_accum_offset 56
		.amdhsa_reserve_vcc 1
		.amdhsa_float_round_mode_32 0
		.amdhsa_float_round_mode_16_64 0
		.amdhsa_float_denorm_mode_32 3
		.amdhsa_float_denorm_mode_16_64 3
		.amdhsa_dx10_clamp 1
		.amdhsa_ieee_mode 1
		.amdhsa_fp16_overflow 0
		.amdhsa_tg_split 0
		.amdhsa_exception_fp_ieee_invalid_op 0
		.amdhsa_exception_fp_denorm_src 0
		.amdhsa_exception_fp_ieee_div_zero 0
		.amdhsa_exception_fp_ieee_overflow 0
		.amdhsa_exception_fp_ieee_underflow 0
		.amdhsa_exception_fp_ieee_inexact 0
		.amdhsa_exception_int_div_zero 0
	.end_amdhsa_kernel
	.section	.text._ZL20rocblas_gemvn_kernelILi32ELi16ElPK16rocblas_bfloat16fKPfEviiT3_lPKT2_lT1_lS8_lS9_lS5_lPT4_lS9_li,"axG",@progbits,_ZL20rocblas_gemvn_kernelILi32ELi16ElPK16rocblas_bfloat16fKPfEviiT3_lPKT2_lT1_lS8_lS9_lS5_lPT4_lS9_li,comdat
.Lfunc_end671:
	.size	_ZL20rocblas_gemvn_kernelILi32ELi16ElPK16rocblas_bfloat16fKPfEviiT3_lPKT2_lT1_lS8_lS9_lS5_lPT4_lS9_li, .Lfunc_end671-_ZL20rocblas_gemvn_kernelILi32ELi16ElPK16rocblas_bfloat16fKPfEviiT3_lPKT2_lT1_lS8_lS9_lS5_lPT4_lS9_li
                                        ; -- End function
	.section	.AMDGPU.csdata,"",@progbits
; Kernel info:
; codeLenInByte = 2748
; NumSgprs: 51
; NumVgprs: 55
; NumAgprs: 0
; TotalNumVgprs: 55
; ScratchSize: 0
; MemoryBound: 0
; FloatMode: 240
; IeeeMode: 1
; LDSByteSize: 8192 bytes/workgroup (compile time only)
; SGPRBlocks: 6
; VGPRBlocks: 6
; NumSGPRsForWavesPerEU: 51
; NumVGPRsForWavesPerEU: 55
; AccumOffset: 56
; Occupancy: 8
; WaveLimiterHint : 1
; COMPUTE_PGM_RSRC2:SCRATCH_EN: 0
; COMPUTE_PGM_RSRC2:USER_SGPR: 2
; COMPUTE_PGM_RSRC2:TRAP_HANDLER: 0
; COMPUTE_PGM_RSRC2:TGID_X_EN: 1
; COMPUTE_PGM_RSRC2:TGID_Y_EN: 0
; COMPUTE_PGM_RSRC2:TGID_Z_EN: 1
; COMPUTE_PGM_RSRC2:TIDIG_COMP_CNT: 1
; COMPUTE_PGM_RSRC3_GFX90A:ACCUM_OFFSET: 13
; COMPUTE_PGM_RSRC3_GFX90A:TG_SPLIT: 0
	.section	.text._ZL20rocblas_gemvn_kernelILi64ELi16EiPK16rocblas_bfloat16PKfKPfEviiT3_lPKT2_lT1_lSA_lSB_lS7_lPT4_lSB_li,"axG",@progbits,_ZL20rocblas_gemvn_kernelILi64ELi16EiPK16rocblas_bfloat16PKfKPfEviiT3_lPKT2_lT1_lSA_lSB_lS7_lPT4_lSB_li,comdat
	.globl	_ZL20rocblas_gemvn_kernelILi64ELi16EiPK16rocblas_bfloat16PKfKPfEviiT3_lPKT2_lT1_lSA_lSB_lS7_lPT4_lSB_li ; -- Begin function _ZL20rocblas_gemvn_kernelILi64ELi16EiPK16rocblas_bfloat16PKfKPfEviiT3_lPKT2_lT1_lSA_lSB_lS7_lPT4_lSB_li
	.p2align	8
	.type	_ZL20rocblas_gemvn_kernelILi64ELi16EiPK16rocblas_bfloat16PKfKPfEviiT3_lPKT2_lT1_lSA_lSB_lS7_lPT4_lSB_li,@function
_ZL20rocblas_gemvn_kernelILi64ELi16EiPK16rocblas_bfloat16PKfKPfEviiT3_lPKT2_lT1_lSA_lSB_lS7_lPT4_lSB_li: ; @_ZL20rocblas_gemvn_kernelILi64ELi16EiPK16rocblas_bfloat16PKfKPfEviiT3_lPKT2_lT1_lSA_lSB_lS7_lPT4_lSB_li
; %bb.0:
	s_load_dwordx2 s[4:5], s[0:1], 0x9c
	s_mov_b32 s22, s3
	s_waitcnt lgkmcnt(0)
	s_and_b32 s3, s5, 0xffff
	s_lshr_b32 s5, s4, 16
	s_and_b32 s4, s4, 0xffff
	s_mul_i32 s4, s5, s4
	s_mul_i32 s4, s4, s3
	s_cmpk_lg_i32 s4, 0x400
	s_cbranch_scc1 .LBB672_54
; %bb.1:
	s_load_dwordx8 s[12:19], s[0:1], 0x8
	s_load_dwordx8 s[4:11], s[0:1], 0x58
	s_waitcnt lgkmcnt(0)
	s_mul_i32 s3, s22, s15
	s_mul_hi_u32 s15, s22, s14
	s_mul_i32 s14, s22, s14
	s_add_i32 s15, s15, s3
	s_lshl_b64 s[14:15], s[14:15], 2
	s_mul_i32 s7, s22, s7
	s_add_u32 s12, s12, s14
	s_mul_hi_u32 s3, s22, s6
	s_addc_u32 s13, s13, s15
	s_add_i32 s7, s3, s7
	s_mul_i32 s6, s22, s6
	s_lshl_b64 s[6:7], s[6:7], 2
	s_add_u32 s4, s4, s6
	s_addc_u32 s5, s5, s7
	s_load_dword s29, s[12:13], 0x0
	s_load_dword s28, s[4:5], 0x0
	s_waitcnt lgkmcnt(0)
	v_cmp_eq_f32_e64 s[4:5], s29, 0
	v_cmp_eq_f32_e64 s[6:7], s28, 1.0
	s_and_b64 s[6:7], s[4:5], s[6:7]
	s_and_b64 vcc, exec, s[6:7]
	s_cbranch_vccnz .LBB672_54
; %bb.2:
	s_mov_b32 s23, 0
	v_cmp_neq_f32_e64 s[6:7], s29, 0
	s_mov_b64 s[20:21], 0
	s_and_b64 vcc, exec, s[4:5]
	s_mov_b64 s[14:15], 0
	s_cbranch_vccnz .LBB672_4
; %bb.3:
	s_lshl_b64 s[12:13], s[22:23], 3
	s_add_u32 s12, s16, s12
	s_addc_u32 s13, s17, s13
	s_load_dwordx2 s[12:13], s[12:13], 0x0
	s_lshl_b64 s[14:15], s[18:19], 1
	s_waitcnt lgkmcnt(0)
	s_add_u32 s14, s12, s14
	s_addc_u32 s15, s13, s15
.LBB672_4:
	s_andn2_b64 vcc, exec, s[6:7]
	s_cbranch_vccnz .LBB672_6
; %bb.5:
	s_load_dwordx4 s[16:19], s[0:1], 0x38
	s_lshl_b64 s[6:7], s[22:23], 3
	s_waitcnt lgkmcnt(0)
	s_add_u32 s6, s16, s6
	s_addc_u32 s7, s17, s7
	s_load_dwordx2 s[6:7], s[6:7], 0x0
	s_lshl_b64 s[12:13], s[18:19], 1
	s_waitcnt lgkmcnt(0)
	s_add_u32 s20, s6, s12
	s_addc_u32 s21, s7, s13
.LBB672_6:
	s_lshl_b64 s[6:7], s[22:23], 3
	s_add_u32 s6, s8, s6
	s_addc_u32 s7, s9, s7
	s_load_dwordx2 s[8:9], s[6:7], 0x0
	s_load_dwordx2 s[12:13], s[0:1], 0x0
	s_load_dword s30, s[0:1], 0x78
	s_lshl_b64 s[6:7], s[10:11], 2
	v_and_b32_e32 v2, 0x3ff, v0
	s_waitcnt lgkmcnt(0)
	s_add_u32 s8, s8, s6
	v_bfe_u32 v18, v0, 10, 10
	s_addc_u32 s9, s9, s7
	s_andn2_b64 vcc, exec, s[4:5]
	v_lshl_add_u32 v3, v18, 6, v2
	s_cbranch_vccnz .LBB672_13
; %bb.7:
	s_movk_i32 s3, 0x100
	v_cmp_gt_u32_e32 vcc, s3, v3
	s_mov_b64 s[4:5], 0
	s_mov_b64 s[10:11], 0
                                        ; implicit-def: $vgpr1
                                        ; implicit-def: $vgpr4_vgpr5
	s_and_saveexec_b64 s[6:7], vcc
	s_cbranch_execz .LBB672_14
; %bb.8:
	v_lshl_or_b32 v0, s2, 8, v3
	v_mov_b32_e32 v1, 0
	s_ashr_i32 s11, s12, 31
	s_mov_b32 s10, s12
	v_cmp_gt_i64_e32 vcc, s[10:11], v[0:1]
	s_mov_b64 s[16:17], 0
                                        ; implicit-def: $vgpr4_vgpr5
	s_and_saveexec_b64 s[10:11], vcc
	s_cbranch_execz .LBB672_12
; %bb.9:
	v_mad_u64_u32 v[4:5], s[18:19], s30, v0, 0
	s_ashr_i32 s3, s30, 31
	v_mov_b32_e32 v6, v5
	v_cmp_eq_f32_e64 s[16:17], s28, 0
	v_mad_u64_u32 v[6:7], s[18:19], s3, v0, v[6:7]
	v_mov_b32_e32 v5, v6
	s_and_b64 vcc, exec, s[16:17]
	s_cbranch_vccnz .LBB672_11
; %bb.10:
	v_lshl_add_u64 v[0:1], v[4:5], 2, s[8:9]
	global_load_dword v0, v[0:1], off
	s_waitcnt vmcnt(0)
	v_mul_f32_e32 v1, s28, v0
.LBB672_11:
	s_mov_b64 s[16:17], exec
.LBB672_12:
	s_or_b64 exec, exec, s[10:11]
	s_and_b64 s[10:11], s[16:17], exec
	s_or_b64 exec, exec, s[6:7]
	s_and_b64 vcc, exec, s[4:5]
	s_cbranch_vccnz .LBB672_15
	s_branch .LBB672_52
.LBB672_13:
	s_mov_b64 s[10:11], 0
                                        ; implicit-def: $vgpr1
                                        ; implicit-def: $vgpr4_vgpr5
	s_cbranch_execnz .LBB672_15
	s_branch .LBB672_52
.LBB672_14:
	s_or_b64 exec, exec, s[6:7]
	s_and_b64 vcc, exec, s[4:5]
	s_cbranch_vccz .LBB672_52
.LBB672_15:
	s_load_dword s33, s[0:1], 0x28
	s_load_dword s34, s[0:1], 0x48
	s_ashr_i32 s0, s13, 31
	s_lshr_b32 s0, s0, 26
	s_add_i32 s35, s13, s0
	s_lshl_b32 s31, s2, 8
	s_andn2_b32 s35, s35, 63
	v_lshlrev_b32_e32 v24, 2, v18
	v_add_u32_e32 v23, s31, v2
	v_cmp_gt_i32_e32 vcc, s35, v24
	v_mov_b32_e32 v19, 0
	v_mov_b32_e32 v20, 0
	;; [unrolled: 1-line block ×4, first 2 shown]
	s_and_saveexec_b64 s[16:17], vcc
	s_cbranch_execz .LBB672_27
; %bb.16:
	v_add_u32_e32 v0, 64, v23
	v_cmp_gt_i32_e64 s[0:1], s12, v0
	v_add_u32_e32 v0, 0x80, v23
	v_cmp_gt_i32_e64 s[2:3], s12, v0
	;; [unrolled: 2-line block ×3, first 2 shown]
	s_waitcnt lgkmcnt(0)
	v_mul_lo_u32 v0, s33, v24
	v_add_u32_e32 v6, 2, v24
	v_add_u32_e32 v7, 3, v24
	v_add3_u32 v25, v0, s33, v2
	v_mad_u64_u32 v[0:1], s[6:7], s33, v6, v[2:3]
	v_mad_u64_u32 v[4:5], s[6:7], s33, v7, v[2:3]
	v_mul_lo_u32 v1, v18, s33
	v_mul_lo_u32 v5, s34, v24
	;; [unrolled: 1-line block ×4, first 2 shown]
	v_cmp_gt_i32_e32 vcc, s12, v23
	s_lshl_b32 s36, s33, 6
	v_lshl_add_u32 v1, v1, 2, v2
	v_add_u32_e32 v5, s34, v5
	s_lshl_b32 s37, s34, 6
	v_mul_lo_u32 v27, s34, v7
	v_lshlrev_b32_e32 v28, 2, v6
	s_mov_b32 s38, 0
	s_mov_b64 s[18:19], 0
	v_mov_b32_e32 v19, 0
	v_mov_b32_e32 v20, 0
	;; [unrolled: 1-line block ×4, first 2 shown]
	s_branch .LBB672_21
.LBB672_17:                             ;   in Loop: Header=BB672_21 Depth=1
	s_or_b64 exec, exec, s[26:27]
	s_waitcnt vmcnt(0) lgkmcnt(0)
	v_lshlrev_b32_e32 v10, 16, v40
	v_fmac_f32_e32 v21, v8, v10
	v_lshlrev_b32_e32 v10, 16, v39
	v_fmac_f32_e32 v21, v9, v10
	v_lshlrev_b32_e32 v10, 16, v38
	v_fmac_f32_e32 v21, v6, v10
	v_lshlrev_b32_e32 v10, 16, v37
	v_fmac_f32_e32 v21, v7, v10
.LBB672_18:                             ;   in Loop: Header=BB672_21 Depth=1
	s_or_b64 exec, exec, s[24:25]
	s_waitcnt vmcnt(0) lgkmcnt(0)
	v_lshlrev_b32_e32 v10, 16, v36
	v_fmac_f32_e32 v20, v8, v10
	v_lshlrev_b32_e32 v10, 16, v35
	v_fmac_f32_e32 v20, v9, v10
	v_lshlrev_b32_e32 v10, 16, v34
	v_fmac_f32_e32 v20, v6, v10
	v_lshlrev_b32_e32 v10, 16, v33
	v_fmac_f32_e32 v20, v7, v10
.LBB672_19:                             ;   in Loop: Header=BB672_21 Depth=1
	s_or_b64 exec, exec, s[22:23]
	v_lshlrev_b32_e32 v10, 16, v32
	v_fmac_f32_e32 v19, v8, v10
	v_lshlrev_b32_e32 v8, 16, v31
	v_fmac_f32_e32 v19, v9, v8
	;; [unrolled: 2-line block ×4, first 2 shown]
.LBB672_20:                             ;   in Loop: Header=BB672_21 Depth=1
	s_or_b64 exec, exec, s[6:7]
	v_add_u32_e32 v24, 64, v24
	s_add_i32 s38, s38, s37
	v_cmp_le_i32_e64 s[6:7], s35, v24
	v_add_u32_e32 v25, s36, v25
	v_add_u32_e32 v0, s36, v0
	;; [unrolled: 1-line block ×3, first 2 shown]
	s_or_b64 s[18:19], s[6:7], s[18:19]
	v_add_u32_e32 v1, s36, v1
	s_andn2_b64 exec, exec, s[18:19]
	s_cbranch_execz .LBB672_26
.LBB672_21:                             ; =>This Inner Loop Header: Depth=1
	s_and_saveexec_b64 s[6:7], vcc
	s_cbranch_execz .LBB672_20
; %bb.22:                               ;   in Loop: Header=BB672_21 Depth=1
	v_add_u32_e32 v6, s38, v28
	v_ashrrev_i32_e32 v7, 31, v6
	v_add_u32_e32 v8, s38, v5
	v_add_u32_e32 v10, s38, v26
	;; [unrolled: 1-line block ×3, first 2 shown]
	v_lshl_add_u64 v[6:7], v[6:7], 1, s[20:21]
	v_ashrrev_i32_e32 v9, 31, v8
	v_ashrrev_i32_e32 v11, 31, v10
	;; [unrolled: 1-line block ×3, first 2 shown]
	v_lshl_add_u64 v[8:9], v[8:9], 1, s[20:21]
	v_lshl_add_u64 v[10:11], v[10:11], 1, s[20:21]
	;; [unrolled: 1-line block ×3, first 2 shown]
	flat_load_ushort v33, v[6:7]
	flat_load_ushort v34, v[8:9]
	;; [unrolled: 1-line block ×4, first 2 shown]
	v_add_u32_e32 v6, s31, v1
	v_ashrrev_i32_e32 v7, 31, v6
	v_lshl_add_u64 v[10:11], v[6:7], 1, s[14:15]
	v_add_u32_e32 v6, s31, v25
	v_ashrrev_i32_e32 v7, 31, v6
	v_lshl_add_u64 v[12:13], v[6:7], 1, s[14:15]
	;; [unrolled: 3-line block ×4, first 2 shown]
	flat_load_ushort v32, v[10:11]
	flat_load_ushort v31, v[12:13]
	;; [unrolled: 1-line block ×4, first 2 shown]
	s_waitcnt vmcnt(0) lgkmcnt(0)
	v_lshlrev_b32_e32 v8, 16, v33
	v_lshlrev_b32_e32 v9, 16, v34
	;; [unrolled: 1-line block ×4, first 2 shown]
	s_and_saveexec_b64 s[22:23], s[0:1]
	s_cbranch_execz .LBB672_19
; %bb.23:                               ;   in Loop: Header=BB672_21 Depth=1
	flat_load_ushort v36, v[10:11] offset:128
	flat_load_ushort v35, v[12:13] offset:128
	flat_load_ushort v34, v[14:15] offset:128
	flat_load_ushort v33, v[16:17] offset:128
	s_and_saveexec_b64 s[24:25], s[2:3]
	s_cbranch_execz .LBB672_18
; %bb.24:                               ;   in Loop: Header=BB672_21 Depth=1
	flat_load_ushort v40, v[10:11] offset:256
	flat_load_ushort v39, v[12:13] offset:256
	flat_load_ushort v38, v[14:15] offset:256
	flat_load_ushort v37, v[16:17] offset:256
	;; [unrolled: 7-line block ×3, first 2 shown]
	s_waitcnt vmcnt(0) lgkmcnt(0)
	v_lshlrev_b32_e32 v11, 16, v41
	v_lshlrev_b32_e32 v10, 16, v42
	v_pk_mul_f32 v[10:11], v[8:9], v[10:11]
	v_lshlrev_b32_e32 v13, 16, v43
	v_lshlrev_b32_e32 v12, 16, v44
	v_add_f32_e32 v10, v22, v10
	v_add_f32_e32 v14, v10, v11
	v_pk_mul_f32 v[10:11], v[6:7], v[12:13]
	s_nop 0
	v_add_f32_e32 v10, v14, v10
	v_add_f32_e32 v22, v10, v11
	s_branch .LBB672_17
.LBB672_26:
	s_or_b64 exec, exec, s[18:19]
.LBB672_27:
	s_or_b64 exec, exec, s[16:17]
	s_sub_i32 s0, s13, s35
	s_cmp_lt_i32 s0, 1
	s_cbranch_scc1 .LBB672_45
; %bb.28:
	v_cmp_gt_i32_e32 vcc, s13, v24
	v_mov_b32_e32 v10, 0
	v_or_b32_e32 v4, 1, v24
	v_mov_b32_e32 v11, 0
	v_mov_b32_e32 v12, 0
	;; [unrolled: 1-line block ×3, first 2 shown]
	s_and_saveexec_b64 s[2:3], vcc
	s_cbranch_execz .LBB672_36
; %bb.29:
	s_waitcnt lgkmcnt(0)
	v_mul_lo_u32 v0, v24, s34
	v_ashrrev_i32_e32 v1, 31, v0
	v_lshl_add_u64 v[0:1], v[0:1], 1, s[20:21]
	flat_load_ushort v0, v[0:1]
	v_cmp_gt_i32_e64 s[0:1], s13, v4
	v_mov_b32_e32 v12, 0
	v_mov_b32_e32 v11, 0
	;; [unrolled: 1-line block ×3, first 2 shown]
	s_and_saveexec_b64 s[4:5], s[0:1]
	s_cbranch_execz .LBB672_35
; %bb.30:
	v_mul_lo_u32 v6, v4, s34
	v_ashrrev_i32_e32 v7, 31, v6
	v_lshl_add_u64 v[6:7], v[6:7], 1, s[20:21]
	flat_load_ushort v1, v[6:7]
	v_or_b32_e32 v5, 2, v24
	v_cmp_gt_i32_e64 s[0:1], s13, v5
	v_mov_b32_e32 v11, 0
	v_mov_b32_e32 v10, 0
	s_and_saveexec_b64 s[6:7], s[0:1]
	s_cbranch_execz .LBB672_34
; %bb.31:
	v_mul_lo_u32 v6, v5, s34
	v_ashrrev_i32_e32 v7, 31, v6
	v_lshl_add_u64 v[6:7], v[6:7], 1, s[20:21]
	flat_load_ushort v5, v[6:7]
	v_or_b32_e32 v6, 3, v24
	v_cmp_gt_i32_e64 s[0:1], s13, v6
	v_mov_b32_e32 v10, 0
	s_and_saveexec_b64 s[16:17], s[0:1]
	s_cbranch_execz .LBB672_33
; %bb.32:
	v_mul_lo_u32 v6, v6, s34
	v_ashrrev_i32_e32 v7, 31, v6
	v_lshl_add_u64 v[6:7], v[6:7], 1, s[20:21]
	flat_load_ushort v6, v[6:7]
	s_waitcnt vmcnt(0) lgkmcnt(0)
	v_lshlrev_b32_e32 v10, 16, v6
.LBB672_33:
	s_or_b64 exec, exec, s[16:17]
	s_waitcnt vmcnt(0) lgkmcnt(0)
	v_lshlrev_b32_e32 v11, 16, v5
.LBB672_34:
	s_or_b64 exec, exec, s[6:7]
	s_waitcnt vmcnt(0) lgkmcnt(0)
	v_lshlrev_b32_e32 v12, 16, v1
.LBB672_35:
	s_or_b64 exec, exec, s[4:5]
	s_waitcnt vmcnt(0) lgkmcnt(0)
	v_lshlrev_b32_e32 v13, 16, v0
.LBB672_36:
	s_or_b64 exec, exec, s[2:3]
	v_cmp_gt_i32_e64 s[0:1], s12, v23
	s_and_saveexec_b64 s[2:3], s[0:1]
	s_cbranch_execz .LBB672_44
; %bb.37:
	s_waitcnt lgkmcnt(0)
	v_mul_lo_u32 v0, v24, s33
	v_cndmask_b32_e32 v0, 0, v0, vcc
	v_mul_lo_u32 v5, v4, s33
	v_cmp_gt_i32_e32 vcc, s13, v4
	v_or_b32_e32 v6, 2, v24
	v_add_u32_e32 v0, v0, v23
	v_cndmask_b32_e32 v4, 0, v5, vcc
	v_mul_lo_u32 v7, v6, s33
	v_cmp_gt_i32_e32 vcc, s13, v6
	v_or_b32_e32 v8, 3, v24
	v_ashrrev_i32_e32 v1, 31, v0
	v_add_u32_e32 v4, v4, v23
	v_cndmask_b32_e32 v6, 0, v7, vcc
	v_mul_lo_u32 v9, v8, s33
	v_cmp_gt_i32_e32 vcc, s13, v8
	v_lshl_add_u64 v[0:1], v[0:1], 1, s[14:15]
	v_ashrrev_i32_e32 v5, 31, v4
	v_add_u32_e32 v6, v6, v23
	v_cndmask_b32_e32 v8, 0, v9, vcc
	v_lshl_add_u64 v[4:5], v[4:5], 1, s[14:15]
	v_ashrrev_i32_e32 v7, 31, v6
	v_add_u32_e32 v8, v8, v23
	flat_load_ushort v14, v[0:1]
	flat_load_ushort v15, v[4:5]
	v_lshl_add_u64 v[6:7], v[6:7], 1, s[14:15]
	v_ashrrev_i32_e32 v9, 31, v8
	v_lshl_add_u64 v[8:9], v[8:9], 1, s[14:15]
	flat_load_ushort v16, v[6:7]
	flat_load_ushort v17, v[8:9]
	v_add_u32_e32 v24, 64, v23
	v_cmp_gt_i32_e32 vcc, s12, v24
	s_waitcnt vmcnt(0) lgkmcnt(0)
	v_lshlrev_b32_e32 v14, 16, v14
	v_lshlrev_b32_e32 v15, 16, v15
	v_fmac_f32_e32 v19, v13, v14
	v_fmac_f32_e32 v19, v12, v15
	v_lshlrev_b32_e32 v16, 16, v16
	v_lshlrev_b32_e32 v14, 16, v17
	v_fmac_f32_e32 v19, v11, v16
	s_and_saveexec_b64 s[0:1], vcc
	s_cbranch_execz .LBB672_43
; %bb.38:
	flat_load_ushort v15, v[0:1] offset:128
	flat_load_ushort v16, v[4:5] offset:128
	;; [unrolled: 1-line block ×4, first 2 shown]
	v_add_u32_e32 v25, 0x80, v23
	v_cmp_gt_i32_e32 vcc, s12, v25
	s_waitcnt vmcnt(0) lgkmcnt(0)
	v_lshlrev_b32_e32 v26, 16, v15
	v_lshlrev_b32_e32 v16, 16, v16
	v_fmac_f32_e32 v20, v13, v26
	v_lshlrev_b32_e32 v17, 16, v17
	v_fmac_f32_e32 v20, v12, v16
	;; [unrolled: 2-line block ×3, first 2 shown]
	s_and_saveexec_b64 s[4:5], vcc
	s_cbranch_execz .LBB672_42
; %bb.39:
	flat_load_ushort v16, v[0:1] offset:256
	flat_load_ushort v17, v[4:5] offset:256
	;; [unrolled: 1-line block ×4, first 2 shown]
	v_add_u32_e32 v23, 0xc0, v23
	v_cmp_gt_i32_e32 vcc, s12, v23
	s_waitcnt vmcnt(0) lgkmcnt(0)
	v_lshlrev_b32_e32 v26, 16, v16
	v_lshlrev_b32_e32 v17, 16, v17
	v_fmac_f32_e32 v21, v13, v26
	v_lshlrev_b32_e32 v24, 16, v24
	v_fmac_f32_e32 v21, v12, v17
	;; [unrolled: 2-line block ×3, first 2 shown]
	s_and_saveexec_b64 s[6:7], vcc
	s_cbranch_execz .LBB672_41
; %bb.40:
	flat_load_ushort v17, v[0:1] offset:384
	flat_load_ushort v23, v[4:5] offset:384
	;; [unrolled: 1-line block ×4, first 2 shown]
	s_waitcnt vmcnt(0) lgkmcnt(0)
	v_lshlrev_b32_e32 v0, 16, v17
	v_lshlrev_b32_e32 v1, 16, v23
	v_fmac_f32_e32 v22, v13, v0
	v_lshlrev_b32_e32 v4, 16, v24
	v_fmac_f32_e32 v22, v12, v1
	v_fmac_f32_e32 v22, v11, v4
	v_lshlrev_b32_e32 v0, 16, v25
	v_fmac_f32_e32 v22, v10, v0
.LBB672_41:
	s_or_b64 exec, exec, s[6:7]
	v_fmac_f32_e32 v21, v10, v16
.LBB672_42:
	s_or_b64 exec, exec, s[4:5]
	v_fmac_f32_e32 v20, v10, v15
.LBB672_43:
	s_or_b64 exec, exec, s[0:1]
	v_fmac_f32_e32 v19, v10, v14
.LBB672_44:
	s_or_b64 exec, exec, s[2:3]
.LBB672_45:
	v_lshlrev_b32_e32 v0, 8, v18
	s_movk_i32 s0, 0x100
	v_add_lshl_u32 v0, v0, v2, 2
	v_cmp_gt_u32_e32 vcc, s0, v3
	ds_write2st64_b32 v0, v19, v20 offset1:1
	ds_write2st64_b32 v0, v21, v22 offset0:2 offset1:3
	s_waitcnt lgkmcnt(0)
	s_barrier
	s_waitcnt lgkmcnt(0)
                                        ; implicit-def: $vgpr1
                                        ; implicit-def: $vgpr4_vgpr5
	s_and_saveexec_b64 s[0:1], vcc
	s_cbranch_execz .LBB672_51
; %bb.46:
	v_lshlrev_b32_e32 v2, 2, v3
	ds_read2st64_b32 v[0:1], v2 offset1:4
	ds_read2st64_b32 v[4:5], v2 offset0:8 offset1:12
	ds_read2st64_b32 v[6:7], v2 offset0:16 offset1:20
	ds_read2st64_b32 v[8:9], v2 offset0:24 offset1:28
	ds_read2st64_b32 v[10:11], v2 offset0:32 offset1:36
	s_waitcnt lgkmcnt(4)
	v_add_f32_e32 v0, v0, v1
	s_waitcnt lgkmcnt(3)
	v_add_f32_e32 v0, v4, v0
	v_add_f32_e32 v0, v5, v0
	s_waitcnt lgkmcnt(2)
	v_add_f32_e32 v0, v6, v0
	;; [unrolled: 3-line block ×3, first 2 shown]
	v_add_f32_e32 v4, v9, v0
	ds_read2st64_b32 v[0:1], v2 offset0:40 offset1:44
	s_waitcnt lgkmcnt(1)
	v_add_f32_e32 v6, v10, v4
	ds_read2st64_b32 v[4:5], v2 offset0:48 offset1:52
	v_add_f32_e32 v8, v11, v6
	ds_read2st64_b32 v[6:7], v2 offset0:56 offset1:60
	s_waitcnt lgkmcnt(2)
	v_add_f32_e32 v0, v0, v8
	v_add_f32_e32 v0, v1, v0
	s_waitcnt lgkmcnt(1)
	v_add_f32_e32 v0, v4, v0
	v_add_f32_e32 v0, v5, v0
	;; [unrolled: 3-line block ×3, first 2 shown]
	ds_write_b32 v2, v0
	v_or_b32_e32 v2, s31, v3
	v_cmp_gt_i32_e32 vcc, s12, v2
	s_mov_b64 s[4:5], s[10:11]
                                        ; implicit-def: $vgpr1
                                        ; implicit-def: $vgpr4_vgpr5
	s_and_saveexec_b64 s[2:3], vcc
	s_cbranch_execz .LBB672_50
; %bb.47:
	v_cmp_eq_f32_e64 s[4:5], s28, 0
	v_mul_lo_u32 v4, v2, s30
	v_mul_f32_e32 v1, s29, v0
	v_ashrrev_i32_e32 v5, 31, v4
	s_and_b64 vcc, exec, s[4:5]
	s_cbranch_vccnz .LBB672_49
; %bb.48:
	v_lshl_add_u64 v[2:3], v[4:5], 2, s[8:9]
	global_load_dword v0, v[2:3], off
	s_waitcnt vmcnt(0)
	v_fmac_f32_e32 v1, s28, v0
.LBB672_49:
	s_or_b64 s[4:5], s[10:11], exec
.LBB672_50:
	s_or_b64 exec, exec, s[2:3]
	s_andn2_b64 s[2:3], s[10:11], exec
	s_and_b64 s[4:5], s[4:5], exec
	s_or_b64 s[10:11], s[2:3], s[4:5]
.LBB672_51:
	s_or_b64 exec, exec, s[0:1]
.LBB672_52:
	s_and_saveexec_b64 s[0:1], s[10:11]
	s_cbranch_execz .LBB672_54
; %bb.53:
	v_lshl_add_u64 v[2:3], v[4:5], 2, s[8:9]
	global_store_dword v[2:3], v1, off
.LBB672_54:
	s_endpgm
	.section	.rodata,"a",@progbits
	.p2align	6, 0x0
	.amdhsa_kernel _ZL20rocblas_gemvn_kernelILi64ELi16EiPK16rocblas_bfloat16PKfKPfEviiT3_lPKT2_lT1_lSA_lSB_lS7_lPT4_lSB_li
		.amdhsa_group_segment_fixed_size 16384
		.amdhsa_private_segment_fixed_size 0
		.amdhsa_kernarg_size 400
		.amdhsa_user_sgpr_count 2
		.amdhsa_user_sgpr_dispatch_ptr 0
		.amdhsa_user_sgpr_queue_ptr 0
		.amdhsa_user_sgpr_kernarg_segment_ptr 1
		.amdhsa_user_sgpr_dispatch_id 0
		.amdhsa_user_sgpr_kernarg_preload_length 0
		.amdhsa_user_sgpr_kernarg_preload_offset 0
		.amdhsa_user_sgpr_private_segment_size 0
		.amdhsa_uses_dynamic_stack 0
		.amdhsa_enable_private_segment 0
		.amdhsa_system_sgpr_workgroup_id_x 1
		.amdhsa_system_sgpr_workgroup_id_y 0
		.amdhsa_system_sgpr_workgroup_id_z 1
		.amdhsa_system_sgpr_workgroup_info 0
		.amdhsa_system_vgpr_workitem_id 1
		.amdhsa_next_free_vgpr 45
		.amdhsa_next_free_sgpr 39
		.amdhsa_accum_offset 48
		.amdhsa_reserve_vcc 1
		.amdhsa_float_round_mode_32 0
		.amdhsa_float_round_mode_16_64 0
		.amdhsa_float_denorm_mode_32 3
		.amdhsa_float_denorm_mode_16_64 3
		.amdhsa_dx10_clamp 1
		.amdhsa_ieee_mode 1
		.amdhsa_fp16_overflow 0
		.amdhsa_tg_split 0
		.amdhsa_exception_fp_ieee_invalid_op 0
		.amdhsa_exception_fp_denorm_src 0
		.amdhsa_exception_fp_ieee_div_zero 0
		.amdhsa_exception_fp_ieee_overflow 0
		.amdhsa_exception_fp_ieee_underflow 0
		.amdhsa_exception_fp_ieee_inexact 0
		.amdhsa_exception_int_div_zero 0
	.end_amdhsa_kernel
	.section	.text._ZL20rocblas_gemvn_kernelILi64ELi16EiPK16rocblas_bfloat16PKfKPfEviiT3_lPKT2_lT1_lSA_lSB_lS7_lPT4_lSB_li,"axG",@progbits,_ZL20rocblas_gemvn_kernelILi64ELi16EiPK16rocblas_bfloat16PKfKPfEviiT3_lPKT2_lT1_lSA_lSB_lS7_lPT4_lSB_li,comdat
.Lfunc_end672:
	.size	_ZL20rocblas_gemvn_kernelILi64ELi16EiPK16rocblas_bfloat16PKfKPfEviiT3_lPKT2_lT1_lSA_lSB_lS7_lPT4_lSB_li, .Lfunc_end672-_ZL20rocblas_gemvn_kernelILi64ELi16EiPK16rocblas_bfloat16PKfKPfEviiT3_lPKT2_lT1_lSA_lSB_lS7_lPT4_lSB_li
                                        ; -- End function
	.section	.AMDGPU.csdata,"",@progbits
; Kernel info:
; codeLenInByte = 2524
; NumSgprs: 45
; NumVgprs: 45
; NumAgprs: 0
; TotalNumVgprs: 45
; ScratchSize: 0
; MemoryBound: 0
; FloatMode: 240
; IeeeMode: 1
; LDSByteSize: 16384 bytes/workgroup (compile time only)
; SGPRBlocks: 5
; VGPRBlocks: 5
; NumSGPRsForWavesPerEU: 45
; NumVGPRsForWavesPerEU: 45
; AccumOffset: 48
; Occupancy: 8
; WaveLimiterHint : 1
; COMPUTE_PGM_RSRC2:SCRATCH_EN: 0
; COMPUTE_PGM_RSRC2:USER_SGPR: 2
; COMPUTE_PGM_RSRC2:TRAP_HANDLER: 0
; COMPUTE_PGM_RSRC2:TGID_X_EN: 1
; COMPUTE_PGM_RSRC2:TGID_Y_EN: 0
; COMPUTE_PGM_RSRC2:TGID_Z_EN: 1
; COMPUTE_PGM_RSRC2:TIDIG_COMP_CNT: 1
; COMPUTE_PGM_RSRC3_GFX90A:ACCUM_OFFSET: 11
; COMPUTE_PGM_RSRC3_GFX90A:TG_SPLIT: 0
	.section	.text._ZL20rocblas_gemvn_kernelILi64ELi16ElPK16rocblas_bfloat16PKfKPfEviiT3_lPKT2_lT1_lSA_lSB_lS7_lPT4_lSB_li,"axG",@progbits,_ZL20rocblas_gemvn_kernelILi64ELi16ElPK16rocblas_bfloat16PKfKPfEviiT3_lPKT2_lT1_lSA_lSB_lS7_lPT4_lSB_li,comdat
	.globl	_ZL20rocblas_gemvn_kernelILi64ELi16ElPK16rocblas_bfloat16PKfKPfEviiT3_lPKT2_lT1_lSA_lSB_lS7_lPT4_lSB_li ; -- Begin function _ZL20rocblas_gemvn_kernelILi64ELi16ElPK16rocblas_bfloat16PKfKPfEviiT3_lPKT2_lT1_lSA_lSB_lS7_lPT4_lSB_li
	.p2align	8
	.type	_ZL20rocblas_gemvn_kernelILi64ELi16ElPK16rocblas_bfloat16PKfKPfEviiT3_lPKT2_lT1_lSA_lSB_lS7_lPT4_lSB_li,@function
_ZL20rocblas_gemvn_kernelILi64ELi16ElPK16rocblas_bfloat16PKfKPfEviiT3_lPKT2_lT1_lSA_lSB_lS7_lPT4_lSB_li: ; @_ZL20rocblas_gemvn_kernelILi64ELi16ElPK16rocblas_bfloat16PKfKPfEviiT3_lPKT2_lT1_lSA_lSB_lS7_lPT4_lSB_li
; %bb.0:
	s_load_dwordx2 s[4:5], s[0:1], 0x9c
	s_mov_b32 s26, s3
	s_waitcnt lgkmcnt(0)
	s_and_b32 s3, s5, 0xffff
	s_lshr_b32 s5, s4, 16
	s_and_b32 s4, s4, 0xffff
	s_mul_i32 s4, s5, s4
	s_mul_i32 s4, s4, s3
	s_cmpk_lg_i32 s4, 0x400
	s_cbranch_scc1 .LBB673_54
; %bb.1:
	s_load_dwordx8 s[12:19], s[0:1], 0x8
	s_load_dwordx8 s[4:11], s[0:1], 0x58
	s_waitcnt lgkmcnt(0)
	s_mul_i32 s3, s26, s15
	s_mul_hi_u32 s15, s26, s14
	s_mul_i32 s14, s26, s14
	s_add_i32 s15, s15, s3
	s_lshl_b64 s[14:15], s[14:15], 2
	s_mul_i32 s7, s26, s7
	s_add_u32 s12, s12, s14
	s_mul_hi_u32 s3, s26, s6
	s_addc_u32 s13, s13, s15
	s_add_i32 s7, s3, s7
	s_mul_i32 s6, s26, s6
	s_lshl_b64 s[6:7], s[6:7], 2
	s_add_u32 s4, s4, s6
	s_addc_u32 s5, s5, s7
	s_load_dword s42, s[12:13], 0x0
	s_load_dword s33, s[4:5], 0x0
	s_waitcnt lgkmcnt(0)
	v_cmp_eq_f32_e64 s[28:29], s42, 0
	v_cmp_eq_f32_e64 s[4:5], s33, 1.0
	s_and_b64 s[4:5], s[28:29], s[4:5]
	s_and_b64 vcc, exec, s[4:5]
	s_cbranch_vccnz .LBB673_54
; %bb.2:
	s_load_dwordx2 s[20:21], s[0:1], 0x28
	s_load_dwordx2 s[12:13], s[0:1], 0x78
	s_mov_b32 s27, 0
	v_cmp_neq_f32_e64 s[14:15], s42, 0
	s_mov_b64 s[24:25], 0
	s_and_b64 vcc, exec, s[28:29]
	s_mov_b64 s[22:23], 0
	s_cbranch_vccnz .LBB673_4
; %bb.3:
	s_lshl_b64 s[4:5], s[26:27], 3
	s_add_u32 s4, s16, s4
	s_addc_u32 s5, s17, s5
	s_load_dwordx2 s[4:5], s[4:5], 0x0
	s_lshl_b64 s[6:7], s[18:19], 1
	s_waitcnt lgkmcnt(0)
	s_add_u32 s22, s4, s6
	s_addc_u32 s23, s5, s7
.LBB673_4:
	s_load_dwordx4 s[4:7], s[0:1], 0x38
	s_load_dwordx2 s[16:17], s[0:1], 0x48
	s_andn2_b64 vcc, exec, s[14:15]
	s_cbranch_vccnz .LBB673_6
; %bb.5:
	s_lshl_b64 s[14:15], s[26:27], 3
	s_waitcnt lgkmcnt(0)
	s_add_u32 s4, s4, s14
	s_addc_u32 s5, s5, s15
	s_load_dwordx2 s[4:5], s[4:5], 0x0
	s_lshl_b64 s[6:7], s[6:7], 1
	s_waitcnt lgkmcnt(0)
	s_add_u32 s24, s4, s6
	s_addc_u32 s25, s5, s7
.LBB673_6:
	s_waitcnt lgkmcnt(0)
	s_lshl_b64 s[4:5], s[26:27], 3
	s_add_u32 s4, s8, s4
	s_addc_u32 s5, s9, s5
	s_load_dwordx2 s[6:7], s[4:5], 0x0
	s_load_dwordx2 s[14:15], s[0:1], 0x0
	s_lshl_b64 s[0:1], s[10:11], 2
	v_and_b32_e32 v33, 0x3ff, v0
	v_bfe_u32 v34, v0, 10, 10
	s_waitcnt lgkmcnt(0)
	s_add_u32 s8, s6, s0
	s_addc_u32 s9, s7, s1
	s_andn2_b64 vcc, exec, s[28:29]
	v_lshl_add_u32 v32, v34, 6, v33
	s_cbranch_vccnz .LBB673_13
; %bb.7:
	s_movk_i32 s0, 0x100
	v_cmp_gt_u32_e32 vcc, s0, v32
	s_mov_b64 s[0:1], 0
	s_mov_b64 s[10:11], 0
                                        ; implicit-def: $vgpr1
                                        ; implicit-def: $vgpr2_vgpr3
	s_and_saveexec_b64 s[4:5], vcc
	s_cbranch_execz .LBB673_14
; %bb.8:
	v_lshl_or_b32 v0, s2, 8, v32
	v_mov_b32_e32 v1, 0
	s_ashr_i32 s7, s14, 31
	s_mov_b32 s6, s14
	v_cmp_gt_i64_e32 vcc, s[6:7], v[0:1]
                                        ; implicit-def: $vgpr2_vgpr3
	s_and_saveexec_b64 s[6:7], vcc
	s_cbranch_execz .LBB673_12
; %bb.9:
	v_mad_u64_u32 v[2:3], s[18:19], v0, s12, 0
	v_mov_b32_e32 v4, v3
	v_cmp_eq_f32_e64 s[10:11], s33, 0
	v_mad_u64_u32 v[4:5], s[18:19], v0, s13, v[4:5]
	v_mov_b32_e32 v3, v4
	s_and_b64 vcc, exec, s[10:11]
	s_cbranch_vccnz .LBB673_11
; %bb.10:
	v_lshl_add_u64 v[0:1], v[2:3], 2, s[8:9]
	global_load_dword v0, v[0:1], off
	s_waitcnt vmcnt(0)
	v_mul_f32_e32 v1, s33, v0
.LBB673_11:
	s_mov_b64 s[10:11], exec
.LBB673_12:
	s_or_b64 exec, exec, s[6:7]
	s_and_b64 s[10:11], s[10:11], exec
	s_or_b64 exec, exec, s[4:5]
	s_and_b64 vcc, exec, s[0:1]
	s_cbranch_vccnz .LBB673_15
	s_branch .LBB673_52
.LBB673_13:
	s_mov_b64 s[10:11], 0
                                        ; implicit-def: $vgpr1
                                        ; implicit-def: $vgpr2_vgpr3
	s_cbranch_execnz .LBB673_15
	s_branch .LBB673_52
.LBB673_14:
	s_or_b64 exec, exec, s[4:5]
	s_and_b64 vcc, exec, s[0:1]
	s_cbranch_vccz .LBB673_52
.LBB673_15:
	s_ashr_i32 s0, s15, 31
	s_lshr_b32 s0, s0, 26
	s_add_i32 s44, s15, s0
	s_lshl_b32 s43, s2, 8
	s_andn2_b32 s44, s44, 63
	v_lshlrev_b32_e32 v39, 2, v34
	v_add_u32_e32 v0, s43, v33
	v_cmp_gt_i32_e32 vcc, s44, v39
	v_mov_b32_e32 v35, 0
	v_mov_b32_e32 v36, 0
	;; [unrolled: 1-line block ×4, first 2 shown]
	s_and_saveexec_b64 s[18:19], vcc
	s_cbranch_execz .LBB673_27
; %bb.16:
	v_add_u32_e32 v2, 64, v0
	v_cmp_gt_i32_e64 s[0:1], s14, v2
	v_add_u32_e32 v2, 0x80, v0
	v_ashrrev_i32_e32 v1, 31, v0
	v_cmp_gt_i32_e64 s[2:3], s14, v2
	v_add_u32_e32 v2, 0xc0, v0
	v_cmp_gt_i32_e64 s[4:5], s14, v2
	v_lshlrev_b64 v[2:3], 1, v[0:1]
	v_lshlrev_b32_e32 v1, 2, v34
	v_or_b32_e32 v15, 3, v1
	v_mad_u64_u32 v[4:5], s[6:7], s20, v15, 0
	v_mov_b32_e32 v6, v5
	v_mad_u64_u32 v[6:7], s[6:7], s21, v15, v[6:7]
	v_mov_b32_e32 v5, v6
	;; [unrolled: 2-line block ×6, first 2 shown]
	v_mov_b64_e32 v[10:11], s[16:17]
	v_mad_u64_u32 v[10:11], s[6:7], s16, v1, v[10:11]
	v_mov_b32_e32 v12, v11
	v_mad_u64_u32 v[12:13], s[6:7], s17, v1, v[12:13]
	v_mov_b32_e32 v11, v12
	;; [unrolled: 2-line block ×3, first 2 shown]
	v_mad_u64_u32 v[14:15], s[6:7], s17, v15, v[14:15]
	v_or_b32_e32 v21, 2, v1
	v_mov_b32_e32 v13, v14
	v_mad_u64_u32 v[14:15], s[6:7], s20, v21, 0
	v_mov_b32_e32 v16, v15
	v_mad_u64_u32 v[16:17], s[6:7], s21, v21, v[16:17]
	v_mov_b32_e32 v15, v16
	v_mov_b64_e32 v[16:17], s[20:21]
	v_mad_u64_u32 v[16:17], s[6:7], s20, v1, v[16:17]
	v_mov_b32_e32 v18, v17
	v_mad_u64_u32 v[18:19], s[6:7], s21, v1, v[18:19]
	v_mov_b32_e32 v17, v18
	;; [unrolled: 2-line block ×4, first 2 shown]
	v_cmp_gt_i32_e32 vcc, s14, v0
	v_lshl_add_u64 v[4:5], v[4:5], 1, s[22:23]
	s_lshl_b64 s[26:27], s[20:21], 7
	v_lshlrev_b64 v[6:7], 3, v[6:7]
	s_lshl_b64 s[28:29], s[16:17], 7
	v_lshl_add_u64 v[8:9], v[8:9], 3, s[22:23]
	v_lshlrev_b64 v[10:11], 1, v[10:11]
	v_lshlrev_b64 v[12:13], 1, v[12:13]
	v_lshl_add_u64 v[14:15], v[14:15], 1, s[22:23]
	v_lshl_add_u64 v[16:17], v[16:17], 1, s[22:23]
	v_lshlrev_b64 v[18:19], 1, v[18:19]
	s_mov_b64 s[30:31], 0
	v_mov_b32_e32 v35, 0
	s_mov_b64 s[34:35], s[24:25]
	v_mov_b32_e32 v36, 0
	v_mov_b32_e32 v37, 0
	;; [unrolled: 1-line block ×3, first 2 shown]
	s_branch .LBB673_21
.LBB673_17:                             ;   in Loop: Header=BB673_21 Depth=1
	s_or_b64 exec, exec, s[40:41]
	s_waitcnt vmcnt(0) lgkmcnt(0)
	v_lshlrev_b32_e32 v24, 16, v50
	v_fmac_f32_e32 v37, v22, v24
	v_lshlrev_b32_e32 v24, 16, v49
	v_fmac_f32_e32 v37, v23, v24
	;; [unrolled: 2-line block ×4, first 2 shown]
.LBB673_18:                             ;   in Loop: Header=BB673_21 Depth=1
	s_or_b64 exec, exec, s[38:39]
	s_waitcnt vmcnt(0) lgkmcnt(0)
	v_lshlrev_b32_e32 v24, 16, v46
	v_fmac_f32_e32 v36, v22, v24
	v_lshlrev_b32_e32 v24, 16, v45
	v_fmac_f32_e32 v36, v23, v24
	;; [unrolled: 2-line block ×4, first 2 shown]
.LBB673_19:                             ;   in Loop: Header=BB673_21 Depth=1
	s_or_b64 exec, exec, s[36:37]
	v_lshlrev_b32_e32 v24, 16, v42
	v_fmac_f32_e32 v35, v22, v24
	v_lshlrev_b32_e32 v22, 16, v41
	v_fmac_f32_e32 v35, v23, v22
	;; [unrolled: 2-line block ×4, first 2 shown]
.LBB673_20:                             ;   in Loop: Header=BB673_21 Depth=1
	s_or_b64 exec, exec, s[6:7]
	v_add_u32_e32 v39, 64, v39
	s_add_u32 s34, s34, s28
	s_addc_u32 s35, s35, s29
	v_cmp_le_i32_e64 s[6:7], s44, v39
	v_lshl_add_u64 v[4:5], v[4:5], 0, s[26:27]
	v_lshl_add_u64 v[8:9], v[8:9], 0, s[26:27]
	;; [unrolled: 1-line block ×3, first 2 shown]
	s_or_b64 s[30:31], s[6:7], s[30:31]
	v_lshl_add_u64 v[16:17], v[16:17], 0, s[26:27]
	s_andn2_b64 exec, exec, s[30:31]
	s_cbranch_execz .LBB673_26
.LBB673_21:                             ; =>This Inner Loop Header: Depth=1
	s_and_saveexec_b64 s[6:7], vcc
	s_cbranch_execz .LBB673_20
; %bb.22:                               ;   in Loop: Header=BB673_21 Depth=1
	v_lshl_add_u64 v[20:21], s[34:35], 0, v[6:7]
	v_lshl_add_u64 v[24:25], s[34:35], 0, v[18:19]
	;; [unrolled: 1-line block ×4, first 2 shown]
	flat_load_ushort v43, v[20:21]
	flat_load_ushort v44, v[22:23]
	;; [unrolled: 1-line block ×4, first 2 shown]
	v_lshl_add_u64 v[24:25], v[8:9], 0, v[2:3]
	v_lshl_add_u64 v[26:27], v[16:17], 0, v[2:3]
	;; [unrolled: 1-line block ×4, first 2 shown]
	flat_load_ushort v42, v[24:25]
	flat_load_ushort v41, v[26:27]
	flat_load_ushort v40, v[28:29]
	flat_load_ushort v1, v[30:31]
	s_waitcnt vmcnt(0) lgkmcnt(0)
	v_lshlrev_b32_e32 v22, 16, v43
	v_lshlrev_b32_e32 v23, 16, v44
	;; [unrolled: 1-line block ×4, first 2 shown]
	s_and_saveexec_b64 s[36:37], s[0:1]
	s_cbranch_execz .LBB673_19
; %bb.23:                               ;   in Loop: Header=BB673_21 Depth=1
	flat_load_ushort v46, v[24:25] offset:128
	flat_load_ushort v45, v[26:27] offset:128
	flat_load_ushort v44, v[28:29] offset:128
	flat_load_ushort v43, v[30:31] offset:128
	s_and_saveexec_b64 s[38:39], s[2:3]
	s_cbranch_execz .LBB673_18
; %bb.24:                               ;   in Loop: Header=BB673_21 Depth=1
	flat_load_ushort v50, v[24:25] offset:256
	flat_load_ushort v49, v[26:27] offset:256
	flat_load_ushort v48, v[28:29] offset:256
	flat_load_ushort v47, v[30:31] offset:256
	;; [unrolled: 7-line block ×3, first 2 shown]
	s_waitcnt vmcnt(0) lgkmcnt(0)
	v_lshlrev_b32_e32 v25, 16, v51
	v_lshlrev_b32_e32 v24, 16, v52
	v_pk_mul_f32 v[24:25], v[22:23], v[24:25]
	v_lshlrev_b32_e32 v27, 16, v53
	v_lshlrev_b32_e32 v26, 16, v54
	v_add_f32_e32 v24, v38, v24
	v_add_f32_e32 v28, v24, v25
	v_pk_mul_f32 v[24:25], v[20:21], v[26:27]
	s_nop 0
	v_add_f32_e32 v24, v28, v24
	v_add_f32_e32 v38, v24, v25
	s_branch .LBB673_17
.LBB673_26:
	s_or_b64 exec, exec, s[30:31]
.LBB673_27:
	s_or_b64 exec, exec, s[18:19]
	s_sub_i32 s0, s15, s44
	s_cmp_lt_i32 s0, 1
	s_cbranch_scc1 .LBB673_45
; %bb.28:
	v_cmp_gt_i32_e32 vcc, s15, v39
	v_mov_b32_e32 v10, 0
	v_or_b32_e32 v4, 1, v39
	v_mov_b32_e32 v11, 0
	v_mov_b32_e32 v12, 0
	;; [unrolled: 1-line block ×3, first 2 shown]
	s_and_saveexec_b64 s[2:3], vcc
	s_cbranch_execz .LBB673_36
; %bb.29:
	v_mad_u64_u32 v[2:3], s[0:1], v39, s16, 0
	v_mov_b32_e32 v6, v3
	v_mad_u64_u32 v[6:7], s[0:1], v39, s17, v[6:7]
	v_mov_b32_e32 v3, v6
	v_lshl_add_u64 v[2:3], v[2:3], 1, s[24:25]
	flat_load_ushort v1, v[2:3]
	v_cmp_gt_i32_e64 s[0:1], s15, v4
	v_mov_b32_e32 v12, 0
	v_mov_b32_e32 v11, 0
	;; [unrolled: 1-line block ×3, first 2 shown]
	s_and_saveexec_b64 s[4:5], s[0:1]
	s_cbranch_execz .LBB673_35
; %bb.30:
	v_mad_u64_u32 v[2:3], s[0:1], v4, s16, 0
	v_mov_b32_e32 v6, v3
	v_mad_u64_u32 v[6:7], s[0:1], v4, s17, v[6:7]
	v_mov_b32_e32 v3, v6
	v_lshl_add_u64 v[2:3], v[2:3], 1, s[24:25]
	flat_load_ushort v2, v[2:3]
	v_or_b32_e32 v3, 2, v39
	v_cmp_gt_i32_e64 s[0:1], s15, v3
	v_mov_b32_e32 v11, 0
	v_mov_b32_e32 v10, 0
	s_and_saveexec_b64 s[6:7], s[0:1]
	s_cbranch_execz .LBB673_34
; %bb.31:
	v_mad_u64_u32 v[6:7], s[0:1], v3, s16, 0
	v_mov_b32_e32 v8, v7
	v_mad_u64_u32 v[8:9], s[0:1], v3, s17, v[8:9]
	v_mov_b32_e32 v7, v8
	v_lshl_add_u64 v[6:7], v[6:7], 1, s[24:25]
	flat_load_ushort v3, v[6:7]
	v_or_b32_e32 v5, 3, v39
	v_cmp_gt_i32_e64 s[0:1], s15, v5
	v_mov_b32_e32 v10, 0
	s_and_saveexec_b64 s[18:19], s[0:1]
	s_cbranch_execz .LBB673_33
; %bb.32:
	v_mad_u64_u32 v[6:7], s[0:1], v5, s16, 0
	v_mov_b32_e32 v8, v7
	v_mad_u64_u32 v[8:9], s[0:1], v5, s17, v[8:9]
	v_mov_b32_e32 v7, v8
	v_lshl_add_u64 v[6:7], v[6:7], 1, s[24:25]
	flat_load_ushort v5, v[6:7]
	s_waitcnt vmcnt(0) lgkmcnt(0)
	v_lshlrev_b32_e32 v10, 16, v5
.LBB673_33:
	s_or_b64 exec, exec, s[18:19]
	s_waitcnt vmcnt(0) lgkmcnt(0)
	v_lshlrev_b32_e32 v11, 16, v3
.LBB673_34:
	s_or_b64 exec, exec, s[6:7]
	s_waitcnt vmcnt(0) lgkmcnt(0)
	v_lshlrev_b32_e32 v12, 16, v2
.LBB673_35:
	s_or_b64 exec, exec, s[4:5]
	s_waitcnt vmcnt(0) lgkmcnt(0)
	v_lshlrev_b32_e32 v13, 16, v1
.LBB673_36:
	s_or_b64 exec, exec, s[2:3]
	v_cmp_gt_i32_e64 s[0:1], s14, v0
	s_and_saveexec_b64 s[2:3], s[0:1]
	s_cbranch_execz .LBB673_44
; %bb.37:
	v_mad_u64_u32 v[2:3], s[0:1], v39, s20, 0
	v_mov_b32_e32 v6, v3
	v_mad_u64_u32 v[6:7], s[0:1], v39, s21, v[6:7]
	v_ashrrev_i32_e32 v1, 31, v0
	v_cndmask_b32_e32 v3, 0, v6, vcc
	v_mad_u64_u32 v[6:7], s[0:1], v4, s20, 0
	v_cndmask_b32_e32 v2, 0, v2, vcc
	v_lshlrev_b64 v[8:9], 1, v[0:1]
	v_mov_b32_e32 v14, v7
	v_cmp_gt_i32_e32 vcc, s15, v4
	v_or_b32_e32 v1, 2, v39
	v_mad_u64_u32 v[14:15], s[0:1], v4, s21, v[14:15]
	v_cndmask_b32_e32 v4, 0, v6, vcc
	v_mad_u64_u32 v[6:7], s[0:1], v1, s20, 0
	v_cndmask_b32_e32 v5, 0, v14, vcc
	v_mov_b32_e32 v14, v7
	v_mad_u64_u32 v[14:15], s[0:1], v1, s21, v[14:15]
	v_cmp_gt_i32_e32 vcc, s15, v1
	v_or_b32_e32 v1, 3, v39
	v_lshl_add_u64 v[2:3], v[2:3], 1, s[22:23]
	v_cndmask_b32_e32 v7, 0, v14, vcc
	v_mad_u64_u32 v[14:15], s[0:1], v1, s20, 0
	v_mov_b32_e32 v16, v15
	v_lshl_add_u64 v[2:3], v[2:3], 0, v[8:9]
	v_lshl_add_u64 v[4:5], v[4:5], 1, s[22:23]
	v_cndmask_b32_e32 v6, 0, v6, vcc
	v_mad_u64_u32 v[16:17], s[0:1], v1, s21, v[16:17]
	v_cmp_gt_i32_e32 vcc, s15, v1
	v_lshl_add_u64 v[4:5], v[4:5], 0, v[8:9]
	v_lshl_add_u64 v[6:7], v[6:7], 1, s[22:23]
	v_cndmask_b32_e32 v14, 0, v14, vcc
	v_cndmask_b32_e32 v15, 0, v16, vcc
	flat_load_ushort v1, v[2:3]
	flat_load_ushort v16, v[4:5]
	v_lshl_add_u64 v[6:7], v[6:7], 0, v[8:9]
	v_lshl_add_u64 v[14:15], v[14:15], 1, s[22:23]
	;; [unrolled: 1-line block ×3, first 2 shown]
	flat_load_ushort v14, v[6:7]
	flat_load_ushort v15, v[8:9]
	v_add_u32_e32 v17, 64, v0
	v_cmp_gt_i32_e32 vcc, s14, v17
	s_waitcnt vmcnt(0) lgkmcnt(0)
	v_lshlrev_b32_e32 v1, 16, v1
	v_lshlrev_b32_e32 v16, 16, v16
	v_fmac_f32_e32 v35, v13, v1
	v_fmac_f32_e32 v35, v12, v16
	v_lshlrev_b32_e32 v14, 16, v14
	v_lshlrev_b32_e32 v1, 16, v15
	v_fmac_f32_e32 v35, v11, v14
	s_and_saveexec_b64 s[0:1], vcc
	s_cbranch_execz .LBB673_43
; %bb.38:
	flat_load_ushort v14, v[2:3] offset:128
	flat_load_ushort v15, v[4:5] offset:128
	;; [unrolled: 1-line block ×4, first 2 shown]
	v_add_u32_e32 v18, 0x80, v0
	v_cmp_gt_i32_e32 vcc, s14, v18
	s_waitcnt vmcnt(0) lgkmcnt(0)
	v_lshlrev_b32_e32 v19, 16, v14
	v_lshlrev_b32_e32 v15, 16, v15
	v_fmac_f32_e32 v36, v13, v19
	v_lshlrev_b32_e32 v16, 16, v16
	v_fmac_f32_e32 v36, v12, v15
	;; [unrolled: 2-line block ×3, first 2 shown]
	s_and_saveexec_b64 s[4:5], vcc
	s_cbranch_execz .LBB673_42
; %bb.39:
	flat_load_ushort v15, v[2:3] offset:256
	flat_load_ushort v16, v[4:5] offset:256
	;; [unrolled: 1-line block ×4, first 2 shown]
	v_add_u32_e32 v19, 0xc0, v0
	v_cmp_gt_i32_e32 vcc, s14, v19
	s_waitcnt vmcnt(0) lgkmcnt(0)
	v_lshlrev_b32_e32 v15, 16, v15
	v_lshlrev_b32_e32 v16, 16, v16
	v_fmac_f32_e32 v37, v13, v15
	v_lshlrev_b32_e32 v17, 16, v17
	v_fmac_f32_e32 v37, v12, v16
	;; [unrolled: 2-line block ×3, first 2 shown]
	s_and_saveexec_b64 s[6:7], vcc
	s_cbranch_execz .LBB673_41
; %bb.40:
	flat_load_ushort v15, v[2:3] offset:384
	flat_load_ushort v16, v[4:5] offset:384
	;; [unrolled: 1-line block ×4, first 2 shown]
	s_waitcnt vmcnt(0) lgkmcnt(0)
	v_lshlrev_b32_e32 v2, 16, v15
	v_lshlrev_b32_e32 v3, 16, v16
	v_fmac_f32_e32 v38, v13, v2
	v_lshlrev_b32_e32 v4, 16, v17
	v_fmac_f32_e32 v38, v12, v3
	v_fmac_f32_e32 v38, v11, v4
	v_lshlrev_b32_e32 v2, 16, v18
	v_fmac_f32_e32 v38, v10, v2
.LBB673_41:
	s_or_b64 exec, exec, s[6:7]
	v_fmac_f32_e32 v37, v10, v0
.LBB673_42:
	s_or_b64 exec, exec, s[4:5]
	v_fmac_f32_e32 v36, v10, v14
.LBB673_43:
	s_or_b64 exec, exec, s[0:1]
	v_fmac_f32_e32 v35, v10, v1
.LBB673_44:
	s_or_b64 exec, exec, s[2:3]
.LBB673_45:
	v_lshlrev_b32_e32 v0, 8, v34
	s_movk_i32 s0, 0x100
	v_add_lshl_u32 v0, v0, v33, 2
	v_cmp_gt_u32_e32 vcc, s0, v32
	ds_write2st64_b32 v0, v35, v36 offset1:1
	ds_write2st64_b32 v0, v37, v38 offset0:2 offset1:3
	s_waitcnt lgkmcnt(0)
	s_barrier
	s_waitcnt lgkmcnt(0)
                                        ; implicit-def: $vgpr1
                                        ; implicit-def: $vgpr2_vgpr3
	s_and_saveexec_b64 s[0:1], vcc
	s_cbranch_execz .LBB673_51
; %bb.46:
	v_lshlrev_b32_e32 v10, 2, v32
	ds_read2st64_b32 v[0:1], v10 offset1:4
	ds_read2st64_b32 v[2:3], v10 offset0:8 offset1:12
	ds_read2st64_b32 v[4:5], v10 offset0:16 offset1:20
	;; [unrolled: 1-line block ×4, first 2 shown]
	s_waitcnt lgkmcnt(4)
	v_add_f32_e32 v0, v0, v1
	s_waitcnt lgkmcnt(3)
	v_add_f32_e32 v0, v2, v0
	v_add_f32_e32 v0, v3, v0
	s_waitcnt lgkmcnt(2)
	v_add_f32_e32 v0, v4, v0
	v_add_f32_e32 v0, v5, v0
	s_waitcnt lgkmcnt(1)
	v_add_f32_e32 v0, v6, v0
	v_add_f32_e32 v2, v7, v0
	ds_read2st64_b32 v[0:1], v10 offset0:40 offset1:44
	s_waitcnt lgkmcnt(1)
	v_add_f32_e32 v4, v8, v2
	ds_read2st64_b32 v[2:3], v10 offset0:48 offset1:52
	v_add_f32_e32 v6, v9, v4
	ds_read2st64_b32 v[4:5], v10 offset0:56 offset1:60
	s_waitcnt lgkmcnt(2)
	v_add_f32_e32 v0, v0, v6
	v_add_f32_e32 v0, v1, v0
	s_waitcnt lgkmcnt(1)
	v_add_f32_e32 v0, v2, v0
	v_add_f32_e32 v0, v3, v0
	;; [unrolled: 3-line block ×3, first 2 shown]
	v_or_b32_e32 v0, s43, v32
	v_cmp_gt_i32_e32 vcc, s14, v0
	s_mov_b64 s[4:5], s[10:11]
	ds_write_b32 v10, v4
                                        ; implicit-def: $vgpr1
                                        ; implicit-def: $vgpr2_vgpr3
	s_and_saveexec_b64 s[2:3], vcc
	s_cbranch_execz .LBB673_50
; %bb.47:
	v_ashrrev_i32_e32 v2, 31, v0
	v_cmp_eq_f32_e64 s[4:5], s33, 0
	v_mul_f32_e32 v1, s42, v4
	v_mul_lo_u32 v4, v0, s13
	v_mul_lo_u32 v5, v2, s12
	v_mad_u64_u32 v[2:3], s[6:7], v0, s12, 0
	v_add3_u32 v3, v3, v4, v5
	s_and_b64 vcc, exec, s[4:5]
	s_cbranch_vccnz .LBB673_49
; %bb.48:
	v_lshl_add_u64 v[4:5], v[2:3], 2, s[8:9]
	global_load_dword v0, v[4:5], off
	s_waitcnt vmcnt(0)
	v_fmac_f32_e32 v1, s33, v0
.LBB673_49:
	s_or_b64 s[4:5], s[10:11], exec
.LBB673_50:
	s_or_b64 exec, exec, s[2:3]
	s_andn2_b64 s[2:3], s[10:11], exec
	s_and_b64 s[4:5], s[4:5], exec
	s_or_b64 s[10:11], s[2:3], s[4:5]
.LBB673_51:
	s_or_b64 exec, exec, s[0:1]
.LBB673_52:
	s_and_saveexec_b64 s[0:1], s[10:11]
	s_cbranch_execz .LBB673_54
; %bb.53:
	v_lshl_add_u64 v[2:3], v[2:3], 2, s[8:9]
	global_store_dword v[2:3], v1, off
.LBB673_54:
	s_endpgm
	.section	.rodata,"a",@progbits
	.p2align	6, 0x0
	.amdhsa_kernel _ZL20rocblas_gemvn_kernelILi64ELi16ElPK16rocblas_bfloat16PKfKPfEviiT3_lPKT2_lT1_lSA_lSB_lS7_lPT4_lSB_li
		.amdhsa_group_segment_fixed_size 16384
		.amdhsa_private_segment_fixed_size 0
		.amdhsa_kernarg_size 400
		.amdhsa_user_sgpr_count 2
		.amdhsa_user_sgpr_dispatch_ptr 0
		.amdhsa_user_sgpr_queue_ptr 0
		.amdhsa_user_sgpr_kernarg_segment_ptr 1
		.amdhsa_user_sgpr_dispatch_id 0
		.amdhsa_user_sgpr_kernarg_preload_length 0
		.amdhsa_user_sgpr_kernarg_preload_offset 0
		.amdhsa_user_sgpr_private_segment_size 0
		.amdhsa_uses_dynamic_stack 0
		.amdhsa_enable_private_segment 0
		.amdhsa_system_sgpr_workgroup_id_x 1
		.amdhsa_system_sgpr_workgroup_id_y 0
		.amdhsa_system_sgpr_workgroup_id_z 1
		.amdhsa_system_sgpr_workgroup_info 0
		.amdhsa_system_vgpr_workitem_id 1
		.amdhsa_next_free_vgpr 55
		.amdhsa_next_free_sgpr 45
		.amdhsa_accum_offset 56
		.amdhsa_reserve_vcc 1
		.amdhsa_float_round_mode_32 0
		.amdhsa_float_round_mode_16_64 0
		.amdhsa_float_denorm_mode_32 3
		.amdhsa_float_denorm_mode_16_64 3
		.amdhsa_dx10_clamp 1
		.amdhsa_ieee_mode 1
		.amdhsa_fp16_overflow 0
		.amdhsa_tg_split 0
		.amdhsa_exception_fp_ieee_invalid_op 0
		.amdhsa_exception_fp_denorm_src 0
		.amdhsa_exception_fp_ieee_div_zero 0
		.amdhsa_exception_fp_ieee_overflow 0
		.amdhsa_exception_fp_ieee_underflow 0
		.amdhsa_exception_fp_ieee_inexact 0
		.amdhsa_exception_int_div_zero 0
	.end_amdhsa_kernel
	.section	.text._ZL20rocblas_gemvn_kernelILi64ELi16ElPK16rocblas_bfloat16PKfKPfEviiT3_lPKT2_lT1_lSA_lSB_lS7_lPT4_lSB_li,"axG",@progbits,_ZL20rocblas_gemvn_kernelILi64ELi16ElPK16rocblas_bfloat16PKfKPfEviiT3_lPKT2_lT1_lSA_lSB_lS7_lPT4_lSB_li,comdat
.Lfunc_end673:
	.size	_ZL20rocblas_gemvn_kernelILi64ELi16ElPK16rocblas_bfloat16PKfKPfEviiT3_lPKT2_lT1_lSA_lSB_lS7_lPT4_lSB_li, .Lfunc_end673-_ZL20rocblas_gemvn_kernelILi64ELi16ElPK16rocblas_bfloat16PKfKPfEviiT3_lPKT2_lT1_lSA_lSB_lS7_lPT4_lSB_li
                                        ; -- End function
	.section	.AMDGPU.csdata,"",@progbits
; Kernel info:
; codeLenInByte = 2804
; NumSgprs: 51
; NumVgprs: 55
; NumAgprs: 0
; TotalNumVgprs: 55
; ScratchSize: 0
; MemoryBound: 0
; FloatMode: 240
; IeeeMode: 1
; LDSByteSize: 16384 bytes/workgroup (compile time only)
; SGPRBlocks: 6
; VGPRBlocks: 6
; NumSGPRsForWavesPerEU: 51
; NumVGPRsForWavesPerEU: 55
; AccumOffset: 56
; Occupancy: 8
; WaveLimiterHint : 1
; COMPUTE_PGM_RSRC2:SCRATCH_EN: 0
; COMPUTE_PGM_RSRC2:USER_SGPR: 2
; COMPUTE_PGM_RSRC2:TRAP_HANDLER: 0
; COMPUTE_PGM_RSRC2:TGID_X_EN: 1
; COMPUTE_PGM_RSRC2:TGID_Y_EN: 0
; COMPUTE_PGM_RSRC2:TGID_Z_EN: 1
; COMPUTE_PGM_RSRC2:TIDIG_COMP_CNT: 1
; COMPUTE_PGM_RSRC3_GFX90A:ACCUM_OFFSET: 13
; COMPUTE_PGM_RSRC3_GFX90A:TG_SPLIT: 0
	.section	.text._ZL20rocblas_gemvn_kernelILi64ELi16EiPK16rocblas_bfloat16fKPfEviiT3_lPKT2_lT1_lS8_lS9_lS5_lPT4_lS9_li,"axG",@progbits,_ZL20rocblas_gemvn_kernelILi64ELi16EiPK16rocblas_bfloat16fKPfEviiT3_lPKT2_lT1_lS8_lS9_lS5_lPT4_lS9_li,comdat
	.globl	_ZL20rocblas_gemvn_kernelILi64ELi16EiPK16rocblas_bfloat16fKPfEviiT3_lPKT2_lT1_lS8_lS9_lS5_lPT4_lS9_li ; -- Begin function _ZL20rocblas_gemvn_kernelILi64ELi16EiPK16rocblas_bfloat16fKPfEviiT3_lPKT2_lT1_lS8_lS9_lS5_lPT4_lS9_li
	.p2align	8
	.type	_ZL20rocblas_gemvn_kernelILi64ELi16EiPK16rocblas_bfloat16fKPfEviiT3_lPKT2_lT1_lS8_lS9_lS5_lPT4_lS9_li,@function
_ZL20rocblas_gemvn_kernelILi64ELi16EiPK16rocblas_bfloat16fKPfEviiT3_lPKT2_lT1_lS8_lS9_lS5_lPT4_lS9_li: ; @_ZL20rocblas_gemvn_kernelILi64ELi16EiPK16rocblas_bfloat16fKPfEviiT3_lPKT2_lT1_lS8_lS9_lS5_lPT4_lS9_li
; %bb.0:
	s_load_dwordx2 s[4:5], s[0:1], 0x9c
	s_mov_b32 s6, s3
	s_waitcnt lgkmcnt(0)
	s_and_b32 s3, s5, 0xffff
	s_lshr_b32 s5, s4, 16
	s_and_b32 s4, s4, 0xffff
	s_mul_i32 s4, s5, s4
	s_mul_i32 s4, s4, s3
	s_cmpk_lg_i32 s4, 0x400
	s_cbranch_scc1 .LBB674_56
; %bb.1:
	s_load_dwordx4 s[8:11], s[0:1], 0x0
	s_waitcnt lgkmcnt(0)
	s_load_dword s11, s[0:1], 0x58
	v_cmp_eq_f32_e64 s[4:5], s10, 0
	s_waitcnt lgkmcnt(0)
	v_cmp_eq_f32_e64 s[12:13], s11, 1.0
	s_and_b64 s[12:13], s[4:5], s[12:13]
	s_and_b64 vcc, exec, s[12:13]
	s_cbranch_vccnz .LBB674_56
; %bb.2:
	v_cmp_neq_f32_e64 s[12:13], s10, 0
	s_mov_b32 s7, 0
	s_and_b64 vcc, exec, s[12:13]
	s_cbranch_vccnz .LBB674_4
; %bb.3:
	s_mov_b64 s[16:17], 0
	s_cbranch_execz .LBB674_5
	s_branch .LBB674_6
.LBB674_4:
                                        ; implicit-def: $sgpr16_sgpr17
.LBB674_5:
	s_load_dwordx4 s[16:19], s[0:1], 0x18
	s_lshl_b64 s[14:15], s[6:7], 3
	s_waitcnt lgkmcnt(0)
	s_add_u32 s14, s16, s14
	s_addc_u32 s15, s17, s15
	s_load_dwordx2 s[14:15], s[14:15], 0x0
	s_lshl_b64 s[16:17], s[18:19], 1
	s_waitcnt lgkmcnt(0)
	s_add_u32 s16, s14, s16
	s_addc_u32 s17, s15, s17
.LBB674_6:
	s_mov_b64 s[14:15], 0
	s_andn2_b64 vcc, exec, s[12:13]
	s_mov_b64 s[18:19], 0
	s_cbranch_vccnz .LBB674_8
; %bb.7:
	s_load_dwordx4 s[20:23], s[0:1], 0x38
	s_lshl_b64 s[12:13], s[6:7], 3
	s_waitcnt lgkmcnt(0)
	s_add_u32 s12, s20, s12
	s_addc_u32 s13, s21, s13
	s_load_dwordx2 s[12:13], s[12:13], 0x0
	s_lshl_b64 s[18:19], s[22:23], 1
	s_waitcnt lgkmcnt(0)
	s_add_u32 s18, s12, s18
	s_addc_u32 s19, s13, s19
.LBB674_8:
	s_load_dwordx4 s[20:23], s[0:1], 0x68
	s_load_dword s30, s[0:1], 0x78
	s_lshl_b64 s[6:7], s[6:7], 3
	v_and_b32_e32 v2, 0x3ff, v0
	v_bfe_u32 v18, v0, 10, 10
	s_waitcnt lgkmcnt(0)
	s_add_u32 s6, s20, s6
	s_addc_u32 s7, s21, s7
	s_load_dwordx2 s[6:7], s[6:7], 0x0
	s_lshl_b64 s[12:13], s[22:23], 2
	v_lshl_add_u32 v3, v18, 6, v2
	s_waitcnt lgkmcnt(0)
	s_add_u32 s12, s6, s12
	s_addc_u32 s13, s7, s13
	s_andn2_b64 vcc, exec, s[4:5]
	s_cbranch_vccnz .LBB674_15
; %bb.9:
	s_movk_i32 s3, 0x100
	v_cmp_gt_u32_e32 vcc, s3, v3
	s_mov_b64 s[4:5], 0
                                        ; implicit-def: $vgpr1
                                        ; implicit-def: $vgpr4_vgpr5
	s_and_saveexec_b64 s[6:7], vcc
	s_cbranch_execz .LBB674_16
; %bb.10:
	v_lshl_or_b32 v0, s2, 8, v3
	v_mov_b32_e32 v1, 0
	s_ashr_i32 s15, s8, 31
	s_mov_b32 s14, s8
	v_cmp_gt_i64_e32 vcc, s[14:15], v[0:1]
	s_mov_b64 s[20:21], 0
                                        ; implicit-def: $vgpr4_vgpr5
	s_and_saveexec_b64 s[14:15], vcc
	s_cbranch_execz .LBB674_14
; %bb.11:
	v_mad_u64_u32 v[4:5], s[22:23], s30, v0, 0
	s_ashr_i32 s3, s30, 31
	v_mov_b32_e32 v6, v5
	v_cmp_eq_f32_e64 s[20:21], s11, 0
	v_mad_u64_u32 v[6:7], s[22:23], s3, v0, v[6:7]
	v_mov_b32_e32 v5, v6
	s_and_b64 vcc, exec, s[20:21]
	s_cbranch_vccnz .LBB674_13
; %bb.12:
	v_lshl_add_u64 v[0:1], v[4:5], 2, s[12:13]
	global_load_dword v0, v[0:1], off
	s_waitcnt vmcnt(0)
	v_mul_f32_e32 v1, s11, v0
.LBB674_13:
	s_mov_b64 s[20:21], exec
.LBB674_14:
	s_or_b64 exec, exec, s[14:15]
	s_and_b64 s[14:15], s[20:21], exec
	s_or_b64 exec, exec, s[6:7]
	s_and_b64 vcc, exec, s[4:5]
	s_cbranch_vccnz .LBB674_17
	s_branch .LBB674_54
.LBB674_15:
                                        ; implicit-def: $vgpr1
                                        ; implicit-def: $vgpr4_vgpr5
	s_cbranch_execnz .LBB674_17
	s_branch .LBB674_54
.LBB674_16:
	s_or_b64 exec, exec, s[6:7]
	s_and_b64 vcc, exec, s[4:5]
	s_cbranch_vccz .LBB674_54
.LBB674_17:
	s_load_dword s33, s[0:1], 0x28
	s_load_dword s34, s[0:1], 0x48
	s_ashr_i32 s0, s9, 31
	s_lshr_b32 s0, s0, 26
	s_add_i32 s35, s9, s0
	s_lshl_b32 s31, s2, 8
	s_andn2_b32 s35, s35, 63
	v_lshlrev_b32_e32 v24, 2, v18
	v_add_u32_e32 v23, s31, v2
	v_cmp_gt_i32_e32 vcc, s35, v24
	v_mov_b32_e32 v19, 0
	v_mov_b32_e32 v20, 0
	;; [unrolled: 1-line block ×4, first 2 shown]
	s_and_saveexec_b64 s[20:21], vcc
	s_cbranch_execz .LBB674_29
; %bb.18:
	v_add_u32_e32 v0, 64, v23
	v_cmp_gt_i32_e64 s[0:1], s8, v0
	v_add_u32_e32 v0, 0x80, v23
	v_cmp_gt_i32_e64 s[2:3], s8, v0
	;; [unrolled: 2-line block ×3, first 2 shown]
	s_waitcnt lgkmcnt(0)
	v_mul_lo_u32 v0, s33, v24
	v_add_u32_e32 v6, 2, v24
	v_add_u32_e32 v7, 3, v24
	v_add3_u32 v25, v0, s33, v2
	v_mad_u64_u32 v[0:1], s[6:7], s33, v6, v[2:3]
	v_mad_u64_u32 v[4:5], s[6:7], s33, v7, v[2:3]
	v_mul_lo_u32 v1, v18, s33
	v_mul_lo_u32 v5, s34, v24
	;; [unrolled: 1-line block ×4, first 2 shown]
	v_cmp_gt_i32_e32 vcc, s8, v23
	s_lshl_b32 s36, s33, 6
	v_lshl_add_u32 v1, v1, 2, v2
	v_add_u32_e32 v5, s34, v5
	s_lshl_b32 s37, s34, 6
	v_mul_lo_u32 v27, s34, v7
	v_lshlrev_b32_e32 v28, 2, v6
	s_mov_b32 s38, 0
	s_mov_b64 s[22:23], 0
	v_mov_b32_e32 v19, 0
	v_mov_b32_e32 v20, 0
	;; [unrolled: 1-line block ×4, first 2 shown]
	s_branch .LBB674_23
.LBB674_19:                             ;   in Loop: Header=BB674_23 Depth=1
	s_or_b64 exec, exec, s[28:29]
	s_waitcnt vmcnt(0) lgkmcnt(0)
	v_lshlrev_b32_e32 v10, 16, v40
	v_fmac_f32_e32 v21, v8, v10
	v_lshlrev_b32_e32 v10, 16, v39
	v_fmac_f32_e32 v21, v9, v10
	v_lshlrev_b32_e32 v10, 16, v38
	v_fmac_f32_e32 v21, v6, v10
	v_lshlrev_b32_e32 v10, 16, v37
	v_fmac_f32_e32 v21, v7, v10
.LBB674_20:                             ;   in Loop: Header=BB674_23 Depth=1
	s_or_b64 exec, exec, s[26:27]
	s_waitcnt vmcnt(0) lgkmcnt(0)
	v_lshlrev_b32_e32 v10, 16, v36
	v_fmac_f32_e32 v20, v8, v10
	v_lshlrev_b32_e32 v10, 16, v35
	v_fmac_f32_e32 v20, v9, v10
	v_lshlrev_b32_e32 v10, 16, v34
	v_fmac_f32_e32 v20, v6, v10
	v_lshlrev_b32_e32 v10, 16, v33
	v_fmac_f32_e32 v20, v7, v10
.LBB674_21:                             ;   in Loop: Header=BB674_23 Depth=1
	s_or_b64 exec, exec, s[24:25]
	v_lshlrev_b32_e32 v10, 16, v32
	v_fmac_f32_e32 v19, v8, v10
	v_lshlrev_b32_e32 v8, 16, v31
	v_fmac_f32_e32 v19, v9, v8
	v_lshlrev_b32_e32 v8, 16, v30
	v_fmac_f32_e32 v19, v6, v8
	v_lshlrev_b32_e32 v6, 16, v29
	v_fmac_f32_e32 v19, v7, v6
.LBB674_22:                             ;   in Loop: Header=BB674_23 Depth=1
	s_or_b64 exec, exec, s[6:7]
	v_add_u32_e32 v24, 64, v24
	s_add_i32 s38, s38, s37
	v_cmp_le_i32_e64 s[6:7], s35, v24
	v_add_u32_e32 v25, s36, v25
	v_add_u32_e32 v0, s36, v0
	;; [unrolled: 1-line block ×3, first 2 shown]
	s_or_b64 s[22:23], s[6:7], s[22:23]
	v_add_u32_e32 v1, s36, v1
	s_andn2_b64 exec, exec, s[22:23]
	s_cbranch_execz .LBB674_28
.LBB674_23:                             ; =>This Inner Loop Header: Depth=1
	s_and_saveexec_b64 s[6:7], vcc
	s_cbranch_execz .LBB674_22
; %bb.24:                               ;   in Loop: Header=BB674_23 Depth=1
	v_add_u32_e32 v6, s38, v28
	v_ashrrev_i32_e32 v7, 31, v6
	v_add_u32_e32 v8, s38, v5
	v_add_u32_e32 v10, s38, v26
	v_add_u32_e32 v12, s38, v27
	v_lshl_add_u64 v[6:7], v[6:7], 1, s[18:19]
	v_ashrrev_i32_e32 v9, 31, v8
	v_ashrrev_i32_e32 v11, 31, v10
	;; [unrolled: 1-line block ×3, first 2 shown]
	v_lshl_add_u64 v[8:9], v[8:9], 1, s[18:19]
	v_lshl_add_u64 v[10:11], v[10:11], 1, s[18:19]
	;; [unrolled: 1-line block ×3, first 2 shown]
	flat_load_ushort v33, v[6:7]
	flat_load_ushort v34, v[8:9]
	;; [unrolled: 1-line block ×4, first 2 shown]
	v_add_u32_e32 v6, s31, v1
	v_ashrrev_i32_e32 v7, 31, v6
	v_lshl_add_u64 v[10:11], v[6:7], 1, s[16:17]
	v_add_u32_e32 v6, s31, v25
	v_ashrrev_i32_e32 v7, 31, v6
	v_lshl_add_u64 v[12:13], v[6:7], 1, s[16:17]
	;; [unrolled: 3-line block ×4, first 2 shown]
	flat_load_ushort v32, v[10:11]
	flat_load_ushort v31, v[12:13]
	;; [unrolled: 1-line block ×4, first 2 shown]
	s_waitcnt vmcnt(0) lgkmcnt(0)
	v_lshlrev_b32_e32 v8, 16, v33
	v_lshlrev_b32_e32 v9, 16, v34
	v_lshlrev_b32_e32 v6, 16, v35
	v_lshlrev_b32_e32 v7, 16, v36
	s_and_saveexec_b64 s[24:25], s[0:1]
	s_cbranch_execz .LBB674_21
; %bb.25:                               ;   in Loop: Header=BB674_23 Depth=1
	flat_load_ushort v36, v[10:11] offset:128
	flat_load_ushort v35, v[12:13] offset:128
	flat_load_ushort v34, v[14:15] offset:128
	flat_load_ushort v33, v[16:17] offset:128
	s_and_saveexec_b64 s[26:27], s[2:3]
	s_cbranch_execz .LBB674_20
; %bb.26:                               ;   in Loop: Header=BB674_23 Depth=1
	flat_load_ushort v40, v[10:11] offset:256
	flat_load_ushort v39, v[12:13] offset:256
	flat_load_ushort v38, v[14:15] offset:256
	flat_load_ushort v37, v[16:17] offset:256
	;; [unrolled: 7-line block ×3, first 2 shown]
	s_waitcnt vmcnt(0) lgkmcnt(0)
	v_lshlrev_b32_e32 v11, 16, v41
	v_lshlrev_b32_e32 v10, 16, v42
	v_pk_mul_f32 v[10:11], v[8:9], v[10:11]
	v_lshlrev_b32_e32 v13, 16, v43
	v_lshlrev_b32_e32 v12, 16, v44
	v_add_f32_e32 v10, v22, v10
	v_add_f32_e32 v14, v10, v11
	v_pk_mul_f32 v[10:11], v[6:7], v[12:13]
	s_nop 0
	v_add_f32_e32 v10, v14, v10
	v_add_f32_e32 v22, v10, v11
	s_branch .LBB674_19
.LBB674_28:
	s_or_b64 exec, exec, s[22:23]
.LBB674_29:
	s_or_b64 exec, exec, s[20:21]
	s_sub_i32 s0, s9, s35
	s_cmp_lt_i32 s0, 1
	s_cbranch_scc1 .LBB674_47
; %bb.30:
	v_cmp_gt_i32_e32 vcc, s9, v24
	v_mov_b32_e32 v10, 0
	v_or_b32_e32 v4, 1, v24
	v_mov_b32_e32 v11, 0
	v_mov_b32_e32 v12, 0
	;; [unrolled: 1-line block ×3, first 2 shown]
	s_and_saveexec_b64 s[2:3], vcc
	s_cbranch_execz .LBB674_38
; %bb.31:
	s_waitcnt lgkmcnt(0)
	v_mul_lo_u32 v0, v24, s34
	v_ashrrev_i32_e32 v1, 31, v0
	v_lshl_add_u64 v[0:1], v[0:1], 1, s[18:19]
	flat_load_ushort v0, v[0:1]
	v_cmp_gt_i32_e64 s[0:1], s9, v4
	v_mov_b32_e32 v12, 0
	v_mov_b32_e32 v11, 0
	;; [unrolled: 1-line block ×3, first 2 shown]
	s_and_saveexec_b64 s[4:5], s[0:1]
	s_cbranch_execz .LBB674_37
; %bb.32:
	v_mul_lo_u32 v6, v4, s34
	v_ashrrev_i32_e32 v7, 31, v6
	v_lshl_add_u64 v[6:7], v[6:7], 1, s[18:19]
	flat_load_ushort v1, v[6:7]
	v_or_b32_e32 v5, 2, v24
	v_cmp_gt_i32_e64 s[0:1], s9, v5
	v_mov_b32_e32 v11, 0
	v_mov_b32_e32 v10, 0
	s_and_saveexec_b64 s[6:7], s[0:1]
	s_cbranch_execz .LBB674_36
; %bb.33:
	v_mul_lo_u32 v6, v5, s34
	v_ashrrev_i32_e32 v7, 31, v6
	v_lshl_add_u64 v[6:7], v[6:7], 1, s[18:19]
	flat_load_ushort v5, v[6:7]
	v_or_b32_e32 v6, 3, v24
	v_cmp_gt_i32_e64 s[0:1], s9, v6
	v_mov_b32_e32 v10, 0
	s_and_saveexec_b64 s[20:21], s[0:1]
	s_cbranch_execz .LBB674_35
; %bb.34:
	v_mul_lo_u32 v6, v6, s34
	v_ashrrev_i32_e32 v7, 31, v6
	v_lshl_add_u64 v[6:7], v[6:7], 1, s[18:19]
	flat_load_ushort v6, v[6:7]
	s_waitcnt vmcnt(0) lgkmcnt(0)
	v_lshlrev_b32_e32 v10, 16, v6
.LBB674_35:
	s_or_b64 exec, exec, s[20:21]
	s_waitcnt vmcnt(0) lgkmcnt(0)
	v_lshlrev_b32_e32 v11, 16, v5
.LBB674_36:
	s_or_b64 exec, exec, s[6:7]
	s_waitcnt vmcnt(0) lgkmcnt(0)
	v_lshlrev_b32_e32 v12, 16, v1
.LBB674_37:
	s_or_b64 exec, exec, s[4:5]
	s_waitcnt vmcnt(0) lgkmcnt(0)
	v_lshlrev_b32_e32 v13, 16, v0
.LBB674_38:
	s_or_b64 exec, exec, s[2:3]
	v_cmp_gt_i32_e64 s[0:1], s8, v23
	s_and_saveexec_b64 s[2:3], s[0:1]
	s_cbranch_execz .LBB674_46
; %bb.39:
	s_waitcnt lgkmcnt(0)
	v_mul_lo_u32 v0, v24, s33
	v_cndmask_b32_e32 v0, 0, v0, vcc
	v_mul_lo_u32 v5, v4, s33
	v_cmp_gt_i32_e32 vcc, s9, v4
	v_or_b32_e32 v6, 2, v24
	v_add_u32_e32 v0, v0, v23
	v_cndmask_b32_e32 v4, 0, v5, vcc
	v_mul_lo_u32 v7, v6, s33
	v_cmp_gt_i32_e32 vcc, s9, v6
	v_or_b32_e32 v8, 3, v24
	v_ashrrev_i32_e32 v1, 31, v0
	v_add_u32_e32 v4, v4, v23
	v_cndmask_b32_e32 v6, 0, v7, vcc
	v_mul_lo_u32 v9, v8, s33
	v_cmp_gt_i32_e32 vcc, s9, v8
	v_lshl_add_u64 v[0:1], v[0:1], 1, s[16:17]
	v_ashrrev_i32_e32 v5, 31, v4
	v_add_u32_e32 v6, v6, v23
	v_cndmask_b32_e32 v8, 0, v9, vcc
	v_lshl_add_u64 v[4:5], v[4:5], 1, s[16:17]
	v_ashrrev_i32_e32 v7, 31, v6
	v_add_u32_e32 v8, v8, v23
	flat_load_ushort v14, v[0:1]
	flat_load_ushort v15, v[4:5]
	v_lshl_add_u64 v[6:7], v[6:7], 1, s[16:17]
	v_ashrrev_i32_e32 v9, 31, v8
	v_lshl_add_u64 v[8:9], v[8:9], 1, s[16:17]
	flat_load_ushort v16, v[6:7]
	flat_load_ushort v17, v[8:9]
	v_add_u32_e32 v24, 64, v23
	v_cmp_gt_i32_e32 vcc, s8, v24
	s_waitcnt vmcnt(0) lgkmcnt(0)
	v_lshlrev_b32_e32 v14, 16, v14
	v_lshlrev_b32_e32 v15, 16, v15
	v_fmac_f32_e32 v19, v13, v14
	v_fmac_f32_e32 v19, v12, v15
	v_lshlrev_b32_e32 v16, 16, v16
	v_lshlrev_b32_e32 v14, 16, v17
	v_fmac_f32_e32 v19, v11, v16
	s_and_saveexec_b64 s[0:1], vcc
	s_cbranch_execz .LBB674_45
; %bb.40:
	flat_load_ushort v15, v[0:1] offset:128
	flat_load_ushort v16, v[4:5] offset:128
	flat_load_ushort v17, v[6:7] offset:128
	flat_load_ushort v24, v[8:9] offset:128
	v_add_u32_e32 v25, 0x80, v23
	v_cmp_gt_i32_e32 vcc, s8, v25
	s_waitcnt vmcnt(0) lgkmcnt(0)
	v_lshlrev_b32_e32 v26, 16, v15
	v_lshlrev_b32_e32 v16, 16, v16
	v_fmac_f32_e32 v20, v13, v26
	v_lshlrev_b32_e32 v17, 16, v17
	v_fmac_f32_e32 v20, v12, v16
	;; [unrolled: 2-line block ×3, first 2 shown]
	s_and_saveexec_b64 s[4:5], vcc
	s_cbranch_execz .LBB674_44
; %bb.41:
	flat_load_ushort v16, v[0:1] offset:256
	flat_load_ushort v17, v[4:5] offset:256
	;; [unrolled: 1-line block ×4, first 2 shown]
	v_add_u32_e32 v23, 0xc0, v23
	v_cmp_gt_i32_e32 vcc, s8, v23
	s_waitcnt vmcnt(0) lgkmcnt(0)
	v_lshlrev_b32_e32 v26, 16, v16
	v_lshlrev_b32_e32 v17, 16, v17
	v_fmac_f32_e32 v21, v13, v26
	v_lshlrev_b32_e32 v24, 16, v24
	v_fmac_f32_e32 v21, v12, v17
	;; [unrolled: 2-line block ×3, first 2 shown]
	s_and_saveexec_b64 s[6:7], vcc
	s_cbranch_execz .LBB674_43
; %bb.42:
	flat_load_ushort v17, v[0:1] offset:384
	flat_load_ushort v23, v[4:5] offset:384
	;; [unrolled: 1-line block ×4, first 2 shown]
	s_waitcnt vmcnt(0) lgkmcnt(0)
	v_lshlrev_b32_e32 v0, 16, v17
	v_lshlrev_b32_e32 v1, 16, v23
	v_fmac_f32_e32 v22, v13, v0
	v_lshlrev_b32_e32 v4, 16, v24
	v_fmac_f32_e32 v22, v12, v1
	v_fmac_f32_e32 v22, v11, v4
	v_lshlrev_b32_e32 v0, 16, v25
	v_fmac_f32_e32 v22, v10, v0
.LBB674_43:
	s_or_b64 exec, exec, s[6:7]
	v_fmac_f32_e32 v21, v10, v16
.LBB674_44:
	s_or_b64 exec, exec, s[4:5]
	v_fmac_f32_e32 v20, v10, v15
.LBB674_45:
	s_or_b64 exec, exec, s[0:1]
	v_fmac_f32_e32 v19, v10, v14
.LBB674_46:
	s_or_b64 exec, exec, s[2:3]
.LBB674_47:
	v_lshlrev_b32_e32 v0, 8, v18
	s_movk_i32 s0, 0x100
	v_add_lshl_u32 v0, v0, v2, 2
	v_cmp_gt_u32_e32 vcc, s0, v3
	ds_write2st64_b32 v0, v19, v20 offset1:1
	ds_write2st64_b32 v0, v21, v22 offset0:2 offset1:3
	s_waitcnt lgkmcnt(0)
	s_barrier
	s_waitcnt lgkmcnt(0)
                                        ; implicit-def: $vgpr1
                                        ; implicit-def: $vgpr4_vgpr5
	s_and_saveexec_b64 s[0:1], vcc
	s_cbranch_execz .LBB674_53
; %bb.48:
	v_lshlrev_b32_e32 v2, 2, v3
	ds_read2st64_b32 v[0:1], v2 offset1:4
	ds_read2st64_b32 v[4:5], v2 offset0:8 offset1:12
	ds_read2st64_b32 v[6:7], v2 offset0:16 offset1:20
	;; [unrolled: 1-line block ×4, first 2 shown]
	s_waitcnt lgkmcnt(4)
	v_add_f32_e32 v0, v0, v1
	s_waitcnt lgkmcnt(3)
	v_add_f32_e32 v0, v4, v0
	v_add_f32_e32 v0, v5, v0
	s_waitcnt lgkmcnt(2)
	v_add_f32_e32 v0, v6, v0
	;; [unrolled: 3-line block ×3, first 2 shown]
	v_add_f32_e32 v4, v9, v0
	ds_read2st64_b32 v[0:1], v2 offset0:40 offset1:44
	s_waitcnt lgkmcnt(1)
	v_add_f32_e32 v6, v10, v4
	ds_read2st64_b32 v[4:5], v2 offset0:48 offset1:52
	v_add_f32_e32 v8, v11, v6
	ds_read2st64_b32 v[6:7], v2 offset0:56 offset1:60
	s_waitcnt lgkmcnt(2)
	v_add_f32_e32 v0, v0, v8
	v_add_f32_e32 v0, v1, v0
	s_waitcnt lgkmcnt(1)
	v_add_f32_e32 v0, v4, v0
	v_add_f32_e32 v0, v5, v0
	;; [unrolled: 3-line block ×3, first 2 shown]
	ds_write_b32 v2, v0
	v_or_b32_e32 v2, s31, v3
	v_cmp_gt_i32_e32 vcc, s8, v2
	s_mov_b64 s[4:5], s[14:15]
                                        ; implicit-def: $vgpr1
                                        ; implicit-def: $vgpr4_vgpr5
	s_and_saveexec_b64 s[2:3], vcc
	s_cbranch_execz .LBB674_52
; %bb.49:
	v_cmp_eq_f32_e64 s[4:5], s11, 0
	v_mul_lo_u32 v4, v2, s30
	v_mul_f32_e32 v1, s10, v0
	v_ashrrev_i32_e32 v5, 31, v4
	s_and_b64 vcc, exec, s[4:5]
	s_cbranch_vccnz .LBB674_51
; %bb.50:
	v_lshl_add_u64 v[2:3], v[4:5], 2, s[12:13]
	global_load_dword v0, v[2:3], off
	s_waitcnt vmcnt(0)
	v_fmac_f32_e32 v1, s11, v0
.LBB674_51:
	s_or_b64 s[4:5], s[14:15], exec
.LBB674_52:
	s_or_b64 exec, exec, s[2:3]
	s_andn2_b64 s[2:3], s[14:15], exec
	s_and_b64 s[4:5], s[4:5], exec
	s_or_b64 s[14:15], s[2:3], s[4:5]
.LBB674_53:
	s_or_b64 exec, exec, s[0:1]
.LBB674_54:
	s_and_saveexec_b64 s[0:1], s[14:15]
	s_cbranch_execz .LBB674_56
; %bb.55:
	v_lshl_add_u64 v[2:3], v[4:5], 2, s[12:13]
	global_store_dword v[2:3], v1, off
.LBB674_56:
	s_endpgm
	.section	.rodata,"a",@progbits
	.p2align	6, 0x0
	.amdhsa_kernel _ZL20rocblas_gemvn_kernelILi64ELi16EiPK16rocblas_bfloat16fKPfEviiT3_lPKT2_lT1_lS8_lS9_lS5_lPT4_lS9_li
		.amdhsa_group_segment_fixed_size 16384
		.amdhsa_private_segment_fixed_size 0
		.amdhsa_kernarg_size 400
		.amdhsa_user_sgpr_count 2
		.amdhsa_user_sgpr_dispatch_ptr 0
		.amdhsa_user_sgpr_queue_ptr 0
		.amdhsa_user_sgpr_kernarg_segment_ptr 1
		.amdhsa_user_sgpr_dispatch_id 0
		.amdhsa_user_sgpr_kernarg_preload_length 0
		.amdhsa_user_sgpr_kernarg_preload_offset 0
		.amdhsa_user_sgpr_private_segment_size 0
		.amdhsa_uses_dynamic_stack 0
		.amdhsa_enable_private_segment 0
		.amdhsa_system_sgpr_workgroup_id_x 1
		.amdhsa_system_sgpr_workgroup_id_y 0
		.amdhsa_system_sgpr_workgroup_id_z 1
		.amdhsa_system_sgpr_workgroup_info 0
		.amdhsa_system_vgpr_workitem_id 1
		.amdhsa_next_free_vgpr 45
		.amdhsa_next_free_sgpr 39
		.amdhsa_accum_offset 48
		.amdhsa_reserve_vcc 1
		.amdhsa_float_round_mode_32 0
		.amdhsa_float_round_mode_16_64 0
		.amdhsa_float_denorm_mode_32 3
		.amdhsa_float_denorm_mode_16_64 3
		.amdhsa_dx10_clamp 1
		.amdhsa_ieee_mode 1
		.amdhsa_fp16_overflow 0
		.amdhsa_tg_split 0
		.amdhsa_exception_fp_ieee_invalid_op 0
		.amdhsa_exception_fp_denorm_src 0
		.amdhsa_exception_fp_ieee_div_zero 0
		.amdhsa_exception_fp_ieee_overflow 0
		.amdhsa_exception_fp_ieee_underflow 0
		.amdhsa_exception_fp_ieee_inexact 0
		.amdhsa_exception_int_div_zero 0
	.end_amdhsa_kernel
	.section	.text._ZL20rocblas_gemvn_kernelILi64ELi16EiPK16rocblas_bfloat16fKPfEviiT3_lPKT2_lT1_lS8_lS9_lS5_lPT4_lS9_li,"axG",@progbits,_ZL20rocblas_gemvn_kernelILi64ELi16EiPK16rocblas_bfloat16fKPfEviiT3_lPKT2_lT1_lS8_lS9_lS5_lPT4_lS9_li,comdat
.Lfunc_end674:
	.size	_ZL20rocblas_gemvn_kernelILi64ELi16EiPK16rocblas_bfloat16fKPfEviiT3_lPKT2_lT1_lS8_lS9_lS5_lPT4_lS9_li, .Lfunc_end674-_ZL20rocblas_gemvn_kernelILi64ELi16EiPK16rocblas_bfloat16fKPfEviiT3_lPKT2_lT1_lS8_lS9_lS5_lPT4_lS9_li
                                        ; -- End function
	.section	.AMDGPU.csdata,"",@progbits
; Kernel info:
; codeLenInByte = 2472
; NumSgprs: 45
; NumVgprs: 45
; NumAgprs: 0
; TotalNumVgprs: 45
; ScratchSize: 0
; MemoryBound: 0
; FloatMode: 240
; IeeeMode: 1
; LDSByteSize: 16384 bytes/workgroup (compile time only)
; SGPRBlocks: 5
; VGPRBlocks: 5
; NumSGPRsForWavesPerEU: 45
; NumVGPRsForWavesPerEU: 45
; AccumOffset: 48
; Occupancy: 8
; WaveLimiterHint : 1
; COMPUTE_PGM_RSRC2:SCRATCH_EN: 0
; COMPUTE_PGM_RSRC2:USER_SGPR: 2
; COMPUTE_PGM_RSRC2:TRAP_HANDLER: 0
; COMPUTE_PGM_RSRC2:TGID_X_EN: 1
; COMPUTE_PGM_RSRC2:TGID_Y_EN: 0
; COMPUTE_PGM_RSRC2:TGID_Z_EN: 1
; COMPUTE_PGM_RSRC2:TIDIG_COMP_CNT: 1
; COMPUTE_PGM_RSRC3_GFX90A:ACCUM_OFFSET: 11
; COMPUTE_PGM_RSRC3_GFX90A:TG_SPLIT: 0
	.section	.text._ZL20rocblas_gemvn_kernelILi64ELi16ElPK16rocblas_bfloat16fKPfEviiT3_lPKT2_lT1_lS8_lS9_lS5_lPT4_lS9_li,"axG",@progbits,_ZL20rocblas_gemvn_kernelILi64ELi16ElPK16rocblas_bfloat16fKPfEviiT3_lPKT2_lT1_lS8_lS9_lS5_lPT4_lS9_li,comdat
	.globl	_ZL20rocblas_gemvn_kernelILi64ELi16ElPK16rocblas_bfloat16fKPfEviiT3_lPKT2_lT1_lS8_lS9_lS5_lPT4_lS9_li ; -- Begin function _ZL20rocblas_gemvn_kernelILi64ELi16ElPK16rocblas_bfloat16fKPfEviiT3_lPKT2_lT1_lS8_lS9_lS5_lPT4_lS9_li
	.p2align	8
	.type	_ZL20rocblas_gemvn_kernelILi64ELi16ElPK16rocblas_bfloat16fKPfEviiT3_lPKT2_lT1_lS8_lS9_lS5_lPT4_lS9_li,@function
_ZL20rocblas_gemvn_kernelILi64ELi16ElPK16rocblas_bfloat16fKPfEviiT3_lPKT2_lT1_lS8_lS9_lS5_lPT4_lS9_li: ; @_ZL20rocblas_gemvn_kernelILi64ELi16ElPK16rocblas_bfloat16fKPfEviiT3_lPKT2_lT1_lS8_lS9_lS5_lPT4_lS9_li
; %bb.0:
	s_load_dwordx2 s[4:5], s[0:1], 0x9c
	s_mov_b32 s12, s3
	s_waitcnt lgkmcnt(0)
	s_and_b32 s3, s5, 0xffff
	s_lshr_b32 s5, s4, 16
	s_and_b32 s4, s4, 0xffff
	s_mul_i32 s4, s5, s4
	s_mul_i32 s4, s4, s3
	s_cmpk_lg_i32 s4, 0x400
	s_cbranch_scc1 .LBB675_56
; %bb.1:
	s_load_dwordx4 s[8:11], s[0:1], 0x0
	s_waitcnt lgkmcnt(0)
	s_load_dword s11, s[0:1], 0x58
	v_cmp_eq_f32_e64 s[26:27], s10, 0
	s_waitcnt lgkmcnt(0)
	v_cmp_eq_f32_e64 s[4:5], s11, 1.0
	s_and_b64 s[4:5], s[26:27], s[4:5]
	s_and_b64 vcc, exec, s[4:5]
	s_cbranch_vccnz .LBB675_56
; %bb.2:
	s_load_dwordx4 s[4:7], s[0:1], 0x18
	s_load_dwordx2 s[18:19], s[0:1], 0x28
	v_cmp_neq_f32_e64 s[16:17], s10, 0
	s_mov_b32 s13, 0
	s_and_b64 vcc, exec, s[16:17]
	s_cbranch_vccnz .LBB675_4
; %bb.3:
	s_mov_b64 s[20:21], 0
	s_cbranch_execz .LBB675_5
	s_branch .LBB675_6
.LBB675_4:
                                        ; implicit-def: $sgpr20_sgpr21
.LBB675_5:
	s_lshl_b64 s[14:15], s[12:13], 3
	s_waitcnt lgkmcnt(0)
	s_add_u32 s4, s4, s14
	s_addc_u32 s5, s5, s15
	s_load_dwordx2 s[4:5], s[4:5], 0x0
	s_lshl_b64 s[6:7], s[6:7], 1
	s_waitcnt lgkmcnt(0)
	s_add_u32 s20, s4, s6
	s_addc_u32 s21, s5, s7
.LBB675_6:
	s_waitcnt lgkmcnt(0)
	s_load_dwordx4 s[4:7], s[0:1], 0x38
	s_load_dwordx2 s[22:23], s[0:1], 0x48
	s_mov_b64 s[14:15], 0
	s_andn2_b64 vcc, exec, s[16:17]
	s_mov_b64 s[24:25], 0
	s_cbranch_vccnz .LBB675_8
; %bb.7:
	s_lshl_b64 s[16:17], s[12:13], 3
	s_waitcnt lgkmcnt(0)
	s_add_u32 s4, s4, s16
	s_addc_u32 s5, s5, s17
	s_load_dwordx2 s[4:5], s[4:5], 0x0
	s_lshl_b64 s[6:7], s[6:7], 1
	s_waitcnt lgkmcnt(0)
	s_add_u32 s24, s4, s6
	s_addc_u32 s25, s5, s7
.LBB675_8:
	s_waitcnt lgkmcnt(0)
	s_load_dwordx4 s[4:7], s[0:1], 0x68
	s_load_dwordx2 s[16:17], s[0:1], 0x78
	s_lshl_b64 s[0:1], s[12:13], 3
	v_and_b32_e32 v33, 0x3ff, v0
	v_bfe_u32 v34, v0, 10, 10
	s_waitcnt lgkmcnt(0)
	s_add_u32 s0, s4, s0
	s_addc_u32 s1, s5, s1
	s_load_dwordx2 s[0:1], s[0:1], 0x0
	s_lshl_b64 s[4:5], s[6:7], 2
	v_lshl_add_u32 v32, v34, 6, v33
	s_waitcnt lgkmcnt(0)
	s_add_u32 s12, s0, s4
	s_addc_u32 s13, s1, s5
	s_andn2_b64 vcc, exec, s[26:27]
	s_cbranch_vccnz .LBB675_15
; %bb.9:
	s_movk_i32 s0, 0x100
	v_cmp_gt_u32_e32 vcc, s0, v32
	s_mov_b64 s[0:1], 0
                                        ; implicit-def: $vgpr1
                                        ; implicit-def: $vgpr2_vgpr3
	s_and_saveexec_b64 s[4:5], vcc
	s_cbranch_execz .LBB675_16
; %bb.10:
	v_lshl_or_b32 v0, s2, 8, v32
	v_mov_b32_e32 v1, 0
	s_ashr_i32 s7, s8, 31
	s_mov_b32 s6, s8
	v_cmp_gt_i64_e32 vcc, s[6:7], v[0:1]
                                        ; implicit-def: $vgpr2_vgpr3
	s_and_saveexec_b64 s[6:7], vcc
	s_cbranch_execz .LBB675_14
; %bb.11:
	v_mad_u64_u32 v[2:3], s[26:27], v0, s16, 0
	v_mov_b32_e32 v4, v3
	v_cmp_eq_f32_e64 s[14:15], s11, 0
	v_mad_u64_u32 v[4:5], s[26:27], v0, s17, v[4:5]
	v_mov_b32_e32 v3, v4
	s_and_b64 vcc, exec, s[14:15]
	s_cbranch_vccnz .LBB675_13
; %bb.12:
	v_lshl_add_u64 v[0:1], v[2:3], 2, s[12:13]
	global_load_dword v0, v[0:1], off
	s_waitcnt vmcnt(0)
	v_mul_f32_e32 v1, s11, v0
.LBB675_13:
	s_mov_b64 s[14:15], exec
.LBB675_14:
	s_or_b64 exec, exec, s[6:7]
	s_and_b64 s[14:15], s[14:15], exec
	s_or_b64 exec, exec, s[4:5]
	s_and_b64 vcc, exec, s[0:1]
	s_cbranch_vccnz .LBB675_17
	s_branch .LBB675_54
.LBB675_15:
                                        ; implicit-def: $vgpr1
                                        ; implicit-def: $vgpr2_vgpr3
	s_cbranch_execnz .LBB675_17
	s_branch .LBB675_54
.LBB675_16:
	s_or_b64 exec, exec, s[4:5]
	s_and_b64 vcc, exec, s[0:1]
	s_cbranch_vccz .LBB675_54
.LBB675_17:
	s_ashr_i32 s0, s9, 31
	s_lshr_b32 s0, s0, 26
	s_add_i32 s44, s9, s0
	s_lshl_b32 s33, s2, 8
	s_andn2_b32 s44, s44, 63
	v_lshlrev_b32_e32 v39, 2, v34
	v_add_u32_e32 v0, s33, v33
	v_cmp_gt_i32_e32 vcc, s44, v39
	v_mov_b32_e32 v35, 0
	v_mov_b32_e32 v36, 0
	;; [unrolled: 1-line block ×4, first 2 shown]
	s_and_saveexec_b64 s[26:27], vcc
	s_cbranch_execz .LBB675_29
; %bb.18:
	v_add_u32_e32 v2, 64, v0
	v_cmp_gt_i32_e64 s[0:1], s8, v2
	v_add_u32_e32 v2, 0x80, v0
	v_ashrrev_i32_e32 v1, 31, v0
	v_cmp_gt_i32_e64 s[2:3], s8, v2
	v_add_u32_e32 v2, 0xc0, v0
	v_cmp_gt_i32_e64 s[4:5], s8, v2
	v_lshlrev_b64 v[2:3], 1, v[0:1]
	v_lshlrev_b32_e32 v1, 2, v34
	v_or_b32_e32 v15, 3, v1
	v_mad_u64_u32 v[4:5], s[6:7], s18, v15, 0
	v_mov_b32_e32 v6, v5
	v_mad_u64_u32 v[6:7], s[6:7], s19, v15, v[6:7]
	v_mov_b32_e32 v5, v6
	;; [unrolled: 2-line block ×6, first 2 shown]
	v_mov_b64_e32 v[10:11], s[22:23]
	v_mad_u64_u32 v[10:11], s[6:7], s22, v1, v[10:11]
	v_mov_b32_e32 v12, v11
	v_mad_u64_u32 v[12:13], s[6:7], s23, v1, v[12:13]
	v_mov_b32_e32 v11, v12
	;; [unrolled: 2-line block ×3, first 2 shown]
	v_mad_u64_u32 v[14:15], s[6:7], s23, v15, v[14:15]
	v_or_b32_e32 v21, 2, v1
	v_mov_b32_e32 v13, v14
	v_mad_u64_u32 v[14:15], s[6:7], s18, v21, 0
	v_mov_b32_e32 v16, v15
	v_mad_u64_u32 v[16:17], s[6:7], s19, v21, v[16:17]
	v_mov_b32_e32 v15, v16
	v_mov_b64_e32 v[16:17], s[18:19]
	v_mad_u64_u32 v[16:17], s[6:7], s18, v1, v[16:17]
	v_mov_b32_e32 v18, v17
	v_mad_u64_u32 v[18:19], s[6:7], s19, v1, v[18:19]
	v_mov_b32_e32 v17, v18
	;; [unrolled: 2-line block ×4, first 2 shown]
	v_cmp_gt_i32_e32 vcc, s8, v0
	v_lshl_add_u64 v[4:5], v[4:5], 1, s[20:21]
	s_lshl_b64 s[28:29], s[18:19], 7
	v_lshlrev_b64 v[6:7], 3, v[6:7]
	s_lshl_b64 s[30:31], s[22:23], 7
	v_lshl_add_u64 v[8:9], v[8:9], 3, s[20:21]
	v_lshlrev_b64 v[10:11], 1, v[10:11]
	v_lshlrev_b64 v[12:13], 1, v[12:13]
	v_lshl_add_u64 v[14:15], v[14:15], 1, s[20:21]
	v_lshl_add_u64 v[16:17], v[16:17], 1, s[20:21]
	v_lshlrev_b64 v[18:19], 1, v[18:19]
	s_mov_b64 s[34:35], 0
	v_mov_b32_e32 v35, 0
	s_mov_b64 s[36:37], s[24:25]
	v_mov_b32_e32 v36, 0
	v_mov_b32_e32 v37, 0
	v_mov_b32_e32 v38, 0
	s_branch .LBB675_23
.LBB675_19:                             ;   in Loop: Header=BB675_23 Depth=1
	s_or_b64 exec, exec, s[42:43]
	s_waitcnt vmcnt(0) lgkmcnt(0)
	v_lshlrev_b32_e32 v24, 16, v50
	v_fmac_f32_e32 v37, v22, v24
	v_lshlrev_b32_e32 v24, 16, v49
	v_fmac_f32_e32 v37, v23, v24
	;; [unrolled: 2-line block ×4, first 2 shown]
.LBB675_20:                             ;   in Loop: Header=BB675_23 Depth=1
	s_or_b64 exec, exec, s[40:41]
	s_waitcnt vmcnt(0) lgkmcnt(0)
	v_lshlrev_b32_e32 v24, 16, v46
	v_fmac_f32_e32 v36, v22, v24
	v_lshlrev_b32_e32 v24, 16, v45
	v_fmac_f32_e32 v36, v23, v24
	;; [unrolled: 2-line block ×4, first 2 shown]
.LBB675_21:                             ;   in Loop: Header=BB675_23 Depth=1
	s_or_b64 exec, exec, s[38:39]
	v_lshlrev_b32_e32 v24, 16, v42
	v_fmac_f32_e32 v35, v22, v24
	v_lshlrev_b32_e32 v22, 16, v41
	v_fmac_f32_e32 v35, v23, v22
	;; [unrolled: 2-line block ×4, first 2 shown]
.LBB675_22:                             ;   in Loop: Header=BB675_23 Depth=1
	s_or_b64 exec, exec, s[6:7]
	v_add_u32_e32 v39, 64, v39
	s_add_u32 s36, s36, s30
	s_addc_u32 s37, s37, s31
	v_cmp_le_i32_e64 s[6:7], s44, v39
	v_lshl_add_u64 v[4:5], v[4:5], 0, s[28:29]
	v_lshl_add_u64 v[8:9], v[8:9], 0, s[28:29]
	v_lshl_add_u64 v[14:15], v[14:15], 0, s[28:29]
	s_or_b64 s[34:35], s[6:7], s[34:35]
	v_lshl_add_u64 v[16:17], v[16:17], 0, s[28:29]
	s_andn2_b64 exec, exec, s[34:35]
	s_cbranch_execz .LBB675_28
.LBB675_23:                             ; =>This Inner Loop Header: Depth=1
	s_and_saveexec_b64 s[6:7], vcc
	s_cbranch_execz .LBB675_22
; %bb.24:                               ;   in Loop: Header=BB675_23 Depth=1
	v_lshl_add_u64 v[20:21], s[36:37], 0, v[6:7]
	v_lshl_add_u64 v[24:25], s[36:37], 0, v[18:19]
	;; [unrolled: 1-line block ×4, first 2 shown]
	flat_load_ushort v43, v[20:21]
	flat_load_ushort v44, v[22:23]
	;; [unrolled: 1-line block ×4, first 2 shown]
	v_lshl_add_u64 v[26:27], v[8:9], 0, v[2:3]
	v_lshl_add_u64 v[24:25], v[16:17], 0, v[2:3]
	;; [unrolled: 1-line block ×4, first 2 shown]
	flat_load_ushort v42, v[26:27]
	flat_load_ushort v41, v[24:25]
	;; [unrolled: 1-line block ×4, first 2 shown]
	s_waitcnt vmcnt(0) lgkmcnt(0)
	v_lshlrev_b32_e32 v22, 16, v43
	v_lshlrev_b32_e32 v23, 16, v44
	;; [unrolled: 1-line block ×4, first 2 shown]
	s_and_saveexec_b64 s[38:39], s[0:1]
	s_cbranch_execz .LBB675_21
; %bb.25:                               ;   in Loop: Header=BB675_23 Depth=1
	flat_load_ushort v46, v[26:27] offset:128
	flat_load_ushort v45, v[24:25] offset:128
	flat_load_ushort v44, v[28:29] offset:128
	flat_load_ushort v43, v[30:31] offset:128
	s_and_saveexec_b64 s[40:41], s[2:3]
	s_cbranch_execz .LBB675_20
; %bb.26:                               ;   in Loop: Header=BB675_23 Depth=1
	flat_load_ushort v50, v[26:27] offset:256
	flat_load_ushort v49, v[24:25] offset:256
	flat_load_ushort v48, v[28:29] offset:256
	flat_load_ushort v47, v[30:31] offset:256
	;; [unrolled: 7-line block ×3, first 2 shown]
	s_waitcnt vmcnt(0) lgkmcnt(0)
	v_lshlrev_b32_e32 v25, 16, v51
	v_lshlrev_b32_e32 v24, 16, v52
	v_pk_mul_f32 v[24:25], v[22:23], v[24:25]
	v_lshlrev_b32_e32 v27, 16, v53
	v_lshlrev_b32_e32 v26, 16, v54
	v_add_f32_e32 v24, v38, v24
	v_add_f32_e32 v28, v24, v25
	v_pk_mul_f32 v[24:25], v[20:21], v[26:27]
	s_nop 0
	v_add_f32_e32 v24, v28, v24
	v_add_f32_e32 v38, v24, v25
	s_branch .LBB675_19
.LBB675_28:
	s_or_b64 exec, exec, s[34:35]
.LBB675_29:
	s_or_b64 exec, exec, s[26:27]
	s_sub_i32 s0, s9, s44
	s_cmp_lt_i32 s0, 1
	s_cbranch_scc1 .LBB675_47
; %bb.30:
	v_cmp_gt_i32_e32 vcc, s9, v39
	v_mov_b32_e32 v10, 0
	v_or_b32_e32 v4, 1, v39
	v_mov_b32_e32 v11, 0
	v_mov_b32_e32 v12, 0
	;; [unrolled: 1-line block ×3, first 2 shown]
	s_and_saveexec_b64 s[2:3], vcc
	s_cbranch_execz .LBB675_38
; %bb.31:
	v_mad_u64_u32 v[2:3], s[0:1], v39, s22, 0
	v_mov_b32_e32 v6, v3
	v_mad_u64_u32 v[6:7], s[0:1], v39, s23, v[6:7]
	v_mov_b32_e32 v3, v6
	v_lshl_add_u64 v[2:3], v[2:3], 1, s[24:25]
	flat_load_ushort v1, v[2:3]
	v_cmp_gt_i32_e64 s[0:1], s9, v4
	v_mov_b32_e32 v12, 0
	v_mov_b32_e32 v11, 0
	;; [unrolled: 1-line block ×3, first 2 shown]
	s_and_saveexec_b64 s[4:5], s[0:1]
	s_cbranch_execz .LBB675_37
; %bb.32:
	v_mad_u64_u32 v[2:3], s[0:1], v4, s22, 0
	v_mov_b32_e32 v6, v3
	v_mad_u64_u32 v[6:7], s[0:1], v4, s23, v[6:7]
	v_mov_b32_e32 v3, v6
	v_lshl_add_u64 v[2:3], v[2:3], 1, s[24:25]
	flat_load_ushort v2, v[2:3]
	v_or_b32_e32 v3, 2, v39
	v_cmp_gt_i32_e64 s[0:1], s9, v3
	v_mov_b32_e32 v11, 0
	v_mov_b32_e32 v10, 0
	s_and_saveexec_b64 s[6:7], s[0:1]
	s_cbranch_execz .LBB675_36
; %bb.33:
	v_mad_u64_u32 v[6:7], s[0:1], v3, s22, 0
	v_mov_b32_e32 v8, v7
	v_mad_u64_u32 v[8:9], s[0:1], v3, s23, v[8:9]
	v_mov_b32_e32 v7, v8
	v_lshl_add_u64 v[6:7], v[6:7], 1, s[24:25]
	flat_load_ushort v3, v[6:7]
	v_or_b32_e32 v5, 3, v39
	v_cmp_gt_i32_e64 s[0:1], s9, v5
	v_mov_b32_e32 v10, 0
	s_and_saveexec_b64 s[26:27], s[0:1]
	s_cbranch_execz .LBB675_35
; %bb.34:
	v_mad_u64_u32 v[6:7], s[0:1], v5, s22, 0
	v_mov_b32_e32 v8, v7
	v_mad_u64_u32 v[8:9], s[0:1], v5, s23, v[8:9]
	v_mov_b32_e32 v7, v8
	v_lshl_add_u64 v[6:7], v[6:7], 1, s[24:25]
	flat_load_ushort v5, v[6:7]
	s_waitcnt vmcnt(0) lgkmcnt(0)
	v_lshlrev_b32_e32 v10, 16, v5
.LBB675_35:
	s_or_b64 exec, exec, s[26:27]
	s_waitcnt vmcnt(0) lgkmcnt(0)
	v_lshlrev_b32_e32 v11, 16, v3
.LBB675_36:
	s_or_b64 exec, exec, s[6:7]
	s_waitcnt vmcnt(0) lgkmcnt(0)
	v_lshlrev_b32_e32 v12, 16, v2
.LBB675_37:
	s_or_b64 exec, exec, s[4:5]
	s_waitcnt vmcnt(0) lgkmcnt(0)
	v_lshlrev_b32_e32 v13, 16, v1
.LBB675_38:
	s_or_b64 exec, exec, s[2:3]
	v_cmp_gt_i32_e64 s[0:1], s8, v0
	s_and_saveexec_b64 s[2:3], s[0:1]
	s_cbranch_execz .LBB675_46
; %bb.39:
	v_mad_u64_u32 v[2:3], s[0:1], v39, s18, 0
	v_mov_b32_e32 v6, v3
	v_mad_u64_u32 v[6:7], s[0:1], v39, s19, v[6:7]
	v_ashrrev_i32_e32 v1, 31, v0
	v_cndmask_b32_e32 v3, 0, v6, vcc
	v_mad_u64_u32 v[6:7], s[0:1], v4, s18, 0
	v_cndmask_b32_e32 v2, 0, v2, vcc
	v_lshlrev_b64 v[8:9], 1, v[0:1]
	v_mov_b32_e32 v14, v7
	v_cmp_gt_i32_e32 vcc, s9, v4
	v_or_b32_e32 v1, 2, v39
	v_mad_u64_u32 v[14:15], s[0:1], v4, s19, v[14:15]
	v_cndmask_b32_e32 v4, 0, v6, vcc
	v_mad_u64_u32 v[6:7], s[0:1], v1, s18, 0
	v_cndmask_b32_e32 v5, 0, v14, vcc
	v_mov_b32_e32 v14, v7
	v_mad_u64_u32 v[14:15], s[0:1], v1, s19, v[14:15]
	v_cmp_gt_i32_e32 vcc, s9, v1
	v_or_b32_e32 v1, 3, v39
	v_lshl_add_u64 v[2:3], v[2:3], 1, s[20:21]
	v_cndmask_b32_e32 v7, 0, v14, vcc
	v_mad_u64_u32 v[14:15], s[0:1], v1, s18, 0
	v_mov_b32_e32 v16, v15
	v_lshl_add_u64 v[2:3], v[2:3], 0, v[8:9]
	v_lshl_add_u64 v[4:5], v[4:5], 1, s[20:21]
	v_cndmask_b32_e32 v6, 0, v6, vcc
	v_mad_u64_u32 v[16:17], s[0:1], v1, s19, v[16:17]
	v_cmp_gt_i32_e32 vcc, s9, v1
	v_lshl_add_u64 v[4:5], v[4:5], 0, v[8:9]
	v_lshl_add_u64 v[6:7], v[6:7], 1, s[20:21]
	v_cndmask_b32_e32 v14, 0, v14, vcc
	v_cndmask_b32_e32 v15, 0, v16, vcc
	flat_load_ushort v1, v[2:3]
	flat_load_ushort v16, v[4:5]
	v_lshl_add_u64 v[6:7], v[6:7], 0, v[8:9]
	v_lshl_add_u64 v[14:15], v[14:15], 1, s[20:21]
	;; [unrolled: 1-line block ×3, first 2 shown]
	flat_load_ushort v14, v[6:7]
	flat_load_ushort v15, v[8:9]
	v_add_u32_e32 v17, 64, v0
	v_cmp_gt_i32_e32 vcc, s8, v17
	s_waitcnt vmcnt(0) lgkmcnt(0)
	v_lshlrev_b32_e32 v1, 16, v1
	v_lshlrev_b32_e32 v16, 16, v16
	v_fmac_f32_e32 v35, v13, v1
	v_fmac_f32_e32 v35, v12, v16
	v_lshlrev_b32_e32 v14, 16, v14
	v_lshlrev_b32_e32 v1, 16, v15
	v_fmac_f32_e32 v35, v11, v14
	s_and_saveexec_b64 s[0:1], vcc
	s_cbranch_execz .LBB675_45
; %bb.40:
	flat_load_ushort v14, v[2:3] offset:128
	flat_load_ushort v15, v[4:5] offset:128
	;; [unrolled: 1-line block ×4, first 2 shown]
	v_add_u32_e32 v18, 0x80, v0
	v_cmp_gt_i32_e32 vcc, s8, v18
	s_waitcnt vmcnt(0) lgkmcnt(0)
	v_lshlrev_b32_e32 v19, 16, v14
	v_lshlrev_b32_e32 v15, 16, v15
	v_fmac_f32_e32 v36, v13, v19
	v_lshlrev_b32_e32 v16, 16, v16
	v_fmac_f32_e32 v36, v12, v15
	;; [unrolled: 2-line block ×3, first 2 shown]
	s_and_saveexec_b64 s[4:5], vcc
	s_cbranch_execz .LBB675_44
; %bb.41:
	flat_load_ushort v15, v[2:3] offset:256
	flat_load_ushort v16, v[4:5] offset:256
	flat_load_ushort v17, v[6:7] offset:256
	flat_load_ushort v18, v[8:9] offset:256
	v_add_u32_e32 v19, 0xc0, v0
	v_cmp_gt_i32_e32 vcc, s8, v19
	s_waitcnt vmcnt(0) lgkmcnt(0)
	v_lshlrev_b32_e32 v15, 16, v15
	v_lshlrev_b32_e32 v16, 16, v16
	v_fmac_f32_e32 v37, v13, v15
	v_lshlrev_b32_e32 v17, 16, v17
	v_fmac_f32_e32 v37, v12, v16
	;; [unrolled: 2-line block ×3, first 2 shown]
	s_and_saveexec_b64 s[6:7], vcc
	s_cbranch_execz .LBB675_43
; %bb.42:
	flat_load_ushort v15, v[2:3] offset:384
	flat_load_ushort v16, v[4:5] offset:384
	;; [unrolled: 1-line block ×4, first 2 shown]
	s_waitcnt vmcnt(0) lgkmcnt(0)
	v_lshlrev_b32_e32 v2, 16, v15
	v_lshlrev_b32_e32 v3, 16, v16
	v_fmac_f32_e32 v38, v13, v2
	v_lshlrev_b32_e32 v4, 16, v17
	v_fmac_f32_e32 v38, v12, v3
	v_fmac_f32_e32 v38, v11, v4
	v_lshlrev_b32_e32 v2, 16, v18
	v_fmac_f32_e32 v38, v10, v2
.LBB675_43:
	s_or_b64 exec, exec, s[6:7]
	v_fmac_f32_e32 v37, v10, v0
.LBB675_44:
	s_or_b64 exec, exec, s[4:5]
	v_fmac_f32_e32 v36, v10, v14
.LBB675_45:
	s_or_b64 exec, exec, s[0:1]
	v_fmac_f32_e32 v35, v10, v1
.LBB675_46:
	s_or_b64 exec, exec, s[2:3]
.LBB675_47:
	v_lshlrev_b32_e32 v0, 8, v34
	s_movk_i32 s0, 0x100
	v_add_lshl_u32 v0, v0, v33, 2
	v_cmp_gt_u32_e32 vcc, s0, v32
	ds_write2st64_b32 v0, v35, v36 offset1:1
	ds_write2st64_b32 v0, v37, v38 offset0:2 offset1:3
	s_waitcnt lgkmcnt(0)
	s_barrier
	s_waitcnt lgkmcnt(0)
                                        ; implicit-def: $vgpr1
                                        ; implicit-def: $vgpr2_vgpr3
	s_and_saveexec_b64 s[0:1], vcc
	s_cbranch_execz .LBB675_53
; %bb.48:
	v_lshlrev_b32_e32 v10, 2, v32
	ds_read2st64_b32 v[0:1], v10 offset1:4
	ds_read2st64_b32 v[2:3], v10 offset0:8 offset1:12
	ds_read2st64_b32 v[4:5], v10 offset0:16 offset1:20
	;; [unrolled: 1-line block ×4, first 2 shown]
	s_waitcnt lgkmcnt(4)
	v_add_f32_e32 v0, v0, v1
	s_waitcnt lgkmcnt(3)
	v_add_f32_e32 v0, v2, v0
	v_add_f32_e32 v0, v3, v0
	s_waitcnt lgkmcnt(2)
	v_add_f32_e32 v0, v4, v0
	;; [unrolled: 3-line block ×3, first 2 shown]
	v_add_f32_e32 v2, v7, v0
	ds_read2st64_b32 v[0:1], v10 offset0:40 offset1:44
	s_waitcnt lgkmcnt(1)
	v_add_f32_e32 v4, v8, v2
	ds_read2st64_b32 v[2:3], v10 offset0:48 offset1:52
	v_add_f32_e32 v6, v9, v4
	ds_read2st64_b32 v[4:5], v10 offset0:56 offset1:60
	s_waitcnt lgkmcnt(2)
	v_add_f32_e32 v0, v0, v6
	v_add_f32_e32 v0, v1, v0
	s_waitcnt lgkmcnt(1)
	v_add_f32_e32 v0, v2, v0
	v_add_f32_e32 v0, v3, v0
	s_waitcnt lgkmcnt(0)
	v_add_f32_e32 v0, v4, v0
	v_add_f32_e32 v4, v5, v0
	v_or_b32_e32 v0, s33, v32
	v_cmp_gt_i32_e32 vcc, s8, v0
	s_mov_b64 s[4:5], s[14:15]
	ds_write_b32 v10, v4
                                        ; implicit-def: $vgpr1
                                        ; implicit-def: $vgpr2_vgpr3
	s_and_saveexec_b64 s[2:3], vcc
	s_cbranch_execz .LBB675_52
; %bb.49:
	v_ashrrev_i32_e32 v2, 31, v0
	v_cmp_eq_f32_e64 s[4:5], s11, 0
	v_mul_f32_e32 v1, s10, v4
	v_mul_lo_u32 v4, v0, s17
	v_mul_lo_u32 v5, v2, s16
	v_mad_u64_u32 v[2:3], s[6:7], v0, s16, 0
	v_add3_u32 v3, v3, v4, v5
	s_and_b64 vcc, exec, s[4:5]
	s_cbranch_vccnz .LBB675_51
; %bb.50:
	v_lshl_add_u64 v[4:5], v[2:3], 2, s[12:13]
	global_load_dword v0, v[4:5], off
	s_waitcnt vmcnt(0)
	v_fmac_f32_e32 v1, s11, v0
.LBB675_51:
	s_or_b64 s[4:5], s[14:15], exec
.LBB675_52:
	s_or_b64 exec, exec, s[2:3]
	s_andn2_b64 s[2:3], s[14:15], exec
	s_and_b64 s[4:5], s[4:5], exec
	s_or_b64 s[14:15], s[2:3], s[4:5]
.LBB675_53:
	s_or_b64 exec, exec, s[0:1]
.LBB675_54:
	s_and_saveexec_b64 s[0:1], s[14:15]
	s_cbranch_execz .LBB675_56
; %bb.55:
	v_lshl_add_u64 v[2:3], v[2:3], 2, s[12:13]
	global_store_dword v[2:3], v1, off
.LBB675_56:
	s_endpgm
	.section	.rodata,"a",@progbits
	.p2align	6, 0x0
	.amdhsa_kernel _ZL20rocblas_gemvn_kernelILi64ELi16ElPK16rocblas_bfloat16fKPfEviiT3_lPKT2_lT1_lS8_lS9_lS5_lPT4_lS9_li
		.amdhsa_group_segment_fixed_size 16384
		.amdhsa_private_segment_fixed_size 0
		.amdhsa_kernarg_size 400
		.amdhsa_user_sgpr_count 2
		.amdhsa_user_sgpr_dispatch_ptr 0
		.amdhsa_user_sgpr_queue_ptr 0
		.amdhsa_user_sgpr_kernarg_segment_ptr 1
		.amdhsa_user_sgpr_dispatch_id 0
		.amdhsa_user_sgpr_kernarg_preload_length 0
		.amdhsa_user_sgpr_kernarg_preload_offset 0
		.amdhsa_user_sgpr_private_segment_size 0
		.amdhsa_uses_dynamic_stack 0
		.amdhsa_enable_private_segment 0
		.amdhsa_system_sgpr_workgroup_id_x 1
		.amdhsa_system_sgpr_workgroup_id_y 0
		.amdhsa_system_sgpr_workgroup_id_z 1
		.amdhsa_system_sgpr_workgroup_info 0
		.amdhsa_system_vgpr_workitem_id 1
		.amdhsa_next_free_vgpr 55
		.amdhsa_next_free_sgpr 45
		.amdhsa_accum_offset 56
		.amdhsa_reserve_vcc 1
		.amdhsa_float_round_mode_32 0
		.amdhsa_float_round_mode_16_64 0
		.amdhsa_float_denorm_mode_32 3
		.amdhsa_float_denorm_mode_16_64 3
		.amdhsa_dx10_clamp 1
		.amdhsa_ieee_mode 1
		.amdhsa_fp16_overflow 0
		.amdhsa_tg_split 0
		.amdhsa_exception_fp_ieee_invalid_op 0
		.amdhsa_exception_fp_denorm_src 0
		.amdhsa_exception_fp_ieee_div_zero 0
		.amdhsa_exception_fp_ieee_overflow 0
		.amdhsa_exception_fp_ieee_underflow 0
		.amdhsa_exception_fp_ieee_inexact 0
		.amdhsa_exception_int_div_zero 0
	.end_amdhsa_kernel
	.section	.text._ZL20rocblas_gemvn_kernelILi64ELi16ElPK16rocblas_bfloat16fKPfEviiT3_lPKT2_lT1_lS8_lS9_lS5_lPT4_lS9_li,"axG",@progbits,_ZL20rocblas_gemvn_kernelILi64ELi16ElPK16rocblas_bfloat16fKPfEviiT3_lPKT2_lT1_lS8_lS9_lS5_lPT4_lS9_li,comdat
.Lfunc_end675:
	.size	_ZL20rocblas_gemvn_kernelILi64ELi16ElPK16rocblas_bfloat16fKPfEviiT3_lPKT2_lT1_lS8_lS9_lS5_lPT4_lS9_li, .Lfunc_end675-_ZL20rocblas_gemvn_kernelILi64ELi16ElPK16rocblas_bfloat16fKPfEviiT3_lPKT2_lT1_lS8_lS9_lS5_lPT4_lS9_li
                                        ; -- End function
	.section	.AMDGPU.csdata,"",@progbits
; Kernel info:
; codeLenInByte = 2756
; NumSgprs: 51
; NumVgprs: 55
; NumAgprs: 0
; TotalNumVgprs: 55
; ScratchSize: 0
; MemoryBound: 0
; FloatMode: 240
; IeeeMode: 1
; LDSByteSize: 16384 bytes/workgroup (compile time only)
; SGPRBlocks: 6
; VGPRBlocks: 6
; NumSGPRsForWavesPerEU: 51
; NumVGPRsForWavesPerEU: 55
; AccumOffset: 56
; Occupancy: 8
; WaveLimiterHint : 1
; COMPUTE_PGM_RSRC2:SCRATCH_EN: 0
; COMPUTE_PGM_RSRC2:USER_SGPR: 2
; COMPUTE_PGM_RSRC2:TRAP_HANDLER: 0
; COMPUTE_PGM_RSRC2:TGID_X_EN: 1
; COMPUTE_PGM_RSRC2:TGID_Y_EN: 0
; COMPUTE_PGM_RSRC2:TGID_Z_EN: 1
; COMPUTE_PGM_RSRC2:TIDIG_COMP_CNT: 1
; COMPUTE_PGM_RSRC3_GFX90A:ACCUM_OFFSET: 13
; COMPUTE_PGM_RSRC3_GFX90A:TG_SPLIT: 0
	.section	.text._ZL22rocblas_gemvtsm_kernelILb0ELi256EPK16rocblas_bfloat16PKfKPfEviiT2_lPKT1_lilSA_lilS7_lPT3_lil,"axG",@progbits,_ZL22rocblas_gemvtsm_kernelILb0ELi256EPK16rocblas_bfloat16PKfKPfEviiT2_lPKT1_lilSA_lilS7_lPT3_lil,comdat
	.globl	_ZL22rocblas_gemvtsm_kernelILb0ELi256EPK16rocblas_bfloat16PKfKPfEviiT2_lPKT1_lilSA_lilS7_lPT3_lil ; -- Begin function _ZL22rocblas_gemvtsm_kernelILb0ELi256EPK16rocblas_bfloat16PKfKPfEviiT2_lPKT1_lilSA_lilS7_lPT3_lil
	.p2align	8
	.type	_ZL22rocblas_gemvtsm_kernelILb0ELi256EPK16rocblas_bfloat16PKfKPfEviiT2_lPKT1_lilSA_lilS7_lPT3_lil,@function
_ZL22rocblas_gemvtsm_kernelILb0ELi256EPK16rocblas_bfloat16PKfKPfEviiT2_lPKT1_lilSA_lilS7_lPT3_lil: ; @_ZL22rocblas_gemvtsm_kernelILb0ELi256EPK16rocblas_bfloat16PKfKPfEviiT2_lPKT1_lilSA_lilS7_lPT3_lil
; %bb.0:
	s_load_dwordx8 s[12:19], s[0:1], 0x8
	s_load_dwordx8 s[4:11], s[0:1], 0x58
	s_waitcnt lgkmcnt(0)
	s_mul_i32 s3, s2, s15
	s_mul_hi_u32 s15, s2, s14
	s_add_i32 s15, s15, s3
	s_mul_i32 s14, s2, s14
	s_lshl_b64 s[14:15], s[14:15], 2
	s_add_u32 s12, s12, s14
	s_mul_i32 s3, s2, s7
	s_mul_hi_u32 s7, s2, s6
	s_addc_u32 s13, s13, s15
	s_add_i32 s7, s7, s3
	s_mul_i32 s6, s2, s6
	s_lshl_b64 s[6:7], s[6:7], 2
	s_add_u32 s4, s4, s6
	s_addc_u32 s5, s5, s7
	s_load_dword s25, s[12:13], 0x0
	s_load_dword s24, s[4:5], 0x0
	s_waitcnt lgkmcnt(0)
	v_cmp_eq_f32_e64 s[22:23], s25, 0
	v_cmp_eq_f32_e64 s[4:5], s24, 1.0
	s_and_b64 s[4:5], s[22:23], s[4:5]
	s_and_b64 vcc, exec, s[4:5]
	s_cbranch_vccnz .LBB676_62
; %bb.1:
	s_mov_b32 s3, 0
	v_cmp_neq_f32_e64 s[6:7], s25, 0
	s_mov_b64 s[20:21], 0
	s_and_b64 vcc, exec, s[22:23]
	s_mov_b64 s[4:5], 0
	s_cbranch_vccnz .LBB676_3
; %bb.2:
	s_lshl_b64 s[4:5], s[2:3], 3
	s_add_u32 s4, s16, s4
	s_addc_u32 s5, s17, s5
	s_load_dwordx2 s[4:5], s[4:5], 0x0
	s_lshl_b64 s[12:13], s[18:19], 1
	s_waitcnt lgkmcnt(0)
	s_add_u32 s4, s4, s12
	s_addc_u32 s5, s5, s13
.LBB676_3:
	s_andn2_b64 vcc, exec, s[6:7]
	s_cbranch_vccnz .LBB676_5
; %bb.4:
	s_load_dwordx4 s[12:15], s[0:1], 0x38
	s_lshl_b64 s[6:7], s[2:3], 3
	s_waitcnt lgkmcnt(0)
	s_add_u32 s6, s12, s6
	s_addc_u32 s7, s13, s7
	s_load_dwordx2 s[6:7], s[6:7], 0x0
	s_lshl_b64 s[12:13], s[14:15], 1
	s_waitcnt lgkmcnt(0)
	s_add_u32 s20, s6, s12
	s_addc_u32 s21, s7, s13
.LBB676_5:
	s_lshl_b64 s[2:3], s[2:3], 3
	s_add_u32 s2, s8, s2
	s_addc_u32 s3, s9, s3
	s_load_dwordx2 s[12:13], s[0:1], 0x0
	s_load_dword s14, s[0:1], 0x78
	s_load_dwordx2 s[6:7], s[2:3], 0x0
	s_andn2_b64 vcc, exec, s[22:23]
	s_mov_b64 s[2:3], -1
	s_cbranch_vccnz .LBB676_20
; %bb.6:
	s_waitcnt lgkmcnt(0)
	s_cmp_gt_i32 s13, 0
	s_cselect_b64 s[8:9], -1, 0
	v_cmp_neq_f32_e64 s[2:3], s24, 0
	v_cndmask_b32_e64 v1, 0, 1, s[8:9]
	s_and_b64 vcc, exec, s[2:3]
	v_cmp_ne_u32_e64 s[2:3], 1, v1
	s_cbranch_vccnz .LBB676_13
; %bb.7:
	s_and_b64 vcc, exec, s[2:3]
	s_cbranch_vccnz .LBB676_12
; %bb.8:
	v_mad_i64_i32 v[2:3], s[8:9], s14, v0, 0
	s_ashr_i32 s15, s14, 31
	s_lshl_b64 s[8:9], s[10:11], 2
	s_add_u32 s8, s6, s8
	s_addc_u32 s9, s7, s9
	v_lshl_add_u64 v[2:3], v[2:3], 2, s[8:9]
	s_lshl_b64 s[8:9], s[14:15], 10
	s_mov_b32 s15, 0
	v_mov_b32_e32 v1, 0
	s_branch .LBB676_10
.LBB676_9:                              ;   in Loop: Header=BB676_10 Depth=1
	s_or_b64 exec, exec, s[16:17]
	s_addk_i32 s15, 0x100
	s_cmp_ge_i32 s15, s13
	v_lshl_add_u64 v[2:3], v[2:3], 0, s[8:9]
	s_cbranch_scc1 .LBB676_12
.LBB676_10:                             ; =>This Inner Loop Header: Depth=1
	v_add_u32_e32 v4, s15, v0
	v_cmp_gt_i32_e32 vcc, s13, v4
	s_and_saveexec_b64 s[16:17], vcc
	s_cbranch_execz .LBB676_9
; %bb.11:                               ;   in Loop: Header=BB676_10 Depth=1
	global_store_dword v[2:3], v1, off
	s_branch .LBB676_9
.LBB676_12:
	s_cbranch_execz .LBB676_14
	s_branch .LBB676_19
.LBB676_13:
.LBB676_14:
	s_and_b64 vcc, exec, s[2:3]
	s_cbranch_vccnz .LBB676_19
; %bb.15:
	v_mad_i64_i32 v[2:3], s[2:3], s14, v0, 0
	s_ashr_i32 s15, s14, 31
	s_lshl_b64 s[2:3], s[10:11], 2
	s_add_u32 s2, s6, s2
	s_addc_u32 s3, s7, s3
	v_lshl_add_u64 v[2:3], v[2:3], 2, s[2:3]
	s_lshl_b64 s[2:3], s[14:15], 10
	s_mov_b32 s15, 0
	s_branch .LBB676_17
.LBB676_16:                             ;   in Loop: Header=BB676_17 Depth=1
	s_or_b64 exec, exec, s[8:9]
	s_addk_i32 s15, 0x100
	s_cmp_ge_i32 s15, s13
	v_lshl_add_u64 v[2:3], v[2:3], 0, s[2:3]
	s_cbranch_scc1 .LBB676_19
.LBB676_17:                             ; =>This Inner Loop Header: Depth=1
	v_add_u32_e32 v1, s15, v0
	v_cmp_gt_i32_e32 vcc, s13, v1
	s_and_saveexec_b64 s[8:9], vcc
	s_cbranch_execz .LBB676_16
; %bb.18:                               ;   in Loop: Header=BB676_17 Depth=1
	global_load_dword v1, v[2:3], off
	s_waitcnt vmcnt(0)
	v_mul_f32_e32 v1, s24, v1
	global_store_dword v[2:3], v1, off
	s_branch .LBB676_16
.LBB676_19:
	s_mov_b64 s[2:3], 0
.LBB676_20:
	s_andn2_b64 vcc, exec, s[2:3]
	s_cbranch_vccnz .LBB676_62
; %bb.21:
	s_waitcnt lgkmcnt(0)
	v_cmp_gt_i32_e32 vcc, s12, v0
	s_and_saveexec_b64 s[2:3], vcc
	s_cbranch_execz .LBB676_27
; %bb.22:
	s_load_dword s8, s[0:1], 0x48
	s_waitcnt lgkmcnt(0)
	v_mad_i64_i32 v[2:3], s[8:9], s8, v0, 0
	v_lshl_add_u64 v[2:3], v[2:3], 1, s[20:21]
	flat_load_ushort v1, v[2:3]
	s_mov_b32 s8, 0x7f800000
	s_waitcnt vmcnt(0) lgkmcnt(0)
	v_lshlrev_b32_e32 v1, 16, v1
	v_mul_f32_e32 v1, s25, v1
	v_and_b32_e32 v2, 0x7f800000, v1
	v_cmp_ne_u32_e32 vcc, s8, v2
                                        ; implicit-def: $vgpr2
	s_and_saveexec_b64 s[8:9], vcc
	s_xor_b64 s[8:9], exec, s[8:9]
; %bb.23:
	v_bfe_u32 v2, v1, 16, 1
	s_movk_i32 s15, 0x7fff
	v_add3_u32 v2, v1, v2, s15
                                        ; implicit-def: $vgpr1
; %bb.24:
	s_andn2_saveexec_b64 s[8:9], s[8:9]
; %bb.25:
	v_mov_b32_e32 v2, 0
	v_or_b32_e32 v3, 0x10000, v1
	v_cmp_eq_u32_sdwa vcc, v1, v2 src0_sel:WORD_0 src1_sel:DWORD
	s_nop 1
	v_cndmask_b32_e32 v2, v3, v1, vcc
; %bb.26:
	s_or_b64 exec, exec, s[8:9]
	v_and_b32_e32 v1, 0xffff0000, v2
	v_lshlrev_b32_e32 v2, 2, v0
	ds_write_b32 v2, v1
.LBB676_27:
	s_or_b64 exec, exec, s[2:3]
	s_cmp_lt_i32 s13, 1
	s_waitcnt lgkmcnt(0)
	s_barrier
	s_cbranch_scc1 .LBB676_62
; %bb.28:
	s_load_dword s0, s[0:1], 0x28
	s_lshl_b64 s[2:3], s[10:11], 2
	s_add_u32 s8, s6, s2
	s_addc_u32 s9, s7, s3
	s_ashr_i32 s15, s14, 31
	s_waitcnt lgkmcnt(0)
	s_ashr_i32 s1, s0, 31
	s_cmp_gt_i32 s12, 0
	s_cselect_b64 s[2:3], -1, 0
	s_and_b32 s22, s12, 3
	s_cmp_gt_u32 s12, 3
	s_cselect_b64 s[6:7], -1, 0
	s_and_b32 s12, s12, 0x7ffffffc
	s_cmp_lg_u32 s22, 0
	v_mad_i64_i32 v[2:3], s[16:17], s0, v0, 0
	s_cselect_b64 s[18:19], -1, 0
	s_lshl_b64 s[16:17], s[0:1], 9
	v_cmp_neq_f32_e64 s[0:1], s24, 0
	v_lshl_add_u64 v[2:3], v[2:3], 1, s[4:5]
	s_mov_b32 s11, 0
	v_cndmask_b32_e64 v1, 0, 1, s[0:1]
	v_cmp_ne_u32_e64 s[0:1], 1, v1
	v_cndmask_b32_e64 v1, 0, 1, s[2:3]
	v_cmp_ne_u32_e64 s[2:3], 1, v1
	;; [unrolled: 2-line block ×3, first 2 shown]
	v_cndmask_b32_e64 v1, 0, 1, s[18:19]
	s_mov_b32 s23, 0x7f800000
	s_movk_i32 s25, 0x7fff
	v_cmp_ne_u32_e64 s[6:7], 1, v1
	v_mov_b32_e32 v1, 0
	s_mov_b32 s26, 0
	s_branch .LBB676_31
.LBB676_29:                             ;   in Loop: Header=BB676_31 Depth=1
	global_store_dword v[4:5], v8, off
.LBB676_30:                             ;   in Loop: Header=BB676_31 Depth=1
	s_or_b64 exec, exec, s[18:19]
	s_addk_i32 s26, 0x100
	s_cmp_ge_i32 s26, s13
	v_lshl_add_u64 v[2:3], v[2:3], 0, s[16:17]
	s_cbranch_scc1 .LBB676_62
.LBB676_31:                             ; =>This Loop Header: Depth=1
                                        ;     Child Loop BB676_38 Depth 2
                                        ;     Child Loop BB676_58 Depth 2
	v_add_u32_e32 v4, s26, v0
	v_cmp_gt_i32_e32 vcc, s13, v4
	s_and_saveexec_b64 s[18:19], vcc
	s_cbranch_execz .LBB676_30
; %bb.32:                               ;   in Loop: Header=BB676_31 Depth=1
	v_mad_u64_u32 v[6:7], s[20:21], v4, s14, 0
	v_mov_b32_e32 v8, v7
	v_mad_u64_u32 v[4:5], s[20:21], v4, s15, v[8:9]
	v_mov_b32_e32 v7, v4
	s_and_b64 vcc, exec, s[0:1]
	v_lshl_add_u64 v[4:5], v[6:7], 2, s[8:9]
	s_cbranch_vccnz .LBB676_34
; %bb.33:                               ;   in Loop: Header=BB676_31 Depth=1
	global_load_dword v6, v[4:5], off
	s_waitcnt vmcnt(0)
	v_mul_f32_e32 v8, s24, v6
	s_and_b64 vcc, exec, s[2:3]
	s_cbranch_vccz .LBB676_35
	s_branch .LBB676_29
.LBB676_34:                             ;   in Loop: Header=BB676_31 Depth=1
	v_mov_b32_e32 v8, 0
	s_and_b64 vcc, exec, s[2:3]
	s_cbranch_vccnz .LBB676_29
.LBB676_35:                             ;   in Loop: Header=BB676_31 Depth=1
	s_mov_b32 s10, 0
	s_and_b64 vcc, exec, s[4:5]
	s_cbranch_vccnz .LBB676_55
; %bb.36:                               ;   in Loop: Header=BB676_31 Depth=1
	s_mov_b32 s27, 0
	v_mov_b64_e32 v[6:7], v[2:3]
	s_branch .LBB676_38
.LBB676_37:                             ;   in Loop: Header=BB676_38 Depth=2
	s_or_b64 exec, exec, s[20:21]
	v_and_b32_e32 v9, 0xffff0000, v9
	v_add_f32_e32 v8, v8, v9
	v_and_b32_e32 v9, 0xffff0000, v10
	v_add_f32_e32 v8, v8, v9
	;; [unrolled: 2-line block ×3, first 2 shown]
	v_and_b32_e32 v9, 0xffff0000, v12
	s_add_i32 s27, s27, 4
	s_add_i32 s10, s10, 16
	v_add_f32_e32 v8, v8, v9
	s_cmp_eq_u32 s12, s27
	v_lshl_add_u64 v[6:7], v[6:7], 0, 8
	s_cbranch_scc1 .LBB676_54
.LBB676_38:                             ;   Parent Loop BB676_31 Depth=1
                                        ; =>  This Inner Loop Header: Depth=2
	flat_load_ushort v9, v[6:7]
	v_mov_b32_e32 v10, s10
	ds_read_b32 v10, v10
	s_waitcnt vmcnt(0) lgkmcnt(0)
	v_lshlrev_b32_e32 v9, 16, v9
	v_mul_f32_e32 v10, v10, v9
	v_and_b32_e32 v9, 0x7f800000, v10
	v_cmp_ne_u32_e32 vcc, s23, v9
                                        ; implicit-def: $vgpr9
	s_and_saveexec_b64 s[20:21], vcc
	s_xor_b64 s[20:21], exec, s[20:21]
; %bb.39:                               ;   in Loop: Header=BB676_38 Depth=2
	v_bfe_u32 v9, v10, 16, 1
	v_add3_u32 v9, v10, v9, s25
                                        ; implicit-def: $vgpr10
; %bb.40:                               ;   in Loop: Header=BB676_38 Depth=2
	s_andn2_saveexec_b64 s[20:21], s[20:21]
; %bb.41:                               ;   in Loop: Header=BB676_38 Depth=2
	v_or_b32_e32 v9, 0x10000, v10
	v_cmp_eq_u32_sdwa vcc, v10, v1 src0_sel:WORD_0 src1_sel:DWORD
	s_nop 1
	v_cndmask_b32_e32 v9, v9, v10, vcc
; %bb.42:                               ;   in Loop: Header=BB676_38 Depth=2
	s_or_b64 exec, exec, s[20:21]
	flat_load_ushort v10, v[6:7] offset:2
	v_mov_b32_e32 v11, s10
	ds_read_b32 v11, v11 offset:4
	s_waitcnt vmcnt(0) lgkmcnt(0)
	v_lshlrev_b32_e32 v10, 16, v10
	v_mul_f32_e32 v11, v11, v10
	v_and_b32_e32 v10, 0x7f800000, v11
	v_cmp_ne_u32_e32 vcc, s23, v10
                                        ; implicit-def: $vgpr10
	s_and_saveexec_b64 s[20:21], vcc
	s_xor_b64 s[20:21], exec, s[20:21]
; %bb.43:                               ;   in Loop: Header=BB676_38 Depth=2
	v_bfe_u32 v10, v11, 16, 1
	v_add3_u32 v10, v11, v10, s25
                                        ; implicit-def: $vgpr11
; %bb.44:                               ;   in Loop: Header=BB676_38 Depth=2
	s_andn2_saveexec_b64 s[20:21], s[20:21]
; %bb.45:                               ;   in Loop: Header=BB676_38 Depth=2
	v_or_b32_e32 v10, 0x10000, v11
	v_cmp_eq_u32_sdwa vcc, v11, v1 src0_sel:WORD_0 src1_sel:DWORD
	s_nop 1
	v_cndmask_b32_e32 v10, v10, v11, vcc
; %bb.46:                               ;   in Loop: Header=BB676_38 Depth=2
	s_or_b64 exec, exec, s[20:21]
	flat_load_ushort v11, v[6:7] offset:4
	v_mov_b32_e32 v12, s10
	ds_read_b32 v12, v12 offset:8
	s_waitcnt vmcnt(0) lgkmcnt(0)
	v_lshlrev_b32_e32 v11, 16, v11
	v_mul_f32_e32 v12, v12, v11
	v_and_b32_e32 v11, 0x7f800000, v12
	v_cmp_ne_u32_e32 vcc, s23, v11
                                        ; implicit-def: $vgpr11
	s_and_saveexec_b64 s[20:21], vcc
	s_xor_b64 s[20:21], exec, s[20:21]
; %bb.47:                               ;   in Loop: Header=BB676_38 Depth=2
	v_bfe_u32 v11, v12, 16, 1
	v_add3_u32 v11, v12, v11, s25
                                        ; implicit-def: $vgpr12
; %bb.48:                               ;   in Loop: Header=BB676_38 Depth=2
	s_andn2_saveexec_b64 s[20:21], s[20:21]
; %bb.49:                               ;   in Loop: Header=BB676_38 Depth=2
	v_or_b32_e32 v11, 0x10000, v12
	v_cmp_eq_u32_sdwa vcc, v12, v1 src0_sel:WORD_0 src1_sel:DWORD
	s_nop 1
	v_cndmask_b32_e32 v11, v11, v12, vcc
; %bb.50:                               ;   in Loop: Header=BB676_38 Depth=2
	s_or_b64 exec, exec, s[20:21]
	flat_load_ushort v12, v[6:7] offset:6
	v_mov_b32_e32 v13, s10
	ds_read_b32 v13, v13 offset:12
	s_waitcnt vmcnt(0) lgkmcnt(0)
	v_lshlrev_b32_e32 v12, 16, v12
	v_mul_f32_e32 v13, v13, v12
	v_and_b32_e32 v12, 0x7f800000, v13
	v_cmp_ne_u32_e32 vcc, s23, v12
                                        ; implicit-def: $vgpr12
	s_and_saveexec_b64 s[20:21], vcc
	s_xor_b64 s[20:21], exec, s[20:21]
; %bb.51:                               ;   in Loop: Header=BB676_38 Depth=2
	v_bfe_u32 v12, v13, 16, 1
	v_add3_u32 v12, v13, v12, s25
                                        ; implicit-def: $vgpr13
; %bb.52:                               ;   in Loop: Header=BB676_38 Depth=2
	s_andn2_saveexec_b64 s[20:21], s[20:21]
	s_cbranch_execz .LBB676_37
; %bb.53:                               ;   in Loop: Header=BB676_38 Depth=2
	v_or_b32_e32 v12, 0x10000, v13
	v_cmp_eq_u32_sdwa vcc, v13, v1 src0_sel:WORD_0 src1_sel:DWORD
	s_nop 1
	v_cndmask_b32_e32 v12, v12, v13, vcc
	s_branch .LBB676_37
.LBB676_54:                             ;   in Loop: Header=BB676_31 Depth=1
	s_mov_b32 s10, s12
.LBB676_55:                             ;   in Loop: Header=BB676_31 Depth=1
	s_and_b64 vcc, exec, s[6:7]
	s_cbranch_vccnz .LBB676_29
; %bb.56:                               ;   in Loop: Header=BB676_31 Depth=1
	s_lshl_b32 s27, s10, 2
	s_lshl_b32 s10, s10, 1
	v_lshl_add_u64 v[6:7], v[2:3], 0, s[10:11]
	s_mov_b32 s10, s22
	s_branch .LBB676_58
.LBB676_57:                             ;   in Loop: Header=BB676_58 Depth=2
	s_or_b64 exec, exec, s[20:21]
	v_and_b32_e32 v9, 0xffff0000, v10
	s_add_i32 s27, s27, 4
	s_add_i32 s10, s10, -1
	v_add_f32_e32 v8, v8, v9
	s_cmp_lg_u32 s10, 0
	v_lshl_add_u64 v[6:7], v[6:7], 0, 2
	s_cbranch_scc0 .LBB676_29
.LBB676_58:                             ;   Parent Loop BB676_31 Depth=1
                                        ; =>  This Inner Loop Header: Depth=2
	flat_load_ushort v9, v[6:7]
	v_mov_b32_e32 v10, s27
	ds_read_b32 v10, v10
	s_waitcnt vmcnt(0) lgkmcnt(0)
	v_lshlrev_b32_e32 v9, 16, v9
	v_mul_f32_e32 v9, v10, v9
	v_and_b32_e32 v10, 0x7f800000, v9
	v_cmp_ne_u32_e32 vcc, s23, v10
                                        ; implicit-def: $vgpr10
	s_and_saveexec_b64 s[20:21], vcc
	s_xor_b64 s[20:21], exec, s[20:21]
; %bb.59:                               ;   in Loop: Header=BB676_58 Depth=2
	v_bfe_u32 v10, v9, 16, 1
	v_add3_u32 v10, v9, v10, s25
                                        ; implicit-def: $vgpr9
; %bb.60:                               ;   in Loop: Header=BB676_58 Depth=2
	s_andn2_saveexec_b64 s[20:21], s[20:21]
	s_cbranch_execz .LBB676_57
; %bb.61:                               ;   in Loop: Header=BB676_58 Depth=2
	v_or_b32_e32 v10, 0x10000, v9
	v_cmp_eq_u32_sdwa vcc, v9, v1 src0_sel:WORD_0 src1_sel:DWORD
	s_nop 1
	v_cndmask_b32_e32 v10, v10, v9, vcc
	s_branch .LBB676_57
.LBB676_62:
	s_endpgm
	.section	.rodata,"a",@progbits
	.p2align	6, 0x0
	.amdhsa_kernel _ZL22rocblas_gemvtsm_kernelILb0ELi256EPK16rocblas_bfloat16PKfKPfEviiT2_lPKT1_lilSA_lilS7_lPT3_lil
		.amdhsa_group_segment_fixed_size 256
		.amdhsa_private_segment_fixed_size 0
		.amdhsa_kernarg_size 136
		.amdhsa_user_sgpr_count 2
		.amdhsa_user_sgpr_dispatch_ptr 0
		.amdhsa_user_sgpr_queue_ptr 0
		.amdhsa_user_sgpr_kernarg_segment_ptr 1
		.amdhsa_user_sgpr_dispatch_id 0
		.amdhsa_user_sgpr_kernarg_preload_length 0
		.amdhsa_user_sgpr_kernarg_preload_offset 0
		.amdhsa_user_sgpr_private_segment_size 0
		.amdhsa_uses_dynamic_stack 0
		.amdhsa_enable_private_segment 0
		.amdhsa_system_sgpr_workgroup_id_x 1
		.amdhsa_system_sgpr_workgroup_id_y 0
		.amdhsa_system_sgpr_workgroup_id_z 0
		.amdhsa_system_sgpr_workgroup_info 0
		.amdhsa_system_vgpr_workitem_id 0
		.amdhsa_next_free_vgpr 14
		.amdhsa_next_free_sgpr 28
		.amdhsa_accum_offset 16
		.amdhsa_reserve_vcc 1
		.amdhsa_float_round_mode_32 0
		.amdhsa_float_round_mode_16_64 0
		.amdhsa_float_denorm_mode_32 3
		.amdhsa_float_denorm_mode_16_64 3
		.amdhsa_dx10_clamp 1
		.amdhsa_ieee_mode 1
		.amdhsa_fp16_overflow 0
		.amdhsa_tg_split 0
		.amdhsa_exception_fp_ieee_invalid_op 0
		.amdhsa_exception_fp_denorm_src 0
		.amdhsa_exception_fp_ieee_div_zero 0
		.amdhsa_exception_fp_ieee_overflow 0
		.amdhsa_exception_fp_ieee_underflow 0
		.amdhsa_exception_fp_ieee_inexact 0
		.amdhsa_exception_int_div_zero 0
	.end_amdhsa_kernel
	.section	.text._ZL22rocblas_gemvtsm_kernelILb0ELi256EPK16rocblas_bfloat16PKfKPfEviiT2_lPKT1_lilSA_lilS7_lPT3_lil,"axG",@progbits,_ZL22rocblas_gemvtsm_kernelILb0ELi256EPK16rocblas_bfloat16PKfKPfEviiT2_lPKT1_lilSA_lilS7_lPT3_lil,comdat
.Lfunc_end676:
	.size	_ZL22rocblas_gemvtsm_kernelILb0ELi256EPK16rocblas_bfloat16PKfKPfEviiT2_lPKT1_lilSA_lilS7_lPT3_lil, .Lfunc_end676-_ZL22rocblas_gemvtsm_kernelILb0ELi256EPK16rocblas_bfloat16PKfKPfEviiT2_lPKT1_lilSA_lilS7_lPT3_lil
                                        ; -- End function
	.section	.AMDGPU.csdata,"",@progbits
; Kernel info:
; codeLenInByte = 1776
; NumSgprs: 34
; NumVgprs: 14
; NumAgprs: 0
; TotalNumVgprs: 14
; ScratchSize: 0
; MemoryBound: 0
; FloatMode: 240
; IeeeMode: 1
; LDSByteSize: 256 bytes/workgroup (compile time only)
; SGPRBlocks: 4
; VGPRBlocks: 1
; NumSGPRsForWavesPerEU: 34
; NumVGPRsForWavesPerEU: 14
; AccumOffset: 16
; Occupancy: 8
; WaveLimiterHint : 1
; COMPUTE_PGM_RSRC2:SCRATCH_EN: 0
; COMPUTE_PGM_RSRC2:USER_SGPR: 2
; COMPUTE_PGM_RSRC2:TRAP_HANDLER: 0
; COMPUTE_PGM_RSRC2:TGID_X_EN: 1
; COMPUTE_PGM_RSRC2:TGID_Y_EN: 0
; COMPUTE_PGM_RSRC2:TGID_Z_EN: 0
; COMPUTE_PGM_RSRC2:TIDIG_COMP_CNT: 0
; COMPUTE_PGM_RSRC3_GFX90A:ACCUM_OFFSET: 3
; COMPUTE_PGM_RSRC3_GFX90A:TG_SPLIT: 0
	.section	.text._ZL22rocblas_gemvtsm_kernelILb0ELi256EPK16rocblas_bfloat16fKPfEviiT2_lPKT1_lilS8_lilS5_lPT3_lil,"axG",@progbits,_ZL22rocblas_gemvtsm_kernelILb0ELi256EPK16rocblas_bfloat16fKPfEviiT2_lPKT1_lilS8_lilS5_lPT3_lil,comdat
	.globl	_ZL22rocblas_gemvtsm_kernelILb0ELi256EPK16rocblas_bfloat16fKPfEviiT2_lPKT1_lilS8_lilS5_lPT3_lil ; -- Begin function _ZL22rocblas_gemvtsm_kernelILb0ELi256EPK16rocblas_bfloat16fKPfEviiT2_lPKT1_lilS8_lilS5_lPT3_lil
	.p2align	8
	.type	_ZL22rocblas_gemvtsm_kernelILb0ELi256EPK16rocblas_bfloat16fKPfEviiT2_lPKT1_lilS8_lilS5_lPT3_lil,@function
_ZL22rocblas_gemvtsm_kernelILb0ELi256EPK16rocblas_bfloat16fKPfEviiT2_lPKT1_lilS8_lilS5_lPT3_lil: ; @_ZL22rocblas_gemvtsm_kernelILb0ELi256EPK16rocblas_bfloat16fKPfEviiT2_lPKT1_lilS8_lilS5_lPT3_lil
; %bb.0:
	s_load_dwordx4 s[8:11], s[0:1], 0x0
	s_load_dword s22, s[0:1], 0x58
	s_waitcnt lgkmcnt(0)
	v_cmp_eq_f32_e64 s[18:19], s10, 0
	v_cmp_eq_f32_e64 s[4:5], s22, 1.0
	s_and_b64 s[4:5], s[18:19], s[4:5]
	s_and_b64 vcc, exec, s[4:5]
	s_cbranch_vccnz .LBB677_65
; %bb.1:
	v_cmp_neq_f32_e64 s[4:5], s10, 0
	s_mov_b32 s3, 0
	s_and_b64 vcc, exec, s[4:5]
	s_cbranch_vccnz .LBB677_3
; %bb.2:
	s_mov_b64 s[16:17], 0
	s_cbranch_execz .LBB677_4
	s_branch .LBB677_5
.LBB677_3:
                                        ; implicit-def: $sgpr16_sgpr17
.LBB677_4:
	s_load_dwordx4 s[12:15], s[0:1], 0x18
	s_lshl_b64 s[6:7], s[2:3], 3
	s_waitcnt lgkmcnt(0)
	s_add_u32 s6, s12, s6
	s_addc_u32 s7, s13, s7
	s_load_dwordx2 s[6:7], s[6:7], 0x0
	s_lshl_b64 s[12:13], s[14:15], 1
	s_waitcnt lgkmcnt(0)
	s_add_u32 s16, s6, s12
	s_addc_u32 s17, s7, s13
.LBB677_5:
	s_andn2_b64 vcc, exec, s[4:5]
	s_cbranch_vccnz .LBB677_7
; %bb.6:
	s_load_dwordx4 s[4:7], s[0:1], 0x38
	s_lshl_b64 s[12:13], s[2:3], 3
	s_waitcnt lgkmcnt(0)
	s_add_u32 s4, s4, s12
	s_addc_u32 s5, s5, s13
	s_load_dwordx2 s[4:5], s[4:5], 0x0
	s_lshl_b64 s[6:7], s[6:7], 1
	s_waitcnt lgkmcnt(0)
	s_add_u32 s14, s4, s6
	s_addc_u32 s15, s5, s7
	s_branch .LBB677_8
.LBB677_7:
	s_mov_b64 s[14:15], 0
.LBB677_8:
	s_load_dwordx4 s[4:7], s[0:1], 0x68
	s_load_dword s12, s[0:1], 0x78
	s_lshl_b64 s[2:3], s[2:3], 3
	s_waitcnt lgkmcnt(0)
	s_add_u32 s2, s4, s2
	s_addc_u32 s3, s5, s3
	s_load_dwordx2 s[4:5], s[2:3], 0x0
	s_andn2_b64 vcc, exec, s[18:19]
	s_mov_b64 s[2:3], -1
	s_cbranch_vccnz .LBB677_23
; %bb.9:
	s_cmp_gt_i32 s9, 0
	s_cselect_b64 s[18:19], -1, 0
	v_cmp_neq_f32_e64 s[2:3], s22, 0
	v_cndmask_b32_e64 v1, 0, 1, s[18:19]
	s_and_b64 vcc, exec, s[2:3]
	v_cmp_ne_u32_e64 s[2:3], 1, v1
	s_cbranch_vccnz .LBB677_16
; %bb.10:
	s_and_b64 vcc, exec, s[2:3]
	s_cbranch_vccnz .LBB677_15
; %bb.11:
	v_mad_i64_i32 v[2:3], s[18:19], s12, v0, 0
	s_ashr_i32 s13, s12, 31
	s_lshl_b64 s[18:19], s[6:7], 2
	s_waitcnt lgkmcnt(0)
	s_add_u32 s18, s4, s18
	s_addc_u32 s19, s5, s19
	v_lshl_add_u64 v[2:3], v[2:3], 2, s[18:19]
	s_lshl_b64 s[18:19], s[12:13], 10
	s_mov_b32 s11, 0
	v_mov_b32_e32 v1, 0
	s_branch .LBB677_13
.LBB677_12:                             ;   in Loop: Header=BB677_13 Depth=1
	s_or_b64 exec, exec, s[20:21]
	s_addk_i32 s11, 0x100
	s_cmp_ge_i32 s11, s9
	v_lshl_add_u64 v[2:3], v[2:3], 0, s[18:19]
	s_cbranch_scc1 .LBB677_15
.LBB677_13:                             ; =>This Inner Loop Header: Depth=1
	v_add_u32_e32 v4, s11, v0
	v_cmp_gt_i32_e32 vcc, s9, v4
	s_and_saveexec_b64 s[20:21], vcc
	s_cbranch_execz .LBB677_12
; %bb.14:                               ;   in Loop: Header=BB677_13 Depth=1
	global_store_dword v[2:3], v1, off
	s_branch .LBB677_12
.LBB677_15:
	s_cbranch_execz .LBB677_17
	s_branch .LBB677_22
.LBB677_16:
.LBB677_17:
	s_and_b64 vcc, exec, s[2:3]
	s_cbranch_vccnz .LBB677_22
; %bb.18:
	v_mad_i64_i32 v[2:3], s[2:3], s12, v0, 0
	s_ashr_i32 s13, s12, 31
	s_lshl_b64 s[2:3], s[6:7], 2
	s_waitcnt lgkmcnt(0)
	s_add_u32 s2, s4, s2
	s_addc_u32 s3, s5, s3
	v_lshl_add_u64 v[2:3], v[2:3], 2, s[2:3]
	s_lshl_b64 s[2:3], s[12:13], 10
	s_mov_b32 s11, 0
	s_branch .LBB677_20
.LBB677_19:                             ;   in Loop: Header=BB677_20 Depth=1
	s_or_b64 exec, exec, s[18:19]
	s_addk_i32 s11, 0x100
	s_cmp_ge_i32 s11, s9
	v_lshl_add_u64 v[2:3], v[2:3], 0, s[2:3]
	s_cbranch_scc1 .LBB677_22
.LBB677_20:                             ; =>This Inner Loop Header: Depth=1
	v_add_u32_e32 v1, s11, v0
	v_cmp_gt_i32_e32 vcc, s9, v1
	s_and_saveexec_b64 s[18:19], vcc
	s_cbranch_execz .LBB677_19
; %bb.21:                               ;   in Loop: Header=BB677_20 Depth=1
	global_load_dword v1, v[2:3], off
	s_waitcnt vmcnt(0)
	v_mul_f32_e32 v1, s22, v1
	global_store_dword v[2:3], v1, off
	s_branch .LBB677_19
.LBB677_22:
	s_mov_b64 s[2:3], 0
.LBB677_23:
	s_andn2_b64 vcc, exec, s[2:3]
	s_cbranch_vccnz .LBB677_65
; %bb.24:
	v_cmp_gt_i32_e32 vcc, s8, v0
	s_and_saveexec_b64 s[2:3], vcc
	s_cbranch_execz .LBB677_30
; %bb.25:
	s_load_dword s11, s[0:1], 0x48
	s_waitcnt lgkmcnt(0)
	v_mad_i64_i32 v[2:3], s[18:19], s11, v0, 0
	v_lshl_add_u64 v[2:3], v[2:3], 1, s[14:15]
	flat_load_ushort v1, v[2:3]
	s_waitcnt vmcnt(0) lgkmcnt(0)
	v_lshlrev_b32_e32 v1, 16, v1
	v_mul_f32_e32 v1, s10, v1
	s_mov_b32 s10, 0x7f800000
	v_and_b32_e32 v2, 0x7f800000, v1
	v_cmp_ne_u32_e32 vcc, s10, v2
                                        ; implicit-def: $vgpr2
	s_and_saveexec_b64 s[10:11], vcc
	s_xor_b64 s[10:11], exec, s[10:11]
; %bb.26:
	v_bfe_u32 v2, v1, 16, 1
	s_movk_i32 s13, 0x7fff
	v_add3_u32 v2, v1, v2, s13
                                        ; implicit-def: $vgpr1
; %bb.27:
	s_andn2_saveexec_b64 s[10:11], s[10:11]
; %bb.28:
	v_mov_b32_e32 v2, 0
	v_or_b32_e32 v3, 0x10000, v1
	v_cmp_eq_u32_sdwa vcc, v1, v2 src0_sel:WORD_0 src1_sel:DWORD
	s_nop 1
	v_cndmask_b32_e32 v2, v3, v1, vcc
; %bb.29:
	s_or_b64 exec, exec, s[10:11]
	v_and_b32_e32 v1, 0xffff0000, v2
	v_lshlrev_b32_e32 v2, 2, v0
	ds_write_b32 v2, v1
.LBB677_30:
	s_or_b64 exec, exec, s[2:3]
	s_cmp_lt_i32 s9, 1
	s_waitcnt lgkmcnt(0)
	s_barrier
	s_cbranch_scc1 .LBB677_65
; %bb.31:
	s_load_dword s0, s[0:1], 0x28
	s_lshl_b64 s[2:3], s[6:7], 2
	s_add_u32 s10, s4, s2
	s_addc_u32 s11, s5, s3
	s_ashr_i32 s13, s12, 31
	s_waitcnt lgkmcnt(0)
	s_ashr_i32 s1, s0, 31
	s_cmp_gt_i32 s8, 0
	s_cselect_b64 s[2:3], -1, 0
	s_and_b32 s23, s8, 3
	s_cmp_gt_u32 s8, 3
	s_cselect_b64 s[4:5], -1, 0
	s_and_b32 s8, s8, 0x7ffffffc
	s_cmp_lg_u32 s23, 0
	v_mad_i64_i32 v[2:3], s[18:19], s0, v0, 0
	s_cselect_b64 s[6:7], -1, 0
	v_lshl_add_u64 v[2:3], v[2:3], 1, s[16:17]
	s_lshl_b64 s[16:17], s[0:1], 9
	v_cmp_neq_f32_e64 s[0:1], s22, 0
	s_mov_b32 s15, 0
	s_mov_b32 s24, 0x7f800000
	v_cndmask_b32_e64 v1, 0, 1, s[0:1]
	v_cmp_ne_u32_e64 s[0:1], 1, v1
	v_cndmask_b32_e64 v1, 0, 1, s[2:3]
	v_cmp_ne_u32_e64 s[2:3], 1, v1
	;; [unrolled: 2-line block ×3, first 2 shown]
	v_cndmask_b32_e64 v1, 0, 1, s[6:7]
	s_movk_i32 s25, 0x7fff
	v_cmp_ne_u32_e64 s[6:7], 1, v1
	v_mov_b32_e32 v1, 0
	s_mov_b32 s26, 0
	s_branch .LBB677_34
.LBB677_32:                             ;   in Loop: Header=BB677_34 Depth=1
	global_store_dword v[4:5], v8, off
.LBB677_33:                             ;   in Loop: Header=BB677_34 Depth=1
	s_or_b64 exec, exec, s[18:19]
	s_addk_i32 s26, 0x100
	s_cmp_ge_i32 s26, s9
	v_lshl_add_u64 v[2:3], v[2:3], 0, s[16:17]
	s_cbranch_scc1 .LBB677_65
.LBB677_34:                             ; =>This Loop Header: Depth=1
                                        ;     Child Loop BB677_41 Depth 2
                                        ;     Child Loop BB677_61 Depth 2
	v_add_u32_e32 v4, s26, v0
	v_cmp_gt_i32_e32 vcc, s9, v4
	s_and_saveexec_b64 s[18:19], vcc
	s_cbranch_execz .LBB677_33
; %bb.35:                               ;   in Loop: Header=BB677_34 Depth=1
	v_mad_u64_u32 v[6:7], s[20:21], v4, s12, 0
	v_mov_b32_e32 v8, v7
	v_mad_u64_u32 v[4:5], s[20:21], v4, s13, v[8:9]
	v_mov_b32_e32 v7, v4
	s_and_b64 vcc, exec, s[0:1]
	v_lshl_add_u64 v[4:5], v[6:7], 2, s[10:11]
	s_cbranch_vccnz .LBB677_37
; %bb.36:                               ;   in Loop: Header=BB677_34 Depth=1
	global_load_dword v6, v[4:5], off
	s_waitcnt vmcnt(0)
	v_mul_f32_e32 v8, s22, v6
	s_and_b64 vcc, exec, s[2:3]
	s_cbranch_vccz .LBB677_38
	s_branch .LBB677_32
.LBB677_37:                             ;   in Loop: Header=BB677_34 Depth=1
	v_mov_b32_e32 v8, 0
	s_and_b64 vcc, exec, s[2:3]
	s_cbranch_vccnz .LBB677_32
.LBB677_38:                             ;   in Loop: Header=BB677_34 Depth=1
	s_mov_b32 s14, 0
	s_and_b64 vcc, exec, s[4:5]
	s_cbranch_vccnz .LBB677_58
; %bb.39:                               ;   in Loop: Header=BB677_34 Depth=1
	s_mov_b32 s27, 0
	v_mov_b64_e32 v[6:7], v[2:3]
	s_branch .LBB677_41
.LBB677_40:                             ;   in Loop: Header=BB677_41 Depth=2
	s_or_b64 exec, exec, s[20:21]
	v_and_b32_e32 v9, 0xffff0000, v9
	v_add_f32_e32 v8, v8, v9
	v_and_b32_e32 v9, 0xffff0000, v10
	v_add_f32_e32 v8, v8, v9
	;; [unrolled: 2-line block ×3, first 2 shown]
	v_and_b32_e32 v9, 0xffff0000, v12
	s_add_i32 s27, s27, 4
	s_add_i32 s14, s14, 16
	v_add_f32_e32 v8, v8, v9
	s_cmp_eq_u32 s8, s27
	v_lshl_add_u64 v[6:7], v[6:7], 0, 8
	s_cbranch_scc1 .LBB677_57
.LBB677_41:                             ;   Parent Loop BB677_34 Depth=1
                                        ; =>  This Inner Loop Header: Depth=2
	flat_load_ushort v9, v[6:7]
	v_mov_b32_e32 v10, s14
	ds_read_b32 v10, v10
	s_waitcnt vmcnt(0) lgkmcnt(0)
	v_lshlrev_b32_e32 v9, 16, v9
	v_mul_f32_e32 v10, v10, v9
	v_and_b32_e32 v9, 0x7f800000, v10
	v_cmp_ne_u32_e32 vcc, s24, v9
                                        ; implicit-def: $vgpr9
	s_and_saveexec_b64 s[20:21], vcc
	s_xor_b64 s[20:21], exec, s[20:21]
; %bb.42:                               ;   in Loop: Header=BB677_41 Depth=2
	v_bfe_u32 v9, v10, 16, 1
	v_add3_u32 v9, v10, v9, s25
                                        ; implicit-def: $vgpr10
; %bb.43:                               ;   in Loop: Header=BB677_41 Depth=2
	s_andn2_saveexec_b64 s[20:21], s[20:21]
; %bb.44:                               ;   in Loop: Header=BB677_41 Depth=2
	v_or_b32_e32 v9, 0x10000, v10
	v_cmp_eq_u32_sdwa vcc, v10, v1 src0_sel:WORD_0 src1_sel:DWORD
	s_nop 1
	v_cndmask_b32_e32 v9, v9, v10, vcc
; %bb.45:                               ;   in Loop: Header=BB677_41 Depth=2
	s_or_b64 exec, exec, s[20:21]
	flat_load_ushort v10, v[6:7] offset:2
	v_mov_b32_e32 v11, s14
	ds_read_b32 v11, v11 offset:4
	s_waitcnt vmcnt(0) lgkmcnt(0)
	v_lshlrev_b32_e32 v10, 16, v10
	v_mul_f32_e32 v11, v11, v10
	v_and_b32_e32 v10, 0x7f800000, v11
	v_cmp_ne_u32_e32 vcc, s24, v10
                                        ; implicit-def: $vgpr10
	s_and_saveexec_b64 s[20:21], vcc
	s_xor_b64 s[20:21], exec, s[20:21]
; %bb.46:                               ;   in Loop: Header=BB677_41 Depth=2
	v_bfe_u32 v10, v11, 16, 1
	v_add3_u32 v10, v11, v10, s25
                                        ; implicit-def: $vgpr11
; %bb.47:                               ;   in Loop: Header=BB677_41 Depth=2
	s_andn2_saveexec_b64 s[20:21], s[20:21]
; %bb.48:                               ;   in Loop: Header=BB677_41 Depth=2
	v_or_b32_e32 v10, 0x10000, v11
	v_cmp_eq_u32_sdwa vcc, v11, v1 src0_sel:WORD_0 src1_sel:DWORD
	s_nop 1
	v_cndmask_b32_e32 v10, v10, v11, vcc
; %bb.49:                               ;   in Loop: Header=BB677_41 Depth=2
	s_or_b64 exec, exec, s[20:21]
	flat_load_ushort v11, v[6:7] offset:4
	v_mov_b32_e32 v12, s14
	ds_read_b32 v12, v12 offset:8
	s_waitcnt vmcnt(0) lgkmcnt(0)
	v_lshlrev_b32_e32 v11, 16, v11
	v_mul_f32_e32 v12, v12, v11
	v_and_b32_e32 v11, 0x7f800000, v12
	v_cmp_ne_u32_e32 vcc, s24, v11
                                        ; implicit-def: $vgpr11
	s_and_saveexec_b64 s[20:21], vcc
	s_xor_b64 s[20:21], exec, s[20:21]
; %bb.50:                               ;   in Loop: Header=BB677_41 Depth=2
	v_bfe_u32 v11, v12, 16, 1
	v_add3_u32 v11, v12, v11, s25
                                        ; implicit-def: $vgpr12
; %bb.51:                               ;   in Loop: Header=BB677_41 Depth=2
	s_andn2_saveexec_b64 s[20:21], s[20:21]
; %bb.52:                               ;   in Loop: Header=BB677_41 Depth=2
	v_or_b32_e32 v11, 0x10000, v12
	v_cmp_eq_u32_sdwa vcc, v12, v1 src0_sel:WORD_0 src1_sel:DWORD
	s_nop 1
	v_cndmask_b32_e32 v11, v11, v12, vcc
; %bb.53:                               ;   in Loop: Header=BB677_41 Depth=2
	s_or_b64 exec, exec, s[20:21]
	flat_load_ushort v12, v[6:7] offset:6
	v_mov_b32_e32 v13, s14
	ds_read_b32 v13, v13 offset:12
	s_waitcnt vmcnt(0) lgkmcnt(0)
	v_lshlrev_b32_e32 v12, 16, v12
	v_mul_f32_e32 v13, v13, v12
	v_and_b32_e32 v12, 0x7f800000, v13
	v_cmp_ne_u32_e32 vcc, s24, v12
                                        ; implicit-def: $vgpr12
	s_and_saveexec_b64 s[20:21], vcc
	s_xor_b64 s[20:21], exec, s[20:21]
; %bb.54:                               ;   in Loop: Header=BB677_41 Depth=2
	v_bfe_u32 v12, v13, 16, 1
	v_add3_u32 v12, v13, v12, s25
                                        ; implicit-def: $vgpr13
; %bb.55:                               ;   in Loop: Header=BB677_41 Depth=2
	s_andn2_saveexec_b64 s[20:21], s[20:21]
	s_cbranch_execz .LBB677_40
; %bb.56:                               ;   in Loop: Header=BB677_41 Depth=2
	v_or_b32_e32 v12, 0x10000, v13
	v_cmp_eq_u32_sdwa vcc, v13, v1 src0_sel:WORD_0 src1_sel:DWORD
	s_nop 1
	v_cndmask_b32_e32 v12, v12, v13, vcc
	s_branch .LBB677_40
.LBB677_57:                             ;   in Loop: Header=BB677_34 Depth=1
	s_mov_b32 s14, s8
.LBB677_58:                             ;   in Loop: Header=BB677_34 Depth=1
	s_and_b64 vcc, exec, s[6:7]
	s_cbranch_vccnz .LBB677_32
; %bb.59:                               ;   in Loop: Header=BB677_34 Depth=1
	s_lshl_b32 s27, s14, 2
	s_lshl_b32 s14, s14, 1
	v_lshl_add_u64 v[6:7], v[2:3], 0, s[14:15]
	s_mov_b32 s14, s23
	s_branch .LBB677_61
.LBB677_60:                             ;   in Loop: Header=BB677_61 Depth=2
	s_or_b64 exec, exec, s[20:21]
	v_and_b32_e32 v9, 0xffff0000, v10
	s_add_i32 s27, s27, 4
	s_add_i32 s14, s14, -1
	v_add_f32_e32 v8, v8, v9
	s_cmp_lg_u32 s14, 0
	v_lshl_add_u64 v[6:7], v[6:7], 0, 2
	s_cbranch_scc0 .LBB677_32
.LBB677_61:                             ;   Parent Loop BB677_34 Depth=1
                                        ; =>  This Inner Loop Header: Depth=2
	flat_load_ushort v9, v[6:7]
	v_mov_b32_e32 v10, s27
	ds_read_b32 v10, v10
	s_waitcnt vmcnt(0) lgkmcnt(0)
	v_lshlrev_b32_e32 v9, 16, v9
	v_mul_f32_e32 v9, v10, v9
	v_and_b32_e32 v10, 0x7f800000, v9
	v_cmp_ne_u32_e32 vcc, s24, v10
                                        ; implicit-def: $vgpr10
	s_and_saveexec_b64 s[20:21], vcc
	s_xor_b64 s[20:21], exec, s[20:21]
; %bb.62:                               ;   in Loop: Header=BB677_61 Depth=2
	v_bfe_u32 v10, v9, 16, 1
	v_add3_u32 v10, v9, v10, s25
                                        ; implicit-def: $vgpr9
; %bb.63:                               ;   in Loop: Header=BB677_61 Depth=2
	s_andn2_saveexec_b64 s[20:21], s[20:21]
	s_cbranch_execz .LBB677_60
; %bb.64:                               ;   in Loop: Header=BB677_61 Depth=2
	v_or_b32_e32 v10, 0x10000, v9
	v_cmp_eq_u32_sdwa vcc, v9, v1 src0_sel:WORD_0 src1_sel:DWORD
	s_nop 1
	v_cndmask_b32_e32 v10, v10, v9, vcc
	s_branch .LBB677_60
.LBB677_65:
	s_endpgm
	.section	.rodata,"a",@progbits
	.p2align	6, 0x0
	.amdhsa_kernel _ZL22rocblas_gemvtsm_kernelILb0ELi256EPK16rocblas_bfloat16fKPfEviiT2_lPKT1_lilS8_lilS5_lPT3_lil
		.amdhsa_group_segment_fixed_size 256
		.amdhsa_private_segment_fixed_size 0
		.amdhsa_kernarg_size 136
		.amdhsa_user_sgpr_count 2
		.amdhsa_user_sgpr_dispatch_ptr 0
		.amdhsa_user_sgpr_queue_ptr 0
		.amdhsa_user_sgpr_kernarg_segment_ptr 1
		.amdhsa_user_sgpr_dispatch_id 0
		.amdhsa_user_sgpr_kernarg_preload_length 0
		.amdhsa_user_sgpr_kernarg_preload_offset 0
		.amdhsa_user_sgpr_private_segment_size 0
		.amdhsa_uses_dynamic_stack 0
		.amdhsa_enable_private_segment 0
		.amdhsa_system_sgpr_workgroup_id_x 1
		.amdhsa_system_sgpr_workgroup_id_y 0
		.amdhsa_system_sgpr_workgroup_id_z 0
		.amdhsa_system_sgpr_workgroup_info 0
		.amdhsa_system_vgpr_workitem_id 0
		.amdhsa_next_free_vgpr 14
		.amdhsa_next_free_sgpr 28
		.amdhsa_accum_offset 16
		.amdhsa_reserve_vcc 1
		.amdhsa_float_round_mode_32 0
		.amdhsa_float_round_mode_16_64 0
		.amdhsa_float_denorm_mode_32 3
		.amdhsa_float_denorm_mode_16_64 3
		.amdhsa_dx10_clamp 1
		.amdhsa_ieee_mode 1
		.amdhsa_fp16_overflow 0
		.amdhsa_tg_split 0
		.amdhsa_exception_fp_ieee_invalid_op 0
		.amdhsa_exception_fp_denorm_src 0
		.amdhsa_exception_fp_ieee_div_zero 0
		.amdhsa_exception_fp_ieee_overflow 0
		.amdhsa_exception_fp_ieee_underflow 0
		.amdhsa_exception_fp_ieee_inexact 0
		.amdhsa_exception_int_div_zero 0
	.end_amdhsa_kernel
	.section	.text._ZL22rocblas_gemvtsm_kernelILb0ELi256EPK16rocblas_bfloat16fKPfEviiT2_lPKT1_lilS8_lilS5_lPT3_lil,"axG",@progbits,_ZL22rocblas_gemvtsm_kernelILb0ELi256EPK16rocblas_bfloat16fKPfEviiT2_lPKT1_lilS8_lilS5_lPT3_lil,comdat
.Lfunc_end677:
	.size	_ZL22rocblas_gemvtsm_kernelILb0ELi256EPK16rocblas_bfloat16fKPfEviiT2_lPKT1_lilS8_lilS5_lPT3_lil, .Lfunc_end677-_ZL22rocblas_gemvtsm_kernelILb0ELi256EPK16rocblas_bfloat16fKPfEviiT2_lPKT1_lilS8_lilS5_lPT3_lil
                                        ; -- End function
	.section	.AMDGPU.csdata,"",@progbits
; Kernel info:
; codeLenInByte = 1728
; NumSgprs: 34
; NumVgprs: 14
; NumAgprs: 0
; TotalNumVgprs: 14
; ScratchSize: 0
; MemoryBound: 0
; FloatMode: 240
; IeeeMode: 1
; LDSByteSize: 256 bytes/workgroup (compile time only)
; SGPRBlocks: 4
; VGPRBlocks: 1
; NumSGPRsForWavesPerEU: 34
; NumVGPRsForWavesPerEU: 14
; AccumOffset: 16
; Occupancy: 8
; WaveLimiterHint : 1
; COMPUTE_PGM_RSRC2:SCRATCH_EN: 0
; COMPUTE_PGM_RSRC2:USER_SGPR: 2
; COMPUTE_PGM_RSRC2:TRAP_HANDLER: 0
; COMPUTE_PGM_RSRC2:TGID_X_EN: 1
; COMPUTE_PGM_RSRC2:TGID_Y_EN: 0
; COMPUTE_PGM_RSRC2:TGID_Z_EN: 0
; COMPUTE_PGM_RSRC2:TIDIG_COMP_CNT: 0
; COMPUTE_PGM_RSRC3_GFX90A:ACCUM_OFFSET: 3
; COMPUTE_PGM_RSRC3_GFX90A:TG_SPLIT: 0
	.section	.text._ZL32rocblas_gemvt_warp_reduce_kernelILb0ELi256EiPK16rocblas_bfloat16PKfKPfEviiT3_lPKT2_lT1_lSA_lSB_lS7_lPT4_lSB_li,"axG",@progbits,_ZL32rocblas_gemvt_warp_reduce_kernelILb0ELi256EiPK16rocblas_bfloat16PKfKPfEviiT3_lPKT2_lT1_lSA_lSB_lS7_lPT4_lSB_li,comdat
	.globl	_ZL32rocblas_gemvt_warp_reduce_kernelILb0ELi256EiPK16rocblas_bfloat16PKfKPfEviiT3_lPKT2_lT1_lSA_lSB_lS7_lPT4_lSB_li ; -- Begin function _ZL32rocblas_gemvt_warp_reduce_kernelILb0ELi256EiPK16rocblas_bfloat16PKfKPfEviiT3_lPKT2_lT1_lSA_lSB_lS7_lPT4_lSB_li
	.p2align	8
	.type	_ZL32rocblas_gemvt_warp_reduce_kernelILb0ELi256EiPK16rocblas_bfloat16PKfKPfEviiT3_lPKT2_lT1_lSA_lSB_lS7_lPT4_lSB_li,@function
_ZL32rocblas_gemvt_warp_reduce_kernelILb0ELi256EiPK16rocblas_bfloat16PKfKPfEviiT3_lPKT2_lT1_lSA_lSB_lS7_lPT4_lSB_li: ; @_ZL32rocblas_gemvt_warp_reduce_kernelILb0ELi256EiPK16rocblas_bfloat16PKfKPfEviiT3_lPKT2_lT1_lSA_lSB_lS7_lPT4_lSB_li
; %bb.0:
	s_load_dwordx8 s[12:19], s[0:1], 0x8
	s_load_dwordx8 s[4:11], s[0:1], 0x58
	s_mov_b32 s20, s3
	s_waitcnt lgkmcnt(0)
	s_mul_i32 s3, s3, s15
	s_mul_hi_u32 s15, s20, s14
	s_add_i32 s15, s15, s3
	s_mul_i32 s14, s20, s14
	s_lshl_b64 s[14:15], s[14:15], 2
	s_add_u32 s12, s12, s14
	s_mul_i32 s3, s20, s7
	s_mul_hi_u32 s7, s20, s6
	s_addc_u32 s13, s13, s15
	s_add_i32 s7, s7, s3
	s_mul_i32 s6, s20, s6
	s_lshl_b64 s[6:7], s[6:7], 2
	s_add_u32 s4, s4, s6
	s_addc_u32 s5, s5, s7
	s_load_dword s22, s[12:13], 0x0
	s_load_dword s3, s[4:5], 0x0
	s_waitcnt lgkmcnt(0)
	v_cmp_eq_f32_e64 s[4:5], s22, 0
	v_cmp_eq_f32_e64 s[6:7], s3, 1.0
	s_and_b64 s[6:7], s[4:5], s[6:7]
	s_and_b64 vcc, exec, s[6:7]
	s_cbranch_vccnz .LBB678_41
; %bb.1:
	s_mov_b32 s21, 0
	v_cmp_neq_f32_e64 s[6:7], s22, 0
	s_mov_b64 s[12:13], 0
	s_and_b64 vcc, exec, s[4:5]
	s_mov_b64 s[14:15], 0
	s_cbranch_vccnz .LBB678_3
; %bb.2:
	s_lshl_b64 s[14:15], s[20:21], 3
	s_add_u32 s14, s16, s14
	s_addc_u32 s15, s17, s15
	s_load_dwordx2 s[14:15], s[14:15], 0x0
	s_lshl_b64 s[16:17], s[18:19], 1
	s_waitcnt lgkmcnt(0)
	s_add_u32 s14, s14, s16
	s_addc_u32 s15, s15, s17
.LBB678_3:
	s_andn2_b64 vcc, exec, s[6:7]
	s_cbranch_vccnz .LBB678_5
; %bb.4:
	s_load_dwordx4 s[16:19], s[0:1], 0x38
	s_lshl_b64 s[6:7], s[20:21], 3
	s_waitcnt lgkmcnt(0)
	s_add_u32 s6, s16, s6
	s_addc_u32 s7, s17, s7
	s_load_dwordx2 s[6:7], s[6:7], 0x0
	s_lshl_b64 s[12:13], s[18:19], 1
	s_waitcnt lgkmcnt(0)
	s_add_u32 s12, s6, s12
	s_addc_u32 s13, s7, s13
.LBB678_5:
	s_lshl_b64 s[6:7], s[20:21], 3
	s_add_u32 s6, s8, s6
	s_addc_u32 s7, s9, s7
	s_load_dwordx2 s[8:9], s[6:7], 0x0
	s_load_dword s20, s[0:1], 0x78
	s_lshl_b64 s[6:7], s[10:11], 2
	s_waitcnt lgkmcnt(0)
	s_add_u32 s18, s8, s6
	s_addc_u32 s19, s9, s7
	s_andn2_b64 vcc, exec, s[4:5]
	v_cmp_eq_u32_e64 s[4:5], 0, v0
	s_cbranch_vccnz .LBB678_10
; %bb.6:
	s_mov_b64 s[10:11], 0
	s_mov_b64 s[6:7], 0
                                        ; implicit-def: $vgpr1
                                        ; implicit-def: $sgpr8_sgpr9
	s_and_saveexec_b64 s[16:17], s[4:5]
	s_cbranch_execz .LBB678_11
; %bb.7:
	v_cmp_eq_f32_e64 s[4:5], s3, 0
	s_mul_i32 s8, s2, s20
	v_mov_b32_e32 v1, 0
	s_ashr_i32 s9, s8, 31
	s_and_b64 vcc, exec, s[4:5]
	s_cbranch_vccnz .LBB678_9
; %bb.8:
	s_lshl_b64 s[4:5], s[8:9], 2
	s_add_u32 s4, s18, s4
	s_addc_u32 s5, s19, s5
	s_load_dword s4, s[4:5], 0x0
	s_waitcnt lgkmcnt(0)
	v_mov_b32_e32 v1, s4
	v_mul_f32_e32 v1, s3, v1
.LBB678_9:
	s_mov_b64 s[6:7], exec
	s_or_b64 exec, exec, s[16:17]
	s_and_b64 vcc, exec, s[10:11]
	s_cbranch_vccnz .LBB678_12
	s_branch .LBB678_39
.LBB678_10:
	s_mov_b64 s[6:7], 0
                                        ; implicit-def: $vgpr1
                                        ; implicit-def: $sgpr8_sgpr9
	s_cbranch_execnz .LBB678_12
	s_branch .LBB678_39
.LBB678_11:
	s_or_b64 exec, exec, s[16:17]
	s_and_b64 vcc, exec, s[10:11]
	s_cbranch_vccz .LBB678_39
.LBB678_12:
	s_load_dword s17, s[0:1], 0x0
	s_load_dword s4, s[0:1], 0x28
	;; [unrolled: 1-line block ×3, first 2 shown]
	v_mov_b32_e32 v3, 0
	s_waitcnt lgkmcnt(0)
	v_cmp_gt_i32_e32 vcc, s17, v0
	s_mul_i32 s0, s2, s4
	s_ashr_i32 s1, s0, 31
	s_lshl_b64 s[0:1], s[0:1], 1
	v_cndmask_b32_e32 v1, 0, v0, vcc
	s_add_u32 s0, s0, s14
	v_lshlrev_b32_e32 v2, 1, v1
	s_addc_u32 s1, s1, s15
	v_lshl_add_u64 v[4:5], s[0:1], 0, v[2:3]
	s_ashr_i32 s0, s17, 31
	s_lshr_b32 s0, s0, 24
	s_add_i32 s0, s17, s0
	s_and_b32 s0, s0, 0xffffff00
	v_cmp_gt_i32_e32 vcc, s0, v0
	s_and_saveexec_b64 s[4:5], vcc
	s_cbranch_execz .LBB678_20
; %bb.13:
	v_mul_lo_u32 v6, v0, s16
	s_lshl_b32 s1, s16, 8
	s_mov_b64 s[8:9], 0
	v_mov_b32_e32 v1, 0
	s_mov_b32 s21, 0x7f800000
	s_movk_i32 s23, 0x7fff
	s_mov_b64 s[10:11], 0x200
	v_mov_b64_e32 v[8:9], v[4:5]
	v_mov_b32_e32 v2, v0
	v_mov_b32_e32 v3, 0
	s_branch .LBB678_15
.LBB678_14:                             ;   in Loop: Header=BB678_15 Depth=1
	s_or_b64 exec, exec, s[14:15]
	v_add_u32_e32 v2, 0x100, v2
	v_and_b32_e32 v7, 0xffff0000, v7
	v_cmp_le_i32_e32 vcc, s0, v2
	v_add_f32_e32 v3, v3, v7
	v_lshl_add_u64 v[8:9], v[8:9], 0, s[10:11]
	s_or_b64 s[8:9], vcc, s[8:9]
	v_add_u32_e32 v6, s1, v6
	s_andn2_b64 exec, exec, s[8:9]
	s_cbranch_execz .LBB678_19
.LBB678_15:                             ; =>This Inner Loop Header: Depth=1
	v_ashrrev_i32_e32 v7, 31, v6
	v_lshl_add_u64 v[10:11], v[6:7], 1, s[12:13]
	flat_load_ushort v7, v[10:11]
	flat_load_ushort v12, v[8:9]
	s_waitcnt vmcnt(0) lgkmcnt(0)
	v_lshlrev_b32_e32 v10, 16, v7
	v_lshlrev_b32_e32 v12, 16, v12
	v_pk_mul_f32 v[10:11], v[10:11], v[12:13] op_sel_hi:[0,1]
	v_and_b32_e32 v7, 0x7f800000, v10
	v_cmp_ne_u32_e32 vcc, s21, v7
                                        ; implicit-def: $vgpr7
	s_and_saveexec_b64 s[14:15], vcc
	s_xor_b64 s[14:15], exec, s[14:15]
; %bb.16:                               ;   in Loop: Header=BB678_15 Depth=1
	v_bfe_u32 v7, v10, 16, 1
	v_add3_u32 v7, v10, v7, s23
                                        ; implicit-def: $vgpr10_vgpr11
; %bb.17:                               ;   in Loop: Header=BB678_15 Depth=1
	s_andn2_saveexec_b64 s[14:15], s[14:15]
	s_cbranch_execz .LBB678_14
; %bb.18:                               ;   in Loop: Header=BB678_15 Depth=1
	v_or_b32_e32 v7, 0x10000, v10
	v_cmp_eq_u32_sdwa vcc, v10, v1 src0_sel:WORD_0 src1_sel:DWORD
	s_nop 1
	v_cndmask_b32_e32 v7, v7, v10, vcc
	s_branch .LBB678_14
.LBB678_19:
	s_or_b64 exec, exec, s[8:9]
.LBB678_20:
	s_or_b64 exec, exec, s[4:5]
	v_add_u32_e32 v1, s0, v0
	v_cmp_gt_i32_e32 vcc, s17, v1
	s_and_saveexec_b64 s[4:5], vcc
	s_cbranch_execz .LBB678_26
; %bb.21:
	s_ashr_i32 s1, s0, 31
	v_mul_lo_u32 v6, v1, s16
	v_lshl_add_u64 v[4:5], s[0:1], 1, v[4:5]
	v_ashrrev_i32_e32 v7, 31, v6
	v_lshl_add_u64 v[6:7], v[6:7], 1, s[12:13]
	flat_load_ushort v1, v[4:5]
	flat_load_ushort v8, v[6:7]
	s_mov_b32 s0, 0x7f800000
	s_waitcnt vmcnt(0) lgkmcnt(0)
	v_lshlrev_b32_e32 v2, 16, v1
	v_lshlrev_b32_e32 v4, 16, v8
	v_pk_mul_f32 v[4:5], v[4:5], v[2:3] op_sel_hi:[0,1]
	v_and_b32_e32 v1, 0x7f800000, v4
	v_cmp_ne_u32_e32 vcc, s0, v1
                                        ; implicit-def: $vgpr1
	s_and_saveexec_b64 s[0:1], vcc
	s_xor_b64 s[0:1], exec, s[0:1]
; %bb.22:
	v_bfe_u32 v1, v4, 16, 1
	s_movk_i32 s8, 0x7fff
	v_add3_u32 v1, v4, v1, s8
                                        ; implicit-def: $vgpr4_vgpr5
; %bb.23:
	s_andn2_saveexec_b64 s[0:1], s[0:1]
; %bb.24:
	v_mov_b32_e32 v1, 0
	v_or_b32_e32 v2, 0x10000, v4
	v_cmp_eq_u32_sdwa vcc, v4, v1 src0_sel:WORD_0 src1_sel:DWORD
	s_nop 1
	v_cndmask_b32_e32 v1, v2, v4, vcc
; %bb.25:
	s_or_b64 exec, exec, s[0:1]
	v_and_b32_e32 v1, 0xffff0000, v1
	v_add_f32_e32 v3, v3, v1
.LBB678_26:
	s_or_b64 exec, exec, s[4:5]
	v_and_b32_e32 v2, 63, v0
	v_cmp_gt_u32_e32 vcc, 64, v0
	v_lshlrev_b32_e32 v1, 2, v2
	s_and_saveexec_b64 s[0:1], vcc
	s_cbranch_execz .LBB678_28
; %bb.27:
	v_mov_b32_e32 v4, 0
	ds_write_b32 v1, v4
.LBB678_28:
	s_or_b64 exec, exec, s[0:1]
	v_mbcnt_lo_u32_b32 v4, -1, 0
	v_mbcnt_hi_u32_b32 v4, -1, v4
	v_and_b32_e32 v5, 63, v4
	v_cmp_gt_u32_e64 s[0:1], 32, v5
	s_waitcnt lgkmcnt(0)
	s_barrier
	v_cndmask_b32_e64 v6, 0, 1, s[0:1]
	v_lshlrev_b32_e32 v6, 5, v6
	v_add_lshl_u32 v6, v6, v4, 2
	ds_bpermute_b32 v6, v6, v3
	v_cmp_gt_u32_e64 s[0:1], 48, v5
	s_waitcnt lgkmcnt(0)
	v_add_f32_e32 v3, v3, v6
	v_cndmask_b32_e64 v7, 0, 1, s[0:1]
	v_lshlrev_b32_e32 v7, 4, v7
	v_add_lshl_u32 v6, v7, v4, 2
	ds_bpermute_b32 v6, v6, v3
	v_cmp_gt_u32_e64 s[0:1], 56, v5
	s_waitcnt lgkmcnt(0)
	v_add_f32_e32 v3, v3, v6
	;; [unrolled: 7-line block ×4, first 2 shown]
	v_cndmask_b32_e64 v7, 0, 1, s[0:1]
	v_lshlrev_b32_e32 v7, 1, v7
	v_add_lshl_u32 v3, v7, v4, 2
	ds_bpermute_b32 v7, v3, v6
	v_cmp_ne_u32_e64 s[0:1], 63, v5
	s_waitcnt lgkmcnt(0)
	v_add_f32_e32 v5, v6, v7
	v_addc_co_u32_e64 v4, s[0:1], 0, v4, s[0:1]
	v_lshlrev_b32_e32 v4, 2, v4
	ds_bpermute_b32 v6, v4, v5
	v_cmp_eq_u32_e64 s[0:1], 0, v2
	s_and_saveexec_b64 s[4:5], s[0:1]
	s_cbranch_execz .LBB678_30
; %bb.29:
	v_lshrrev_b32_e32 v2, 4, v0
	v_and_b32_e32 v2, 12, v2
	s_waitcnt lgkmcnt(0)
	v_add_f32_e32 v5, v5, v6
	ds_write_b32 v2, v5
.LBB678_30:
	s_or_b64 exec, exec, s[4:5]
	v_cmp_gt_u32_e64 s[0:1], 4, v0
	v_mov_b32_e32 v2, 0
	s_waitcnt lgkmcnt(0)
	s_barrier
	s_and_saveexec_b64 s[4:5], s[0:1]
	s_cbranch_execz .LBB678_32
; %bb.31:
	ds_read_b32 v2, v1
	s_or_b64 exec, exec, s[4:5]
	s_and_saveexec_b64 s[0:1], vcc
	s_cbranch_execz .LBB678_34
	s_branch .LBB678_33
.LBB678_32:
	s_or_b64 exec, exec, s[4:5]
	s_and_saveexec_b64 s[0:1], vcc
	s_cbranch_execz .LBB678_34
.LBB678_33:
	s_waitcnt lgkmcnt(0)
	ds_bpermute_b32 v1, v3, v2
	s_waitcnt lgkmcnt(0)
	v_add_f32_e32 v1, v2, v1
	ds_bpermute_b32 v2, v4, v1
	s_waitcnt lgkmcnt(0)
	v_add_f32_e32 v2, v1, v2
.LBB678_34:
	s_or_b64 exec, exec, s[0:1]
	v_cmp_eq_u32_e32 vcc, 0, v0
                                        ; implicit-def: $vgpr1
                                        ; implicit-def: $sgpr8_sgpr9
	s_and_saveexec_b64 s[0:1], vcc
	s_cbranch_execz .LBB678_38
; %bb.35:
	v_cmp_eq_f32_e64 s[4:5], s3, 0
	s_mul_i32 s8, s2, s20
	s_waitcnt lgkmcnt(0)
	v_mul_f32_e32 v1, s22, v2
	s_ashr_i32 s9, s8, 31
	s_and_b64 vcc, exec, s[4:5]
	s_cbranch_vccnz .LBB678_37
; %bb.36:
	s_lshl_b64 s[4:5], s[8:9], 2
	s_add_u32 s4, s18, s4
	s_addc_u32 s5, s19, s5
	s_load_dword s2, s[4:5], 0x0
	s_waitcnt lgkmcnt(0)
	v_mov_b32_e32 v0, s2
	v_fmac_f32_e32 v1, s3, v0
.LBB678_37:
	s_or_b64 s[6:7], s[6:7], exec
.LBB678_38:
	s_or_b64 exec, exec, s[0:1]
.LBB678_39:
	s_and_saveexec_b64 s[0:1], s[6:7]
	s_cbranch_execz .LBB678_41
; %bb.40:
	s_lshl_b64 s[0:1], s[8:9], 2
	s_add_u32 s0, s18, s0
	s_addc_u32 s1, s19, s1
	v_mov_b32_e32 v0, 0
	global_store_dword v0, v1, s[0:1]
.LBB678_41:
	s_endpgm
	.section	.rodata,"a",@progbits
	.p2align	6, 0x0
	.amdhsa_kernel _ZL32rocblas_gemvt_warp_reduce_kernelILb0ELi256EiPK16rocblas_bfloat16PKfKPfEviiT3_lPKT2_lT1_lSA_lSB_lS7_lPT4_lSB_li
		.amdhsa_group_segment_fixed_size 256
		.amdhsa_private_segment_fixed_size 0
		.amdhsa_kernarg_size 140
		.amdhsa_user_sgpr_count 2
		.amdhsa_user_sgpr_dispatch_ptr 0
		.amdhsa_user_sgpr_queue_ptr 0
		.amdhsa_user_sgpr_kernarg_segment_ptr 1
		.amdhsa_user_sgpr_dispatch_id 0
		.amdhsa_user_sgpr_kernarg_preload_length 0
		.amdhsa_user_sgpr_kernarg_preload_offset 0
		.amdhsa_user_sgpr_private_segment_size 0
		.amdhsa_uses_dynamic_stack 0
		.amdhsa_enable_private_segment 0
		.amdhsa_system_sgpr_workgroup_id_x 1
		.amdhsa_system_sgpr_workgroup_id_y 0
		.amdhsa_system_sgpr_workgroup_id_z 1
		.amdhsa_system_sgpr_workgroup_info 0
		.amdhsa_system_vgpr_workitem_id 0
		.amdhsa_next_free_vgpr 14
		.amdhsa_next_free_sgpr 24
		.amdhsa_accum_offset 16
		.amdhsa_reserve_vcc 1
		.amdhsa_float_round_mode_32 0
		.amdhsa_float_round_mode_16_64 0
		.amdhsa_float_denorm_mode_32 3
		.amdhsa_float_denorm_mode_16_64 3
		.amdhsa_dx10_clamp 1
		.amdhsa_ieee_mode 1
		.amdhsa_fp16_overflow 0
		.amdhsa_tg_split 0
		.amdhsa_exception_fp_ieee_invalid_op 0
		.amdhsa_exception_fp_denorm_src 0
		.amdhsa_exception_fp_ieee_div_zero 0
		.amdhsa_exception_fp_ieee_overflow 0
		.amdhsa_exception_fp_ieee_underflow 0
		.amdhsa_exception_fp_ieee_inexact 0
		.amdhsa_exception_int_div_zero 0
	.end_amdhsa_kernel
	.section	.text._ZL32rocblas_gemvt_warp_reduce_kernelILb0ELi256EiPK16rocblas_bfloat16PKfKPfEviiT3_lPKT2_lT1_lSA_lSB_lS7_lPT4_lSB_li,"axG",@progbits,_ZL32rocblas_gemvt_warp_reduce_kernelILb0ELi256EiPK16rocblas_bfloat16PKfKPfEviiT3_lPKT2_lT1_lSA_lSB_lS7_lPT4_lSB_li,comdat
.Lfunc_end678:
	.size	_ZL32rocblas_gemvt_warp_reduce_kernelILb0ELi256EiPK16rocblas_bfloat16PKfKPfEviiT3_lPKT2_lT1_lSA_lSB_lS7_lPT4_lSB_li, .Lfunc_end678-_ZL32rocblas_gemvt_warp_reduce_kernelILb0ELi256EiPK16rocblas_bfloat16PKfKPfEviiT3_lPKT2_lT1_lSA_lSB_lS7_lPT4_lSB_li
                                        ; -- End function
	.section	.AMDGPU.csdata,"",@progbits
; Kernel info:
; codeLenInByte = 1532
; NumSgprs: 30
; NumVgprs: 14
; NumAgprs: 0
; TotalNumVgprs: 14
; ScratchSize: 0
; MemoryBound: 0
; FloatMode: 240
; IeeeMode: 1
; LDSByteSize: 256 bytes/workgroup (compile time only)
; SGPRBlocks: 3
; VGPRBlocks: 1
; NumSGPRsForWavesPerEU: 30
; NumVGPRsForWavesPerEU: 14
; AccumOffset: 16
; Occupancy: 8
; WaveLimiterHint : 1
; COMPUTE_PGM_RSRC2:SCRATCH_EN: 0
; COMPUTE_PGM_RSRC2:USER_SGPR: 2
; COMPUTE_PGM_RSRC2:TRAP_HANDLER: 0
; COMPUTE_PGM_RSRC2:TGID_X_EN: 1
; COMPUTE_PGM_RSRC2:TGID_Y_EN: 0
; COMPUTE_PGM_RSRC2:TGID_Z_EN: 1
; COMPUTE_PGM_RSRC2:TIDIG_COMP_CNT: 0
; COMPUTE_PGM_RSRC3_GFX90A:ACCUM_OFFSET: 3
; COMPUTE_PGM_RSRC3_GFX90A:TG_SPLIT: 0
	.section	.text._ZL32rocblas_gemvt_warp_reduce_kernelILb0ELi256ElPK16rocblas_bfloat16PKfKPfEviiT3_lPKT2_lT1_lSA_lSB_lS7_lPT4_lSB_li,"axG",@progbits,_ZL32rocblas_gemvt_warp_reduce_kernelILb0ELi256ElPK16rocblas_bfloat16PKfKPfEviiT3_lPKT2_lT1_lSA_lSB_lS7_lPT4_lSB_li,comdat
	.globl	_ZL32rocblas_gemvt_warp_reduce_kernelILb0ELi256ElPK16rocblas_bfloat16PKfKPfEviiT3_lPKT2_lT1_lSA_lSB_lS7_lPT4_lSB_li ; -- Begin function _ZL32rocblas_gemvt_warp_reduce_kernelILb0ELi256ElPK16rocblas_bfloat16PKfKPfEviiT3_lPKT2_lT1_lSA_lSB_lS7_lPT4_lSB_li
	.p2align	8
	.type	_ZL32rocblas_gemvt_warp_reduce_kernelILb0ELi256ElPK16rocblas_bfloat16PKfKPfEviiT3_lPKT2_lT1_lSA_lSB_lS7_lPT4_lSB_li,@function
_ZL32rocblas_gemvt_warp_reduce_kernelILb0ELi256ElPK16rocblas_bfloat16PKfKPfEviiT3_lPKT2_lT1_lSA_lSB_lS7_lPT4_lSB_li: ; @_ZL32rocblas_gemvt_warp_reduce_kernelILb0ELi256ElPK16rocblas_bfloat16PKfKPfEviiT3_lPKT2_lT1_lSA_lSB_lS7_lPT4_lSB_li
; %bb.0:
	s_load_dwordx8 s[12:19], s[0:1], 0x8
	s_load_dwordx8 s[4:11], s[0:1], 0x58
	s_mov_b32 s24, s3
	s_waitcnt lgkmcnt(0)
	s_mul_i32 s3, s3, s15
	s_mul_hi_u32 s15, s24, s14
	s_add_i32 s15, s15, s3
	s_mul_i32 s14, s24, s14
	s_lshl_b64 s[14:15], s[14:15], 2
	s_add_u32 s12, s12, s14
	s_mul_i32 s3, s24, s7
	s_mul_hi_u32 s7, s24, s6
	s_addc_u32 s13, s13, s15
	s_add_i32 s7, s7, s3
	s_mul_i32 s6, s24, s6
	s_lshl_b64 s[6:7], s[6:7], 2
	s_add_u32 s4, s4, s6
	s_addc_u32 s5, s5, s7
	s_load_dword s30, s[12:13], 0x0
	s_load_dword s3, s[4:5], 0x0
	s_waitcnt lgkmcnt(0)
	v_cmp_eq_f32_e64 s[26:27], s30, 0
	v_cmp_eq_f32_e64 s[4:5], s3, 1.0
	s_and_b64 s[4:5], s[26:27], s[4:5]
	s_and_b64 vcc, exec, s[4:5]
	s_cbranch_vccnz .LBB679_41
; %bb.1:
	s_load_dwordx2 s[20:21], s[0:1], 0x28
	s_load_dwordx2 s[12:13], s[0:1], 0x78
	s_mov_b32 s25, 0
	v_cmp_neq_f32_e64 s[28:29], s30, 0
	s_mov_b64 s[14:15], 0
	s_and_b64 vcc, exec, s[26:27]
	s_mov_b64 s[22:23], 0
	s_cbranch_vccnz .LBB679_3
; %bb.2:
	s_lshl_b64 s[4:5], s[24:25], 3
	s_add_u32 s4, s16, s4
	s_addc_u32 s5, s17, s5
	s_load_dwordx2 s[4:5], s[4:5], 0x0
	s_lshl_b64 s[6:7], s[18:19], 1
	s_waitcnt lgkmcnt(0)
	s_add_u32 s22, s4, s6
	s_addc_u32 s23, s5, s7
.LBB679_3:
	s_load_dwordx4 s[4:7], s[0:1], 0x38
	s_load_dwordx2 s[16:17], s[0:1], 0x48
	s_andn2_b64 vcc, exec, s[28:29]
	s_cbranch_vccnz .LBB679_5
; %bb.4:
	s_lshl_b64 s[14:15], s[24:25], 3
	s_waitcnt lgkmcnt(0)
	s_add_u32 s4, s4, s14
	s_addc_u32 s5, s5, s15
	s_load_dwordx2 s[4:5], s[4:5], 0x0
	s_lshl_b64 s[6:7], s[6:7], 1
	s_waitcnt lgkmcnt(0)
	s_add_u32 s14, s4, s6
	s_addc_u32 s15, s5, s7
.LBB679_5:
	s_waitcnt lgkmcnt(0)
	s_lshl_b64 s[4:5], s[24:25], 3
	s_add_u32 s4, s8, s4
	s_addc_u32 s5, s9, s5
	s_load_dwordx2 s[4:5], s[4:5], 0x0
	s_lshl_b64 s[6:7], s[10:11], 2
	s_waitcnt lgkmcnt(0)
	s_add_u32 s24, s4, s6
	s_addc_u32 s25, s5, s7
	s_andn2_b64 vcc, exec, s[26:27]
	v_cmp_eq_u32_e64 s[4:5], 0, v0
	s_cbranch_vccnz .LBB679_10
; %bb.6:
	s_mov_b64 s[10:11], 0
	s_mov_b64 s[6:7], 0
                                        ; implicit-def: $vgpr1
                                        ; implicit-def: $sgpr8_sgpr9
	s_and_saveexec_b64 s[18:19], s[4:5]
	s_cbranch_execz .LBB679_11
; %bb.7:
	s_ashr_i32 s6, s2, 31
	s_mul_i32 s7, s2, s13
	s_mul_hi_u32 s8, s2, s12
	v_cmp_eq_f32_e64 s[4:5], s3, 0
	s_add_i32 s7, s8, s7
	s_mul_i32 s6, s6, s12
	v_mov_b32_e32 v1, 0
	s_add_i32 s9, s7, s6
	s_mul_i32 s8, s2, s12
	s_and_b64 vcc, exec, s[4:5]
	s_cbranch_vccnz .LBB679_9
; %bb.8:
	s_lshl_b64 s[4:5], s[8:9], 2
	s_add_u32 s4, s24, s4
	s_addc_u32 s5, s25, s5
	s_load_dword s4, s[4:5], 0x0
	s_waitcnt lgkmcnt(0)
	v_mov_b32_e32 v1, s4
	v_mul_f32_e32 v1, s3, v1
.LBB679_9:
	s_mov_b64 s[6:7], exec
	s_or_b64 exec, exec, s[18:19]
	s_and_b64 vcc, exec, s[10:11]
	s_cbranch_vccnz .LBB679_12
	s_branch .LBB679_39
.LBB679_10:
	s_mov_b64 s[6:7], 0
                                        ; implicit-def: $vgpr1
                                        ; implicit-def: $sgpr8_sgpr9
	s_cbranch_execnz .LBB679_12
	s_branch .LBB679_39
.LBB679_11:
	s_or_b64 exec, exec, s[18:19]
	s_and_b64 vcc, exec, s[10:11]
	s_cbranch_vccz .LBB679_39
.LBB679_12:
	s_load_dword s1, s[0:1], 0x0
	s_ashr_i32 s26, s2, 31
	s_mul_i32 s0, s2, s21
	s_mul_hi_u32 s4, s2, s20
	s_add_i32 s0, s4, s0
	s_mul_i32 s4, s26, s20
	s_add_i32 s5, s0, s4
	s_mul_i32 s4, s2, s20
	s_lshl_b64 s[4:5], s[4:5], 1
	s_add_u32 s4, s4, s22
	s_addc_u32 s5, s5, s23
	s_waitcnt lgkmcnt(0)
	s_ashr_i32 s0, s1, 31
	v_cmp_gt_i32_e32 vcc, s1, v0
	s_lshr_b32 s0, s0, 24
	s_add_i32 s0, s1, s0
	v_cndmask_b32_e32 v1, 0, v0, vcc
	v_mov_b32_e32 v3, 0
	v_lshlrev_b32_e32 v2, 1, v1
	s_and_b32 s0, s0, 0xffffff00
	v_lshl_add_u64 v[4:5], s[4:5], 0, v[2:3]
	v_cmp_gt_i32_e32 vcc, s0, v0
	s_and_saveexec_b64 s[4:5], vcc
	s_cbranch_execz .LBB679_20
; %bb.13:
	v_mad_u64_u32 v[2:3], s[8:9], s16, v0, 0
	v_mov_b32_e32 v6, v3
	v_mad_u64_u32 v[6:7], s[8:9], s17, v0, v[6:7]
	v_mov_b32_e32 v3, v6
	v_lshl_add_u64 v[6:7], v[2:3], 1, s[14:15]
	s_lshl_b64 s[10:11], s[16:17], 9
	s_mov_b64 s[8:9], 0
	v_mov_b32_e32 v1, 0
	s_mov_b32 s22, 0x7f800000
	s_movk_i32 s23, 0x7fff
	s_mov_b64 s[18:19], 0x200
	v_mov_b64_e32 v[8:9], v[4:5]
	v_mov_b32_e32 v2, v0
	v_mov_b32_e32 v3, 0
	s_branch .LBB679_15
.LBB679_14:                             ;   in Loop: Header=BB679_15 Depth=1
	s_or_b64 exec, exec, s[20:21]
	v_add_u32_e32 v2, 0x100, v2
	v_and_b32_e32 v10, 0xffff0000, v12
	v_cmp_le_i32_e32 vcc, s0, v2
	v_add_f32_e32 v3, v3, v10
	v_lshl_add_u64 v[8:9], v[8:9], 0, s[18:19]
	s_or_b64 s[8:9], vcc, s[8:9]
	v_lshl_add_u64 v[6:7], v[6:7], 0, s[10:11]
	s_andn2_b64 exec, exec, s[8:9]
	s_cbranch_execz .LBB679_19
.LBB679_15:                             ; =>This Inner Loop Header: Depth=1
	flat_load_ushort v10, v[6:7]
	flat_load_ushort v11, v[8:9]
	s_waitcnt vmcnt(0) lgkmcnt(0)
	v_lshlrev_b32_e32 v10, 16, v10
	v_lshlrev_b32_e32 v12, 16, v11
	v_pk_mul_f32 v[10:11], v[10:11], v[12:13] op_sel_hi:[0,1]
	v_and_b32_e32 v11, 0x7f800000, v10
	v_cmp_ne_u32_e32 vcc, s22, v11
                                        ; implicit-def: $vgpr12
	s_and_saveexec_b64 s[20:21], vcc
	s_xor_b64 s[20:21], exec, s[20:21]
; %bb.16:                               ;   in Loop: Header=BB679_15 Depth=1
	v_bfe_u32 v11, v10, 16, 1
	v_add3_u32 v12, v10, v11, s23
                                        ; implicit-def: $vgpr10_vgpr11
; %bb.17:                               ;   in Loop: Header=BB679_15 Depth=1
	s_andn2_saveexec_b64 s[20:21], s[20:21]
	s_cbranch_execz .LBB679_14
; %bb.18:                               ;   in Loop: Header=BB679_15 Depth=1
	v_or_b32_e32 v11, 0x10000, v10
	v_cmp_eq_u32_sdwa vcc, v10, v1 src0_sel:WORD_0 src1_sel:DWORD
	s_nop 1
	v_cndmask_b32_e32 v12, v11, v10, vcc
	s_branch .LBB679_14
.LBB679_19:
	s_or_b64 exec, exec, s[8:9]
.LBB679_20:
	s_or_b64 exec, exec, s[4:5]
	v_add_u32_e32 v1, s0, v0
	v_cmp_gt_i32_e32 vcc, s1, v1
	s_and_saveexec_b64 s[4:5], vcc
	s_cbranch_execz .LBB679_26
; %bb.21:
	s_ashr_i32 s1, s0, 31
	v_ashrrev_i32_e32 v2, 31, v1
	v_lshl_add_u64 v[4:5], s[0:1], 1, v[4:5]
	v_mul_lo_u32 v8, v1, s17
	v_mul_lo_u32 v2, v2, s16
	v_mad_u64_u32 v[6:7], s[0:1], v1, s16, 0
	v_add3_u32 v7, v7, v8, v2
	v_lshl_add_u64 v[6:7], v[6:7], 1, s[14:15]
	flat_load_ushort v1, v[4:5]
	flat_load_ushort v8, v[6:7]
	s_mov_b32 s0, 0x7f800000
	s_waitcnt vmcnt(0) lgkmcnt(0)
	v_lshlrev_b32_e32 v2, 16, v1
	v_lshlrev_b32_e32 v4, 16, v8
	v_pk_mul_f32 v[4:5], v[4:5], v[2:3] op_sel_hi:[0,1]
	v_and_b32_e32 v1, 0x7f800000, v4
	v_cmp_ne_u32_e32 vcc, s0, v1
                                        ; implicit-def: $vgpr1
	s_and_saveexec_b64 s[0:1], vcc
	s_xor_b64 s[0:1], exec, s[0:1]
; %bb.22:
	v_bfe_u32 v1, v4, 16, 1
	s_movk_i32 s8, 0x7fff
	v_add3_u32 v1, v4, v1, s8
                                        ; implicit-def: $vgpr4_vgpr5
; %bb.23:
	s_andn2_saveexec_b64 s[0:1], s[0:1]
; %bb.24:
	v_mov_b32_e32 v1, 0
	v_or_b32_e32 v2, 0x10000, v4
	v_cmp_eq_u32_sdwa vcc, v4, v1 src0_sel:WORD_0 src1_sel:DWORD
	s_nop 1
	v_cndmask_b32_e32 v1, v2, v4, vcc
; %bb.25:
	s_or_b64 exec, exec, s[0:1]
	v_and_b32_e32 v1, 0xffff0000, v1
	v_add_f32_e32 v3, v3, v1
.LBB679_26:
	s_or_b64 exec, exec, s[4:5]
	v_and_b32_e32 v2, 63, v0
	v_cmp_gt_u32_e32 vcc, 64, v0
	v_lshlrev_b32_e32 v1, 2, v2
	s_and_saveexec_b64 s[0:1], vcc
	s_cbranch_execz .LBB679_28
; %bb.27:
	v_mov_b32_e32 v4, 0
	ds_write_b32 v1, v4
.LBB679_28:
	s_or_b64 exec, exec, s[0:1]
	v_mbcnt_lo_u32_b32 v4, -1, 0
	v_mbcnt_hi_u32_b32 v4, -1, v4
	v_and_b32_e32 v5, 63, v4
	v_cmp_gt_u32_e64 s[0:1], 32, v5
	s_waitcnt lgkmcnt(0)
	s_barrier
	v_cndmask_b32_e64 v6, 0, 1, s[0:1]
	v_lshlrev_b32_e32 v6, 5, v6
	v_add_lshl_u32 v6, v6, v4, 2
	ds_bpermute_b32 v6, v6, v3
	v_cmp_gt_u32_e64 s[0:1], 48, v5
	s_waitcnt lgkmcnt(0)
	v_add_f32_e32 v3, v3, v6
	v_cndmask_b32_e64 v7, 0, 1, s[0:1]
	v_lshlrev_b32_e32 v7, 4, v7
	v_add_lshl_u32 v6, v7, v4, 2
	ds_bpermute_b32 v6, v6, v3
	v_cmp_gt_u32_e64 s[0:1], 56, v5
	s_waitcnt lgkmcnt(0)
	v_add_f32_e32 v3, v3, v6
	;; [unrolled: 7-line block ×4, first 2 shown]
	v_cndmask_b32_e64 v7, 0, 1, s[0:1]
	v_lshlrev_b32_e32 v7, 1, v7
	v_add_lshl_u32 v3, v7, v4, 2
	ds_bpermute_b32 v7, v3, v6
	v_cmp_ne_u32_e64 s[0:1], 63, v5
	s_waitcnt lgkmcnt(0)
	v_add_f32_e32 v5, v6, v7
	v_addc_co_u32_e64 v4, s[0:1], 0, v4, s[0:1]
	v_lshlrev_b32_e32 v4, 2, v4
	ds_bpermute_b32 v6, v4, v5
	v_cmp_eq_u32_e64 s[0:1], 0, v2
	s_and_saveexec_b64 s[4:5], s[0:1]
	s_cbranch_execz .LBB679_30
; %bb.29:
	v_lshrrev_b32_e32 v2, 4, v0
	v_and_b32_e32 v2, 12, v2
	s_waitcnt lgkmcnt(0)
	v_add_f32_e32 v5, v5, v6
	ds_write_b32 v2, v5
.LBB679_30:
	s_or_b64 exec, exec, s[4:5]
	v_cmp_gt_u32_e64 s[0:1], 4, v0
	v_mov_b32_e32 v2, 0
	s_waitcnt lgkmcnt(0)
	s_barrier
	s_and_saveexec_b64 s[4:5], s[0:1]
	s_cbranch_execz .LBB679_32
; %bb.31:
	ds_read_b32 v2, v1
	s_or_b64 exec, exec, s[4:5]
	s_and_saveexec_b64 s[0:1], vcc
	s_cbranch_execz .LBB679_34
	s_branch .LBB679_33
.LBB679_32:
	s_or_b64 exec, exec, s[4:5]
	s_and_saveexec_b64 s[0:1], vcc
	s_cbranch_execz .LBB679_34
.LBB679_33:
	s_waitcnt lgkmcnt(0)
	ds_bpermute_b32 v1, v3, v2
	s_waitcnt lgkmcnt(0)
	v_add_f32_e32 v1, v2, v1
	ds_bpermute_b32 v2, v4, v1
	s_waitcnt lgkmcnt(0)
	v_add_f32_e32 v2, v1, v2
.LBB679_34:
	s_or_b64 exec, exec, s[0:1]
	v_cmp_eq_u32_e32 vcc, 0, v0
                                        ; implicit-def: $vgpr1
                                        ; implicit-def: $sgpr8_sgpr9
	s_and_saveexec_b64 s[0:1], vcc
	s_cbranch_execz .LBB679_38
; %bb.35:
	s_mul_i32 s8, s2, s13
	s_mul_hi_u32 s9, s2, s12
	v_cmp_eq_f32_e64 s[4:5], s3, 0
	s_add_i32 s8, s9, s8
	s_mul_i32 s9, s26, s12
	s_waitcnt lgkmcnt(0)
	v_mul_f32_e32 v1, s30, v2
	s_add_i32 s9, s8, s9
	s_mul_i32 s8, s2, s12
	s_and_b64 vcc, exec, s[4:5]
	s_cbranch_vccnz .LBB679_37
; %bb.36:
	s_lshl_b64 s[4:5], s[8:9], 2
	s_add_u32 s4, s24, s4
	s_addc_u32 s5, s25, s5
	s_load_dword s2, s[4:5], 0x0
	s_waitcnt lgkmcnt(0)
	v_mov_b32_e32 v0, s2
	v_fmac_f32_e32 v1, s3, v0
.LBB679_37:
	s_or_b64 s[6:7], s[6:7], exec
.LBB679_38:
	s_or_b64 exec, exec, s[0:1]
.LBB679_39:
	s_and_saveexec_b64 s[0:1], s[6:7]
	s_cbranch_execz .LBB679_41
; %bb.40:
	s_lshl_b64 s[0:1], s[8:9], 2
	s_add_u32 s0, s24, s0
	s_addc_u32 s1, s25, s1
	v_mov_b32_e32 v0, 0
	global_store_dword v0, v1, s[0:1]
.LBB679_41:
	s_endpgm
	.section	.rodata,"a",@progbits
	.p2align	6, 0x0
	.amdhsa_kernel _ZL32rocblas_gemvt_warp_reduce_kernelILb0ELi256ElPK16rocblas_bfloat16PKfKPfEviiT3_lPKT2_lT1_lSA_lSB_lS7_lPT4_lSB_li
		.amdhsa_group_segment_fixed_size 256
		.amdhsa_private_segment_fixed_size 0
		.amdhsa_kernarg_size 140
		.amdhsa_user_sgpr_count 2
		.amdhsa_user_sgpr_dispatch_ptr 0
		.amdhsa_user_sgpr_queue_ptr 0
		.amdhsa_user_sgpr_kernarg_segment_ptr 1
		.amdhsa_user_sgpr_dispatch_id 0
		.amdhsa_user_sgpr_kernarg_preload_length 0
		.amdhsa_user_sgpr_kernarg_preload_offset 0
		.amdhsa_user_sgpr_private_segment_size 0
		.amdhsa_uses_dynamic_stack 0
		.amdhsa_enable_private_segment 0
		.amdhsa_system_sgpr_workgroup_id_x 1
		.amdhsa_system_sgpr_workgroup_id_y 0
		.amdhsa_system_sgpr_workgroup_id_z 1
		.amdhsa_system_sgpr_workgroup_info 0
		.amdhsa_system_vgpr_workitem_id 0
		.amdhsa_next_free_vgpr 14
		.amdhsa_next_free_sgpr 31
		.amdhsa_accum_offset 16
		.amdhsa_reserve_vcc 1
		.amdhsa_float_round_mode_32 0
		.amdhsa_float_round_mode_16_64 0
		.amdhsa_float_denorm_mode_32 3
		.amdhsa_float_denorm_mode_16_64 3
		.amdhsa_dx10_clamp 1
		.amdhsa_ieee_mode 1
		.amdhsa_fp16_overflow 0
		.amdhsa_tg_split 0
		.amdhsa_exception_fp_ieee_invalid_op 0
		.amdhsa_exception_fp_denorm_src 0
		.amdhsa_exception_fp_ieee_div_zero 0
		.amdhsa_exception_fp_ieee_overflow 0
		.amdhsa_exception_fp_ieee_underflow 0
		.amdhsa_exception_fp_ieee_inexact 0
		.amdhsa_exception_int_div_zero 0
	.end_amdhsa_kernel
	.section	.text._ZL32rocblas_gemvt_warp_reduce_kernelILb0ELi256ElPK16rocblas_bfloat16PKfKPfEviiT3_lPKT2_lT1_lSA_lSB_lS7_lPT4_lSB_li,"axG",@progbits,_ZL32rocblas_gemvt_warp_reduce_kernelILb0ELi256ElPK16rocblas_bfloat16PKfKPfEviiT3_lPKT2_lT1_lSA_lSB_lS7_lPT4_lSB_li,comdat
.Lfunc_end679:
	.size	_ZL32rocblas_gemvt_warp_reduce_kernelILb0ELi256ElPK16rocblas_bfloat16PKfKPfEviiT3_lPKT2_lT1_lSA_lSB_lS7_lPT4_lSB_li, .Lfunc_end679-_ZL32rocblas_gemvt_warp_reduce_kernelILb0ELi256ElPK16rocblas_bfloat16PKfKPfEviiT3_lPKT2_lT1_lSA_lSB_lS7_lPT4_lSB_li
                                        ; -- End function
	.section	.AMDGPU.csdata,"",@progbits
; Kernel info:
; codeLenInByte = 1632
; NumSgprs: 37
; NumVgprs: 14
; NumAgprs: 0
; TotalNumVgprs: 14
; ScratchSize: 0
; MemoryBound: 0
; FloatMode: 240
; IeeeMode: 1
; LDSByteSize: 256 bytes/workgroup (compile time only)
; SGPRBlocks: 4
; VGPRBlocks: 1
; NumSGPRsForWavesPerEU: 37
; NumVGPRsForWavesPerEU: 14
; AccumOffset: 16
; Occupancy: 8
; WaveLimiterHint : 1
; COMPUTE_PGM_RSRC2:SCRATCH_EN: 0
; COMPUTE_PGM_RSRC2:USER_SGPR: 2
; COMPUTE_PGM_RSRC2:TRAP_HANDLER: 0
; COMPUTE_PGM_RSRC2:TGID_X_EN: 1
; COMPUTE_PGM_RSRC2:TGID_Y_EN: 0
; COMPUTE_PGM_RSRC2:TGID_Z_EN: 1
; COMPUTE_PGM_RSRC2:TIDIG_COMP_CNT: 0
; COMPUTE_PGM_RSRC3_GFX90A:ACCUM_OFFSET: 3
; COMPUTE_PGM_RSRC3_GFX90A:TG_SPLIT: 0
	.section	.text._ZL32rocblas_gemvt_warp_reduce_kernelILb0ELi256EiPK16rocblas_bfloat16fKPfEviiT3_lPKT2_lT1_lS8_lS9_lS5_lPT4_lS9_li,"axG",@progbits,_ZL32rocblas_gemvt_warp_reduce_kernelILb0ELi256EiPK16rocblas_bfloat16fKPfEviiT3_lPKT2_lT1_lS8_lS9_lS5_lPT4_lS9_li,comdat
	.globl	_ZL32rocblas_gemvt_warp_reduce_kernelILb0ELi256EiPK16rocblas_bfloat16fKPfEviiT3_lPKT2_lT1_lS8_lS9_lS5_lPT4_lS9_li ; -- Begin function _ZL32rocblas_gemvt_warp_reduce_kernelILb0ELi256EiPK16rocblas_bfloat16fKPfEviiT3_lPKT2_lT1_lS8_lS9_lS5_lPT4_lS9_li
	.p2align	8
	.type	_ZL32rocblas_gemvt_warp_reduce_kernelILb0ELi256EiPK16rocblas_bfloat16fKPfEviiT3_lPKT2_lT1_lS8_lS9_lS5_lPT4_lS9_li,@function
_ZL32rocblas_gemvt_warp_reduce_kernelILb0ELi256EiPK16rocblas_bfloat16fKPfEviiT3_lPKT2_lT1_lS8_lS9_lS5_lPT4_lS9_li: ; @_ZL32rocblas_gemvt_warp_reduce_kernelILb0ELi256EiPK16rocblas_bfloat16fKPfEviiT3_lPKT2_lT1_lS8_lS9_lS5_lPT4_lS9_li
; %bb.0:
	s_mov_b32 s12, s3
	s_load_dword s18, s[0:1], 0x8
	s_load_dword s3, s[0:1], 0x58
	s_waitcnt lgkmcnt(0)
	v_cmp_eq_f32_e64 s[4:5], s18, 0
	v_cmp_eq_f32_e64 s[6:7], s3, 1.0
	s_and_b64 s[6:7], s[4:5], s[6:7]
	s_and_b64 vcc, exec, s[6:7]
	s_cbranch_vccnz .LBB680_43
; %bb.1:
	v_cmp_neq_f32_e64 s[8:9], s18, 0
	s_mov_b32 s13, 0
	s_and_b64 vcc, exec, s[8:9]
	s_cbranch_vccnz .LBB680_3
; %bb.2:
	s_mov_b64 s[10:11], 0
	s_cbranch_execz .LBB680_4
	s_branch .LBB680_5
.LBB680_3:
                                        ; implicit-def: $sgpr10_sgpr11
.LBB680_4:
	s_load_dwordx4 s[20:23], s[0:1], 0x18
	s_lshl_b64 s[6:7], s[12:13], 3
	s_waitcnt lgkmcnt(0)
	s_add_u32 s6, s20, s6
	s_addc_u32 s7, s21, s7
	s_load_dwordx2 s[6:7], s[6:7], 0x0
	s_lshl_b64 s[10:11], s[22:23], 1
	s_waitcnt lgkmcnt(0)
	s_add_u32 s10, s6, s10
	s_addc_u32 s11, s7, s11
.LBB680_5:
	s_mov_b64 s[6:7], 0
	s_andn2_b64 vcc, exec, s[8:9]
	s_mov_b64 s[8:9], 0
	s_cbranch_vccnz .LBB680_7
; %bb.6:
	s_load_dwordx4 s[20:23], s[0:1], 0x38
	s_lshl_b64 s[8:9], s[12:13], 3
	s_waitcnt lgkmcnt(0)
	s_add_u32 s8, s20, s8
	s_addc_u32 s9, s21, s9
	s_load_dwordx2 s[8:9], s[8:9], 0x0
	s_lshl_b64 s[14:15], s[22:23], 1
	s_waitcnt lgkmcnt(0)
	s_add_u32 s8, s8, s14
	s_addc_u32 s9, s9, s15
.LBB680_7:
	s_load_dwordx4 s[24:27], s[0:1], 0x68
	s_load_dword s21, s[0:1], 0x78
	s_lshl_b64 s[12:13], s[12:13], 3
	s_waitcnt lgkmcnt(0)
	s_add_u32 s12, s24, s12
	s_addc_u32 s13, s25, s13
	s_load_dwordx2 s[12:13], s[12:13], 0x0
	s_lshl_b64 s[14:15], s[26:27], 2
	s_waitcnt lgkmcnt(0)
	s_add_u32 s19, s12, s14
	s_addc_u32 s20, s13, s15
	s_andn2_b64 vcc, exec, s[4:5]
	v_cmp_eq_u32_e64 s[4:5], 0, v0
	s_cbranch_vccnz .LBB680_12
; %bb.8:
	s_mov_b64 s[14:15], 0
                                        ; implicit-def: $vgpr1
                                        ; implicit-def: $sgpr12_sgpr13
	s_and_saveexec_b64 s[16:17], s[4:5]
	s_cbranch_execz .LBB680_13
; %bb.9:
	v_cmp_eq_f32_e64 s[4:5], s3, 0
	s_mul_i32 s12, s2, s21
	v_mov_b32_e32 v1, 0
	s_ashr_i32 s13, s12, 31
	s_and_b64 vcc, exec, s[4:5]
	s_cbranch_vccnz .LBB680_11
; %bb.10:
	s_lshl_b64 s[4:5], s[12:13], 2
	s_add_u32 s4, s19, s4
	s_addc_u32 s5, s20, s5
	s_load_dword s4, s[4:5], 0x0
	v_mov_b32_e32 v1, s3
	s_waitcnt lgkmcnt(0)
	v_mul_f32_e32 v1, s4, v1
.LBB680_11:
	s_mov_b64 s[6:7], exec
	s_or_b64 exec, exec, s[16:17]
	s_and_b64 vcc, exec, s[14:15]
	s_cbranch_vccnz .LBB680_14
	s_branch .LBB680_41
.LBB680_12:
                                        ; implicit-def: $vgpr1
                                        ; implicit-def: $sgpr12_sgpr13
	s_cbranch_execnz .LBB680_14
	s_branch .LBB680_41
.LBB680_13:
	s_or_b64 exec, exec, s[16:17]
	s_and_b64 vcc, exec, s[14:15]
	s_cbranch_vccz .LBB680_41
.LBB680_14:
	s_load_dword s17, s[0:1], 0x0
	s_load_dword s4, s[0:1], 0x28
	;; [unrolled: 1-line block ×3, first 2 shown]
	v_mov_b32_e32 v3, 0
	s_waitcnt lgkmcnt(0)
	v_cmp_gt_i32_e32 vcc, s17, v0
	s_mul_i32 s0, s2, s4
	s_ashr_i32 s1, s0, 31
	s_lshl_b64 s[0:1], s[0:1], 1
	v_cndmask_b32_e32 v1, 0, v0, vcc
	s_add_u32 s0, s0, s10
	v_lshlrev_b32_e32 v2, 1, v1
	s_addc_u32 s1, s1, s11
	v_lshl_add_u64 v[4:5], s[0:1], 0, v[2:3]
	s_ashr_i32 s0, s17, 31
	s_lshr_b32 s0, s0, 24
	s_add_i32 s0, s17, s0
	s_and_b32 s0, s0, 0xffffff00
	v_cmp_gt_i32_e32 vcc, s0, v0
	s_and_saveexec_b64 s[4:5], vcc
	s_cbranch_execz .LBB680_22
; %bb.15:
	v_mul_lo_u32 v6, v0, s16
	s_lshl_b32 s1, s16, 8
	s_mov_b64 s[10:11], 0
	v_mov_b32_e32 v1, 0
	s_mov_b32 s22, 0x7f800000
	s_movk_i32 s23, 0x7fff
	s_mov_b64 s[12:13], 0x200
	v_mov_b64_e32 v[8:9], v[4:5]
	v_mov_b32_e32 v2, v0
	v_mov_b32_e32 v3, 0
	s_branch .LBB680_17
.LBB680_16:                             ;   in Loop: Header=BB680_17 Depth=1
	s_or_b64 exec, exec, s[14:15]
	v_add_u32_e32 v2, 0x100, v2
	v_and_b32_e32 v7, 0xffff0000, v7
	v_cmp_le_i32_e32 vcc, s0, v2
	v_add_f32_e32 v3, v3, v7
	v_lshl_add_u64 v[8:9], v[8:9], 0, s[12:13]
	s_or_b64 s[10:11], vcc, s[10:11]
	v_add_u32_e32 v6, s1, v6
	s_andn2_b64 exec, exec, s[10:11]
	s_cbranch_execz .LBB680_21
.LBB680_17:                             ; =>This Inner Loop Header: Depth=1
	v_ashrrev_i32_e32 v7, 31, v6
	v_lshl_add_u64 v[10:11], v[6:7], 1, s[8:9]
	flat_load_ushort v7, v[10:11]
	flat_load_ushort v12, v[8:9]
	s_waitcnt vmcnt(0) lgkmcnt(0)
	v_lshlrev_b32_e32 v10, 16, v7
	v_lshlrev_b32_e32 v12, 16, v12
	v_pk_mul_f32 v[10:11], v[10:11], v[12:13] op_sel_hi:[0,1]
	v_and_b32_e32 v7, 0x7f800000, v10
	v_cmp_ne_u32_e32 vcc, s22, v7
                                        ; implicit-def: $vgpr7
	s_and_saveexec_b64 s[14:15], vcc
	s_xor_b64 s[14:15], exec, s[14:15]
; %bb.18:                               ;   in Loop: Header=BB680_17 Depth=1
	v_bfe_u32 v7, v10, 16, 1
	v_add3_u32 v7, v10, v7, s23
                                        ; implicit-def: $vgpr10_vgpr11
; %bb.19:                               ;   in Loop: Header=BB680_17 Depth=1
	s_andn2_saveexec_b64 s[14:15], s[14:15]
	s_cbranch_execz .LBB680_16
; %bb.20:                               ;   in Loop: Header=BB680_17 Depth=1
	v_or_b32_e32 v7, 0x10000, v10
	v_cmp_eq_u32_sdwa vcc, v10, v1 src0_sel:WORD_0 src1_sel:DWORD
	s_nop 1
	v_cndmask_b32_e32 v7, v7, v10, vcc
	s_branch .LBB680_16
.LBB680_21:
	s_or_b64 exec, exec, s[10:11]
.LBB680_22:
	s_or_b64 exec, exec, s[4:5]
	v_add_u32_e32 v1, s0, v0
	v_cmp_gt_i32_e32 vcc, s17, v1
	s_and_saveexec_b64 s[4:5], vcc
	s_cbranch_execz .LBB680_28
; %bb.23:
	s_ashr_i32 s1, s0, 31
	v_mul_lo_u32 v6, v1, s16
	v_lshl_add_u64 v[4:5], s[0:1], 1, v[4:5]
	v_ashrrev_i32_e32 v7, 31, v6
	v_lshl_add_u64 v[6:7], v[6:7], 1, s[8:9]
	flat_load_ushort v1, v[4:5]
	flat_load_ushort v8, v[6:7]
	s_mov_b32 s0, 0x7f800000
	s_waitcnt vmcnt(0) lgkmcnt(0)
	v_lshlrev_b32_e32 v2, 16, v1
	v_lshlrev_b32_e32 v4, 16, v8
	v_pk_mul_f32 v[4:5], v[4:5], v[2:3] op_sel_hi:[0,1]
	v_and_b32_e32 v1, 0x7f800000, v4
	v_cmp_ne_u32_e32 vcc, s0, v1
                                        ; implicit-def: $vgpr1
	s_and_saveexec_b64 s[0:1], vcc
	s_xor_b64 s[0:1], exec, s[0:1]
; %bb.24:
	v_bfe_u32 v1, v4, 16, 1
	s_movk_i32 s8, 0x7fff
	v_add3_u32 v1, v4, v1, s8
                                        ; implicit-def: $vgpr4_vgpr5
; %bb.25:
	s_andn2_saveexec_b64 s[0:1], s[0:1]
; %bb.26:
	v_mov_b32_e32 v1, 0
	v_or_b32_e32 v2, 0x10000, v4
	v_cmp_eq_u32_sdwa vcc, v4, v1 src0_sel:WORD_0 src1_sel:DWORD
	s_nop 1
	v_cndmask_b32_e32 v1, v2, v4, vcc
; %bb.27:
	s_or_b64 exec, exec, s[0:1]
	v_and_b32_e32 v1, 0xffff0000, v1
	v_add_f32_e32 v3, v3, v1
.LBB680_28:
	s_or_b64 exec, exec, s[4:5]
	v_and_b32_e32 v2, 63, v0
	v_cmp_gt_u32_e32 vcc, 64, v0
	v_lshlrev_b32_e32 v1, 2, v2
	s_and_saveexec_b64 s[0:1], vcc
	s_cbranch_execz .LBB680_30
; %bb.29:
	v_mov_b32_e32 v4, 0
	ds_write_b32 v1, v4
.LBB680_30:
	s_or_b64 exec, exec, s[0:1]
	v_mbcnt_lo_u32_b32 v4, -1, 0
	v_mbcnt_hi_u32_b32 v4, -1, v4
	v_and_b32_e32 v5, 63, v4
	v_cmp_gt_u32_e64 s[0:1], 32, v5
	s_waitcnt lgkmcnt(0)
	s_barrier
	v_cndmask_b32_e64 v6, 0, 1, s[0:1]
	v_lshlrev_b32_e32 v6, 5, v6
	v_add_lshl_u32 v6, v6, v4, 2
	ds_bpermute_b32 v6, v6, v3
	v_cmp_gt_u32_e64 s[0:1], 48, v5
	s_waitcnt lgkmcnt(0)
	v_add_f32_e32 v3, v3, v6
	v_cndmask_b32_e64 v7, 0, 1, s[0:1]
	v_lshlrev_b32_e32 v7, 4, v7
	v_add_lshl_u32 v6, v7, v4, 2
	ds_bpermute_b32 v6, v6, v3
	v_cmp_gt_u32_e64 s[0:1], 56, v5
	s_waitcnt lgkmcnt(0)
	v_add_f32_e32 v3, v3, v6
	;; [unrolled: 7-line block ×4, first 2 shown]
	v_cndmask_b32_e64 v7, 0, 1, s[0:1]
	v_lshlrev_b32_e32 v7, 1, v7
	v_add_lshl_u32 v3, v7, v4, 2
	ds_bpermute_b32 v7, v3, v6
	v_cmp_ne_u32_e64 s[0:1], 63, v5
	s_waitcnt lgkmcnt(0)
	v_add_f32_e32 v5, v6, v7
	v_addc_co_u32_e64 v4, s[0:1], 0, v4, s[0:1]
	v_lshlrev_b32_e32 v4, 2, v4
	ds_bpermute_b32 v6, v4, v5
	v_cmp_eq_u32_e64 s[0:1], 0, v2
	s_and_saveexec_b64 s[4:5], s[0:1]
	s_cbranch_execz .LBB680_32
; %bb.31:
	v_lshrrev_b32_e32 v2, 4, v0
	v_and_b32_e32 v2, 12, v2
	s_waitcnt lgkmcnt(0)
	v_add_f32_e32 v5, v5, v6
	ds_write_b32 v2, v5
.LBB680_32:
	s_or_b64 exec, exec, s[4:5]
	v_cmp_gt_u32_e64 s[0:1], 4, v0
	v_mov_b32_e32 v2, 0
	s_waitcnt lgkmcnt(0)
	s_barrier
	s_and_saveexec_b64 s[4:5], s[0:1]
	s_cbranch_execz .LBB680_34
; %bb.33:
	ds_read_b32 v2, v1
	s_or_b64 exec, exec, s[4:5]
	s_and_saveexec_b64 s[0:1], vcc
	s_cbranch_execz .LBB680_36
	s_branch .LBB680_35
.LBB680_34:
	s_or_b64 exec, exec, s[4:5]
	s_and_saveexec_b64 s[0:1], vcc
	s_cbranch_execz .LBB680_36
.LBB680_35:
	s_waitcnt lgkmcnt(0)
	ds_bpermute_b32 v1, v3, v2
	s_waitcnt lgkmcnt(0)
	v_add_f32_e32 v1, v2, v1
	ds_bpermute_b32 v2, v4, v1
	s_waitcnt lgkmcnt(0)
	v_add_f32_e32 v2, v1, v2
.LBB680_36:
	s_or_b64 exec, exec, s[0:1]
	v_cmp_eq_u32_e32 vcc, 0, v0
                                        ; implicit-def: $vgpr1
                                        ; implicit-def: $sgpr12_sgpr13
	s_and_saveexec_b64 s[0:1], vcc
	s_cbranch_execz .LBB680_40
; %bb.37:
	v_cmp_eq_f32_e64 s[4:5], s3, 0
	s_mul_i32 s12, s2, s21
	s_waitcnt lgkmcnt(0)
	v_mul_f32_e32 v1, s18, v2
	s_ashr_i32 s13, s12, 31
	s_and_b64 vcc, exec, s[4:5]
	s_cbranch_vccnz .LBB680_39
; %bb.38:
	s_lshl_b64 s[4:5], s[12:13], 2
	s_add_u32 s4, s19, s4
	s_addc_u32 s5, s20, s5
	s_load_dword s2, s[4:5], 0x0
	v_mov_b32_e32 v0, s3
	s_waitcnt lgkmcnt(0)
	v_fmac_f32_e32 v1, s2, v0
.LBB680_39:
	s_or_b64 s[6:7], s[6:7], exec
.LBB680_40:
	s_or_b64 exec, exec, s[0:1]
.LBB680_41:
	s_and_saveexec_b64 s[0:1], s[6:7]
	s_cbranch_execz .LBB680_43
; %bb.42:
	s_lshl_b64 s[0:1], s[12:13], 2
	s_add_u32 s0, s19, s0
	s_addc_u32 s1, s20, s1
	v_mov_b32_e32 v0, 0
	global_store_dword v0, v1, s[0:1]
.LBB680_43:
	s_endpgm
	.section	.rodata,"a",@progbits
	.p2align	6, 0x0
	.amdhsa_kernel _ZL32rocblas_gemvt_warp_reduce_kernelILb0ELi256EiPK16rocblas_bfloat16fKPfEviiT3_lPKT2_lT1_lS8_lS9_lS5_lPT4_lS9_li
		.amdhsa_group_segment_fixed_size 256
		.amdhsa_private_segment_fixed_size 0
		.amdhsa_kernarg_size 140
		.amdhsa_user_sgpr_count 2
		.amdhsa_user_sgpr_dispatch_ptr 0
		.amdhsa_user_sgpr_queue_ptr 0
		.amdhsa_user_sgpr_kernarg_segment_ptr 1
		.amdhsa_user_sgpr_dispatch_id 0
		.amdhsa_user_sgpr_kernarg_preload_length 0
		.amdhsa_user_sgpr_kernarg_preload_offset 0
		.amdhsa_user_sgpr_private_segment_size 0
		.amdhsa_uses_dynamic_stack 0
		.amdhsa_enable_private_segment 0
		.amdhsa_system_sgpr_workgroup_id_x 1
		.amdhsa_system_sgpr_workgroup_id_y 0
		.amdhsa_system_sgpr_workgroup_id_z 1
		.amdhsa_system_sgpr_workgroup_info 0
		.amdhsa_system_vgpr_workitem_id 0
		.amdhsa_next_free_vgpr 14
		.amdhsa_next_free_sgpr 28
		.amdhsa_accum_offset 16
		.amdhsa_reserve_vcc 1
		.amdhsa_float_round_mode_32 0
		.amdhsa_float_round_mode_16_64 0
		.amdhsa_float_denorm_mode_32 3
		.amdhsa_float_denorm_mode_16_64 3
		.amdhsa_dx10_clamp 1
		.amdhsa_ieee_mode 1
		.amdhsa_fp16_overflow 0
		.amdhsa_tg_split 0
		.amdhsa_exception_fp_ieee_invalid_op 0
		.amdhsa_exception_fp_denorm_src 0
		.amdhsa_exception_fp_ieee_div_zero 0
		.amdhsa_exception_fp_ieee_overflow 0
		.amdhsa_exception_fp_ieee_underflow 0
		.amdhsa_exception_fp_ieee_inexact 0
		.amdhsa_exception_int_div_zero 0
	.end_amdhsa_kernel
	.section	.text._ZL32rocblas_gemvt_warp_reduce_kernelILb0ELi256EiPK16rocblas_bfloat16fKPfEviiT3_lPKT2_lT1_lS8_lS9_lS5_lPT4_lS9_li,"axG",@progbits,_ZL32rocblas_gemvt_warp_reduce_kernelILb0ELi256EiPK16rocblas_bfloat16fKPfEviiT3_lPKT2_lT1_lS8_lS9_lS5_lPT4_lS9_li,comdat
.Lfunc_end680:
	.size	_ZL32rocblas_gemvt_warp_reduce_kernelILb0ELi256EiPK16rocblas_bfloat16fKPfEviiT3_lPKT2_lT1_lS8_lS9_lS5_lPT4_lS9_li, .Lfunc_end680-_ZL32rocblas_gemvt_warp_reduce_kernelILb0ELi256EiPK16rocblas_bfloat16fKPfEviiT3_lPKT2_lT1_lS8_lS9_lS5_lPT4_lS9_li
                                        ; -- End function
	.section	.AMDGPU.csdata,"",@progbits
; Kernel info:
; codeLenInByte = 1484
; NumSgprs: 34
; NumVgprs: 14
; NumAgprs: 0
; TotalNumVgprs: 14
; ScratchSize: 0
; MemoryBound: 0
; FloatMode: 240
; IeeeMode: 1
; LDSByteSize: 256 bytes/workgroup (compile time only)
; SGPRBlocks: 4
; VGPRBlocks: 1
; NumSGPRsForWavesPerEU: 34
; NumVGPRsForWavesPerEU: 14
; AccumOffset: 16
; Occupancy: 8
; WaveLimiterHint : 1
; COMPUTE_PGM_RSRC2:SCRATCH_EN: 0
; COMPUTE_PGM_RSRC2:USER_SGPR: 2
; COMPUTE_PGM_RSRC2:TRAP_HANDLER: 0
; COMPUTE_PGM_RSRC2:TGID_X_EN: 1
; COMPUTE_PGM_RSRC2:TGID_Y_EN: 0
; COMPUTE_PGM_RSRC2:TGID_Z_EN: 1
; COMPUTE_PGM_RSRC2:TIDIG_COMP_CNT: 0
; COMPUTE_PGM_RSRC3_GFX90A:ACCUM_OFFSET: 3
; COMPUTE_PGM_RSRC3_GFX90A:TG_SPLIT: 0
	.section	.text._ZL32rocblas_gemvt_warp_reduce_kernelILb0ELi256ElPK16rocblas_bfloat16fKPfEviiT3_lPKT2_lT1_lS8_lS9_lS5_lPT4_lS9_li,"axG",@progbits,_ZL32rocblas_gemvt_warp_reduce_kernelILb0ELi256ElPK16rocblas_bfloat16fKPfEviiT3_lPKT2_lT1_lS8_lS9_lS5_lPT4_lS9_li,comdat
	.globl	_ZL32rocblas_gemvt_warp_reduce_kernelILb0ELi256ElPK16rocblas_bfloat16fKPfEviiT3_lPKT2_lT1_lS8_lS9_lS5_lPT4_lS9_li ; -- Begin function _ZL32rocblas_gemvt_warp_reduce_kernelILb0ELi256ElPK16rocblas_bfloat16fKPfEviiT3_lPKT2_lT1_lS8_lS9_lS5_lPT4_lS9_li
	.p2align	8
	.type	_ZL32rocblas_gemvt_warp_reduce_kernelILb0ELi256ElPK16rocblas_bfloat16fKPfEviiT3_lPKT2_lT1_lS8_lS9_lS5_lPT4_lS9_li,@function
_ZL32rocblas_gemvt_warp_reduce_kernelILb0ELi256ElPK16rocblas_bfloat16fKPfEviiT3_lPKT2_lT1_lS8_lS9_lS5_lPT4_lS9_li: ; @_ZL32rocblas_gemvt_warp_reduce_kernelILb0ELi256ElPK16rocblas_bfloat16fKPfEviiT3_lPKT2_lT1_lS8_lS9_lS5_lPT4_lS9_li
; %bb.0:
	s_mov_b32 s20, s3
	s_load_dword s24, s[0:1], 0x8
	s_load_dword s3, s[0:1], 0x58
	s_waitcnt lgkmcnt(0)
	v_cmp_eq_f32_e64 s[18:19], s24, 0
	v_cmp_eq_f32_e64 s[4:5], s3, 1.0
	s_and_b64 s[4:5], s[18:19], s[4:5]
	s_and_b64 vcc, exec, s[4:5]
	s_cbranch_vccnz .LBB681_43
; %bb.1:
	s_load_dwordx4 s[4:7], s[0:1], 0x18
	s_load_dwordx2 s[14:15], s[0:1], 0x28
	v_cmp_neq_f32_e64 s[12:13], s24, 0
	s_mov_b32 s21, 0
	s_and_b64 vcc, exec, s[12:13]
	s_cbranch_vccnz .LBB681_3
; %bb.2:
	s_mov_b64 s[16:17], 0
	s_cbranch_execz .LBB681_4
	s_branch .LBB681_5
.LBB681_3:
                                        ; implicit-def: $sgpr16_sgpr17
.LBB681_4:
	s_lshl_b64 s[8:9], s[20:21], 3
	s_waitcnt lgkmcnt(0)
	s_add_u32 s4, s4, s8
	s_addc_u32 s5, s5, s9
	s_load_dwordx2 s[4:5], s[4:5], 0x0
	s_lshl_b64 s[6:7], s[6:7], 1
	s_waitcnt lgkmcnt(0)
	s_add_u32 s16, s4, s6
	s_addc_u32 s17, s5, s7
.LBB681_5:
	s_waitcnt lgkmcnt(0)
	s_load_dwordx4 s[4:7], s[0:1], 0x38
	s_load_dwordx2 s[10:11], s[0:1], 0x48
	s_mov_b64 s[8:9], 0
	s_andn2_b64 vcc, exec, s[12:13]
	s_mov_b64 s[12:13], 0
	s_cbranch_vccnz .LBB681_7
; %bb.6:
	s_lshl_b64 s[12:13], s[20:21], 3
	s_waitcnt lgkmcnt(0)
	s_add_u32 s4, s4, s12
	s_addc_u32 s5, s5, s13
	s_load_dwordx2 s[4:5], s[4:5], 0x0
	s_lshl_b64 s[6:7], s[6:7], 1
	s_waitcnt lgkmcnt(0)
	s_add_u32 s12, s4, s6
	s_addc_u32 s13, s5, s7
.LBB681_7:
	s_load_dwordx4 s[28:31], s[0:1], 0x68
	s_waitcnt lgkmcnt(0)
	s_load_dwordx2 s[6:7], s[0:1], 0x78
	s_lshl_b64 s[4:5], s[20:21], 3
	s_add_u32 s4, s28, s4
	s_addc_u32 s5, s29, s5
	s_load_dwordx2 s[4:5], s[4:5], 0x0
	s_lshl_b64 s[20:21], s[30:31], 2
	s_waitcnt lgkmcnt(0)
	s_add_u32 s25, s4, s20
	s_addc_u32 s26, s5, s21
	s_andn2_b64 vcc, exec, s[18:19]
	v_cmp_eq_u32_e64 s[4:5], 0, v0
	s_cbranch_vccnz .LBB681_12
; %bb.8:
	s_mov_b64 s[20:21], 0
                                        ; implicit-def: $vgpr1
                                        ; implicit-def: $sgpr18_sgpr19
	s_and_saveexec_b64 s[22:23], s[4:5]
	s_cbranch_execz .LBB681_13
; %bb.9:
	s_ashr_i32 s8, s2, 31
	s_mul_i32 s9, s2, s7
	s_mul_hi_u32 s18, s2, s6
	v_cmp_eq_f32_e64 s[4:5], s3, 0
	s_add_i32 s9, s18, s9
	s_mul_i32 s8, s8, s6
	v_mov_b32_e32 v1, 0
	s_add_i32 s19, s9, s8
	s_mul_i32 s18, s2, s6
	s_and_b64 vcc, exec, s[4:5]
	s_cbranch_vccnz .LBB681_11
; %bb.10:
	s_lshl_b64 s[4:5], s[18:19], 2
	s_add_u32 s4, s25, s4
	s_addc_u32 s5, s26, s5
	s_load_dword s4, s[4:5], 0x0
	v_mov_b32_e32 v1, s3
	s_waitcnt lgkmcnt(0)
	v_mul_f32_e32 v1, s4, v1
.LBB681_11:
	s_mov_b64 s[8:9], exec
	s_or_b64 exec, exec, s[22:23]
	s_and_b64 vcc, exec, s[20:21]
	s_cbranch_vccnz .LBB681_14
	s_branch .LBB681_41
.LBB681_12:
                                        ; implicit-def: $vgpr1
                                        ; implicit-def: $sgpr18_sgpr19
	s_cbranch_execnz .LBB681_14
	s_branch .LBB681_41
.LBB681_13:
	s_or_b64 exec, exec, s[22:23]
	s_and_b64 vcc, exec, s[20:21]
	s_cbranch_vccz .LBB681_41
.LBB681_14:
	s_load_dword s1, s[0:1], 0x0
	s_ashr_i32 s22, s2, 31
	s_mul_i32 s0, s2, s15
	s_mul_hi_u32 s4, s2, s14
	s_add_i32 s0, s4, s0
	s_mul_i32 s4, s22, s14
	s_add_i32 s5, s0, s4
	s_mul_i32 s4, s2, s14
	s_lshl_b64 s[4:5], s[4:5], 1
	s_add_u32 s4, s4, s16
	s_addc_u32 s5, s5, s17
	s_waitcnt lgkmcnt(0)
	s_ashr_i32 s0, s1, 31
	v_cmp_gt_i32_e32 vcc, s1, v0
	s_lshr_b32 s0, s0, 24
	s_add_i32 s0, s1, s0
	v_cndmask_b32_e32 v1, 0, v0, vcc
	v_mov_b32_e32 v3, 0
	v_lshlrev_b32_e32 v2, 1, v1
	s_and_b32 s0, s0, 0xffffff00
	v_lshl_add_u64 v[4:5], s[4:5], 0, v[2:3]
	v_cmp_gt_i32_e32 vcc, s0, v0
	s_and_saveexec_b64 s[4:5], vcc
	s_cbranch_execz .LBB681_22
; %bb.15:
	v_mad_u64_u32 v[2:3], s[14:15], s10, v0, 0
	v_mov_b32_e32 v6, v3
	v_mad_u64_u32 v[6:7], s[14:15], s11, v0, v[6:7]
	v_mov_b32_e32 v3, v6
	v_lshl_add_u64 v[6:7], v[2:3], 1, s[12:13]
	s_lshl_b64 s[16:17], s[10:11], 9
	s_mov_b64 s[14:15], 0
	v_mov_b32_e32 v1, 0
	s_mov_b32 s23, 0x7f800000
	s_movk_i32 s27, 0x7fff
	s_mov_b64 s[18:19], 0x200
	v_mov_b64_e32 v[8:9], v[4:5]
	v_mov_b32_e32 v2, v0
	v_mov_b32_e32 v3, 0
	s_branch .LBB681_17
.LBB681_16:                             ;   in Loop: Header=BB681_17 Depth=1
	s_or_b64 exec, exec, s[20:21]
	v_add_u32_e32 v2, 0x100, v2
	v_and_b32_e32 v10, 0xffff0000, v12
	v_cmp_le_i32_e32 vcc, s0, v2
	v_add_f32_e32 v3, v3, v10
	v_lshl_add_u64 v[8:9], v[8:9], 0, s[18:19]
	s_or_b64 s[14:15], vcc, s[14:15]
	v_lshl_add_u64 v[6:7], v[6:7], 0, s[16:17]
	s_andn2_b64 exec, exec, s[14:15]
	s_cbranch_execz .LBB681_21
.LBB681_17:                             ; =>This Inner Loop Header: Depth=1
	flat_load_ushort v10, v[6:7]
	flat_load_ushort v11, v[8:9]
	s_waitcnt vmcnt(0) lgkmcnt(0)
	v_lshlrev_b32_e32 v10, 16, v10
	v_lshlrev_b32_e32 v12, 16, v11
	v_pk_mul_f32 v[10:11], v[10:11], v[12:13] op_sel_hi:[0,1]
	v_and_b32_e32 v11, 0x7f800000, v10
	v_cmp_ne_u32_e32 vcc, s23, v11
                                        ; implicit-def: $vgpr12
	s_and_saveexec_b64 s[20:21], vcc
	s_xor_b64 s[20:21], exec, s[20:21]
; %bb.18:                               ;   in Loop: Header=BB681_17 Depth=1
	v_bfe_u32 v11, v10, 16, 1
	v_add3_u32 v12, v10, v11, s27
                                        ; implicit-def: $vgpr10_vgpr11
; %bb.19:                               ;   in Loop: Header=BB681_17 Depth=1
	s_andn2_saveexec_b64 s[20:21], s[20:21]
	s_cbranch_execz .LBB681_16
; %bb.20:                               ;   in Loop: Header=BB681_17 Depth=1
	v_or_b32_e32 v11, 0x10000, v10
	v_cmp_eq_u32_sdwa vcc, v10, v1 src0_sel:WORD_0 src1_sel:DWORD
	s_nop 1
	v_cndmask_b32_e32 v12, v11, v10, vcc
	s_branch .LBB681_16
.LBB681_21:
	s_or_b64 exec, exec, s[14:15]
.LBB681_22:
	s_or_b64 exec, exec, s[4:5]
	v_add_u32_e32 v1, s0, v0
	v_cmp_gt_i32_e32 vcc, s1, v1
	s_and_saveexec_b64 s[4:5], vcc
	s_cbranch_execz .LBB681_28
; %bb.23:
	s_ashr_i32 s1, s0, 31
	v_ashrrev_i32_e32 v2, 31, v1
	v_lshl_add_u64 v[4:5], s[0:1], 1, v[4:5]
	v_mul_lo_u32 v8, v1, s11
	v_mul_lo_u32 v2, v2, s10
	v_mad_u64_u32 v[6:7], s[0:1], v1, s10, 0
	v_add3_u32 v7, v7, v8, v2
	v_lshl_add_u64 v[6:7], v[6:7], 1, s[12:13]
	flat_load_ushort v1, v[4:5]
	flat_load_ushort v8, v[6:7]
	s_mov_b32 s0, 0x7f800000
	s_waitcnt vmcnt(0) lgkmcnt(0)
	v_lshlrev_b32_e32 v2, 16, v1
	v_lshlrev_b32_e32 v4, 16, v8
	v_pk_mul_f32 v[4:5], v[4:5], v[2:3] op_sel_hi:[0,1]
	v_and_b32_e32 v1, 0x7f800000, v4
	v_cmp_ne_u32_e32 vcc, s0, v1
                                        ; implicit-def: $vgpr1
	s_and_saveexec_b64 s[0:1], vcc
	s_xor_b64 s[0:1], exec, s[0:1]
; %bb.24:
	v_bfe_u32 v1, v4, 16, 1
	s_movk_i32 s10, 0x7fff
	v_add3_u32 v1, v4, v1, s10
                                        ; implicit-def: $vgpr4_vgpr5
; %bb.25:
	s_andn2_saveexec_b64 s[0:1], s[0:1]
; %bb.26:
	v_mov_b32_e32 v1, 0
	v_or_b32_e32 v2, 0x10000, v4
	v_cmp_eq_u32_sdwa vcc, v4, v1 src0_sel:WORD_0 src1_sel:DWORD
	s_nop 1
	v_cndmask_b32_e32 v1, v2, v4, vcc
; %bb.27:
	s_or_b64 exec, exec, s[0:1]
	v_and_b32_e32 v1, 0xffff0000, v1
	v_add_f32_e32 v3, v3, v1
.LBB681_28:
	s_or_b64 exec, exec, s[4:5]
	v_and_b32_e32 v2, 63, v0
	v_cmp_gt_u32_e32 vcc, 64, v0
	v_lshlrev_b32_e32 v1, 2, v2
	s_and_saveexec_b64 s[0:1], vcc
	s_cbranch_execz .LBB681_30
; %bb.29:
	v_mov_b32_e32 v4, 0
	ds_write_b32 v1, v4
.LBB681_30:
	s_or_b64 exec, exec, s[0:1]
	v_mbcnt_lo_u32_b32 v4, -1, 0
	v_mbcnt_hi_u32_b32 v4, -1, v4
	v_and_b32_e32 v5, 63, v4
	v_cmp_gt_u32_e64 s[0:1], 32, v5
	s_waitcnt lgkmcnt(0)
	s_barrier
	v_cndmask_b32_e64 v6, 0, 1, s[0:1]
	v_lshlrev_b32_e32 v6, 5, v6
	v_add_lshl_u32 v6, v6, v4, 2
	ds_bpermute_b32 v6, v6, v3
	v_cmp_gt_u32_e64 s[0:1], 48, v5
	s_waitcnt lgkmcnt(0)
	v_add_f32_e32 v3, v3, v6
	v_cndmask_b32_e64 v7, 0, 1, s[0:1]
	v_lshlrev_b32_e32 v7, 4, v7
	v_add_lshl_u32 v6, v7, v4, 2
	ds_bpermute_b32 v6, v6, v3
	v_cmp_gt_u32_e64 s[0:1], 56, v5
	s_waitcnt lgkmcnt(0)
	v_add_f32_e32 v3, v3, v6
	;; [unrolled: 7-line block ×4, first 2 shown]
	v_cndmask_b32_e64 v7, 0, 1, s[0:1]
	v_lshlrev_b32_e32 v7, 1, v7
	v_add_lshl_u32 v3, v7, v4, 2
	ds_bpermute_b32 v7, v3, v6
	v_cmp_ne_u32_e64 s[0:1], 63, v5
	s_waitcnt lgkmcnt(0)
	v_add_f32_e32 v5, v6, v7
	v_addc_co_u32_e64 v4, s[0:1], 0, v4, s[0:1]
	v_lshlrev_b32_e32 v4, 2, v4
	ds_bpermute_b32 v6, v4, v5
	v_cmp_eq_u32_e64 s[0:1], 0, v2
	s_and_saveexec_b64 s[4:5], s[0:1]
	s_cbranch_execz .LBB681_32
; %bb.31:
	v_lshrrev_b32_e32 v2, 4, v0
	v_and_b32_e32 v2, 12, v2
	s_waitcnt lgkmcnt(0)
	v_add_f32_e32 v5, v5, v6
	ds_write_b32 v2, v5
.LBB681_32:
	s_or_b64 exec, exec, s[4:5]
	v_cmp_gt_u32_e64 s[0:1], 4, v0
	v_mov_b32_e32 v2, 0
	s_waitcnt lgkmcnt(0)
	s_barrier
	s_and_saveexec_b64 s[4:5], s[0:1]
	s_cbranch_execz .LBB681_34
; %bb.33:
	ds_read_b32 v2, v1
	s_or_b64 exec, exec, s[4:5]
	s_and_saveexec_b64 s[0:1], vcc
	s_cbranch_execz .LBB681_36
	s_branch .LBB681_35
.LBB681_34:
	s_or_b64 exec, exec, s[4:5]
	s_and_saveexec_b64 s[0:1], vcc
	s_cbranch_execz .LBB681_36
.LBB681_35:
	s_waitcnt lgkmcnt(0)
	ds_bpermute_b32 v1, v3, v2
	s_waitcnt lgkmcnt(0)
	v_add_f32_e32 v1, v2, v1
	ds_bpermute_b32 v2, v4, v1
	s_waitcnt lgkmcnt(0)
	v_add_f32_e32 v2, v1, v2
.LBB681_36:
	s_or_b64 exec, exec, s[0:1]
	v_cmp_eq_u32_e32 vcc, 0, v0
                                        ; implicit-def: $vgpr1
                                        ; implicit-def: $sgpr18_sgpr19
	s_and_saveexec_b64 s[0:1], vcc
	s_cbranch_execz .LBB681_40
; %bb.37:
	s_mul_i32 s7, s2, s7
	s_mul_hi_u32 s10, s2, s6
	v_cmp_eq_f32_e64 s[4:5], s3, 0
	s_add_i32 s7, s10, s7
	s_mul_i32 s10, s22, s6
	s_waitcnt lgkmcnt(0)
	v_mul_f32_e32 v1, s24, v2
	s_add_i32 s19, s7, s10
	s_mul_i32 s18, s2, s6
	s_and_b64 vcc, exec, s[4:5]
	s_cbranch_vccnz .LBB681_39
; %bb.38:
	s_lshl_b64 s[4:5], s[18:19], 2
	s_add_u32 s4, s25, s4
	s_addc_u32 s5, s26, s5
	s_load_dword s2, s[4:5], 0x0
	v_mov_b32_e32 v0, s3
	s_waitcnt lgkmcnt(0)
	v_fmac_f32_e32 v1, s2, v0
.LBB681_39:
	s_or_b64 s[8:9], s[8:9], exec
.LBB681_40:
	s_or_b64 exec, exec, s[0:1]
.LBB681_41:
	s_and_saveexec_b64 s[0:1], s[8:9]
	s_cbranch_execz .LBB681_43
; %bb.42:
	s_lshl_b64 s[0:1], s[18:19], 2
	s_add_u32 s0, s25, s0
	s_addc_u32 s1, s26, s1
	v_mov_b32_e32 v0, 0
	global_store_dword v0, v1, s[0:1]
.LBB681_43:
	s_endpgm
	.section	.rodata,"a",@progbits
	.p2align	6, 0x0
	.amdhsa_kernel _ZL32rocblas_gemvt_warp_reduce_kernelILb0ELi256ElPK16rocblas_bfloat16fKPfEviiT3_lPKT2_lT1_lS8_lS9_lS5_lPT4_lS9_li
		.amdhsa_group_segment_fixed_size 256
		.amdhsa_private_segment_fixed_size 0
		.amdhsa_kernarg_size 140
		.amdhsa_user_sgpr_count 2
		.amdhsa_user_sgpr_dispatch_ptr 0
		.amdhsa_user_sgpr_queue_ptr 0
		.amdhsa_user_sgpr_kernarg_segment_ptr 1
		.amdhsa_user_sgpr_dispatch_id 0
		.amdhsa_user_sgpr_kernarg_preload_length 0
		.amdhsa_user_sgpr_kernarg_preload_offset 0
		.amdhsa_user_sgpr_private_segment_size 0
		.amdhsa_uses_dynamic_stack 0
		.amdhsa_enable_private_segment 0
		.amdhsa_system_sgpr_workgroup_id_x 1
		.amdhsa_system_sgpr_workgroup_id_y 0
		.amdhsa_system_sgpr_workgroup_id_z 1
		.amdhsa_system_sgpr_workgroup_info 0
		.amdhsa_system_vgpr_workitem_id 0
		.amdhsa_next_free_vgpr 14
		.amdhsa_next_free_sgpr 32
		.amdhsa_accum_offset 16
		.amdhsa_reserve_vcc 1
		.amdhsa_float_round_mode_32 0
		.amdhsa_float_round_mode_16_64 0
		.amdhsa_float_denorm_mode_32 3
		.amdhsa_float_denorm_mode_16_64 3
		.amdhsa_dx10_clamp 1
		.amdhsa_ieee_mode 1
		.amdhsa_fp16_overflow 0
		.amdhsa_tg_split 0
		.amdhsa_exception_fp_ieee_invalid_op 0
		.amdhsa_exception_fp_denorm_src 0
		.amdhsa_exception_fp_ieee_div_zero 0
		.amdhsa_exception_fp_ieee_overflow 0
		.amdhsa_exception_fp_ieee_underflow 0
		.amdhsa_exception_fp_ieee_inexact 0
		.amdhsa_exception_int_div_zero 0
	.end_amdhsa_kernel
	.section	.text._ZL32rocblas_gemvt_warp_reduce_kernelILb0ELi256ElPK16rocblas_bfloat16fKPfEviiT3_lPKT2_lT1_lS8_lS9_lS5_lPT4_lS9_li,"axG",@progbits,_ZL32rocblas_gemvt_warp_reduce_kernelILb0ELi256ElPK16rocblas_bfloat16fKPfEviiT3_lPKT2_lT1_lS8_lS9_lS5_lPT4_lS9_li,comdat
.Lfunc_end681:
	.size	_ZL32rocblas_gemvt_warp_reduce_kernelILb0ELi256ElPK16rocblas_bfloat16fKPfEviiT3_lPKT2_lT1_lS8_lS9_lS5_lPT4_lS9_li, .Lfunc_end681-_ZL32rocblas_gemvt_warp_reduce_kernelILb0ELi256ElPK16rocblas_bfloat16fKPfEviiT3_lPKT2_lT1_lS8_lS9_lS5_lPT4_lS9_li
                                        ; -- End function
	.section	.AMDGPU.csdata,"",@progbits
; Kernel info:
; codeLenInByte = 1584
; NumSgprs: 38
; NumVgprs: 14
; NumAgprs: 0
; TotalNumVgprs: 14
; ScratchSize: 0
; MemoryBound: 0
; FloatMode: 240
; IeeeMode: 1
; LDSByteSize: 256 bytes/workgroup (compile time only)
; SGPRBlocks: 4
; VGPRBlocks: 1
; NumSGPRsForWavesPerEU: 38
; NumVGPRsForWavesPerEU: 14
; AccumOffset: 16
; Occupancy: 8
; WaveLimiterHint : 1
; COMPUTE_PGM_RSRC2:SCRATCH_EN: 0
; COMPUTE_PGM_RSRC2:USER_SGPR: 2
; COMPUTE_PGM_RSRC2:TRAP_HANDLER: 0
; COMPUTE_PGM_RSRC2:TGID_X_EN: 1
; COMPUTE_PGM_RSRC2:TGID_Y_EN: 0
; COMPUTE_PGM_RSRC2:TGID_Z_EN: 1
; COMPUTE_PGM_RSRC2:TIDIG_COMP_CNT: 0
; COMPUTE_PGM_RSRC3_GFX90A:ACCUM_OFFSET: 3
; COMPUTE_PGM_RSRC3_GFX90A:TG_SPLIT: 0
	.section	.text._ZL20rocblas_gemvt_kernelILb0ELi256EPK16rocblas_bfloat16PKfKPfEviiT2_lPKT1_lilSA_lilS7_lPT3_lili,"axG",@progbits,_ZL20rocblas_gemvt_kernelILb0ELi256EPK16rocblas_bfloat16PKfKPfEviiT2_lPKT1_lilSA_lilS7_lPT3_lili,comdat
	.globl	_ZL20rocblas_gemvt_kernelILb0ELi256EPK16rocblas_bfloat16PKfKPfEviiT2_lPKT1_lilSA_lilS7_lPT3_lili ; -- Begin function _ZL20rocblas_gemvt_kernelILb0ELi256EPK16rocblas_bfloat16PKfKPfEviiT2_lPKT1_lilSA_lilS7_lPT3_lili
	.p2align	8
	.type	_ZL20rocblas_gemvt_kernelILb0ELi256EPK16rocblas_bfloat16PKfKPfEviiT2_lPKT1_lilSA_lilS7_lPT3_lili,@function
_ZL20rocblas_gemvt_kernelILb0ELi256EPK16rocblas_bfloat16PKfKPfEviiT2_lPKT1_lilSA_lilS7_lPT3_lili: ; @_ZL20rocblas_gemvt_kernelILb0ELi256EPK16rocblas_bfloat16PKfKPfEviiT2_lPKT1_lilSA_lilS7_lPT3_lili
; %bb.0:
	s_load_dwordx8 s[12:19], s[0:1], 0x8
	s_load_dwordx8 s[4:11], s[0:1], 0x58
	s_mov_b32 s20, s3
	s_waitcnt lgkmcnt(0)
	s_mul_i32 s3, s3, s15
	s_mul_hi_u32 s15, s20, s14
	s_add_i32 s15, s15, s3
	s_mul_i32 s14, s20, s14
	s_lshl_b64 s[14:15], s[14:15], 2
	s_add_u32 s12, s12, s14
	s_addc_u32 s13, s13, s15
	s_load_dword s3, s[12:13], 0x0
	s_mul_i32 s7, s20, s7
	s_mul_hi_u32 s12, s20, s6
	s_add_i32 s7, s12, s7
	s_mul_i32 s6, s20, s6
	s_lshl_b64 s[6:7], s[6:7], 2
	s_add_u32 s4, s4, s6
	s_addc_u32 s5, s5, s7
	s_load_dword s22, s[4:5], 0x0
	s_waitcnt lgkmcnt(0)
	v_cmp_eq_f32_e64 s[4:5], s3, 0
	v_cmp_eq_f32_e64 s[6:7], s22, 1.0
	s_and_b64 s[6:7], s[4:5], s[6:7]
	s_and_b64 vcc, exec, s[6:7]
	s_cbranch_vccnz .LBB682_48
; %bb.1:
	s_mov_b32 s21, 0
	v_cmp_neq_f32_e64 s[6:7], s3, 0
	s_mov_b64 s[12:13], 0
	s_and_b64 vcc, exec, s[4:5]
	s_mov_b64 s[14:15], 0
	s_cbranch_vccnz .LBB682_3
; %bb.2:
	s_lshl_b64 s[14:15], s[20:21], 3
	s_add_u32 s14, s16, s14
	s_addc_u32 s15, s17, s15
	s_load_dwordx2 s[14:15], s[14:15], 0x0
	s_lshl_b64 s[16:17], s[18:19], 1
	s_waitcnt lgkmcnt(0)
	s_add_u32 s14, s14, s16
	s_addc_u32 s15, s15, s17
.LBB682_3:
	s_andn2_b64 vcc, exec, s[6:7]
	s_cbranch_vccnz .LBB682_5
; %bb.4:
	s_load_dwordx4 s[16:19], s[0:1], 0x38
	s_lshl_b64 s[6:7], s[20:21], 3
	s_waitcnt lgkmcnt(0)
	s_add_u32 s6, s16, s6
	s_addc_u32 s7, s17, s7
	s_load_dwordx2 s[6:7], s[6:7], 0x0
	s_lshl_b64 s[12:13], s[18:19], 1
	s_waitcnt lgkmcnt(0)
	s_add_u32 s12, s6, s12
	s_addc_u32 s13, s7, s13
.LBB682_5:
	s_lshl_b64 s[6:7], s[20:21], 3
	s_add_u32 s6, s8, s6
	s_addc_u32 s7, s9, s7
	s_load_dwordx2 s[8:9], s[6:7], 0x0
	s_load_dword s20, s[0:1], 0x78
	s_lshl_b64 s[6:7], s[10:11], 2
	s_waitcnt lgkmcnt(0)
	s_add_u32 s18, s8, s6
	s_addc_u32 s19, s9, s7
	s_andn2_b64 vcc, exec, s[4:5]
	v_cmp_eq_u32_e64 s[4:5], 0, v0
	s_cbranch_vccnz .LBB682_10
; %bb.6:
	s_mov_b64 s[10:11], 0
	s_mov_b64 s[6:7], 0
                                        ; implicit-def: $vgpr1
                                        ; implicit-def: $sgpr8_sgpr9
	s_and_saveexec_b64 s[16:17], s[4:5]
	s_cbranch_execz .LBB682_11
; %bb.7:
	v_cmp_eq_f32_e64 s[4:5], s22, 0
	v_mov_b32_e32 v1, 0
	s_mul_hi_i32 s9, s20, s2
	s_mul_i32 s8, s20, s2
	s_and_b64 vcc, exec, s[4:5]
	s_cbranch_vccnz .LBB682_9
; %bb.8:
	s_lshl_b64 s[4:5], s[8:9], 2
	s_add_u32 s4, s18, s4
	s_addc_u32 s5, s19, s5
	s_load_dword s4, s[4:5], 0x0
	s_waitcnt lgkmcnt(0)
	v_mov_b32_e32 v1, s4
	v_mul_f32_e32 v1, s22, v1
.LBB682_9:
	s_mov_b64 s[6:7], exec
	s_or_b64 exec, exec, s[16:17]
	s_and_b64 vcc, exec, s[10:11]
	s_cbranch_vccnz .LBB682_12
	s_branch .LBB682_46
.LBB682_10:
	s_mov_b64 s[6:7], 0
                                        ; implicit-def: $vgpr1
                                        ; implicit-def: $sgpr8_sgpr9
	s_cbranch_execnz .LBB682_12
	s_branch .LBB682_46
.LBB682_11:
	s_or_b64 exec, exec, s[16:17]
	s_and_b64 vcc, exec, s[10:11]
	s_cbranch_vccz .LBB682_46
.LBB682_12:
	s_load_dword s16, s[0:1], 0x0
	s_load_dword s5, s[0:1], 0x28
	;; [unrolled: 1-line block ×3, first 2 shown]
	v_mov_b32_e32 v3, 0
	s_mov_b32 s1, 0
	s_waitcnt lgkmcnt(0)
	v_cmp_gt_i32_e32 vcc, s16, v0
	s_mul_hi_i32 s9, s5, s2
	s_mul_i32 s8, s5, s2
	s_lshl_b64 s[8:9], s[8:9], 1
	s_add_u32 s8, s8, s14
	s_addc_u32 s9, s9, s15
	s_ashr_i32 s0, s16, 31
	s_lshr_b32 s0, s0, 24
	v_cndmask_b32_e32 v1, 0, v0, vcc
	s_add_i32 s0, s16, s0
	v_lshlrev_b32_e32 v2, 1, v1
	s_and_b32 s0, s0, 0xffffff00
	s_cmpk_lt_i32 s16, 0x100
	v_lshl_add_u64 v[4:5], s[8:9], 0, v[2:3]
	s_cbranch_scc1 .LBB682_19
; %bb.13:
	s_ashr_i32 s5, s4, 31
	v_mad_i64_i32 v[2:3], s[8:9], s4, v0, 0
	v_lshl_add_u64 v[6:7], v[2:3], 1, s[12:13]
	s_lshl_b64 s[8:9], s[4:5], 9
	v_mov_b32_e32 v1, 0
	s_mov_b32 s5, 0x7f800000
	s_movk_i32 s17, 0x7fff
	s_mov_b64 s[10:11], 0x200
	v_mov_b64_e32 v[8:9], v[4:5]
	v_mov_b32_e32 v3, 0
	s_branch .LBB682_15
.LBB682_14:                             ;   in Loop: Header=BB682_15 Depth=1
	s_or_b64 exec, exec, s[14:15]
	v_and_b32_e32 v2, 0xffff0000, v2
	s_addk_i32 s1, 0x100
	v_add_f32_e32 v3, v3, v2
	v_lshl_add_u64 v[6:7], v[6:7], 0, s[8:9]
	s_cmp_ge_i32 s1, s0
	v_lshl_add_u64 v[8:9], v[8:9], 0, s[10:11]
	s_cbranch_scc1 .LBB682_19
.LBB682_15:                             ; =>This Inner Loop Header: Depth=1
	flat_load_ushort v2, v[6:7]
	flat_load_ushort v10, v[8:9]
	s_waitcnt vmcnt(0) lgkmcnt(0)
	v_lshlrev_b32_e32 v2, 16, v2
	v_lshlrev_b32_e32 v10, 16, v10
	v_pk_mul_f32 v[10:11], v[2:3], v[10:11] op_sel_hi:[0,1]
	v_and_b32_e32 v2, 0x7f800000, v10
	v_cmp_ne_u32_e32 vcc, s5, v2
                                        ; implicit-def: $vgpr2
	s_and_saveexec_b64 s[14:15], vcc
	s_xor_b64 s[14:15], exec, s[14:15]
; %bb.16:                               ;   in Loop: Header=BB682_15 Depth=1
	v_bfe_u32 v2, v10, 16, 1
	v_add3_u32 v2, v10, v2, s17
                                        ; implicit-def: $vgpr10_vgpr11
; %bb.17:                               ;   in Loop: Header=BB682_15 Depth=1
	s_andn2_saveexec_b64 s[14:15], s[14:15]
	s_cbranch_execz .LBB682_14
; %bb.18:                               ;   in Loop: Header=BB682_15 Depth=1
	v_or_b32_e32 v2, 0x10000, v10
	v_cmp_eq_u32_sdwa vcc, v10, v1 src0_sel:WORD_0 src1_sel:DWORD
	s_nop 1
	v_cndmask_b32_e32 v2, v2, v10, vcc
	s_branch .LBB682_14
.LBB682_19:
	v_add_u32_e32 v1, s0, v0
	v_cmp_gt_i32_e32 vcc, s16, v1
	s_and_saveexec_b64 s[8:9], vcc
	s_cbranch_execz .LBB682_25
; %bb.20:
	s_ashr_i32 s1, s0, 31
	v_lshl_add_u64 v[4:5], s[0:1], 1, v[4:5]
	v_mad_i64_i32 v[6:7], s[0:1], s4, v1, 0
	v_lshl_add_u64 v[6:7], v[6:7], 1, s[12:13]
	flat_load_ushort v1, v[6:7]
	flat_load_ushort v8, v[4:5]
	s_mov_b32 s0, 0x7f800000
	s_waitcnt vmcnt(0) lgkmcnt(0)
	v_lshlrev_b32_e32 v2, 16, v1
	v_lshlrev_b32_e32 v4, 16, v8
	v_pk_mul_f32 v[4:5], v[2:3], v[4:5] op_sel_hi:[0,1]
	v_and_b32_e32 v1, 0x7f800000, v4
	v_cmp_ne_u32_e32 vcc, s0, v1
                                        ; implicit-def: $vgpr1
	s_and_saveexec_b64 s[0:1], vcc
	s_xor_b64 s[0:1], exec, s[0:1]
; %bb.21:
	v_bfe_u32 v1, v4, 16, 1
	s_movk_i32 s4, 0x7fff
	v_add3_u32 v1, v4, v1, s4
                                        ; implicit-def: $vgpr4_vgpr5
; %bb.22:
	s_andn2_saveexec_b64 s[0:1], s[0:1]
; %bb.23:
	v_mov_b32_e32 v1, 0
	v_or_b32_e32 v2, 0x10000, v4
	v_cmp_eq_u32_sdwa vcc, v4, v1 src0_sel:WORD_0 src1_sel:DWORD
	s_nop 1
	v_cndmask_b32_e32 v1, v2, v4, vcc
; %bb.24:
	s_or_b64 exec, exec, s[0:1]
	v_and_b32_e32 v1, 0xffff0000, v1
	v_add_f32_e32 v3, v3, v1
.LBB682_25:
	s_or_b64 exec, exec, s[8:9]
	s_movk_i32 s0, 0x80
	v_lshlrev_b32_e32 v1, 2, v0
	v_cmp_gt_u32_e32 vcc, s0, v0
	ds_write_b32 v1, v3
	s_waitcnt lgkmcnt(0)
	s_barrier
	s_and_saveexec_b64 s[0:1], vcc
	s_cbranch_execz .LBB682_27
; %bb.26:
	ds_read2st64_b32 v[2:3], v1 offset1:2
	s_waitcnt lgkmcnt(0)
	v_add_f32_e32 v2, v3, v2
	ds_write_b32 v1, v2
.LBB682_27:
	s_or_b64 exec, exec, s[0:1]
	v_cmp_gt_u32_e32 vcc, 64, v0
	s_waitcnt lgkmcnt(0)
	s_barrier
	s_and_saveexec_b64 s[0:1], vcc
	s_cbranch_execz .LBB682_29
; %bb.28:
	ds_read2st64_b32 v[2:3], v1 offset1:1
	s_waitcnt lgkmcnt(0)
	v_add_f32_e32 v2, v3, v2
	ds_write_b32 v1, v2
.LBB682_29:
	s_or_b64 exec, exec, s[0:1]
	v_cmp_gt_u32_e32 vcc, 32, v0
	s_waitcnt lgkmcnt(0)
	s_barrier
	s_and_saveexec_b64 s[0:1], vcc
	s_cbranch_execz .LBB682_31
; %bb.30:
	ds_read2_b32 v[2:3], v1 offset1:32
	s_waitcnt lgkmcnt(0)
	v_add_f32_e32 v2, v3, v2
	ds_write_b32 v1, v2
.LBB682_31:
	s_or_b64 exec, exec, s[0:1]
	v_cmp_gt_u32_e32 vcc, 16, v0
	s_waitcnt lgkmcnt(0)
	s_barrier
	s_and_saveexec_b64 s[0:1], vcc
	s_cbranch_execz .LBB682_33
; %bb.32:
	ds_read2_b32 v[2:3], v1 offset1:16
	s_waitcnt lgkmcnt(0)
	v_add_f32_e32 v2, v3, v2
	ds_write_b32 v1, v2
.LBB682_33:
	;; [unrolled: 12-line block ×5, first 2 shown]
	s_or_b64 exec, exec, s[0:1]
	v_cmp_eq_u32_e32 vcc, 0, v0
	s_waitcnt lgkmcnt(0)
	s_barrier
	s_and_saveexec_b64 s[0:1], vcc
	s_cbranch_execz .LBB682_41
; %bb.40:
	v_mov_b32_e32 v2, 0
	ds_read_b64 v[0:1], v2
	s_waitcnt lgkmcnt(0)
	v_add_f32_e32 v0, v1, v0
	ds_write_b32 v2, v0
.LBB682_41:
	s_or_b64 exec, exec, s[0:1]
	s_waitcnt lgkmcnt(0)
	s_barrier
	s_waitcnt lgkmcnt(0)
                                        ; implicit-def: $vgpr1
                                        ; implicit-def: $sgpr8_sgpr9
	s_and_saveexec_b64 s[0:1], vcc
	s_cbranch_execz .LBB682_45
; %bb.42:
	v_mov_b32_e32 v0, 0
	ds_read_b32 v0, v0
	v_cmp_eq_f32_e64 s[4:5], s22, 0
	s_mul_hi_i32 s9, s20, s2
	s_mul_i32 s8, s20, s2
	s_and_b64 vcc, exec, s[4:5]
	s_waitcnt lgkmcnt(0)
	v_mul_f32_e32 v1, s3, v0
	s_cbranch_vccnz .LBB682_44
; %bb.43:
	s_lshl_b64 s[2:3], s[8:9], 2
	s_add_u32 s2, s18, s2
	s_addc_u32 s3, s19, s3
	s_load_dword s2, s[2:3], 0x0
	s_waitcnt lgkmcnt(0)
	v_mov_b32_e32 v0, s2
	v_fmac_f32_e32 v1, s22, v0
.LBB682_44:
	s_or_b64 s[6:7], s[6:7], exec
.LBB682_45:
	s_or_b64 exec, exec, s[0:1]
.LBB682_46:
	s_and_saveexec_b64 s[0:1], s[6:7]
	s_cbranch_execz .LBB682_48
; %bb.47:
	s_lshl_b64 s[0:1], s[8:9], 2
	s_add_u32 s0, s18, s0
	s_addc_u32 s1, s19, s1
	v_mov_b32_e32 v0, 0
	global_store_dword v0, v1, s[0:1]
.LBB682_48:
	s_endpgm
	.section	.rodata,"a",@progbits
	.p2align	6, 0x0
	.amdhsa_kernel _ZL20rocblas_gemvt_kernelILb0ELi256EPK16rocblas_bfloat16PKfKPfEviiT2_lPKT1_lilSA_lilS7_lPT3_lili
		.amdhsa_group_segment_fixed_size 1024
		.amdhsa_private_segment_fixed_size 0
		.amdhsa_kernarg_size 140
		.amdhsa_user_sgpr_count 2
		.amdhsa_user_sgpr_dispatch_ptr 0
		.amdhsa_user_sgpr_queue_ptr 0
		.amdhsa_user_sgpr_kernarg_segment_ptr 1
		.amdhsa_user_sgpr_dispatch_id 0
		.amdhsa_user_sgpr_kernarg_preload_length 0
		.amdhsa_user_sgpr_kernarg_preload_offset 0
		.amdhsa_user_sgpr_private_segment_size 0
		.amdhsa_uses_dynamic_stack 0
		.amdhsa_enable_private_segment 0
		.amdhsa_system_sgpr_workgroup_id_x 1
		.amdhsa_system_sgpr_workgroup_id_y 0
		.amdhsa_system_sgpr_workgroup_id_z 1
		.amdhsa_system_sgpr_workgroup_info 0
		.amdhsa_system_vgpr_workitem_id 0
		.amdhsa_next_free_vgpr 12
		.amdhsa_next_free_sgpr 23
		.amdhsa_accum_offset 12
		.amdhsa_reserve_vcc 1
		.amdhsa_float_round_mode_32 0
		.amdhsa_float_round_mode_16_64 0
		.amdhsa_float_denorm_mode_32 3
		.amdhsa_float_denorm_mode_16_64 3
		.amdhsa_dx10_clamp 1
		.amdhsa_ieee_mode 1
		.amdhsa_fp16_overflow 0
		.amdhsa_tg_split 0
		.amdhsa_exception_fp_ieee_invalid_op 0
		.amdhsa_exception_fp_denorm_src 0
		.amdhsa_exception_fp_ieee_div_zero 0
		.amdhsa_exception_fp_ieee_overflow 0
		.amdhsa_exception_fp_ieee_underflow 0
		.amdhsa_exception_fp_ieee_inexact 0
		.amdhsa_exception_int_div_zero 0
	.end_amdhsa_kernel
	.section	.text._ZL20rocblas_gemvt_kernelILb0ELi256EPK16rocblas_bfloat16PKfKPfEviiT2_lPKT1_lilSA_lilS7_lPT3_lili,"axG",@progbits,_ZL20rocblas_gemvt_kernelILb0ELi256EPK16rocblas_bfloat16PKfKPfEviiT2_lPKT1_lilSA_lilS7_lPT3_lili,comdat
.Lfunc_end682:
	.size	_ZL20rocblas_gemvt_kernelILb0ELi256EPK16rocblas_bfloat16PKfKPfEviiT2_lPKT1_lilSA_lilS7_lPT3_lili, .Lfunc_end682-_ZL20rocblas_gemvt_kernelILb0ELi256EPK16rocblas_bfloat16PKfKPfEviiT2_lPKT1_lilSA_lilS7_lPT3_lili
                                        ; -- End function
	.section	.AMDGPU.csdata,"",@progbits
; Kernel info:
; codeLenInByte = 1468
; NumSgprs: 29
; NumVgprs: 12
; NumAgprs: 0
; TotalNumVgprs: 12
; ScratchSize: 0
; MemoryBound: 0
; FloatMode: 240
; IeeeMode: 1
; LDSByteSize: 1024 bytes/workgroup (compile time only)
; SGPRBlocks: 3
; VGPRBlocks: 1
; NumSGPRsForWavesPerEU: 29
; NumVGPRsForWavesPerEU: 12
; AccumOffset: 12
; Occupancy: 8
; WaveLimiterHint : 1
; COMPUTE_PGM_RSRC2:SCRATCH_EN: 0
; COMPUTE_PGM_RSRC2:USER_SGPR: 2
; COMPUTE_PGM_RSRC2:TRAP_HANDLER: 0
; COMPUTE_PGM_RSRC2:TGID_X_EN: 1
; COMPUTE_PGM_RSRC2:TGID_Y_EN: 0
; COMPUTE_PGM_RSRC2:TGID_Z_EN: 1
; COMPUTE_PGM_RSRC2:TIDIG_COMP_CNT: 0
; COMPUTE_PGM_RSRC3_GFX90A:ACCUM_OFFSET: 2
; COMPUTE_PGM_RSRC3_GFX90A:TG_SPLIT: 0
	.section	.text._ZL20rocblas_gemvt_kernelILb0ELi256EPK16rocblas_bfloat16fKPfEviiT2_lPKT1_lilS8_lilS5_lPT3_lili,"axG",@progbits,_ZL20rocblas_gemvt_kernelILb0ELi256EPK16rocblas_bfloat16fKPfEviiT2_lPKT1_lilS8_lilS5_lPT3_lili,comdat
	.globl	_ZL20rocblas_gemvt_kernelILb0ELi256EPK16rocblas_bfloat16fKPfEviiT2_lPKT1_lilS8_lilS5_lPT3_lili ; -- Begin function _ZL20rocblas_gemvt_kernelILb0ELi256EPK16rocblas_bfloat16fKPfEviiT2_lPKT1_lilS8_lilS5_lPT3_lili
	.p2align	8
	.type	_ZL20rocblas_gemvt_kernelILb0ELi256EPK16rocblas_bfloat16fKPfEviiT2_lPKT1_lilS8_lilS5_lPT3_lili,@function
_ZL20rocblas_gemvt_kernelILb0ELi256EPK16rocblas_bfloat16fKPfEviiT2_lPKT1_lilS8_lilS5_lPT3_lili: ; @_ZL20rocblas_gemvt_kernelILb0ELi256EPK16rocblas_bfloat16fKPfEviiT2_lPKT1_lilS8_lilS5_lPT3_lili
; %bb.0:
	s_mov_b32 s12, s3
	s_load_dword s18, s[0:1], 0x8
	s_load_dword s3, s[0:1], 0x58
	s_waitcnt lgkmcnt(0)
	v_cmp_eq_f32_e64 s[4:5], s18, 0
	v_cmp_eq_f32_e64 s[6:7], s3, 1.0
	s_and_b64 s[6:7], s[4:5], s[6:7]
	s_and_b64 vcc, exec, s[6:7]
	s_cbranch_vccnz .LBB683_50
; %bb.1:
	v_cmp_neq_f32_e64 s[8:9], s18, 0
	s_mov_b32 s13, 0
	s_and_b64 vcc, exec, s[8:9]
	s_cbranch_vccnz .LBB683_3
; %bb.2:
	s_mov_b64 s[10:11], 0
	s_cbranch_execz .LBB683_4
	s_branch .LBB683_5
.LBB683_3:
                                        ; implicit-def: $sgpr10_sgpr11
.LBB683_4:
	s_load_dwordx4 s[20:23], s[0:1], 0x18
	s_lshl_b64 s[6:7], s[12:13], 3
	s_waitcnt lgkmcnt(0)
	s_add_u32 s6, s20, s6
	s_addc_u32 s7, s21, s7
	s_load_dwordx2 s[6:7], s[6:7], 0x0
	s_lshl_b64 s[10:11], s[22:23], 1
	s_waitcnt lgkmcnt(0)
	s_add_u32 s10, s6, s10
	s_addc_u32 s11, s7, s11
.LBB683_5:
	s_mov_b64 s[6:7], 0
	s_andn2_b64 vcc, exec, s[8:9]
	s_mov_b64 s[8:9], 0
	s_cbranch_vccnz .LBB683_7
; %bb.6:
	s_load_dwordx4 s[20:23], s[0:1], 0x38
	s_lshl_b64 s[8:9], s[12:13], 3
	s_waitcnt lgkmcnt(0)
	s_add_u32 s8, s20, s8
	s_addc_u32 s9, s21, s9
	s_load_dwordx2 s[8:9], s[8:9], 0x0
	s_lshl_b64 s[14:15], s[22:23], 1
	s_waitcnt lgkmcnt(0)
	s_add_u32 s8, s8, s14
	s_addc_u32 s9, s9, s15
.LBB683_7:
	s_load_dwordx4 s[24:27], s[0:1], 0x68
	s_load_dword s21, s[0:1], 0x78
	s_lshl_b64 s[12:13], s[12:13], 3
	s_waitcnt lgkmcnt(0)
	s_add_u32 s12, s24, s12
	s_addc_u32 s13, s25, s13
	s_load_dwordx2 s[12:13], s[12:13], 0x0
	s_lshl_b64 s[14:15], s[26:27], 2
	s_waitcnt lgkmcnt(0)
	s_add_u32 s19, s12, s14
	s_addc_u32 s20, s13, s15
	s_andn2_b64 vcc, exec, s[4:5]
	v_cmp_eq_u32_e64 s[4:5], 0, v0
	s_cbranch_vccnz .LBB683_12
; %bb.8:
	s_mov_b64 s[14:15], 0
                                        ; implicit-def: $vgpr1
                                        ; implicit-def: $sgpr12_sgpr13
	s_and_saveexec_b64 s[16:17], s[4:5]
	s_cbranch_execz .LBB683_13
; %bb.9:
	v_cmp_eq_f32_e64 s[4:5], s3, 0
	v_mov_b32_e32 v1, 0
	s_mul_hi_i32 s13, s21, s2
	s_mul_i32 s12, s21, s2
	s_and_b64 vcc, exec, s[4:5]
	s_cbranch_vccnz .LBB683_11
; %bb.10:
	s_lshl_b64 s[4:5], s[12:13], 2
	s_add_u32 s4, s19, s4
	s_addc_u32 s5, s20, s5
	s_load_dword s4, s[4:5], 0x0
	v_mov_b32_e32 v1, s3
	s_waitcnt lgkmcnt(0)
	v_mul_f32_e32 v1, s4, v1
.LBB683_11:
	s_mov_b64 s[6:7], exec
	s_or_b64 exec, exec, s[16:17]
	s_and_b64 vcc, exec, s[14:15]
	s_cbranch_vccnz .LBB683_14
	s_branch .LBB683_48
.LBB683_12:
                                        ; implicit-def: $vgpr1
                                        ; implicit-def: $sgpr12_sgpr13
	s_cbranch_execnz .LBB683_14
	s_branch .LBB683_48
.LBB683_13:
	s_or_b64 exec, exec, s[16:17]
	s_and_b64 vcc, exec, s[14:15]
	s_cbranch_vccz .LBB683_48
.LBB683_14:
	s_load_dword s16, s[0:1], 0x0
	s_load_dword s5, s[0:1], 0x28
	;; [unrolled: 1-line block ×3, first 2 shown]
	v_mov_b32_e32 v3, 0
	s_mov_b32 s1, 0
	s_waitcnt lgkmcnt(0)
	v_cmp_gt_i32_e32 vcc, s16, v0
	s_mul_hi_i32 s13, s5, s2
	s_mul_i32 s12, s5, s2
	s_lshl_b64 s[12:13], s[12:13], 1
	s_add_u32 s10, s12, s10
	s_addc_u32 s11, s13, s11
	s_ashr_i32 s0, s16, 31
	s_lshr_b32 s0, s0, 24
	v_cndmask_b32_e32 v1, 0, v0, vcc
	s_add_i32 s0, s16, s0
	v_lshlrev_b32_e32 v2, 1, v1
	s_and_b32 s0, s0, 0xffffff00
	s_cmpk_lt_i32 s16, 0x100
	v_lshl_add_u64 v[4:5], s[10:11], 0, v[2:3]
	s_cbranch_scc1 .LBB683_21
; %bb.15:
	s_ashr_i32 s5, s4, 31
	v_mad_i64_i32 v[2:3], s[10:11], s4, v0, 0
	v_lshl_add_u64 v[6:7], v[2:3], 1, s[8:9]
	s_lshl_b64 s[10:11], s[4:5], 9
	v_mov_b32_e32 v1, 0
	s_mov_b32 s5, 0x7f800000
	s_movk_i32 s17, 0x7fff
	s_mov_b64 s[12:13], 0x200
	v_mov_b64_e32 v[8:9], v[4:5]
	v_mov_b32_e32 v3, 0
	s_branch .LBB683_17
.LBB683_16:                             ;   in Loop: Header=BB683_17 Depth=1
	s_or_b64 exec, exec, s[14:15]
	v_and_b32_e32 v2, 0xffff0000, v2
	s_addk_i32 s1, 0x100
	v_add_f32_e32 v3, v3, v2
	v_lshl_add_u64 v[6:7], v[6:7], 0, s[10:11]
	s_cmp_ge_i32 s1, s0
	v_lshl_add_u64 v[8:9], v[8:9], 0, s[12:13]
	s_cbranch_scc1 .LBB683_21
.LBB683_17:                             ; =>This Inner Loop Header: Depth=1
	flat_load_ushort v2, v[6:7]
	flat_load_ushort v10, v[8:9]
	s_waitcnt vmcnt(0) lgkmcnt(0)
	v_lshlrev_b32_e32 v2, 16, v2
	v_lshlrev_b32_e32 v10, 16, v10
	v_pk_mul_f32 v[10:11], v[2:3], v[10:11] op_sel_hi:[0,1]
	v_and_b32_e32 v2, 0x7f800000, v10
	v_cmp_ne_u32_e32 vcc, s5, v2
                                        ; implicit-def: $vgpr2
	s_and_saveexec_b64 s[14:15], vcc
	s_xor_b64 s[14:15], exec, s[14:15]
; %bb.18:                               ;   in Loop: Header=BB683_17 Depth=1
	v_bfe_u32 v2, v10, 16, 1
	v_add3_u32 v2, v10, v2, s17
                                        ; implicit-def: $vgpr10_vgpr11
; %bb.19:                               ;   in Loop: Header=BB683_17 Depth=1
	s_andn2_saveexec_b64 s[14:15], s[14:15]
	s_cbranch_execz .LBB683_16
; %bb.20:                               ;   in Loop: Header=BB683_17 Depth=1
	v_or_b32_e32 v2, 0x10000, v10
	v_cmp_eq_u32_sdwa vcc, v10, v1 src0_sel:WORD_0 src1_sel:DWORD
	s_nop 1
	v_cndmask_b32_e32 v2, v2, v10, vcc
	s_branch .LBB683_16
.LBB683_21:
	v_add_u32_e32 v1, s0, v0
	v_cmp_gt_i32_e32 vcc, s16, v1
	s_and_saveexec_b64 s[10:11], vcc
	s_cbranch_execz .LBB683_27
; %bb.22:
	s_ashr_i32 s1, s0, 31
	v_lshl_add_u64 v[4:5], s[0:1], 1, v[4:5]
	v_mad_i64_i32 v[6:7], s[0:1], s4, v1, 0
	v_lshl_add_u64 v[6:7], v[6:7], 1, s[8:9]
	flat_load_ushort v1, v[6:7]
	flat_load_ushort v8, v[4:5]
	s_mov_b32 s0, 0x7f800000
	s_waitcnt vmcnt(0) lgkmcnt(0)
	v_lshlrev_b32_e32 v2, 16, v1
	v_lshlrev_b32_e32 v4, 16, v8
	v_pk_mul_f32 v[4:5], v[2:3], v[4:5] op_sel_hi:[0,1]
	v_and_b32_e32 v1, 0x7f800000, v4
	v_cmp_ne_u32_e32 vcc, s0, v1
                                        ; implicit-def: $vgpr1
	s_and_saveexec_b64 s[0:1], vcc
	s_xor_b64 s[0:1], exec, s[0:1]
; %bb.23:
	v_bfe_u32 v1, v4, 16, 1
	s_movk_i32 s4, 0x7fff
	v_add3_u32 v1, v4, v1, s4
                                        ; implicit-def: $vgpr4_vgpr5
; %bb.24:
	s_andn2_saveexec_b64 s[0:1], s[0:1]
; %bb.25:
	v_mov_b32_e32 v1, 0
	v_or_b32_e32 v2, 0x10000, v4
	v_cmp_eq_u32_sdwa vcc, v4, v1 src0_sel:WORD_0 src1_sel:DWORD
	s_nop 1
	v_cndmask_b32_e32 v1, v2, v4, vcc
; %bb.26:
	s_or_b64 exec, exec, s[0:1]
	v_and_b32_e32 v1, 0xffff0000, v1
	v_add_f32_e32 v3, v3, v1
.LBB683_27:
	s_or_b64 exec, exec, s[10:11]
	s_movk_i32 s0, 0x80
	v_lshlrev_b32_e32 v1, 2, v0
	v_cmp_gt_u32_e32 vcc, s0, v0
	ds_write_b32 v1, v3
	s_waitcnt lgkmcnt(0)
	s_barrier
	s_and_saveexec_b64 s[0:1], vcc
	s_cbranch_execz .LBB683_29
; %bb.28:
	ds_read2st64_b32 v[2:3], v1 offset1:2
	s_waitcnt lgkmcnt(0)
	v_add_f32_e32 v2, v3, v2
	ds_write_b32 v1, v2
.LBB683_29:
	s_or_b64 exec, exec, s[0:1]
	v_cmp_gt_u32_e32 vcc, 64, v0
	s_waitcnt lgkmcnt(0)
	s_barrier
	s_and_saveexec_b64 s[0:1], vcc
	s_cbranch_execz .LBB683_31
; %bb.30:
	ds_read2st64_b32 v[2:3], v1 offset1:1
	s_waitcnt lgkmcnt(0)
	v_add_f32_e32 v2, v3, v2
	ds_write_b32 v1, v2
.LBB683_31:
	s_or_b64 exec, exec, s[0:1]
	v_cmp_gt_u32_e32 vcc, 32, v0
	s_waitcnt lgkmcnt(0)
	s_barrier
	s_and_saveexec_b64 s[0:1], vcc
	s_cbranch_execz .LBB683_33
; %bb.32:
	ds_read2_b32 v[2:3], v1 offset1:32
	s_waitcnt lgkmcnt(0)
	v_add_f32_e32 v2, v3, v2
	ds_write_b32 v1, v2
.LBB683_33:
	s_or_b64 exec, exec, s[0:1]
	v_cmp_gt_u32_e32 vcc, 16, v0
	s_waitcnt lgkmcnt(0)
	s_barrier
	s_and_saveexec_b64 s[0:1], vcc
	s_cbranch_execz .LBB683_35
; %bb.34:
	ds_read2_b32 v[2:3], v1 offset1:16
	s_waitcnt lgkmcnt(0)
	v_add_f32_e32 v2, v3, v2
	ds_write_b32 v1, v2
.LBB683_35:
	;; [unrolled: 12-line block ×5, first 2 shown]
	s_or_b64 exec, exec, s[0:1]
	v_cmp_eq_u32_e32 vcc, 0, v0
	s_waitcnt lgkmcnt(0)
	s_barrier
	s_and_saveexec_b64 s[0:1], vcc
	s_cbranch_execz .LBB683_43
; %bb.42:
	v_mov_b32_e32 v2, 0
	ds_read_b64 v[0:1], v2
	s_waitcnt lgkmcnt(0)
	v_add_f32_e32 v0, v1, v0
	ds_write_b32 v2, v0
.LBB683_43:
	s_or_b64 exec, exec, s[0:1]
	s_waitcnt lgkmcnt(0)
	s_barrier
	s_waitcnt lgkmcnt(0)
                                        ; implicit-def: $vgpr1
                                        ; implicit-def: $sgpr12_sgpr13
	s_and_saveexec_b64 s[0:1], vcc
	s_cbranch_execz .LBB683_47
; %bb.44:
	v_mov_b32_e32 v0, 0
	ds_read_b32 v0, v0
	v_cmp_eq_f32_e64 s[4:5], s3, 0
	s_mul_hi_i32 s13, s21, s2
	s_mul_i32 s12, s21, s2
	s_and_b64 vcc, exec, s[4:5]
	s_waitcnt lgkmcnt(0)
	v_mul_f32_e32 v1, s18, v0
	s_cbranch_vccnz .LBB683_46
; %bb.45:
	s_lshl_b64 s[4:5], s[12:13], 2
	s_add_u32 s4, s19, s4
	s_addc_u32 s5, s20, s5
	s_load_dword s2, s[4:5], 0x0
	v_mov_b32_e32 v0, s3
	s_waitcnt lgkmcnt(0)
	v_fmac_f32_e32 v1, s2, v0
.LBB683_46:
	s_or_b64 s[6:7], s[6:7], exec
.LBB683_47:
	s_or_b64 exec, exec, s[0:1]
.LBB683_48:
	s_and_saveexec_b64 s[0:1], s[6:7]
	s_cbranch_execz .LBB683_50
; %bb.49:
	s_lshl_b64 s[0:1], s[12:13], 2
	s_add_u32 s0, s19, s0
	s_addc_u32 s1, s20, s1
	v_mov_b32_e32 v0, 0
	global_store_dword v0, v1, s[0:1]
.LBB683_50:
	s_endpgm
	.section	.rodata,"a",@progbits
	.p2align	6, 0x0
	.amdhsa_kernel _ZL20rocblas_gemvt_kernelILb0ELi256EPK16rocblas_bfloat16fKPfEviiT2_lPKT1_lilS8_lilS5_lPT3_lili
		.amdhsa_group_segment_fixed_size 1024
		.amdhsa_private_segment_fixed_size 0
		.amdhsa_kernarg_size 140
		.amdhsa_user_sgpr_count 2
		.amdhsa_user_sgpr_dispatch_ptr 0
		.amdhsa_user_sgpr_queue_ptr 0
		.amdhsa_user_sgpr_kernarg_segment_ptr 1
		.amdhsa_user_sgpr_dispatch_id 0
		.amdhsa_user_sgpr_kernarg_preload_length 0
		.amdhsa_user_sgpr_kernarg_preload_offset 0
		.amdhsa_user_sgpr_private_segment_size 0
		.amdhsa_uses_dynamic_stack 0
		.amdhsa_enable_private_segment 0
		.amdhsa_system_sgpr_workgroup_id_x 1
		.amdhsa_system_sgpr_workgroup_id_y 0
		.amdhsa_system_sgpr_workgroup_id_z 1
		.amdhsa_system_sgpr_workgroup_info 0
		.amdhsa_system_vgpr_workitem_id 0
		.amdhsa_next_free_vgpr 12
		.amdhsa_next_free_sgpr 28
		.amdhsa_accum_offset 12
		.amdhsa_reserve_vcc 1
		.amdhsa_float_round_mode_32 0
		.amdhsa_float_round_mode_16_64 0
		.amdhsa_float_denorm_mode_32 3
		.amdhsa_float_denorm_mode_16_64 3
		.amdhsa_dx10_clamp 1
		.amdhsa_ieee_mode 1
		.amdhsa_fp16_overflow 0
		.amdhsa_tg_split 0
		.amdhsa_exception_fp_ieee_invalid_op 0
		.amdhsa_exception_fp_denorm_src 0
		.amdhsa_exception_fp_ieee_div_zero 0
		.amdhsa_exception_fp_ieee_overflow 0
		.amdhsa_exception_fp_ieee_underflow 0
		.amdhsa_exception_fp_ieee_inexact 0
		.amdhsa_exception_int_div_zero 0
	.end_amdhsa_kernel
	.section	.text._ZL20rocblas_gemvt_kernelILb0ELi256EPK16rocblas_bfloat16fKPfEviiT2_lPKT1_lilS8_lilS5_lPT3_lili,"axG",@progbits,_ZL20rocblas_gemvt_kernelILb0ELi256EPK16rocblas_bfloat16fKPfEviiT2_lPKT1_lilS8_lilS5_lPT3_lili,comdat
.Lfunc_end683:
	.size	_ZL20rocblas_gemvt_kernelILb0ELi256EPK16rocblas_bfloat16fKPfEviiT2_lPKT1_lilS8_lilS5_lPT3_lili, .Lfunc_end683-_ZL20rocblas_gemvt_kernelILb0ELi256EPK16rocblas_bfloat16fKPfEviiT2_lPKT1_lilS8_lilS5_lPT3_lili
                                        ; -- End function
	.section	.AMDGPU.csdata,"",@progbits
; Kernel info:
; codeLenInByte = 1420
; NumSgprs: 34
; NumVgprs: 12
; NumAgprs: 0
; TotalNumVgprs: 12
; ScratchSize: 0
; MemoryBound: 0
; FloatMode: 240
; IeeeMode: 1
; LDSByteSize: 1024 bytes/workgroup (compile time only)
; SGPRBlocks: 4
; VGPRBlocks: 1
; NumSGPRsForWavesPerEU: 34
; NumVGPRsForWavesPerEU: 12
; AccumOffset: 12
; Occupancy: 8
; WaveLimiterHint : 1
; COMPUTE_PGM_RSRC2:SCRATCH_EN: 0
; COMPUTE_PGM_RSRC2:USER_SGPR: 2
; COMPUTE_PGM_RSRC2:TRAP_HANDLER: 0
; COMPUTE_PGM_RSRC2:TGID_X_EN: 1
; COMPUTE_PGM_RSRC2:TGID_Y_EN: 0
; COMPUTE_PGM_RSRC2:TGID_Z_EN: 1
; COMPUTE_PGM_RSRC2:TIDIG_COMP_CNT: 0
; COMPUTE_PGM_RSRC3_GFX90A:ACCUM_OFFSET: 2
; COMPUTE_PGM_RSRC3_GFX90A:TG_SPLIT: 0
	.section	.text._ZL32rocblas_gemvt_warp_reduce_kernelILb0ELi1024EiPK16rocblas_bfloat16PKfKPfEviiT3_lPKT2_lT1_lSA_lSB_lS7_lPT4_lSB_li,"axG",@progbits,_ZL32rocblas_gemvt_warp_reduce_kernelILb0ELi1024EiPK16rocblas_bfloat16PKfKPfEviiT3_lPKT2_lT1_lSA_lSB_lS7_lPT4_lSB_li,comdat
	.globl	_ZL32rocblas_gemvt_warp_reduce_kernelILb0ELi1024EiPK16rocblas_bfloat16PKfKPfEviiT3_lPKT2_lT1_lSA_lSB_lS7_lPT4_lSB_li ; -- Begin function _ZL32rocblas_gemvt_warp_reduce_kernelILb0ELi1024EiPK16rocblas_bfloat16PKfKPfEviiT3_lPKT2_lT1_lSA_lSB_lS7_lPT4_lSB_li
	.p2align	8
	.type	_ZL32rocblas_gemvt_warp_reduce_kernelILb0ELi1024EiPK16rocblas_bfloat16PKfKPfEviiT3_lPKT2_lT1_lSA_lSB_lS7_lPT4_lSB_li,@function
_ZL32rocblas_gemvt_warp_reduce_kernelILb0ELi1024EiPK16rocblas_bfloat16PKfKPfEviiT3_lPKT2_lT1_lSA_lSB_lS7_lPT4_lSB_li: ; @_ZL32rocblas_gemvt_warp_reduce_kernelILb0ELi1024EiPK16rocblas_bfloat16PKfKPfEviiT3_lPKT2_lT1_lSA_lSB_lS7_lPT4_lSB_li
; %bb.0:
	s_load_dwordx8 s[12:19], s[0:1], 0x8
	s_load_dwordx8 s[4:11], s[0:1], 0x58
	s_mov_b32 s20, s3
	s_waitcnt lgkmcnt(0)
	s_mul_i32 s3, s3, s15
	s_mul_hi_u32 s15, s20, s14
	s_add_i32 s15, s15, s3
	s_mul_i32 s14, s20, s14
	s_lshl_b64 s[14:15], s[14:15], 2
	s_add_u32 s12, s12, s14
	s_mul_i32 s3, s20, s7
	s_mul_hi_u32 s7, s20, s6
	s_addc_u32 s13, s13, s15
	s_add_i32 s7, s7, s3
	s_mul_i32 s6, s20, s6
	s_lshl_b64 s[6:7], s[6:7], 2
	s_add_u32 s4, s4, s6
	s_addc_u32 s5, s5, s7
	s_load_dword s22, s[12:13], 0x0
	s_load_dword s3, s[4:5], 0x0
	s_waitcnt lgkmcnt(0)
	v_cmp_eq_f32_e64 s[4:5], s22, 0
	v_cmp_eq_f32_e64 s[6:7], s3, 1.0
	s_and_b64 s[6:7], s[4:5], s[6:7]
	s_and_b64 vcc, exec, s[6:7]
	s_cbranch_vccnz .LBB684_41
; %bb.1:
	s_mov_b32 s21, 0
	v_cmp_neq_f32_e64 s[6:7], s22, 0
	s_mov_b64 s[12:13], 0
	s_and_b64 vcc, exec, s[4:5]
	s_mov_b64 s[14:15], 0
	s_cbranch_vccnz .LBB684_3
; %bb.2:
	s_lshl_b64 s[14:15], s[20:21], 3
	s_add_u32 s14, s16, s14
	s_addc_u32 s15, s17, s15
	s_load_dwordx2 s[14:15], s[14:15], 0x0
	s_lshl_b64 s[16:17], s[18:19], 1
	s_waitcnt lgkmcnt(0)
	s_add_u32 s14, s14, s16
	s_addc_u32 s15, s15, s17
.LBB684_3:
	s_andn2_b64 vcc, exec, s[6:7]
	s_cbranch_vccnz .LBB684_5
; %bb.4:
	s_load_dwordx4 s[16:19], s[0:1], 0x38
	s_lshl_b64 s[6:7], s[20:21], 3
	s_waitcnt lgkmcnt(0)
	s_add_u32 s6, s16, s6
	s_addc_u32 s7, s17, s7
	s_load_dwordx2 s[6:7], s[6:7], 0x0
	s_lshl_b64 s[12:13], s[18:19], 1
	s_waitcnt lgkmcnt(0)
	s_add_u32 s12, s6, s12
	s_addc_u32 s13, s7, s13
.LBB684_5:
	s_lshl_b64 s[6:7], s[20:21], 3
	s_add_u32 s6, s8, s6
	s_addc_u32 s7, s9, s7
	s_load_dwordx2 s[8:9], s[6:7], 0x0
	s_load_dword s20, s[0:1], 0x78
	s_lshl_b64 s[6:7], s[10:11], 2
	s_waitcnt lgkmcnt(0)
	s_add_u32 s18, s8, s6
	s_addc_u32 s19, s9, s7
	s_andn2_b64 vcc, exec, s[4:5]
	v_cmp_eq_u32_e64 s[4:5], 0, v0
	s_cbranch_vccnz .LBB684_10
; %bb.6:
	s_mov_b64 s[10:11], 0
	s_mov_b64 s[6:7], 0
                                        ; implicit-def: $vgpr1
                                        ; implicit-def: $sgpr8_sgpr9
	s_and_saveexec_b64 s[16:17], s[4:5]
	s_cbranch_execz .LBB684_11
; %bb.7:
	v_cmp_eq_f32_e64 s[4:5], s3, 0
	s_mul_i32 s8, s2, s20
	v_mov_b32_e32 v1, 0
	s_ashr_i32 s9, s8, 31
	s_and_b64 vcc, exec, s[4:5]
	s_cbranch_vccnz .LBB684_9
; %bb.8:
	s_lshl_b64 s[4:5], s[8:9], 2
	s_add_u32 s4, s18, s4
	s_addc_u32 s5, s19, s5
	s_load_dword s4, s[4:5], 0x0
	s_waitcnt lgkmcnt(0)
	v_mov_b32_e32 v1, s4
	v_mul_f32_e32 v1, s3, v1
.LBB684_9:
	s_mov_b64 s[6:7], exec
	s_or_b64 exec, exec, s[16:17]
	s_and_b64 vcc, exec, s[10:11]
	s_cbranch_vccnz .LBB684_12
	s_branch .LBB684_39
.LBB684_10:
	s_mov_b64 s[6:7], 0
                                        ; implicit-def: $vgpr1
                                        ; implicit-def: $sgpr8_sgpr9
	s_cbranch_execnz .LBB684_12
	s_branch .LBB684_39
.LBB684_11:
	s_or_b64 exec, exec, s[16:17]
	s_and_b64 vcc, exec, s[10:11]
	s_cbranch_vccz .LBB684_39
.LBB684_12:
	s_load_dword s17, s[0:1], 0x0
	s_load_dword s4, s[0:1], 0x28
	;; [unrolled: 1-line block ×3, first 2 shown]
	v_mov_b32_e32 v3, 0
	s_waitcnt lgkmcnt(0)
	v_cmp_gt_i32_e32 vcc, s17, v0
	s_mul_i32 s0, s2, s4
	s_ashr_i32 s1, s0, 31
	s_lshl_b64 s[0:1], s[0:1], 1
	v_cndmask_b32_e32 v1, 0, v0, vcc
	s_add_u32 s0, s0, s14
	v_lshlrev_b32_e32 v2, 1, v1
	s_addc_u32 s1, s1, s15
	v_lshl_add_u64 v[4:5], s[0:1], 0, v[2:3]
	s_ashr_i32 s0, s17, 31
	s_lshr_b32 s0, s0, 22
	s_add_i32 s0, s17, s0
	s_and_b32 s0, s0, 0xfffffc00
	v_cmp_gt_i32_e32 vcc, s0, v0
	s_and_saveexec_b64 s[4:5], vcc
	s_cbranch_execz .LBB684_20
; %bb.13:
	v_mul_lo_u32 v6, v0, s16
	s_lshl_b32 s1, s16, 10
	s_mov_b64 s[8:9], 0
	v_mov_b32_e32 v1, 0
	s_mov_b32 s21, 0x7f800000
	s_movk_i32 s23, 0x7fff
	s_mov_b64 s[10:11], 0x800
	v_mov_b64_e32 v[8:9], v[4:5]
	v_mov_b32_e32 v2, v0
	v_mov_b32_e32 v3, 0
	s_branch .LBB684_15
.LBB684_14:                             ;   in Loop: Header=BB684_15 Depth=1
	s_or_b64 exec, exec, s[14:15]
	v_add_u32_e32 v2, 0x400, v2
	v_and_b32_e32 v7, 0xffff0000, v7
	v_cmp_le_i32_e32 vcc, s0, v2
	v_add_f32_e32 v3, v3, v7
	v_add_u32_e32 v6, s1, v6
	s_or_b64 s[8:9], vcc, s[8:9]
	v_lshl_add_u64 v[8:9], v[8:9], 0, s[10:11]
	s_andn2_b64 exec, exec, s[8:9]
	s_cbranch_execz .LBB684_19
.LBB684_15:                             ; =>This Inner Loop Header: Depth=1
	v_ashrrev_i32_e32 v7, 31, v6
	v_lshl_add_u64 v[10:11], v[6:7], 1, s[12:13]
	flat_load_ushort v7, v[10:11]
	flat_load_ushort v12, v[8:9]
	s_waitcnt vmcnt(0) lgkmcnt(0)
	v_lshlrev_b32_e32 v10, 16, v7
	v_lshlrev_b32_e32 v12, 16, v12
	v_pk_mul_f32 v[10:11], v[10:11], v[12:13] op_sel_hi:[0,1]
	v_and_b32_e32 v7, 0x7f800000, v10
	v_cmp_ne_u32_e32 vcc, s21, v7
                                        ; implicit-def: $vgpr7
	s_and_saveexec_b64 s[14:15], vcc
	s_xor_b64 s[14:15], exec, s[14:15]
; %bb.16:                               ;   in Loop: Header=BB684_15 Depth=1
	v_bfe_u32 v7, v10, 16, 1
	v_add3_u32 v7, v10, v7, s23
                                        ; implicit-def: $vgpr10_vgpr11
; %bb.17:                               ;   in Loop: Header=BB684_15 Depth=1
	s_andn2_saveexec_b64 s[14:15], s[14:15]
	s_cbranch_execz .LBB684_14
; %bb.18:                               ;   in Loop: Header=BB684_15 Depth=1
	v_or_b32_e32 v7, 0x10000, v10
	v_cmp_eq_u32_sdwa vcc, v10, v1 src0_sel:WORD_0 src1_sel:DWORD
	s_nop 1
	v_cndmask_b32_e32 v7, v7, v10, vcc
	s_branch .LBB684_14
.LBB684_19:
	s_or_b64 exec, exec, s[8:9]
.LBB684_20:
	s_or_b64 exec, exec, s[4:5]
	v_or_b32_e32 v1, s0, v0
	v_cmp_gt_i32_e32 vcc, s17, v1
	s_and_saveexec_b64 s[4:5], vcc
	s_cbranch_execz .LBB684_26
; %bb.21:
	s_ashr_i32 s1, s0, 31
	v_mul_lo_u32 v6, v1, s16
	v_lshl_add_u64 v[4:5], s[0:1], 1, v[4:5]
	v_ashrrev_i32_e32 v7, 31, v6
	v_lshl_add_u64 v[6:7], v[6:7], 1, s[12:13]
	flat_load_ushort v1, v[4:5]
	flat_load_ushort v8, v[6:7]
	s_mov_b32 s0, 0x7f800000
	s_waitcnt vmcnt(0) lgkmcnt(0)
	v_lshlrev_b32_e32 v2, 16, v1
	v_lshlrev_b32_e32 v4, 16, v8
	v_pk_mul_f32 v[4:5], v[4:5], v[2:3] op_sel_hi:[0,1]
	v_and_b32_e32 v1, 0x7f800000, v4
	v_cmp_ne_u32_e32 vcc, s0, v1
                                        ; implicit-def: $vgpr1
	s_and_saveexec_b64 s[0:1], vcc
	s_xor_b64 s[0:1], exec, s[0:1]
; %bb.22:
	v_bfe_u32 v1, v4, 16, 1
	s_movk_i32 s8, 0x7fff
	v_add3_u32 v1, v4, v1, s8
                                        ; implicit-def: $vgpr4_vgpr5
; %bb.23:
	s_andn2_saveexec_b64 s[0:1], s[0:1]
; %bb.24:
	v_mov_b32_e32 v1, 0
	v_or_b32_e32 v2, 0x10000, v4
	v_cmp_eq_u32_sdwa vcc, v4, v1 src0_sel:WORD_0 src1_sel:DWORD
	s_nop 1
	v_cndmask_b32_e32 v1, v2, v4, vcc
; %bb.25:
	s_or_b64 exec, exec, s[0:1]
	v_and_b32_e32 v1, 0xffff0000, v1
	v_add_f32_e32 v3, v3, v1
.LBB684_26:
	s_or_b64 exec, exec, s[4:5]
	v_and_b32_e32 v2, 63, v0
	v_cmp_gt_u32_e32 vcc, 64, v0
	v_lshlrev_b32_e32 v1, 2, v2
	s_and_saveexec_b64 s[0:1], vcc
	s_cbranch_execz .LBB684_28
; %bb.27:
	v_mov_b32_e32 v4, 0
	ds_write_b32 v1, v4
.LBB684_28:
	s_or_b64 exec, exec, s[0:1]
	v_mbcnt_lo_u32_b32 v4, -1, 0
	v_mbcnt_hi_u32_b32 v6, -1, v4
	v_and_b32_e32 v7, 63, v6
	v_cmp_gt_u32_e64 s[0:1], 32, v7
	s_waitcnt lgkmcnt(0)
	s_barrier
	v_cndmask_b32_e64 v4, 0, 1, s[0:1]
	v_lshlrev_b32_e32 v4, 5, v4
	v_add_lshl_u32 v4, v4, v6, 2
	ds_bpermute_b32 v4, v4, v3
	v_cmp_gt_u32_e64 s[0:1], 48, v7
	s_waitcnt lgkmcnt(0)
	v_add_f32_e32 v3, v3, v4
	v_cndmask_b32_e64 v5, 0, 1, s[0:1]
	v_lshlrev_b32_e32 v5, 4, v5
	v_add_lshl_u32 v4, v5, v6, 2
	ds_bpermute_b32 v4, v4, v3
	v_cmp_gt_u32_e64 s[0:1], 56, v7
	s_waitcnt lgkmcnt(0)
	v_add_f32_e32 v4, v3, v4
	;; [unrolled: 7-line block ×4, first 2 shown]
	v_cndmask_b32_e64 v9, 0, 1, s[0:1]
	v_lshlrev_b32_e32 v9, 1, v9
	v_add_lshl_u32 v5, v9, v6, 2
	ds_bpermute_b32 v9, v5, v8
	v_cmp_ne_u32_e64 s[0:1], 63, v7
	s_waitcnt lgkmcnt(0)
	v_add_f32_e32 v7, v8, v9
	v_addc_co_u32_e64 v6, s[0:1], 0, v6, s[0:1]
	v_lshlrev_b32_e32 v6, 2, v6
	ds_bpermute_b32 v8, v6, v7
	v_cmp_eq_u32_e64 s[0:1], 0, v2
	s_and_saveexec_b64 s[4:5], s[0:1]
	s_cbranch_execz .LBB684_30
; %bb.29:
	v_lshrrev_b32_e32 v2, 4, v0
	v_and_b32_e32 v2, 60, v2
	s_waitcnt lgkmcnt(0)
	v_add_f32_e32 v7, v7, v8
	ds_write_b32 v2, v7
.LBB684_30:
	s_or_b64 exec, exec, s[4:5]
	v_cmp_gt_u32_e64 s[0:1], 16, v0
	v_mov_b32_e32 v2, 0
	s_waitcnt lgkmcnt(0)
	s_barrier
	s_and_saveexec_b64 s[4:5], s[0:1]
	s_cbranch_execz .LBB684_32
; %bb.31:
	ds_read_b32 v2, v1
	s_or_b64 exec, exec, s[4:5]
	s_and_saveexec_b64 s[0:1], vcc
	s_cbranch_execz .LBB684_34
	s_branch .LBB684_33
.LBB684_32:
	s_or_b64 exec, exec, s[4:5]
	s_and_saveexec_b64 s[0:1], vcc
	s_cbranch_execz .LBB684_34
.LBB684_33:
	s_waitcnt lgkmcnt(0)
	ds_bpermute_b32 v1, v3, v2
	s_waitcnt lgkmcnt(0)
	v_add_f32_e32 v1, v2, v1
	ds_bpermute_b32 v2, v4, v1
	s_waitcnt lgkmcnt(0)
	v_add_f32_e32 v1, v1, v2
	;; [unrolled: 3-line block ×4, first 2 shown]
.LBB684_34:
	s_or_b64 exec, exec, s[0:1]
	v_cmp_eq_u32_e32 vcc, 0, v0
                                        ; implicit-def: $vgpr1
                                        ; implicit-def: $sgpr8_sgpr9
	s_and_saveexec_b64 s[0:1], vcc
	s_cbranch_execz .LBB684_38
; %bb.35:
	v_cmp_eq_f32_e64 s[4:5], s3, 0
	s_mul_i32 s8, s2, s20
	s_waitcnt lgkmcnt(0)
	v_mul_f32_e32 v1, s22, v2
	s_ashr_i32 s9, s8, 31
	s_and_b64 vcc, exec, s[4:5]
	s_cbranch_vccnz .LBB684_37
; %bb.36:
	s_lshl_b64 s[4:5], s[8:9], 2
	s_add_u32 s4, s18, s4
	s_addc_u32 s5, s19, s5
	s_load_dword s2, s[4:5], 0x0
	s_waitcnt lgkmcnt(0)
	v_mov_b32_e32 v0, s2
	v_fmac_f32_e32 v1, s3, v0
.LBB684_37:
	s_or_b64 s[6:7], s[6:7], exec
.LBB684_38:
	s_or_b64 exec, exec, s[0:1]
.LBB684_39:
	s_and_saveexec_b64 s[0:1], s[6:7]
	s_cbranch_execz .LBB684_41
; %bb.40:
	s_lshl_b64 s[0:1], s[8:9], 2
	s_add_u32 s0, s18, s0
	s_addc_u32 s1, s19, s1
	v_mov_b32_e32 v0, 0
	global_store_dword v0, v1, s[0:1]
.LBB684_41:
	s_endpgm
	.section	.rodata,"a",@progbits
	.p2align	6, 0x0
	.amdhsa_kernel _ZL32rocblas_gemvt_warp_reduce_kernelILb0ELi1024EiPK16rocblas_bfloat16PKfKPfEviiT3_lPKT2_lT1_lSA_lSB_lS7_lPT4_lSB_li
		.amdhsa_group_segment_fixed_size 256
		.amdhsa_private_segment_fixed_size 0
		.amdhsa_kernarg_size 140
		.amdhsa_user_sgpr_count 2
		.amdhsa_user_sgpr_dispatch_ptr 0
		.amdhsa_user_sgpr_queue_ptr 0
		.amdhsa_user_sgpr_kernarg_segment_ptr 1
		.amdhsa_user_sgpr_dispatch_id 0
		.amdhsa_user_sgpr_kernarg_preload_length 0
		.amdhsa_user_sgpr_kernarg_preload_offset 0
		.amdhsa_user_sgpr_private_segment_size 0
		.amdhsa_uses_dynamic_stack 0
		.amdhsa_enable_private_segment 0
		.amdhsa_system_sgpr_workgroup_id_x 1
		.amdhsa_system_sgpr_workgroup_id_y 0
		.amdhsa_system_sgpr_workgroup_id_z 1
		.amdhsa_system_sgpr_workgroup_info 0
		.amdhsa_system_vgpr_workitem_id 0
		.amdhsa_next_free_vgpr 14
		.amdhsa_next_free_sgpr 24
		.amdhsa_accum_offset 16
		.amdhsa_reserve_vcc 1
		.amdhsa_float_round_mode_32 0
		.amdhsa_float_round_mode_16_64 0
		.amdhsa_float_denorm_mode_32 3
		.amdhsa_float_denorm_mode_16_64 3
		.amdhsa_dx10_clamp 1
		.amdhsa_ieee_mode 1
		.amdhsa_fp16_overflow 0
		.amdhsa_tg_split 0
		.amdhsa_exception_fp_ieee_invalid_op 0
		.amdhsa_exception_fp_denorm_src 0
		.amdhsa_exception_fp_ieee_div_zero 0
		.amdhsa_exception_fp_ieee_overflow 0
		.amdhsa_exception_fp_ieee_underflow 0
		.amdhsa_exception_fp_ieee_inexact 0
		.amdhsa_exception_int_div_zero 0
	.end_amdhsa_kernel
	.section	.text._ZL32rocblas_gemvt_warp_reduce_kernelILb0ELi1024EiPK16rocblas_bfloat16PKfKPfEviiT3_lPKT2_lT1_lSA_lSB_lS7_lPT4_lSB_li,"axG",@progbits,_ZL32rocblas_gemvt_warp_reduce_kernelILb0ELi1024EiPK16rocblas_bfloat16PKfKPfEviiT3_lPKT2_lT1_lSA_lSB_lS7_lPT4_lSB_li,comdat
.Lfunc_end684:
	.size	_ZL32rocblas_gemvt_warp_reduce_kernelILb0ELi1024EiPK16rocblas_bfloat16PKfKPfEviiT3_lPKT2_lT1_lSA_lSB_lS7_lPT4_lSB_li, .Lfunc_end684-_ZL32rocblas_gemvt_warp_reduce_kernelILb0ELi1024EiPK16rocblas_bfloat16PKfKPfEviiT3_lPKT2_lT1_lSA_lSB_lS7_lPT4_lSB_li
                                        ; -- End function
	.section	.AMDGPU.csdata,"",@progbits
; Kernel info:
; codeLenInByte = 1564
; NumSgprs: 30
; NumVgprs: 14
; NumAgprs: 0
; TotalNumVgprs: 14
; ScratchSize: 0
; MemoryBound: 0
; FloatMode: 240
; IeeeMode: 1
; LDSByteSize: 256 bytes/workgroup (compile time only)
; SGPRBlocks: 3
; VGPRBlocks: 1
; NumSGPRsForWavesPerEU: 30
; NumVGPRsForWavesPerEU: 14
; AccumOffset: 16
; Occupancy: 8
; WaveLimiterHint : 1
; COMPUTE_PGM_RSRC2:SCRATCH_EN: 0
; COMPUTE_PGM_RSRC2:USER_SGPR: 2
; COMPUTE_PGM_RSRC2:TRAP_HANDLER: 0
; COMPUTE_PGM_RSRC2:TGID_X_EN: 1
; COMPUTE_PGM_RSRC2:TGID_Y_EN: 0
; COMPUTE_PGM_RSRC2:TGID_Z_EN: 1
; COMPUTE_PGM_RSRC2:TIDIG_COMP_CNT: 0
; COMPUTE_PGM_RSRC3_GFX90A:ACCUM_OFFSET: 3
; COMPUTE_PGM_RSRC3_GFX90A:TG_SPLIT: 0
	.section	.text._ZL32rocblas_gemvt_warp_reduce_kernelILb0ELi1024ElPK16rocblas_bfloat16PKfKPfEviiT3_lPKT2_lT1_lSA_lSB_lS7_lPT4_lSB_li,"axG",@progbits,_ZL32rocblas_gemvt_warp_reduce_kernelILb0ELi1024ElPK16rocblas_bfloat16PKfKPfEviiT3_lPKT2_lT1_lSA_lSB_lS7_lPT4_lSB_li,comdat
	.globl	_ZL32rocblas_gemvt_warp_reduce_kernelILb0ELi1024ElPK16rocblas_bfloat16PKfKPfEviiT3_lPKT2_lT1_lSA_lSB_lS7_lPT4_lSB_li ; -- Begin function _ZL32rocblas_gemvt_warp_reduce_kernelILb0ELi1024ElPK16rocblas_bfloat16PKfKPfEviiT3_lPKT2_lT1_lSA_lSB_lS7_lPT4_lSB_li
	.p2align	8
	.type	_ZL32rocblas_gemvt_warp_reduce_kernelILb0ELi1024ElPK16rocblas_bfloat16PKfKPfEviiT3_lPKT2_lT1_lSA_lSB_lS7_lPT4_lSB_li,@function
_ZL32rocblas_gemvt_warp_reduce_kernelILb0ELi1024ElPK16rocblas_bfloat16PKfKPfEviiT3_lPKT2_lT1_lSA_lSB_lS7_lPT4_lSB_li: ; @_ZL32rocblas_gemvt_warp_reduce_kernelILb0ELi1024ElPK16rocblas_bfloat16PKfKPfEviiT3_lPKT2_lT1_lSA_lSB_lS7_lPT4_lSB_li
; %bb.0:
	s_load_dwordx8 s[12:19], s[0:1], 0x8
	s_load_dwordx8 s[4:11], s[0:1], 0x58
	s_mov_b32 s24, s3
	s_waitcnt lgkmcnt(0)
	s_mul_i32 s3, s3, s15
	s_mul_hi_u32 s15, s24, s14
	s_add_i32 s15, s15, s3
	s_mul_i32 s14, s24, s14
	s_lshl_b64 s[14:15], s[14:15], 2
	s_add_u32 s12, s12, s14
	s_mul_i32 s3, s24, s7
	s_mul_hi_u32 s7, s24, s6
	s_addc_u32 s13, s13, s15
	s_add_i32 s7, s7, s3
	s_mul_i32 s6, s24, s6
	s_lshl_b64 s[6:7], s[6:7], 2
	s_add_u32 s4, s4, s6
	s_addc_u32 s5, s5, s7
	s_load_dword s30, s[12:13], 0x0
	s_load_dword s3, s[4:5], 0x0
	s_waitcnt lgkmcnt(0)
	v_cmp_eq_f32_e64 s[26:27], s30, 0
	v_cmp_eq_f32_e64 s[4:5], s3, 1.0
	s_and_b64 s[4:5], s[26:27], s[4:5]
	s_and_b64 vcc, exec, s[4:5]
	s_cbranch_vccnz .LBB685_41
; %bb.1:
	s_load_dwordx2 s[20:21], s[0:1], 0x28
	s_load_dwordx2 s[12:13], s[0:1], 0x78
	s_mov_b32 s25, 0
	v_cmp_neq_f32_e64 s[28:29], s30, 0
	s_mov_b64 s[14:15], 0
	s_and_b64 vcc, exec, s[26:27]
	s_mov_b64 s[22:23], 0
	s_cbranch_vccnz .LBB685_3
; %bb.2:
	s_lshl_b64 s[4:5], s[24:25], 3
	s_add_u32 s4, s16, s4
	s_addc_u32 s5, s17, s5
	s_load_dwordx2 s[4:5], s[4:5], 0x0
	s_lshl_b64 s[6:7], s[18:19], 1
	s_waitcnt lgkmcnt(0)
	s_add_u32 s22, s4, s6
	s_addc_u32 s23, s5, s7
.LBB685_3:
	s_load_dwordx4 s[4:7], s[0:1], 0x38
	s_load_dwordx2 s[16:17], s[0:1], 0x48
	s_andn2_b64 vcc, exec, s[28:29]
	s_cbranch_vccnz .LBB685_5
; %bb.4:
	s_lshl_b64 s[14:15], s[24:25], 3
	s_waitcnt lgkmcnt(0)
	s_add_u32 s4, s4, s14
	s_addc_u32 s5, s5, s15
	s_load_dwordx2 s[4:5], s[4:5], 0x0
	s_lshl_b64 s[6:7], s[6:7], 1
	s_waitcnt lgkmcnt(0)
	s_add_u32 s14, s4, s6
	s_addc_u32 s15, s5, s7
.LBB685_5:
	s_waitcnt lgkmcnt(0)
	s_lshl_b64 s[4:5], s[24:25], 3
	s_add_u32 s4, s8, s4
	s_addc_u32 s5, s9, s5
	s_load_dwordx2 s[4:5], s[4:5], 0x0
	s_lshl_b64 s[6:7], s[10:11], 2
	s_waitcnt lgkmcnt(0)
	s_add_u32 s24, s4, s6
	s_addc_u32 s25, s5, s7
	s_andn2_b64 vcc, exec, s[26:27]
	v_cmp_eq_u32_e64 s[4:5], 0, v0
	s_cbranch_vccnz .LBB685_10
; %bb.6:
	s_mov_b64 s[10:11], 0
	s_mov_b64 s[6:7], 0
                                        ; implicit-def: $vgpr1
                                        ; implicit-def: $sgpr8_sgpr9
	s_and_saveexec_b64 s[18:19], s[4:5]
	s_cbranch_execz .LBB685_11
; %bb.7:
	s_ashr_i32 s6, s2, 31
	s_mul_i32 s7, s2, s13
	s_mul_hi_u32 s8, s2, s12
	v_cmp_eq_f32_e64 s[4:5], s3, 0
	s_add_i32 s7, s8, s7
	s_mul_i32 s6, s6, s12
	v_mov_b32_e32 v1, 0
	s_add_i32 s9, s7, s6
	s_mul_i32 s8, s2, s12
	s_and_b64 vcc, exec, s[4:5]
	s_cbranch_vccnz .LBB685_9
; %bb.8:
	s_lshl_b64 s[4:5], s[8:9], 2
	s_add_u32 s4, s24, s4
	s_addc_u32 s5, s25, s5
	s_load_dword s4, s[4:5], 0x0
	s_waitcnt lgkmcnt(0)
	v_mov_b32_e32 v1, s4
	v_mul_f32_e32 v1, s3, v1
.LBB685_9:
	s_mov_b64 s[6:7], exec
	s_or_b64 exec, exec, s[18:19]
	s_and_b64 vcc, exec, s[10:11]
	s_cbranch_vccnz .LBB685_12
	s_branch .LBB685_39
.LBB685_10:
	s_mov_b64 s[6:7], 0
                                        ; implicit-def: $vgpr1
                                        ; implicit-def: $sgpr8_sgpr9
	s_cbranch_execnz .LBB685_12
	s_branch .LBB685_39
.LBB685_11:
	s_or_b64 exec, exec, s[18:19]
	s_and_b64 vcc, exec, s[10:11]
	s_cbranch_vccz .LBB685_39
.LBB685_12:
	s_load_dword s1, s[0:1], 0x0
	s_ashr_i32 s26, s2, 31
	s_mul_i32 s0, s2, s21
	s_mul_hi_u32 s4, s2, s20
	s_add_i32 s0, s4, s0
	s_mul_i32 s4, s26, s20
	s_add_i32 s5, s0, s4
	s_mul_i32 s4, s2, s20
	s_lshl_b64 s[4:5], s[4:5], 1
	s_add_u32 s4, s4, s22
	s_addc_u32 s5, s5, s23
	s_waitcnt lgkmcnt(0)
	s_ashr_i32 s0, s1, 31
	v_cmp_gt_i32_e32 vcc, s1, v0
	s_lshr_b32 s0, s0, 22
	s_add_i32 s0, s1, s0
	v_cndmask_b32_e32 v1, 0, v0, vcc
	v_mov_b32_e32 v3, 0
	v_lshlrev_b32_e32 v2, 1, v1
	s_and_b32 s0, s0, 0xfffffc00
	v_lshl_add_u64 v[4:5], s[4:5], 0, v[2:3]
	v_cmp_gt_i32_e32 vcc, s0, v0
	s_and_saveexec_b64 s[4:5], vcc
	s_cbranch_execz .LBB685_20
; %bb.13:
	v_mad_u64_u32 v[2:3], s[8:9], s16, v0, 0
	v_mov_b32_e32 v6, v3
	v_mad_u64_u32 v[6:7], s[8:9], s17, v0, v[6:7]
	v_mov_b32_e32 v3, v6
	v_lshl_add_u64 v[6:7], v[2:3], 1, s[14:15]
	s_lshl_b64 s[10:11], s[16:17], 11
	s_mov_b64 s[8:9], 0
	v_mov_b32_e32 v1, 0
	s_mov_b32 s22, 0x7f800000
	s_movk_i32 s23, 0x7fff
	s_mov_b64 s[18:19], 0x800
	v_mov_b64_e32 v[8:9], v[4:5]
	v_mov_b32_e32 v2, v0
	v_mov_b32_e32 v3, 0
	s_branch .LBB685_15
.LBB685_14:                             ;   in Loop: Header=BB685_15 Depth=1
	s_or_b64 exec, exec, s[20:21]
	v_add_u32_e32 v2, 0x400, v2
	v_and_b32_e32 v10, 0xffff0000, v12
	v_cmp_le_i32_e32 vcc, s0, v2
	v_add_f32_e32 v3, v3, v10
	v_lshl_add_u64 v[8:9], v[8:9], 0, s[18:19]
	s_or_b64 s[8:9], vcc, s[8:9]
	v_lshl_add_u64 v[6:7], v[6:7], 0, s[10:11]
	s_andn2_b64 exec, exec, s[8:9]
	s_cbranch_execz .LBB685_19
.LBB685_15:                             ; =>This Inner Loop Header: Depth=1
	flat_load_ushort v10, v[6:7]
	flat_load_ushort v11, v[8:9]
	s_waitcnt vmcnt(0) lgkmcnt(0)
	v_lshlrev_b32_e32 v10, 16, v10
	v_lshlrev_b32_e32 v12, 16, v11
	v_pk_mul_f32 v[10:11], v[10:11], v[12:13] op_sel_hi:[0,1]
	v_and_b32_e32 v11, 0x7f800000, v10
	v_cmp_ne_u32_e32 vcc, s22, v11
                                        ; implicit-def: $vgpr12
	s_and_saveexec_b64 s[20:21], vcc
	s_xor_b64 s[20:21], exec, s[20:21]
; %bb.16:                               ;   in Loop: Header=BB685_15 Depth=1
	v_bfe_u32 v11, v10, 16, 1
	v_add3_u32 v12, v10, v11, s23
                                        ; implicit-def: $vgpr10_vgpr11
; %bb.17:                               ;   in Loop: Header=BB685_15 Depth=1
	s_andn2_saveexec_b64 s[20:21], s[20:21]
	s_cbranch_execz .LBB685_14
; %bb.18:                               ;   in Loop: Header=BB685_15 Depth=1
	v_or_b32_e32 v11, 0x10000, v10
	v_cmp_eq_u32_sdwa vcc, v10, v1 src0_sel:WORD_0 src1_sel:DWORD
	s_nop 1
	v_cndmask_b32_e32 v12, v11, v10, vcc
	s_branch .LBB685_14
.LBB685_19:
	s_or_b64 exec, exec, s[8:9]
.LBB685_20:
	s_or_b64 exec, exec, s[4:5]
	v_or_b32_e32 v1, s0, v0
	v_cmp_gt_i32_e32 vcc, s1, v1
	s_and_saveexec_b64 s[4:5], vcc
	s_cbranch_execz .LBB685_26
; %bb.21:
	s_ashr_i32 s1, s0, 31
	v_ashrrev_i32_e32 v2, 31, v1
	v_lshl_add_u64 v[4:5], s[0:1], 1, v[4:5]
	v_mul_lo_u32 v8, v1, s17
	v_mul_lo_u32 v2, v2, s16
	v_mad_u64_u32 v[6:7], s[0:1], v1, s16, 0
	v_add3_u32 v7, v7, v8, v2
	v_lshl_add_u64 v[6:7], v[6:7], 1, s[14:15]
	flat_load_ushort v1, v[4:5]
	flat_load_ushort v8, v[6:7]
	s_mov_b32 s0, 0x7f800000
	s_waitcnt vmcnt(0) lgkmcnt(0)
	v_lshlrev_b32_e32 v2, 16, v1
	v_lshlrev_b32_e32 v4, 16, v8
	v_pk_mul_f32 v[4:5], v[4:5], v[2:3] op_sel_hi:[0,1]
	v_and_b32_e32 v1, 0x7f800000, v4
	v_cmp_ne_u32_e32 vcc, s0, v1
                                        ; implicit-def: $vgpr1
	s_and_saveexec_b64 s[0:1], vcc
	s_xor_b64 s[0:1], exec, s[0:1]
; %bb.22:
	v_bfe_u32 v1, v4, 16, 1
	s_movk_i32 s8, 0x7fff
	v_add3_u32 v1, v4, v1, s8
                                        ; implicit-def: $vgpr4_vgpr5
; %bb.23:
	s_andn2_saveexec_b64 s[0:1], s[0:1]
; %bb.24:
	v_mov_b32_e32 v1, 0
	v_or_b32_e32 v2, 0x10000, v4
	v_cmp_eq_u32_sdwa vcc, v4, v1 src0_sel:WORD_0 src1_sel:DWORD
	s_nop 1
	v_cndmask_b32_e32 v1, v2, v4, vcc
; %bb.25:
	s_or_b64 exec, exec, s[0:1]
	v_and_b32_e32 v1, 0xffff0000, v1
	v_add_f32_e32 v3, v3, v1
.LBB685_26:
	s_or_b64 exec, exec, s[4:5]
	v_and_b32_e32 v2, 63, v0
	v_cmp_gt_u32_e32 vcc, 64, v0
	v_lshlrev_b32_e32 v1, 2, v2
	s_and_saveexec_b64 s[0:1], vcc
	s_cbranch_execz .LBB685_28
; %bb.27:
	v_mov_b32_e32 v4, 0
	ds_write_b32 v1, v4
.LBB685_28:
	s_or_b64 exec, exec, s[0:1]
	v_mbcnt_lo_u32_b32 v4, -1, 0
	v_mbcnt_hi_u32_b32 v6, -1, v4
	v_and_b32_e32 v7, 63, v6
	v_cmp_gt_u32_e64 s[0:1], 32, v7
	s_waitcnt lgkmcnt(0)
	s_barrier
	v_cndmask_b32_e64 v4, 0, 1, s[0:1]
	v_lshlrev_b32_e32 v4, 5, v4
	v_add_lshl_u32 v4, v4, v6, 2
	ds_bpermute_b32 v4, v4, v3
	v_cmp_gt_u32_e64 s[0:1], 48, v7
	s_waitcnt lgkmcnt(0)
	v_add_f32_e32 v3, v3, v4
	v_cndmask_b32_e64 v5, 0, 1, s[0:1]
	v_lshlrev_b32_e32 v5, 4, v5
	v_add_lshl_u32 v4, v5, v6, 2
	ds_bpermute_b32 v4, v4, v3
	v_cmp_gt_u32_e64 s[0:1], 56, v7
	s_waitcnt lgkmcnt(0)
	v_add_f32_e32 v4, v3, v4
	;; [unrolled: 7-line block ×4, first 2 shown]
	v_cndmask_b32_e64 v9, 0, 1, s[0:1]
	v_lshlrev_b32_e32 v9, 1, v9
	v_add_lshl_u32 v5, v9, v6, 2
	ds_bpermute_b32 v9, v5, v8
	v_cmp_ne_u32_e64 s[0:1], 63, v7
	s_waitcnt lgkmcnt(0)
	v_add_f32_e32 v7, v8, v9
	v_addc_co_u32_e64 v6, s[0:1], 0, v6, s[0:1]
	v_lshlrev_b32_e32 v6, 2, v6
	ds_bpermute_b32 v8, v6, v7
	v_cmp_eq_u32_e64 s[0:1], 0, v2
	s_and_saveexec_b64 s[4:5], s[0:1]
	s_cbranch_execz .LBB685_30
; %bb.29:
	v_lshrrev_b32_e32 v2, 4, v0
	v_and_b32_e32 v2, 60, v2
	s_waitcnt lgkmcnt(0)
	v_add_f32_e32 v7, v7, v8
	ds_write_b32 v2, v7
.LBB685_30:
	s_or_b64 exec, exec, s[4:5]
	v_cmp_gt_u32_e64 s[0:1], 16, v0
	v_mov_b32_e32 v2, 0
	s_waitcnt lgkmcnt(0)
	s_barrier
	s_and_saveexec_b64 s[4:5], s[0:1]
	s_cbranch_execz .LBB685_32
; %bb.31:
	ds_read_b32 v2, v1
	s_or_b64 exec, exec, s[4:5]
	s_and_saveexec_b64 s[0:1], vcc
	s_cbranch_execz .LBB685_34
	s_branch .LBB685_33
.LBB685_32:
	s_or_b64 exec, exec, s[4:5]
	s_and_saveexec_b64 s[0:1], vcc
	s_cbranch_execz .LBB685_34
.LBB685_33:
	s_waitcnt lgkmcnt(0)
	ds_bpermute_b32 v1, v3, v2
	s_waitcnt lgkmcnt(0)
	v_add_f32_e32 v1, v2, v1
	ds_bpermute_b32 v2, v4, v1
	s_waitcnt lgkmcnt(0)
	v_add_f32_e32 v1, v1, v2
	ds_bpermute_b32 v2, v5, v1
	s_waitcnt lgkmcnt(0)
	v_add_f32_e32 v1, v1, v2
	ds_bpermute_b32 v2, v6, v1
	s_waitcnt lgkmcnt(0)
	v_add_f32_e32 v2, v1, v2
.LBB685_34:
	s_or_b64 exec, exec, s[0:1]
	v_cmp_eq_u32_e32 vcc, 0, v0
                                        ; implicit-def: $vgpr1
                                        ; implicit-def: $sgpr8_sgpr9
	s_and_saveexec_b64 s[0:1], vcc
	s_cbranch_execz .LBB685_38
; %bb.35:
	s_mul_i32 s8, s2, s13
	s_mul_hi_u32 s9, s2, s12
	v_cmp_eq_f32_e64 s[4:5], s3, 0
	s_add_i32 s8, s9, s8
	s_mul_i32 s9, s26, s12
	s_waitcnt lgkmcnt(0)
	v_mul_f32_e32 v1, s30, v2
	s_add_i32 s9, s8, s9
	s_mul_i32 s8, s2, s12
	s_and_b64 vcc, exec, s[4:5]
	s_cbranch_vccnz .LBB685_37
; %bb.36:
	s_lshl_b64 s[4:5], s[8:9], 2
	s_add_u32 s4, s24, s4
	s_addc_u32 s5, s25, s5
	s_load_dword s2, s[4:5], 0x0
	s_waitcnt lgkmcnt(0)
	v_mov_b32_e32 v0, s2
	v_fmac_f32_e32 v1, s3, v0
.LBB685_37:
	s_or_b64 s[6:7], s[6:7], exec
.LBB685_38:
	s_or_b64 exec, exec, s[0:1]
.LBB685_39:
	s_and_saveexec_b64 s[0:1], s[6:7]
	s_cbranch_execz .LBB685_41
; %bb.40:
	s_lshl_b64 s[0:1], s[8:9], 2
	s_add_u32 s0, s24, s0
	s_addc_u32 s1, s25, s1
	v_mov_b32_e32 v0, 0
	global_store_dword v0, v1, s[0:1]
.LBB685_41:
	s_endpgm
	.section	.rodata,"a",@progbits
	.p2align	6, 0x0
	.amdhsa_kernel _ZL32rocblas_gemvt_warp_reduce_kernelILb0ELi1024ElPK16rocblas_bfloat16PKfKPfEviiT3_lPKT2_lT1_lSA_lSB_lS7_lPT4_lSB_li
		.amdhsa_group_segment_fixed_size 256
		.amdhsa_private_segment_fixed_size 0
		.amdhsa_kernarg_size 140
		.amdhsa_user_sgpr_count 2
		.amdhsa_user_sgpr_dispatch_ptr 0
		.amdhsa_user_sgpr_queue_ptr 0
		.amdhsa_user_sgpr_kernarg_segment_ptr 1
		.amdhsa_user_sgpr_dispatch_id 0
		.amdhsa_user_sgpr_kernarg_preload_length 0
		.amdhsa_user_sgpr_kernarg_preload_offset 0
		.amdhsa_user_sgpr_private_segment_size 0
		.amdhsa_uses_dynamic_stack 0
		.amdhsa_enable_private_segment 0
		.amdhsa_system_sgpr_workgroup_id_x 1
		.amdhsa_system_sgpr_workgroup_id_y 0
		.amdhsa_system_sgpr_workgroup_id_z 1
		.amdhsa_system_sgpr_workgroup_info 0
		.amdhsa_system_vgpr_workitem_id 0
		.amdhsa_next_free_vgpr 14
		.amdhsa_next_free_sgpr 31
		.amdhsa_accum_offset 16
		.amdhsa_reserve_vcc 1
		.amdhsa_float_round_mode_32 0
		.amdhsa_float_round_mode_16_64 0
		.amdhsa_float_denorm_mode_32 3
		.amdhsa_float_denorm_mode_16_64 3
		.amdhsa_dx10_clamp 1
		.amdhsa_ieee_mode 1
		.amdhsa_fp16_overflow 0
		.amdhsa_tg_split 0
		.amdhsa_exception_fp_ieee_invalid_op 0
		.amdhsa_exception_fp_denorm_src 0
		.amdhsa_exception_fp_ieee_div_zero 0
		.amdhsa_exception_fp_ieee_overflow 0
		.amdhsa_exception_fp_ieee_underflow 0
		.amdhsa_exception_fp_ieee_inexact 0
		.amdhsa_exception_int_div_zero 0
	.end_amdhsa_kernel
	.section	.text._ZL32rocblas_gemvt_warp_reduce_kernelILb0ELi1024ElPK16rocblas_bfloat16PKfKPfEviiT3_lPKT2_lT1_lSA_lSB_lS7_lPT4_lSB_li,"axG",@progbits,_ZL32rocblas_gemvt_warp_reduce_kernelILb0ELi1024ElPK16rocblas_bfloat16PKfKPfEviiT3_lPKT2_lT1_lSA_lSB_lS7_lPT4_lSB_li,comdat
.Lfunc_end685:
	.size	_ZL32rocblas_gemvt_warp_reduce_kernelILb0ELi1024ElPK16rocblas_bfloat16PKfKPfEviiT3_lPKT2_lT1_lSA_lSB_lS7_lPT4_lSB_li, .Lfunc_end685-_ZL32rocblas_gemvt_warp_reduce_kernelILb0ELi1024ElPK16rocblas_bfloat16PKfKPfEviiT3_lPKT2_lT1_lSA_lSB_lS7_lPT4_lSB_li
                                        ; -- End function
	.section	.AMDGPU.csdata,"",@progbits
; Kernel info:
; codeLenInByte = 1664
; NumSgprs: 37
; NumVgprs: 14
; NumAgprs: 0
; TotalNumVgprs: 14
; ScratchSize: 0
; MemoryBound: 0
; FloatMode: 240
; IeeeMode: 1
; LDSByteSize: 256 bytes/workgroup (compile time only)
; SGPRBlocks: 4
; VGPRBlocks: 1
; NumSGPRsForWavesPerEU: 37
; NumVGPRsForWavesPerEU: 14
; AccumOffset: 16
; Occupancy: 8
; WaveLimiterHint : 1
; COMPUTE_PGM_RSRC2:SCRATCH_EN: 0
; COMPUTE_PGM_RSRC2:USER_SGPR: 2
; COMPUTE_PGM_RSRC2:TRAP_HANDLER: 0
; COMPUTE_PGM_RSRC2:TGID_X_EN: 1
; COMPUTE_PGM_RSRC2:TGID_Y_EN: 0
; COMPUTE_PGM_RSRC2:TGID_Z_EN: 1
; COMPUTE_PGM_RSRC2:TIDIG_COMP_CNT: 0
; COMPUTE_PGM_RSRC3_GFX90A:ACCUM_OFFSET: 3
; COMPUTE_PGM_RSRC3_GFX90A:TG_SPLIT: 0
	.section	.text._ZL32rocblas_gemvt_warp_reduce_kernelILb0ELi1024EiPK16rocblas_bfloat16fKPfEviiT3_lPKT2_lT1_lS8_lS9_lS5_lPT4_lS9_li,"axG",@progbits,_ZL32rocblas_gemvt_warp_reduce_kernelILb0ELi1024EiPK16rocblas_bfloat16fKPfEviiT3_lPKT2_lT1_lS8_lS9_lS5_lPT4_lS9_li,comdat
	.globl	_ZL32rocblas_gemvt_warp_reduce_kernelILb0ELi1024EiPK16rocblas_bfloat16fKPfEviiT3_lPKT2_lT1_lS8_lS9_lS5_lPT4_lS9_li ; -- Begin function _ZL32rocblas_gemvt_warp_reduce_kernelILb0ELi1024EiPK16rocblas_bfloat16fKPfEviiT3_lPKT2_lT1_lS8_lS9_lS5_lPT4_lS9_li
	.p2align	8
	.type	_ZL32rocblas_gemvt_warp_reduce_kernelILb0ELi1024EiPK16rocblas_bfloat16fKPfEviiT3_lPKT2_lT1_lS8_lS9_lS5_lPT4_lS9_li,@function
_ZL32rocblas_gemvt_warp_reduce_kernelILb0ELi1024EiPK16rocblas_bfloat16fKPfEviiT3_lPKT2_lT1_lS8_lS9_lS5_lPT4_lS9_li: ; @_ZL32rocblas_gemvt_warp_reduce_kernelILb0ELi1024EiPK16rocblas_bfloat16fKPfEviiT3_lPKT2_lT1_lS8_lS9_lS5_lPT4_lS9_li
; %bb.0:
	s_mov_b32 s12, s3
	s_load_dword s18, s[0:1], 0x8
	s_load_dword s3, s[0:1], 0x58
	s_waitcnt lgkmcnt(0)
	v_cmp_eq_f32_e64 s[4:5], s18, 0
	v_cmp_eq_f32_e64 s[6:7], s3, 1.0
	s_and_b64 s[6:7], s[4:5], s[6:7]
	s_and_b64 vcc, exec, s[6:7]
	s_cbranch_vccnz .LBB686_43
; %bb.1:
	v_cmp_neq_f32_e64 s[8:9], s18, 0
	s_mov_b32 s13, 0
	s_and_b64 vcc, exec, s[8:9]
	s_cbranch_vccnz .LBB686_3
; %bb.2:
	s_mov_b64 s[10:11], 0
	s_cbranch_execz .LBB686_4
	s_branch .LBB686_5
.LBB686_3:
                                        ; implicit-def: $sgpr10_sgpr11
.LBB686_4:
	s_load_dwordx4 s[20:23], s[0:1], 0x18
	s_lshl_b64 s[6:7], s[12:13], 3
	s_waitcnt lgkmcnt(0)
	s_add_u32 s6, s20, s6
	s_addc_u32 s7, s21, s7
	s_load_dwordx2 s[6:7], s[6:7], 0x0
	s_lshl_b64 s[10:11], s[22:23], 1
	s_waitcnt lgkmcnt(0)
	s_add_u32 s10, s6, s10
	s_addc_u32 s11, s7, s11
.LBB686_5:
	s_mov_b64 s[6:7], 0
	s_andn2_b64 vcc, exec, s[8:9]
	s_mov_b64 s[8:9], 0
	s_cbranch_vccnz .LBB686_7
; %bb.6:
	s_load_dwordx4 s[20:23], s[0:1], 0x38
	s_lshl_b64 s[8:9], s[12:13], 3
	s_waitcnt lgkmcnt(0)
	s_add_u32 s8, s20, s8
	s_addc_u32 s9, s21, s9
	s_load_dwordx2 s[8:9], s[8:9], 0x0
	s_lshl_b64 s[14:15], s[22:23], 1
	s_waitcnt lgkmcnt(0)
	s_add_u32 s8, s8, s14
	s_addc_u32 s9, s9, s15
.LBB686_7:
	s_load_dwordx4 s[24:27], s[0:1], 0x68
	s_load_dword s21, s[0:1], 0x78
	s_lshl_b64 s[12:13], s[12:13], 3
	s_waitcnt lgkmcnt(0)
	s_add_u32 s12, s24, s12
	s_addc_u32 s13, s25, s13
	s_load_dwordx2 s[12:13], s[12:13], 0x0
	s_lshl_b64 s[14:15], s[26:27], 2
	s_waitcnt lgkmcnt(0)
	s_add_u32 s19, s12, s14
	s_addc_u32 s20, s13, s15
	s_andn2_b64 vcc, exec, s[4:5]
	v_cmp_eq_u32_e64 s[4:5], 0, v0
	s_cbranch_vccnz .LBB686_12
; %bb.8:
	s_mov_b64 s[14:15], 0
                                        ; implicit-def: $vgpr1
                                        ; implicit-def: $sgpr12_sgpr13
	s_and_saveexec_b64 s[16:17], s[4:5]
	s_cbranch_execz .LBB686_13
; %bb.9:
	v_cmp_eq_f32_e64 s[4:5], s3, 0
	s_mul_i32 s12, s2, s21
	v_mov_b32_e32 v1, 0
	s_ashr_i32 s13, s12, 31
	s_and_b64 vcc, exec, s[4:5]
	s_cbranch_vccnz .LBB686_11
; %bb.10:
	s_lshl_b64 s[4:5], s[12:13], 2
	s_add_u32 s4, s19, s4
	s_addc_u32 s5, s20, s5
	s_load_dword s4, s[4:5], 0x0
	v_mov_b32_e32 v1, s3
	s_waitcnt lgkmcnt(0)
	v_mul_f32_e32 v1, s4, v1
.LBB686_11:
	s_mov_b64 s[6:7], exec
	s_or_b64 exec, exec, s[16:17]
	s_and_b64 vcc, exec, s[14:15]
	s_cbranch_vccnz .LBB686_14
	s_branch .LBB686_41
.LBB686_12:
                                        ; implicit-def: $vgpr1
                                        ; implicit-def: $sgpr12_sgpr13
	s_cbranch_execnz .LBB686_14
	s_branch .LBB686_41
.LBB686_13:
	s_or_b64 exec, exec, s[16:17]
	s_and_b64 vcc, exec, s[14:15]
	s_cbranch_vccz .LBB686_41
.LBB686_14:
	s_load_dword s17, s[0:1], 0x0
	s_load_dword s4, s[0:1], 0x28
	;; [unrolled: 1-line block ×3, first 2 shown]
	v_mov_b32_e32 v3, 0
	s_waitcnt lgkmcnt(0)
	v_cmp_gt_i32_e32 vcc, s17, v0
	s_mul_i32 s0, s2, s4
	s_ashr_i32 s1, s0, 31
	s_lshl_b64 s[0:1], s[0:1], 1
	v_cndmask_b32_e32 v1, 0, v0, vcc
	s_add_u32 s0, s0, s10
	v_lshlrev_b32_e32 v2, 1, v1
	s_addc_u32 s1, s1, s11
	v_lshl_add_u64 v[4:5], s[0:1], 0, v[2:3]
	s_ashr_i32 s0, s17, 31
	s_lshr_b32 s0, s0, 22
	s_add_i32 s0, s17, s0
	s_and_b32 s0, s0, 0xfffffc00
	v_cmp_gt_i32_e32 vcc, s0, v0
	s_and_saveexec_b64 s[4:5], vcc
	s_cbranch_execz .LBB686_22
; %bb.15:
	v_mul_lo_u32 v6, v0, s16
	s_lshl_b32 s1, s16, 10
	s_mov_b64 s[10:11], 0
	v_mov_b32_e32 v1, 0
	s_mov_b32 s22, 0x7f800000
	s_movk_i32 s23, 0x7fff
	s_mov_b64 s[12:13], 0x800
	v_mov_b64_e32 v[8:9], v[4:5]
	v_mov_b32_e32 v2, v0
	v_mov_b32_e32 v3, 0
	s_branch .LBB686_17
.LBB686_16:                             ;   in Loop: Header=BB686_17 Depth=1
	s_or_b64 exec, exec, s[14:15]
	v_add_u32_e32 v2, 0x400, v2
	v_and_b32_e32 v7, 0xffff0000, v7
	v_cmp_le_i32_e32 vcc, s0, v2
	v_add_f32_e32 v3, v3, v7
	v_add_u32_e32 v6, s1, v6
	s_or_b64 s[10:11], vcc, s[10:11]
	v_lshl_add_u64 v[8:9], v[8:9], 0, s[12:13]
	s_andn2_b64 exec, exec, s[10:11]
	s_cbranch_execz .LBB686_21
.LBB686_17:                             ; =>This Inner Loop Header: Depth=1
	v_ashrrev_i32_e32 v7, 31, v6
	v_lshl_add_u64 v[10:11], v[6:7], 1, s[8:9]
	flat_load_ushort v7, v[10:11]
	flat_load_ushort v12, v[8:9]
	s_waitcnt vmcnt(0) lgkmcnt(0)
	v_lshlrev_b32_e32 v10, 16, v7
	v_lshlrev_b32_e32 v12, 16, v12
	v_pk_mul_f32 v[10:11], v[10:11], v[12:13] op_sel_hi:[0,1]
	v_and_b32_e32 v7, 0x7f800000, v10
	v_cmp_ne_u32_e32 vcc, s22, v7
                                        ; implicit-def: $vgpr7
	s_and_saveexec_b64 s[14:15], vcc
	s_xor_b64 s[14:15], exec, s[14:15]
; %bb.18:                               ;   in Loop: Header=BB686_17 Depth=1
	v_bfe_u32 v7, v10, 16, 1
	v_add3_u32 v7, v10, v7, s23
                                        ; implicit-def: $vgpr10_vgpr11
; %bb.19:                               ;   in Loop: Header=BB686_17 Depth=1
	s_andn2_saveexec_b64 s[14:15], s[14:15]
	s_cbranch_execz .LBB686_16
; %bb.20:                               ;   in Loop: Header=BB686_17 Depth=1
	v_or_b32_e32 v7, 0x10000, v10
	v_cmp_eq_u32_sdwa vcc, v10, v1 src0_sel:WORD_0 src1_sel:DWORD
	s_nop 1
	v_cndmask_b32_e32 v7, v7, v10, vcc
	s_branch .LBB686_16
.LBB686_21:
	s_or_b64 exec, exec, s[10:11]
.LBB686_22:
	s_or_b64 exec, exec, s[4:5]
	v_or_b32_e32 v1, s0, v0
	v_cmp_gt_i32_e32 vcc, s17, v1
	s_and_saveexec_b64 s[4:5], vcc
	s_cbranch_execz .LBB686_28
; %bb.23:
	s_ashr_i32 s1, s0, 31
	v_mul_lo_u32 v6, v1, s16
	v_lshl_add_u64 v[4:5], s[0:1], 1, v[4:5]
	v_ashrrev_i32_e32 v7, 31, v6
	v_lshl_add_u64 v[6:7], v[6:7], 1, s[8:9]
	flat_load_ushort v1, v[4:5]
	flat_load_ushort v8, v[6:7]
	s_mov_b32 s0, 0x7f800000
	s_waitcnt vmcnt(0) lgkmcnt(0)
	v_lshlrev_b32_e32 v2, 16, v1
	v_lshlrev_b32_e32 v4, 16, v8
	v_pk_mul_f32 v[4:5], v[4:5], v[2:3] op_sel_hi:[0,1]
	v_and_b32_e32 v1, 0x7f800000, v4
	v_cmp_ne_u32_e32 vcc, s0, v1
                                        ; implicit-def: $vgpr1
	s_and_saveexec_b64 s[0:1], vcc
	s_xor_b64 s[0:1], exec, s[0:1]
; %bb.24:
	v_bfe_u32 v1, v4, 16, 1
	s_movk_i32 s8, 0x7fff
	v_add3_u32 v1, v4, v1, s8
                                        ; implicit-def: $vgpr4_vgpr5
; %bb.25:
	s_andn2_saveexec_b64 s[0:1], s[0:1]
; %bb.26:
	v_mov_b32_e32 v1, 0
	v_or_b32_e32 v2, 0x10000, v4
	v_cmp_eq_u32_sdwa vcc, v4, v1 src0_sel:WORD_0 src1_sel:DWORD
	s_nop 1
	v_cndmask_b32_e32 v1, v2, v4, vcc
; %bb.27:
	s_or_b64 exec, exec, s[0:1]
	v_and_b32_e32 v1, 0xffff0000, v1
	v_add_f32_e32 v3, v3, v1
.LBB686_28:
	s_or_b64 exec, exec, s[4:5]
	v_and_b32_e32 v2, 63, v0
	v_cmp_gt_u32_e32 vcc, 64, v0
	v_lshlrev_b32_e32 v1, 2, v2
	s_and_saveexec_b64 s[0:1], vcc
	s_cbranch_execz .LBB686_30
; %bb.29:
	v_mov_b32_e32 v4, 0
	ds_write_b32 v1, v4
.LBB686_30:
	s_or_b64 exec, exec, s[0:1]
	v_mbcnt_lo_u32_b32 v4, -1, 0
	v_mbcnt_hi_u32_b32 v6, -1, v4
	v_and_b32_e32 v7, 63, v6
	v_cmp_gt_u32_e64 s[0:1], 32, v7
	s_waitcnt lgkmcnt(0)
	s_barrier
	v_cndmask_b32_e64 v4, 0, 1, s[0:1]
	v_lshlrev_b32_e32 v4, 5, v4
	v_add_lshl_u32 v4, v4, v6, 2
	ds_bpermute_b32 v4, v4, v3
	v_cmp_gt_u32_e64 s[0:1], 48, v7
	s_waitcnt lgkmcnt(0)
	v_add_f32_e32 v3, v3, v4
	v_cndmask_b32_e64 v5, 0, 1, s[0:1]
	v_lshlrev_b32_e32 v5, 4, v5
	v_add_lshl_u32 v4, v5, v6, 2
	ds_bpermute_b32 v4, v4, v3
	v_cmp_gt_u32_e64 s[0:1], 56, v7
	s_waitcnt lgkmcnt(0)
	v_add_f32_e32 v4, v3, v4
	;; [unrolled: 7-line block ×4, first 2 shown]
	v_cndmask_b32_e64 v9, 0, 1, s[0:1]
	v_lshlrev_b32_e32 v9, 1, v9
	v_add_lshl_u32 v5, v9, v6, 2
	ds_bpermute_b32 v9, v5, v8
	v_cmp_ne_u32_e64 s[0:1], 63, v7
	s_waitcnt lgkmcnt(0)
	v_add_f32_e32 v7, v8, v9
	v_addc_co_u32_e64 v6, s[0:1], 0, v6, s[0:1]
	v_lshlrev_b32_e32 v6, 2, v6
	ds_bpermute_b32 v8, v6, v7
	v_cmp_eq_u32_e64 s[0:1], 0, v2
	s_and_saveexec_b64 s[4:5], s[0:1]
	s_cbranch_execz .LBB686_32
; %bb.31:
	v_lshrrev_b32_e32 v2, 4, v0
	v_and_b32_e32 v2, 60, v2
	s_waitcnt lgkmcnt(0)
	v_add_f32_e32 v7, v7, v8
	ds_write_b32 v2, v7
.LBB686_32:
	s_or_b64 exec, exec, s[4:5]
	v_cmp_gt_u32_e64 s[0:1], 16, v0
	v_mov_b32_e32 v2, 0
	s_waitcnt lgkmcnt(0)
	s_barrier
	s_and_saveexec_b64 s[4:5], s[0:1]
	s_cbranch_execz .LBB686_34
; %bb.33:
	ds_read_b32 v2, v1
	s_or_b64 exec, exec, s[4:5]
	s_and_saveexec_b64 s[0:1], vcc
	s_cbranch_execz .LBB686_36
	s_branch .LBB686_35
.LBB686_34:
	s_or_b64 exec, exec, s[4:5]
	s_and_saveexec_b64 s[0:1], vcc
	s_cbranch_execz .LBB686_36
.LBB686_35:
	s_waitcnt lgkmcnt(0)
	ds_bpermute_b32 v1, v3, v2
	s_waitcnt lgkmcnt(0)
	v_add_f32_e32 v1, v2, v1
	ds_bpermute_b32 v2, v4, v1
	s_waitcnt lgkmcnt(0)
	v_add_f32_e32 v1, v1, v2
	;; [unrolled: 3-line block ×4, first 2 shown]
.LBB686_36:
	s_or_b64 exec, exec, s[0:1]
	v_cmp_eq_u32_e32 vcc, 0, v0
                                        ; implicit-def: $vgpr1
                                        ; implicit-def: $sgpr12_sgpr13
	s_and_saveexec_b64 s[0:1], vcc
	s_cbranch_execz .LBB686_40
; %bb.37:
	v_cmp_eq_f32_e64 s[4:5], s3, 0
	s_mul_i32 s12, s2, s21
	s_waitcnt lgkmcnt(0)
	v_mul_f32_e32 v1, s18, v2
	s_ashr_i32 s13, s12, 31
	s_and_b64 vcc, exec, s[4:5]
	s_cbranch_vccnz .LBB686_39
; %bb.38:
	s_lshl_b64 s[4:5], s[12:13], 2
	s_add_u32 s4, s19, s4
	s_addc_u32 s5, s20, s5
	s_load_dword s2, s[4:5], 0x0
	v_mov_b32_e32 v0, s3
	s_waitcnt lgkmcnt(0)
	v_fmac_f32_e32 v1, s2, v0
.LBB686_39:
	s_or_b64 s[6:7], s[6:7], exec
.LBB686_40:
	s_or_b64 exec, exec, s[0:1]
.LBB686_41:
	s_and_saveexec_b64 s[0:1], s[6:7]
	s_cbranch_execz .LBB686_43
; %bb.42:
	s_lshl_b64 s[0:1], s[12:13], 2
	s_add_u32 s0, s19, s0
	s_addc_u32 s1, s20, s1
	v_mov_b32_e32 v0, 0
	global_store_dword v0, v1, s[0:1]
.LBB686_43:
	s_endpgm
	.section	.rodata,"a",@progbits
	.p2align	6, 0x0
	.amdhsa_kernel _ZL32rocblas_gemvt_warp_reduce_kernelILb0ELi1024EiPK16rocblas_bfloat16fKPfEviiT3_lPKT2_lT1_lS8_lS9_lS5_lPT4_lS9_li
		.amdhsa_group_segment_fixed_size 256
		.amdhsa_private_segment_fixed_size 0
		.amdhsa_kernarg_size 140
		.amdhsa_user_sgpr_count 2
		.amdhsa_user_sgpr_dispatch_ptr 0
		.amdhsa_user_sgpr_queue_ptr 0
		.amdhsa_user_sgpr_kernarg_segment_ptr 1
		.amdhsa_user_sgpr_dispatch_id 0
		.amdhsa_user_sgpr_kernarg_preload_length 0
		.amdhsa_user_sgpr_kernarg_preload_offset 0
		.amdhsa_user_sgpr_private_segment_size 0
		.amdhsa_uses_dynamic_stack 0
		.amdhsa_enable_private_segment 0
		.amdhsa_system_sgpr_workgroup_id_x 1
		.amdhsa_system_sgpr_workgroup_id_y 0
		.amdhsa_system_sgpr_workgroup_id_z 1
		.amdhsa_system_sgpr_workgroup_info 0
		.amdhsa_system_vgpr_workitem_id 0
		.amdhsa_next_free_vgpr 14
		.amdhsa_next_free_sgpr 28
		.amdhsa_accum_offset 16
		.amdhsa_reserve_vcc 1
		.amdhsa_float_round_mode_32 0
		.amdhsa_float_round_mode_16_64 0
		.amdhsa_float_denorm_mode_32 3
		.amdhsa_float_denorm_mode_16_64 3
		.amdhsa_dx10_clamp 1
		.amdhsa_ieee_mode 1
		.amdhsa_fp16_overflow 0
		.amdhsa_tg_split 0
		.amdhsa_exception_fp_ieee_invalid_op 0
		.amdhsa_exception_fp_denorm_src 0
		.amdhsa_exception_fp_ieee_div_zero 0
		.amdhsa_exception_fp_ieee_overflow 0
		.amdhsa_exception_fp_ieee_underflow 0
		.amdhsa_exception_fp_ieee_inexact 0
		.amdhsa_exception_int_div_zero 0
	.end_amdhsa_kernel
	.section	.text._ZL32rocblas_gemvt_warp_reduce_kernelILb0ELi1024EiPK16rocblas_bfloat16fKPfEviiT3_lPKT2_lT1_lS8_lS9_lS5_lPT4_lS9_li,"axG",@progbits,_ZL32rocblas_gemvt_warp_reduce_kernelILb0ELi1024EiPK16rocblas_bfloat16fKPfEviiT3_lPKT2_lT1_lS8_lS9_lS5_lPT4_lS9_li,comdat
.Lfunc_end686:
	.size	_ZL32rocblas_gemvt_warp_reduce_kernelILb0ELi1024EiPK16rocblas_bfloat16fKPfEviiT3_lPKT2_lT1_lS8_lS9_lS5_lPT4_lS9_li, .Lfunc_end686-_ZL32rocblas_gemvt_warp_reduce_kernelILb0ELi1024EiPK16rocblas_bfloat16fKPfEviiT3_lPKT2_lT1_lS8_lS9_lS5_lPT4_lS9_li
                                        ; -- End function
	.section	.AMDGPU.csdata,"",@progbits
; Kernel info:
; codeLenInByte = 1516
; NumSgprs: 34
; NumVgprs: 14
; NumAgprs: 0
; TotalNumVgprs: 14
; ScratchSize: 0
; MemoryBound: 0
; FloatMode: 240
; IeeeMode: 1
; LDSByteSize: 256 bytes/workgroup (compile time only)
; SGPRBlocks: 4
; VGPRBlocks: 1
; NumSGPRsForWavesPerEU: 34
; NumVGPRsForWavesPerEU: 14
; AccumOffset: 16
; Occupancy: 8
; WaveLimiterHint : 1
; COMPUTE_PGM_RSRC2:SCRATCH_EN: 0
; COMPUTE_PGM_RSRC2:USER_SGPR: 2
; COMPUTE_PGM_RSRC2:TRAP_HANDLER: 0
; COMPUTE_PGM_RSRC2:TGID_X_EN: 1
; COMPUTE_PGM_RSRC2:TGID_Y_EN: 0
; COMPUTE_PGM_RSRC2:TGID_Z_EN: 1
; COMPUTE_PGM_RSRC2:TIDIG_COMP_CNT: 0
; COMPUTE_PGM_RSRC3_GFX90A:ACCUM_OFFSET: 3
; COMPUTE_PGM_RSRC3_GFX90A:TG_SPLIT: 0
	.section	.text._ZL32rocblas_gemvt_warp_reduce_kernelILb0ELi1024ElPK16rocblas_bfloat16fKPfEviiT3_lPKT2_lT1_lS8_lS9_lS5_lPT4_lS9_li,"axG",@progbits,_ZL32rocblas_gemvt_warp_reduce_kernelILb0ELi1024ElPK16rocblas_bfloat16fKPfEviiT3_lPKT2_lT1_lS8_lS9_lS5_lPT4_lS9_li,comdat
	.globl	_ZL32rocblas_gemvt_warp_reduce_kernelILb0ELi1024ElPK16rocblas_bfloat16fKPfEviiT3_lPKT2_lT1_lS8_lS9_lS5_lPT4_lS9_li ; -- Begin function _ZL32rocblas_gemvt_warp_reduce_kernelILb0ELi1024ElPK16rocblas_bfloat16fKPfEviiT3_lPKT2_lT1_lS8_lS9_lS5_lPT4_lS9_li
	.p2align	8
	.type	_ZL32rocblas_gemvt_warp_reduce_kernelILb0ELi1024ElPK16rocblas_bfloat16fKPfEviiT3_lPKT2_lT1_lS8_lS9_lS5_lPT4_lS9_li,@function
_ZL32rocblas_gemvt_warp_reduce_kernelILb0ELi1024ElPK16rocblas_bfloat16fKPfEviiT3_lPKT2_lT1_lS8_lS9_lS5_lPT4_lS9_li: ; @_ZL32rocblas_gemvt_warp_reduce_kernelILb0ELi1024ElPK16rocblas_bfloat16fKPfEviiT3_lPKT2_lT1_lS8_lS9_lS5_lPT4_lS9_li
; %bb.0:
	s_mov_b32 s20, s3
	s_load_dword s24, s[0:1], 0x8
	s_load_dword s3, s[0:1], 0x58
	s_waitcnt lgkmcnt(0)
	v_cmp_eq_f32_e64 s[18:19], s24, 0
	v_cmp_eq_f32_e64 s[4:5], s3, 1.0
	s_and_b64 s[4:5], s[18:19], s[4:5]
	s_and_b64 vcc, exec, s[4:5]
	s_cbranch_vccnz .LBB687_43
; %bb.1:
	s_load_dwordx4 s[4:7], s[0:1], 0x18
	s_load_dwordx2 s[14:15], s[0:1], 0x28
	v_cmp_neq_f32_e64 s[12:13], s24, 0
	s_mov_b32 s21, 0
	s_and_b64 vcc, exec, s[12:13]
	s_cbranch_vccnz .LBB687_3
; %bb.2:
	s_mov_b64 s[16:17], 0
	s_cbranch_execz .LBB687_4
	s_branch .LBB687_5
.LBB687_3:
                                        ; implicit-def: $sgpr16_sgpr17
.LBB687_4:
	s_lshl_b64 s[8:9], s[20:21], 3
	s_waitcnt lgkmcnt(0)
	s_add_u32 s4, s4, s8
	s_addc_u32 s5, s5, s9
	s_load_dwordx2 s[4:5], s[4:5], 0x0
	s_lshl_b64 s[6:7], s[6:7], 1
	s_waitcnt lgkmcnt(0)
	s_add_u32 s16, s4, s6
	s_addc_u32 s17, s5, s7
.LBB687_5:
	s_waitcnt lgkmcnt(0)
	s_load_dwordx4 s[4:7], s[0:1], 0x38
	s_load_dwordx2 s[10:11], s[0:1], 0x48
	s_mov_b64 s[8:9], 0
	s_andn2_b64 vcc, exec, s[12:13]
	s_mov_b64 s[12:13], 0
	s_cbranch_vccnz .LBB687_7
; %bb.6:
	s_lshl_b64 s[12:13], s[20:21], 3
	s_waitcnt lgkmcnt(0)
	s_add_u32 s4, s4, s12
	s_addc_u32 s5, s5, s13
	s_load_dwordx2 s[4:5], s[4:5], 0x0
	s_lshl_b64 s[6:7], s[6:7], 1
	s_waitcnt lgkmcnt(0)
	s_add_u32 s12, s4, s6
	s_addc_u32 s13, s5, s7
.LBB687_7:
	s_load_dwordx4 s[28:31], s[0:1], 0x68
	s_waitcnt lgkmcnt(0)
	s_load_dwordx2 s[6:7], s[0:1], 0x78
	s_lshl_b64 s[4:5], s[20:21], 3
	s_add_u32 s4, s28, s4
	s_addc_u32 s5, s29, s5
	s_load_dwordx2 s[4:5], s[4:5], 0x0
	s_lshl_b64 s[20:21], s[30:31], 2
	s_waitcnt lgkmcnt(0)
	s_add_u32 s25, s4, s20
	s_addc_u32 s26, s5, s21
	s_andn2_b64 vcc, exec, s[18:19]
	v_cmp_eq_u32_e64 s[4:5], 0, v0
	s_cbranch_vccnz .LBB687_12
; %bb.8:
	s_mov_b64 s[20:21], 0
                                        ; implicit-def: $vgpr1
                                        ; implicit-def: $sgpr18_sgpr19
	s_and_saveexec_b64 s[22:23], s[4:5]
	s_cbranch_execz .LBB687_13
; %bb.9:
	s_ashr_i32 s8, s2, 31
	s_mul_i32 s9, s2, s7
	s_mul_hi_u32 s18, s2, s6
	v_cmp_eq_f32_e64 s[4:5], s3, 0
	s_add_i32 s9, s18, s9
	s_mul_i32 s8, s8, s6
	v_mov_b32_e32 v1, 0
	s_add_i32 s19, s9, s8
	s_mul_i32 s18, s2, s6
	s_and_b64 vcc, exec, s[4:5]
	s_cbranch_vccnz .LBB687_11
; %bb.10:
	s_lshl_b64 s[4:5], s[18:19], 2
	s_add_u32 s4, s25, s4
	s_addc_u32 s5, s26, s5
	s_load_dword s4, s[4:5], 0x0
	v_mov_b32_e32 v1, s3
	s_waitcnt lgkmcnt(0)
	v_mul_f32_e32 v1, s4, v1
.LBB687_11:
	s_mov_b64 s[8:9], exec
	s_or_b64 exec, exec, s[22:23]
	s_and_b64 vcc, exec, s[20:21]
	s_cbranch_vccnz .LBB687_14
	s_branch .LBB687_41
.LBB687_12:
                                        ; implicit-def: $vgpr1
                                        ; implicit-def: $sgpr18_sgpr19
	s_cbranch_execnz .LBB687_14
	s_branch .LBB687_41
.LBB687_13:
	s_or_b64 exec, exec, s[22:23]
	s_and_b64 vcc, exec, s[20:21]
	s_cbranch_vccz .LBB687_41
.LBB687_14:
	s_load_dword s1, s[0:1], 0x0
	s_ashr_i32 s22, s2, 31
	s_mul_i32 s0, s2, s15
	s_mul_hi_u32 s4, s2, s14
	s_add_i32 s0, s4, s0
	s_mul_i32 s4, s22, s14
	s_add_i32 s5, s0, s4
	s_mul_i32 s4, s2, s14
	s_lshl_b64 s[4:5], s[4:5], 1
	s_add_u32 s4, s4, s16
	s_addc_u32 s5, s5, s17
	s_waitcnt lgkmcnt(0)
	s_ashr_i32 s0, s1, 31
	v_cmp_gt_i32_e32 vcc, s1, v0
	s_lshr_b32 s0, s0, 22
	s_add_i32 s0, s1, s0
	v_cndmask_b32_e32 v1, 0, v0, vcc
	v_mov_b32_e32 v3, 0
	v_lshlrev_b32_e32 v2, 1, v1
	s_and_b32 s0, s0, 0xfffffc00
	v_lshl_add_u64 v[4:5], s[4:5], 0, v[2:3]
	v_cmp_gt_i32_e32 vcc, s0, v0
	s_and_saveexec_b64 s[4:5], vcc
	s_cbranch_execz .LBB687_22
; %bb.15:
	v_mad_u64_u32 v[2:3], s[14:15], s10, v0, 0
	v_mov_b32_e32 v6, v3
	v_mad_u64_u32 v[6:7], s[14:15], s11, v0, v[6:7]
	v_mov_b32_e32 v3, v6
	v_lshl_add_u64 v[6:7], v[2:3], 1, s[12:13]
	s_lshl_b64 s[16:17], s[10:11], 11
	s_mov_b64 s[14:15], 0
	v_mov_b32_e32 v1, 0
	s_mov_b32 s23, 0x7f800000
	s_movk_i32 s27, 0x7fff
	s_mov_b64 s[18:19], 0x800
	v_mov_b64_e32 v[8:9], v[4:5]
	v_mov_b32_e32 v2, v0
	v_mov_b32_e32 v3, 0
	s_branch .LBB687_17
.LBB687_16:                             ;   in Loop: Header=BB687_17 Depth=1
	s_or_b64 exec, exec, s[20:21]
	v_add_u32_e32 v2, 0x400, v2
	v_and_b32_e32 v10, 0xffff0000, v12
	v_cmp_le_i32_e32 vcc, s0, v2
	v_add_f32_e32 v3, v3, v10
	v_lshl_add_u64 v[8:9], v[8:9], 0, s[18:19]
	s_or_b64 s[14:15], vcc, s[14:15]
	v_lshl_add_u64 v[6:7], v[6:7], 0, s[16:17]
	s_andn2_b64 exec, exec, s[14:15]
	s_cbranch_execz .LBB687_21
.LBB687_17:                             ; =>This Inner Loop Header: Depth=1
	flat_load_ushort v10, v[6:7]
	flat_load_ushort v11, v[8:9]
	s_waitcnt vmcnt(0) lgkmcnt(0)
	v_lshlrev_b32_e32 v10, 16, v10
	v_lshlrev_b32_e32 v12, 16, v11
	v_pk_mul_f32 v[10:11], v[10:11], v[12:13] op_sel_hi:[0,1]
	v_and_b32_e32 v11, 0x7f800000, v10
	v_cmp_ne_u32_e32 vcc, s23, v11
                                        ; implicit-def: $vgpr12
	s_and_saveexec_b64 s[20:21], vcc
	s_xor_b64 s[20:21], exec, s[20:21]
; %bb.18:                               ;   in Loop: Header=BB687_17 Depth=1
	v_bfe_u32 v11, v10, 16, 1
	v_add3_u32 v12, v10, v11, s27
                                        ; implicit-def: $vgpr10_vgpr11
; %bb.19:                               ;   in Loop: Header=BB687_17 Depth=1
	s_andn2_saveexec_b64 s[20:21], s[20:21]
	s_cbranch_execz .LBB687_16
; %bb.20:                               ;   in Loop: Header=BB687_17 Depth=1
	v_or_b32_e32 v11, 0x10000, v10
	v_cmp_eq_u32_sdwa vcc, v10, v1 src0_sel:WORD_0 src1_sel:DWORD
	s_nop 1
	v_cndmask_b32_e32 v12, v11, v10, vcc
	s_branch .LBB687_16
.LBB687_21:
	s_or_b64 exec, exec, s[14:15]
.LBB687_22:
	s_or_b64 exec, exec, s[4:5]
	v_or_b32_e32 v1, s0, v0
	v_cmp_gt_i32_e32 vcc, s1, v1
	s_and_saveexec_b64 s[4:5], vcc
	s_cbranch_execz .LBB687_28
; %bb.23:
	s_ashr_i32 s1, s0, 31
	v_ashrrev_i32_e32 v2, 31, v1
	v_lshl_add_u64 v[4:5], s[0:1], 1, v[4:5]
	v_mul_lo_u32 v8, v1, s11
	v_mul_lo_u32 v2, v2, s10
	v_mad_u64_u32 v[6:7], s[0:1], v1, s10, 0
	v_add3_u32 v7, v7, v8, v2
	v_lshl_add_u64 v[6:7], v[6:7], 1, s[12:13]
	flat_load_ushort v1, v[4:5]
	flat_load_ushort v8, v[6:7]
	s_mov_b32 s0, 0x7f800000
	s_waitcnt vmcnt(0) lgkmcnt(0)
	v_lshlrev_b32_e32 v2, 16, v1
	v_lshlrev_b32_e32 v4, 16, v8
	v_pk_mul_f32 v[4:5], v[4:5], v[2:3] op_sel_hi:[0,1]
	v_and_b32_e32 v1, 0x7f800000, v4
	v_cmp_ne_u32_e32 vcc, s0, v1
                                        ; implicit-def: $vgpr1
	s_and_saveexec_b64 s[0:1], vcc
	s_xor_b64 s[0:1], exec, s[0:1]
; %bb.24:
	v_bfe_u32 v1, v4, 16, 1
	s_movk_i32 s10, 0x7fff
	v_add3_u32 v1, v4, v1, s10
                                        ; implicit-def: $vgpr4_vgpr5
; %bb.25:
	s_andn2_saveexec_b64 s[0:1], s[0:1]
; %bb.26:
	v_mov_b32_e32 v1, 0
	v_or_b32_e32 v2, 0x10000, v4
	v_cmp_eq_u32_sdwa vcc, v4, v1 src0_sel:WORD_0 src1_sel:DWORD
	s_nop 1
	v_cndmask_b32_e32 v1, v2, v4, vcc
; %bb.27:
	s_or_b64 exec, exec, s[0:1]
	v_and_b32_e32 v1, 0xffff0000, v1
	v_add_f32_e32 v3, v3, v1
.LBB687_28:
	s_or_b64 exec, exec, s[4:5]
	v_and_b32_e32 v2, 63, v0
	v_cmp_gt_u32_e32 vcc, 64, v0
	v_lshlrev_b32_e32 v1, 2, v2
	s_and_saveexec_b64 s[0:1], vcc
	s_cbranch_execz .LBB687_30
; %bb.29:
	v_mov_b32_e32 v4, 0
	ds_write_b32 v1, v4
.LBB687_30:
	s_or_b64 exec, exec, s[0:1]
	v_mbcnt_lo_u32_b32 v4, -1, 0
	v_mbcnt_hi_u32_b32 v6, -1, v4
	v_and_b32_e32 v7, 63, v6
	v_cmp_gt_u32_e64 s[0:1], 32, v7
	s_waitcnt lgkmcnt(0)
	s_barrier
	v_cndmask_b32_e64 v4, 0, 1, s[0:1]
	v_lshlrev_b32_e32 v4, 5, v4
	v_add_lshl_u32 v4, v4, v6, 2
	ds_bpermute_b32 v4, v4, v3
	v_cmp_gt_u32_e64 s[0:1], 48, v7
	s_waitcnt lgkmcnt(0)
	v_add_f32_e32 v3, v3, v4
	v_cndmask_b32_e64 v5, 0, 1, s[0:1]
	v_lshlrev_b32_e32 v5, 4, v5
	v_add_lshl_u32 v4, v5, v6, 2
	ds_bpermute_b32 v4, v4, v3
	v_cmp_gt_u32_e64 s[0:1], 56, v7
	s_waitcnt lgkmcnt(0)
	v_add_f32_e32 v4, v3, v4
	;; [unrolled: 7-line block ×4, first 2 shown]
	v_cndmask_b32_e64 v9, 0, 1, s[0:1]
	v_lshlrev_b32_e32 v9, 1, v9
	v_add_lshl_u32 v5, v9, v6, 2
	ds_bpermute_b32 v9, v5, v8
	v_cmp_ne_u32_e64 s[0:1], 63, v7
	s_waitcnt lgkmcnt(0)
	v_add_f32_e32 v7, v8, v9
	v_addc_co_u32_e64 v6, s[0:1], 0, v6, s[0:1]
	v_lshlrev_b32_e32 v6, 2, v6
	ds_bpermute_b32 v8, v6, v7
	v_cmp_eq_u32_e64 s[0:1], 0, v2
	s_and_saveexec_b64 s[4:5], s[0:1]
	s_cbranch_execz .LBB687_32
; %bb.31:
	v_lshrrev_b32_e32 v2, 4, v0
	v_and_b32_e32 v2, 60, v2
	s_waitcnt lgkmcnt(0)
	v_add_f32_e32 v7, v7, v8
	ds_write_b32 v2, v7
.LBB687_32:
	s_or_b64 exec, exec, s[4:5]
	v_cmp_gt_u32_e64 s[0:1], 16, v0
	v_mov_b32_e32 v2, 0
	s_waitcnt lgkmcnt(0)
	s_barrier
	s_and_saveexec_b64 s[4:5], s[0:1]
	s_cbranch_execz .LBB687_34
; %bb.33:
	ds_read_b32 v2, v1
	s_or_b64 exec, exec, s[4:5]
	s_and_saveexec_b64 s[0:1], vcc
	s_cbranch_execz .LBB687_36
	s_branch .LBB687_35
.LBB687_34:
	s_or_b64 exec, exec, s[4:5]
	s_and_saveexec_b64 s[0:1], vcc
	s_cbranch_execz .LBB687_36
.LBB687_35:
	s_waitcnt lgkmcnt(0)
	ds_bpermute_b32 v1, v3, v2
	s_waitcnt lgkmcnt(0)
	v_add_f32_e32 v1, v2, v1
	ds_bpermute_b32 v2, v4, v1
	s_waitcnt lgkmcnt(0)
	v_add_f32_e32 v1, v1, v2
	;; [unrolled: 3-line block ×4, first 2 shown]
.LBB687_36:
	s_or_b64 exec, exec, s[0:1]
	v_cmp_eq_u32_e32 vcc, 0, v0
                                        ; implicit-def: $vgpr1
                                        ; implicit-def: $sgpr18_sgpr19
	s_and_saveexec_b64 s[0:1], vcc
	s_cbranch_execz .LBB687_40
; %bb.37:
	s_mul_i32 s7, s2, s7
	s_mul_hi_u32 s10, s2, s6
	v_cmp_eq_f32_e64 s[4:5], s3, 0
	s_add_i32 s7, s10, s7
	s_mul_i32 s10, s22, s6
	s_waitcnt lgkmcnt(0)
	v_mul_f32_e32 v1, s24, v2
	s_add_i32 s19, s7, s10
	s_mul_i32 s18, s2, s6
	s_and_b64 vcc, exec, s[4:5]
	s_cbranch_vccnz .LBB687_39
; %bb.38:
	s_lshl_b64 s[4:5], s[18:19], 2
	s_add_u32 s4, s25, s4
	s_addc_u32 s5, s26, s5
	s_load_dword s2, s[4:5], 0x0
	v_mov_b32_e32 v0, s3
	s_waitcnt lgkmcnt(0)
	v_fmac_f32_e32 v1, s2, v0
.LBB687_39:
	s_or_b64 s[8:9], s[8:9], exec
.LBB687_40:
	s_or_b64 exec, exec, s[0:1]
.LBB687_41:
	s_and_saveexec_b64 s[0:1], s[8:9]
	s_cbranch_execz .LBB687_43
; %bb.42:
	s_lshl_b64 s[0:1], s[18:19], 2
	s_add_u32 s0, s25, s0
	s_addc_u32 s1, s26, s1
	v_mov_b32_e32 v0, 0
	global_store_dword v0, v1, s[0:1]
.LBB687_43:
	s_endpgm
	.section	.rodata,"a",@progbits
	.p2align	6, 0x0
	.amdhsa_kernel _ZL32rocblas_gemvt_warp_reduce_kernelILb0ELi1024ElPK16rocblas_bfloat16fKPfEviiT3_lPKT2_lT1_lS8_lS9_lS5_lPT4_lS9_li
		.amdhsa_group_segment_fixed_size 256
		.amdhsa_private_segment_fixed_size 0
		.amdhsa_kernarg_size 140
		.amdhsa_user_sgpr_count 2
		.amdhsa_user_sgpr_dispatch_ptr 0
		.amdhsa_user_sgpr_queue_ptr 0
		.amdhsa_user_sgpr_kernarg_segment_ptr 1
		.amdhsa_user_sgpr_dispatch_id 0
		.amdhsa_user_sgpr_kernarg_preload_length 0
		.amdhsa_user_sgpr_kernarg_preload_offset 0
		.amdhsa_user_sgpr_private_segment_size 0
		.amdhsa_uses_dynamic_stack 0
		.amdhsa_enable_private_segment 0
		.amdhsa_system_sgpr_workgroup_id_x 1
		.amdhsa_system_sgpr_workgroup_id_y 0
		.amdhsa_system_sgpr_workgroup_id_z 1
		.amdhsa_system_sgpr_workgroup_info 0
		.amdhsa_system_vgpr_workitem_id 0
		.amdhsa_next_free_vgpr 14
		.amdhsa_next_free_sgpr 32
		.amdhsa_accum_offset 16
		.amdhsa_reserve_vcc 1
		.amdhsa_float_round_mode_32 0
		.amdhsa_float_round_mode_16_64 0
		.amdhsa_float_denorm_mode_32 3
		.amdhsa_float_denorm_mode_16_64 3
		.amdhsa_dx10_clamp 1
		.amdhsa_ieee_mode 1
		.amdhsa_fp16_overflow 0
		.amdhsa_tg_split 0
		.amdhsa_exception_fp_ieee_invalid_op 0
		.amdhsa_exception_fp_denorm_src 0
		.amdhsa_exception_fp_ieee_div_zero 0
		.amdhsa_exception_fp_ieee_overflow 0
		.amdhsa_exception_fp_ieee_underflow 0
		.amdhsa_exception_fp_ieee_inexact 0
		.amdhsa_exception_int_div_zero 0
	.end_amdhsa_kernel
	.section	.text._ZL32rocblas_gemvt_warp_reduce_kernelILb0ELi1024ElPK16rocblas_bfloat16fKPfEviiT3_lPKT2_lT1_lS8_lS9_lS5_lPT4_lS9_li,"axG",@progbits,_ZL32rocblas_gemvt_warp_reduce_kernelILb0ELi1024ElPK16rocblas_bfloat16fKPfEviiT3_lPKT2_lT1_lS8_lS9_lS5_lPT4_lS9_li,comdat
.Lfunc_end687:
	.size	_ZL32rocblas_gemvt_warp_reduce_kernelILb0ELi1024ElPK16rocblas_bfloat16fKPfEviiT3_lPKT2_lT1_lS8_lS9_lS5_lPT4_lS9_li, .Lfunc_end687-_ZL32rocblas_gemvt_warp_reduce_kernelILb0ELi1024ElPK16rocblas_bfloat16fKPfEviiT3_lPKT2_lT1_lS8_lS9_lS5_lPT4_lS9_li
                                        ; -- End function
	.section	.AMDGPU.csdata,"",@progbits
; Kernel info:
; codeLenInByte = 1616
; NumSgprs: 38
; NumVgprs: 14
; NumAgprs: 0
; TotalNumVgprs: 14
; ScratchSize: 0
; MemoryBound: 0
; FloatMode: 240
; IeeeMode: 1
; LDSByteSize: 256 bytes/workgroup (compile time only)
; SGPRBlocks: 4
; VGPRBlocks: 1
; NumSGPRsForWavesPerEU: 38
; NumVGPRsForWavesPerEU: 14
; AccumOffset: 16
; Occupancy: 8
; WaveLimiterHint : 1
; COMPUTE_PGM_RSRC2:SCRATCH_EN: 0
; COMPUTE_PGM_RSRC2:USER_SGPR: 2
; COMPUTE_PGM_RSRC2:TRAP_HANDLER: 0
; COMPUTE_PGM_RSRC2:TGID_X_EN: 1
; COMPUTE_PGM_RSRC2:TGID_Y_EN: 0
; COMPUTE_PGM_RSRC2:TGID_Z_EN: 1
; COMPUTE_PGM_RSRC2:TIDIG_COMP_CNT: 0
; COMPUTE_PGM_RSRC3_GFX90A:ACCUM_OFFSET: 3
; COMPUTE_PGM_RSRC3_GFX90A:TG_SPLIT: 0
	.section	.text._ZL22rocblas_gemvtsm_kernelILb1ELi256EPK16rocblas_bfloat16PKfKPfEviiT2_lPKT1_lilSA_lilS7_lPT3_lil,"axG",@progbits,_ZL22rocblas_gemvtsm_kernelILb1ELi256EPK16rocblas_bfloat16PKfKPfEviiT2_lPKT1_lilSA_lilS7_lPT3_lil,comdat
	.globl	_ZL22rocblas_gemvtsm_kernelILb1ELi256EPK16rocblas_bfloat16PKfKPfEviiT2_lPKT1_lilSA_lilS7_lPT3_lil ; -- Begin function _ZL22rocblas_gemvtsm_kernelILb1ELi256EPK16rocblas_bfloat16PKfKPfEviiT2_lPKT1_lilSA_lilS7_lPT3_lil
	.p2align	8
	.type	_ZL22rocblas_gemvtsm_kernelILb1ELi256EPK16rocblas_bfloat16PKfKPfEviiT2_lPKT1_lilSA_lilS7_lPT3_lil,@function
_ZL22rocblas_gemvtsm_kernelILb1ELi256EPK16rocblas_bfloat16PKfKPfEviiT2_lPKT1_lilSA_lilS7_lPT3_lil: ; @_ZL22rocblas_gemvtsm_kernelILb1ELi256EPK16rocblas_bfloat16PKfKPfEviiT2_lPKT1_lilSA_lilS7_lPT3_lil
; %bb.0:
	s_load_dwordx8 s[12:19], s[0:1], 0x8
	s_load_dwordx8 s[4:11], s[0:1], 0x58
	s_waitcnt lgkmcnt(0)
	s_mul_i32 s3, s2, s15
	s_mul_hi_u32 s15, s2, s14
	s_add_i32 s15, s15, s3
	s_mul_i32 s14, s2, s14
	s_lshl_b64 s[14:15], s[14:15], 2
	s_add_u32 s12, s12, s14
	s_mul_i32 s3, s2, s7
	s_mul_hi_u32 s7, s2, s6
	s_addc_u32 s13, s13, s15
	s_add_i32 s7, s7, s3
	s_mul_i32 s6, s2, s6
	s_lshl_b64 s[6:7], s[6:7], 2
	s_add_u32 s4, s4, s6
	s_addc_u32 s5, s5, s7
	s_load_dword s25, s[12:13], 0x0
	s_load_dword s24, s[4:5], 0x0
	s_waitcnt lgkmcnt(0)
	v_cmp_eq_f32_e64 s[22:23], s25, 0
	v_cmp_eq_f32_e64 s[4:5], s24, 1.0
	s_and_b64 s[4:5], s[22:23], s[4:5]
	s_and_b64 vcc, exec, s[4:5]
	s_cbranch_vccnz .LBB688_62
; %bb.1:
	s_mov_b32 s3, 0
	v_cmp_neq_f32_e64 s[6:7], s25, 0
	s_mov_b64 s[20:21], 0
	s_and_b64 vcc, exec, s[22:23]
	s_mov_b64 s[4:5], 0
	s_cbranch_vccnz .LBB688_3
; %bb.2:
	s_lshl_b64 s[4:5], s[2:3], 3
	s_add_u32 s4, s16, s4
	s_addc_u32 s5, s17, s5
	s_load_dwordx2 s[4:5], s[4:5], 0x0
	s_lshl_b64 s[12:13], s[18:19], 1
	s_waitcnt lgkmcnt(0)
	s_add_u32 s4, s4, s12
	s_addc_u32 s5, s5, s13
.LBB688_3:
	s_andn2_b64 vcc, exec, s[6:7]
	s_cbranch_vccnz .LBB688_5
; %bb.4:
	s_load_dwordx4 s[12:15], s[0:1], 0x38
	s_lshl_b64 s[6:7], s[2:3], 3
	s_waitcnt lgkmcnt(0)
	s_add_u32 s6, s12, s6
	s_addc_u32 s7, s13, s7
	s_load_dwordx2 s[6:7], s[6:7], 0x0
	s_lshl_b64 s[12:13], s[14:15], 1
	s_waitcnt lgkmcnt(0)
	s_add_u32 s20, s6, s12
	s_addc_u32 s21, s7, s13
.LBB688_5:
	s_lshl_b64 s[2:3], s[2:3], 3
	s_add_u32 s2, s8, s2
	s_addc_u32 s3, s9, s3
	s_load_dwordx2 s[12:13], s[0:1], 0x0
	s_load_dword s14, s[0:1], 0x78
	s_load_dwordx2 s[6:7], s[2:3], 0x0
	s_andn2_b64 vcc, exec, s[22:23]
	s_mov_b64 s[2:3], -1
	s_cbranch_vccnz .LBB688_20
; %bb.6:
	s_waitcnt lgkmcnt(0)
	s_cmp_gt_i32 s13, 0
	s_cselect_b64 s[8:9], -1, 0
	v_cmp_neq_f32_e64 s[2:3], s24, 0
	v_cndmask_b32_e64 v1, 0, 1, s[8:9]
	s_and_b64 vcc, exec, s[2:3]
	v_cmp_ne_u32_e64 s[2:3], 1, v1
	s_cbranch_vccnz .LBB688_13
; %bb.7:
	s_and_b64 vcc, exec, s[2:3]
	s_cbranch_vccnz .LBB688_12
; %bb.8:
	v_mad_i64_i32 v[2:3], s[8:9], s14, v0, 0
	s_ashr_i32 s15, s14, 31
	s_lshl_b64 s[8:9], s[10:11], 2
	s_add_u32 s8, s6, s8
	s_addc_u32 s9, s7, s9
	v_lshl_add_u64 v[2:3], v[2:3], 2, s[8:9]
	s_lshl_b64 s[8:9], s[14:15], 10
	s_mov_b32 s15, 0
	v_mov_b32_e32 v1, 0
	s_branch .LBB688_10
.LBB688_9:                              ;   in Loop: Header=BB688_10 Depth=1
	s_or_b64 exec, exec, s[16:17]
	s_addk_i32 s15, 0x100
	s_cmp_ge_i32 s15, s13
	v_lshl_add_u64 v[2:3], v[2:3], 0, s[8:9]
	s_cbranch_scc1 .LBB688_12
.LBB688_10:                             ; =>This Inner Loop Header: Depth=1
	v_add_u32_e32 v4, s15, v0
	v_cmp_gt_i32_e32 vcc, s13, v4
	s_and_saveexec_b64 s[16:17], vcc
	s_cbranch_execz .LBB688_9
; %bb.11:                               ;   in Loop: Header=BB688_10 Depth=1
	global_store_dword v[2:3], v1, off
	s_branch .LBB688_9
.LBB688_12:
	s_cbranch_execz .LBB688_14
	s_branch .LBB688_19
.LBB688_13:
.LBB688_14:
	s_and_b64 vcc, exec, s[2:3]
	s_cbranch_vccnz .LBB688_19
; %bb.15:
	v_mad_i64_i32 v[2:3], s[2:3], s14, v0, 0
	s_ashr_i32 s15, s14, 31
	s_lshl_b64 s[2:3], s[10:11], 2
	s_add_u32 s2, s6, s2
	s_addc_u32 s3, s7, s3
	v_lshl_add_u64 v[2:3], v[2:3], 2, s[2:3]
	s_lshl_b64 s[2:3], s[14:15], 10
	s_mov_b32 s15, 0
	s_branch .LBB688_17
.LBB688_16:                             ;   in Loop: Header=BB688_17 Depth=1
	s_or_b64 exec, exec, s[8:9]
	s_addk_i32 s15, 0x100
	s_cmp_ge_i32 s15, s13
	v_lshl_add_u64 v[2:3], v[2:3], 0, s[2:3]
	s_cbranch_scc1 .LBB688_19
.LBB688_17:                             ; =>This Inner Loop Header: Depth=1
	v_add_u32_e32 v1, s15, v0
	v_cmp_gt_i32_e32 vcc, s13, v1
	s_and_saveexec_b64 s[8:9], vcc
	s_cbranch_execz .LBB688_16
; %bb.18:                               ;   in Loop: Header=BB688_17 Depth=1
	global_load_dword v1, v[2:3], off
	s_waitcnt vmcnt(0)
	v_mul_f32_e32 v1, s24, v1
	global_store_dword v[2:3], v1, off
	s_branch .LBB688_16
.LBB688_19:
	s_mov_b64 s[2:3], 0
.LBB688_20:
	s_andn2_b64 vcc, exec, s[2:3]
	s_cbranch_vccnz .LBB688_62
; %bb.21:
	s_waitcnt lgkmcnt(0)
	v_cmp_gt_i32_e32 vcc, s12, v0
	s_and_saveexec_b64 s[2:3], vcc
	s_cbranch_execz .LBB688_27
; %bb.22:
	s_load_dword s8, s[0:1], 0x48
	s_waitcnt lgkmcnt(0)
	v_mad_i64_i32 v[2:3], s[8:9], s8, v0, 0
	v_lshl_add_u64 v[2:3], v[2:3], 1, s[20:21]
	flat_load_ushort v1, v[2:3]
	s_mov_b32 s8, 0x7f800000
	s_waitcnt vmcnt(0) lgkmcnt(0)
	v_lshlrev_b32_e32 v1, 16, v1
	v_mul_f32_e32 v1, s25, v1
	v_and_b32_e32 v2, 0x7f800000, v1
	v_cmp_ne_u32_e32 vcc, s8, v2
                                        ; implicit-def: $vgpr2
	s_and_saveexec_b64 s[8:9], vcc
	s_xor_b64 s[8:9], exec, s[8:9]
; %bb.23:
	v_bfe_u32 v2, v1, 16, 1
	s_movk_i32 s15, 0x7fff
	v_add3_u32 v2, v1, v2, s15
                                        ; implicit-def: $vgpr1
; %bb.24:
	s_andn2_saveexec_b64 s[8:9], s[8:9]
; %bb.25:
	v_mov_b32_e32 v2, 0
	v_or_b32_e32 v3, 0x10000, v1
	v_cmp_eq_u32_sdwa vcc, v1, v2 src0_sel:WORD_0 src1_sel:DWORD
	s_nop 1
	v_cndmask_b32_e32 v2, v3, v1, vcc
; %bb.26:
	s_or_b64 exec, exec, s[8:9]
	v_and_b32_e32 v1, 0xffff0000, v2
	v_lshlrev_b32_e32 v2, 2, v0
	ds_write_b32 v2, v1
.LBB688_27:
	s_or_b64 exec, exec, s[2:3]
	s_cmp_lt_i32 s13, 1
	s_waitcnt lgkmcnt(0)
	s_barrier
	s_cbranch_scc1 .LBB688_62
; %bb.28:
	s_load_dword s0, s[0:1], 0x28
	s_lshl_b64 s[2:3], s[10:11], 2
	s_add_u32 s8, s6, s2
	s_addc_u32 s9, s7, s3
	s_ashr_i32 s15, s14, 31
	s_waitcnt lgkmcnt(0)
	s_ashr_i32 s1, s0, 31
	s_cmp_gt_i32 s12, 0
	s_cselect_b64 s[2:3], -1, 0
	s_and_b32 s22, s12, 3
	s_cmp_gt_u32 s12, 3
	s_cselect_b64 s[6:7], -1, 0
	s_and_b32 s12, s12, 0x7ffffffc
	s_cmp_lg_u32 s22, 0
	v_mad_i64_i32 v[2:3], s[16:17], s0, v0, 0
	s_cselect_b64 s[18:19], -1, 0
	s_lshl_b64 s[16:17], s[0:1], 9
	v_cmp_neq_f32_e64 s[0:1], s24, 0
	v_lshl_add_u64 v[2:3], v[2:3], 1, s[4:5]
	s_mov_b32 s11, 0
	v_cndmask_b32_e64 v1, 0, 1, s[0:1]
	v_cmp_ne_u32_e64 s[0:1], 1, v1
	v_cndmask_b32_e64 v1, 0, 1, s[2:3]
	v_cmp_ne_u32_e64 s[2:3], 1, v1
	;; [unrolled: 2-line block ×3, first 2 shown]
	v_cndmask_b32_e64 v1, 0, 1, s[18:19]
	s_mov_b32 s23, 0x7f800000
	s_movk_i32 s25, 0x7fff
	v_cmp_ne_u32_e64 s[6:7], 1, v1
	v_mov_b32_e32 v1, 0
	s_mov_b32 s26, 0
	s_branch .LBB688_31
.LBB688_29:                             ;   in Loop: Header=BB688_31 Depth=1
	global_store_dword v[4:5], v8, off
.LBB688_30:                             ;   in Loop: Header=BB688_31 Depth=1
	s_or_b64 exec, exec, s[18:19]
	s_addk_i32 s26, 0x100
	s_cmp_ge_i32 s26, s13
	v_lshl_add_u64 v[2:3], v[2:3], 0, s[16:17]
	s_cbranch_scc1 .LBB688_62
.LBB688_31:                             ; =>This Loop Header: Depth=1
                                        ;     Child Loop BB688_38 Depth 2
                                        ;     Child Loop BB688_58 Depth 2
	v_add_u32_e32 v4, s26, v0
	v_cmp_gt_i32_e32 vcc, s13, v4
	s_and_saveexec_b64 s[18:19], vcc
	s_cbranch_execz .LBB688_30
; %bb.32:                               ;   in Loop: Header=BB688_31 Depth=1
	v_mad_u64_u32 v[6:7], s[20:21], v4, s14, 0
	v_mov_b32_e32 v8, v7
	v_mad_u64_u32 v[4:5], s[20:21], v4, s15, v[8:9]
	v_mov_b32_e32 v7, v4
	s_and_b64 vcc, exec, s[0:1]
	v_lshl_add_u64 v[4:5], v[6:7], 2, s[8:9]
	s_cbranch_vccnz .LBB688_34
; %bb.33:                               ;   in Loop: Header=BB688_31 Depth=1
	global_load_dword v6, v[4:5], off
	s_waitcnt vmcnt(0)
	v_mul_f32_e32 v8, s24, v6
	s_and_b64 vcc, exec, s[2:3]
	s_cbranch_vccz .LBB688_35
	s_branch .LBB688_29
.LBB688_34:                             ;   in Loop: Header=BB688_31 Depth=1
	v_mov_b32_e32 v8, 0
	s_and_b64 vcc, exec, s[2:3]
	s_cbranch_vccnz .LBB688_29
.LBB688_35:                             ;   in Loop: Header=BB688_31 Depth=1
	s_mov_b32 s10, 0
	s_and_b64 vcc, exec, s[4:5]
	s_cbranch_vccnz .LBB688_55
; %bb.36:                               ;   in Loop: Header=BB688_31 Depth=1
	s_mov_b32 s27, 0
	v_mov_b64_e32 v[6:7], v[2:3]
	s_branch .LBB688_38
.LBB688_37:                             ;   in Loop: Header=BB688_38 Depth=2
	s_or_b64 exec, exec, s[20:21]
	v_and_b32_e32 v9, 0xffff0000, v9
	v_add_f32_e32 v8, v8, v9
	v_and_b32_e32 v9, 0xffff0000, v10
	v_add_f32_e32 v8, v8, v9
	;; [unrolled: 2-line block ×3, first 2 shown]
	v_and_b32_e32 v9, 0xffff0000, v12
	s_add_i32 s27, s27, 4
	s_add_i32 s10, s10, 16
	v_add_f32_e32 v8, v8, v9
	s_cmp_eq_u32 s12, s27
	v_lshl_add_u64 v[6:7], v[6:7], 0, 8
	s_cbranch_scc1 .LBB688_54
.LBB688_38:                             ;   Parent Loop BB688_31 Depth=1
                                        ; =>  This Inner Loop Header: Depth=2
	flat_load_ushort v9, v[6:7]
	v_mov_b32_e32 v10, s10
	ds_read_b32 v10, v10
	s_waitcnt vmcnt(0) lgkmcnt(0)
	v_lshlrev_b32_e32 v9, 16, v9
	v_mul_f32_e32 v10, v10, v9
	v_and_b32_e32 v9, 0x7f800000, v10
	v_cmp_ne_u32_e32 vcc, s23, v9
                                        ; implicit-def: $vgpr9
	s_and_saveexec_b64 s[20:21], vcc
	s_xor_b64 s[20:21], exec, s[20:21]
; %bb.39:                               ;   in Loop: Header=BB688_38 Depth=2
	v_bfe_u32 v9, v10, 16, 1
	v_add3_u32 v9, v10, v9, s25
                                        ; implicit-def: $vgpr10
; %bb.40:                               ;   in Loop: Header=BB688_38 Depth=2
	s_andn2_saveexec_b64 s[20:21], s[20:21]
; %bb.41:                               ;   in Loop: Header=BB688_38 Depth=2
	v_or_b32_e32 v9, 0x10000, v10
	v_cmp_eq_u32_sdwa vcc, v10, v1 src0_sel:WORD_0 src1_sel:DWORD
	s_nop 1
	v_cndmask_b32_e32 v9, v9, v10, vcc
; %bb.42:                               ;   in Loop: Header=BB688_38 Depth=2
	s_or_b64 exec, exec, s[20:21]
	flat_load_ushort v10, v[6:7] offset:2
	v_mov_b32_e32 v11, s10
	ds_read_b32 v11, v11 offset:4
	s_waitcnt vmcnt(0) lgkmcnt(0)
	v_lshlrev_b32_e32 v10, 16, v10
	v_mul_f32_e32 v11, v11, v10
	v_and_b32_e32 v10, 0x7f800000, v11
	v_cmp_ne_u32_e32 vcc, s23, v10
                                        ; implicit-def: $vgpr10
	s_and_saveexec_b64 s[20:21], vcc
	s_xor_b64 s[20:21], exec, s[20:21]
; %bb.43:                               ;   in Loop: Header=BB688_38 Depth=2
	v_bfe_u32 v10, v11, 16, 1
	v_add3_u32 v10, v11, v10, s25
                                        ; implicit-def: $vgpr11
; %bb.44:                               ;   in Loop: Header=BB688_38 Depth=2
	s_andn2_saveexec_b64 s[20:21], s[20:21]
; %bb.45:                               ;   in Loop: Header=BB688_38 Depth=2
	v_or_b32_e32 v10, 0x10000, v11
	v_cmp_eq_u32_sdwa vcc, v11, v1 src0_sel:WORD_0 src1_sel:DWORD
	s_nop 1
	v_cndmask_b32_e32 v10, v10, v11, vcc
; %bb.46:                               ;   in Loop: Header=BB688_38 Depth=2
	s_or_b64 exec, exec, s[20:21]
	flat_load_ushort v11, v[6:7] offset:4
	v_mov_b32_e32 v12, s10
	ds_read_b32 v12, v12 offset:8
	s_waitcnt vmcnt(0) lgkmcnt(0)
	v_lshlrev_b32_e32 v11, 16, v11
	v_mul_f32_e32 v12, v12, v11
	v_and_b32_e32 v11, 0x7f800000, v12
	v_cmp_ne_u32_e32 vcc, s23, v11
                                        ; implicit-def: $vgpr11
	s_and_saveexec_b64 s[20:21], vcc
	s_xor_b64 s[20:21], exec, s[20:21]
; %bb.47:                               ;   in Loop: Header=BB688_38 Depth=2
	v_bfe_u32 v11, v12, 16, 1
	v_add3_u32 v11, v12, v11, s25
                                        ; implicit-def: $vgpr12
; %bb.48:                               ;   in Loop: Header=BB688_38 Depth=2
	s_andn2_saveexec_b64 s[20:21], s[20:21]
; %bb.49:                               ;   in Loop: Header=BB688_38 Depth=2
	v_or_b32_e32 v11, 0x10000, v12
	v_cmp_eq_u32_sdwa vcc, v12, v1 src0_sel:WORD_0 src1_sel:DWORD
	s_nop 1
	v_cndmask_b32_e32 v11, v11, v12, vcc
; %bb.50:                               ;   in Loop: Header=BB688_38 Depth=2
	s_or_b64 exec, exec, s[20:21]
	flat_load_ushort v12, v[6:7] offset:6
	v_mov_b32_e32 v13, s10
	ds_read_b32 v13, v13 offset:12
	s_waitcnt vmcnt(0) lgkmcnt(0)
	v_lshlrev_b32_e32 v12, 16, v12
	v_mul_f32_e32 v13, v13, v12
	v_and_b32_e32 v12, 0x7f800000, v13
	v_cmp_ne_u32_e32 vcc, s23, v12
                                        ; implicit-def: $vgpr12
	s_and_saveexec_b64 s[20:21], vcc
	s_xor_b64 s[20:21], exec, s[20:21]
; %bb.51:                               ;   in Loop: Header=BB688_38 Depth=2
	v_bfe_u32 v12, v13, 16, 1
	v_add3_u32 v12, v13, v12, s25
                                        ; implicit-def: $vgpr13
; %bb.52:                               ;   in Loop: Header=BB688_38 Depth=2
	s_andn2_saveexec_b64 s[20:21], s[20:21]
	s_cbranch_execz .LBB688_37
; %bb.53:                               ;   in Loop: Header=BB688_38 Depth=2
	v_or_b32_e32 v12, 0x10000, v13
	v_cmp_eq_u32_sdwa vcc, v13, v1 src0_sel:WORD_0 src1_sel:DWORD
	s_nop 1
	v_cndmask_b32_e32 v12, v12, v13, vcc
	s_branch .LBB688_37
.LBB688_54:                             ;   in Loop: Header=BB688_31 Depth=1
	s_mov_b32 s10, s12
.LBB688_55:                             ;   in Loop: Header=BB688_31 Depth=1
	s_and_b64 vcc, exec, s[6:7]
	s_cbranch_vccnz .LBB688_29
; %bb.56:                               ;   in Loop: Header=BB688_31 Depth=1
	s_lshl_b32 s27, s10, 2
	s_lshl_b32 s10, s10, 1
	v_lshl_add_u64 v[6:7], v[2:3], 0, s[10:11]
	s_mov_b32 s10, s22
	s_branch .LBB688_58
.LBB688_57:                             ;   in Loop: Header=BB688_58 Depth=2
	s_or_b64 exec, exec, s[20:21]
	v_and_b32_e32 v9, 0xffff0000, v10
	s_add_i32 s27, s27, 4
	s_add_i32 s10, s10, -1
	v_add_f32_e32 v8, v8, v9
	s_cmp_lg_u32 s10, 0
	v_lshl_add_u64 v[6:7], v[6:7], 0, 2
	s_cbranch_scc0 .LBB688_29
.LBB688_58:                             ;   Parent Loop BB688_31 Depth=1
                                        ; =>  This Inner Loop Header: Depth=2
	flat_load_ushort v9, v[6:7]
	v_mov_b32_e32 v10, s27
	ds_read_b32 v10, v10
	s_waitcnt vmcnt(0) lgkmcnt(0)
	v_lshlrev_b32_e32 v9, 16, v9
	v_mul_f32_e32 v9, v10, v9
	v_and_b32_e32 v10, 0x7f800000, v9
	v_cmp_ne_u32_e32 vcc, s23, v10
                                        ; implicit-def: $vgpr10
	s_and_saveexec_b64 s[20:21], vcc
	s_xor_b64 s[20:21], exec, s[20:21]
; %bb.59:                               ;   in Loop: Header=BB688_58 Depth=2
	v_bfe_u32 v10, v9, 16, 1
	v_add3_u32 v10, v9, v10, s25
                                        ; implicit-def: $vgpr9
; %bb.60:                               ;   in Loop: Header=BB688_58 Depth=2
	s_andn2_saveexec_b64 s[20:21], s[20:21]
	s_cbranch_execz .LBB688_57
; %bb.61:                               ;   in Loop: Header=BB688_58 Depth=2
	v_or_b32_e32 v10, 0x10000, v9
	v_cmp_eq_u32_sdwa vcc, v9, v1 src0_sel:WORD_0 src1_sel:DWORD
	s_nop 1
	v_cndmask_b32_e32 v10, v10, v9, vcc
	s_branch .LBB688_57
.LBB688_62:
	s_endpgm
	.section	.rodata,"a",@progbits
	.p2align	6, 0x0
	.amdhsa_kernel _ZL22rocblas_gemvtsm_kernelILb1ELi256EPK16rocblas_bfloat16PKfKPfEviiT2_lPKT1_lilSA_lilS7_lPT3_lil
		.amdhsa_group_segment_fixed_size 256
		.amdhsa_private_segment_fixed_size 0
		.amdhsa_kernarg_size 136
		.amdhsa_user_sgpr_count 2
		.amdhsa_user_sgpr_dispatch_ptr 0
		.amdhsa_user_sgpr_queue_ptr 0
		.amdhsa_user_sgpr_kernarg_segment_ptr 1
		.amdhsa_user_sgpr_dispatch_id 0
		.amdhsa_user_sgpr_kernarg_preload_length 0
		.amdhsa_user_sgpr_kernarg_preload_offset 0
		.amdhsa_user_sgpr_private_segment_size 0
		.amdhsa_uses_dynamic_stack 0
		.amdhsa_enable_private_segment 0
		.amdhsa_system_sgpr_workgroup_id_x 1
		.amdhsa_system_sgpr_workgroup_id_y 0
		.amdhsa_system_sgpr_workgroup_id_z 0
		.amdhsa_system_sgpr_workgroup_info 0
		.amdhsa_system_vgpr_workitem_id 0
		.amdhsa_next_free_vgpr 14
		.amdhsa_next_free_sgpr 28
		.amdhsa_accum_offset 16
		.amdhsa_reserve_vcc 1
		.amdhsa_float_round_mode_32 0
		.amdhsa_float_round_mode_16_64 0
		.amdhsa_float_denorm_mode_32 3
		.amdhsa_float_denorm_mode_16_64 3
		.amdhsa_dx10_clamp 1
		.amdhsa_ieee_mode 1
		.amdhsa_fp16_overflow 0
		.amdhsa_tg_split 0
		.amdhsa_exception_fp_ieee_invalid_op 0
		.amdhsa_exception_fp_denorm_src 0
		.amdhsa_exception_fp_ieee_div_zero 0
		.amdhsa_exception_fp_ieee_overflow 0
		.amdhsa_exception_fp_ieee_underflow 0
		.amdhsa_exception_fp_ieee_inexact 0
		.amdhsa_exception_int_div_zero 0
	.end_amdhsa_kernel
	.section	.text._ZL22rocblas_gemvtsm_kernelILb1ELi256EPK16rocblas_bfloat16PKfKPfEviiT2_lPKT1_lilSA_lilS7_lPT3_lil,"axG",@progbits,_ZL22rocblas_gemvtsm_kernelILb1ELi256EPK16rocblas_bfloat16PKfKPfEviiT2_lPKT1_lilSA_lilS7_lPT3_lil,comdat
.Lfunc_end688:
	.size	_ZL22rocblas_gemvtsm_kernelILb1ELi256EPK16rocblas_bfloat16PKfKPfEviiT2_lPKT1_lilSA_lilS7_lPT3_lil, .Lfunc_end688-_ZL22rocblas_gemvtsm_kernelILb1ELi256EPK16rocblas_bfloat16PKfKPfEviiT2_lPKT1_lilSA_lilS7_lPT3_lil
                                        ; -- End function
	.section	.AMDGPU.csdata,"",@progbits
; Kernel info:
; codeLenInByte = 1776
; NumSgprs: 34
; NumVgprs: 14
; NumAgprs: 0
; TotalNumVgprs: 14
; ScratchSize: 0
; MemoryBound: 0
; FloatMode: 240
; IeeeMode: 1
; LDSByteSize: 256 bytes/workgroup (compile time only)
; SGPRBlocks: 4
; VGPRBlocks: 1
; NumSGPRsForWavesPerEU: 34
; NumVGPRsForWavesPerEU: 14
; AccumOffset: 16
; Occupancy: 8
; WaveLimiterHint : 1
; COMPUTE_PGM_RSRC2:SCRATCH_EN: 0
; COMPUTE_PGM_RSRC2:USER_SGPR: 2
; COMPUTE_PGM_RSRC2:TRAP_HANDLER: 0
; COMPUTE_PGM_RSRC2:TGID_X_EN: 1
; COMPUTE_PGM_RSRC2:TGID_Y_EN: 0
; COMPUTE_PGM_RSRC2:TGID_Z_EN: 0
; COMPUTE_PGM_RSRC2:TIDIG_COMP_CNT: 0
; COMPUTE_PGM_RSRC3_GFX90A:ACCUM_OFFSET: 3
; COMPUTE_PGM_RSRC3_GFX90A:TG_SPLIT: 0
	.section	.text._ZL22rocblas_gemvtsm_kernelILb1ELi256EPK16rocblas_bfloat16fKPfEviiT2_lPKT1_lilS8_lilS5_lPT3_lil,"axG",@progbits,_ZL22rocblas_gemvtsm_kernelILb1ELi256EPK16rocblas_bfloat16fKPfEviiT2_lPKT1_lilS8_lilS5_lPT3_lil,comdat
	.globl	_ZL22rocblas_gemvtsm_kernelILb1ELi256EPK16rocblas_bfloat16fKPfEviiT2_lPKT1_lilS8_lilS5_lPT3_lil ; -- Begin function _ZL22rocblas_gemvtsm_kernelILb1ELi256EPK16rocblas_bfloat16fKPfEviiT2_lPKT1_lilS8_lilS5_lPT3_lil
	.p2align	8
	.type	_ZL22rocblas_gemvtsm_kernelILb1ELi256EPK16rocblas_bfloat16fKPfEviiT2_lPKT1_lilS8_lilS5_lPT3_lil,@function
_ZL22rocblas_gemvtsm_kernelILb1ELi256EPK16rocblas_bfloat16fKPfEviiT2_lPKT1_lilS8_lilS5_lPT3_lil: ; @_ZL22rocblas_gemvtsm_kernelILb1ELi256EPK16rocblas_bfloat16fKPfEviiT2_lPKT1_lilS8_lilS5_lPT3_lil
; %bb.0:
	s_load_dwordx4 s[8:11], s[0:1], 0x0
	s_load_dword s22, s[0:1], 0x58
	s_waitcnt lgkmcnt(0)
	v_cmp_eq_f32_e64 s[18:19], s10, 0
	v_cmp_eq_f32_e64 s[4:5], s22, 1.0
	s_and_b64 s[4:5], s[18:19], s[4:5]
	s_and_b64 vcc, exec, s[4:5]
	s_cbranch_vccnz .LBB689_65
; %bb.1:
	v_cmp_neq_f32_e64 s[4:5], s10, 0
	s_mov_b32 s3, 0
	s_and_b64 vcc, exec, s[4:5]
	s_cbranch_vccnz .LBB689_3
; %bb.2:
	s_mov_b64 s[16:17], 0
	s_cbranch_execz .LBB689_4
	s_branch .LBB689_5
.LBB689_3:
                                        ; implicit-def: $sgpr16_sgpr17
.LBB689_4:
	s_load_dwordx4 s[12:15], s[0:1], 0x18
	s_lshl_b64 s[6:7], s[2:3], 3
	s_waitcnt lgkmcnt(0)
	s_add_u32 s6, s12, s6
	s_addc_u32 s7, s13, s7
	s_load_dwordx2 s[6:7], s[6:7], 0x0
	s_lshl_b64 s[12:13], s[14:15], 1
	s_waitcnt lgkmcnt(0)
	s_add_u32 s16, s6, s12
	s_addc_u32 s17, s7, s13
.LBB689_5:
	s_andn2_b64 vcc, exec, s[4:5]
	s_cbranch_vccnz .LBB689_7
; %bb.6:
	s_load_dwordx4 s[4:7], s[0:1], 0x38
	s_lshl_b64 s[12:13], s[2:3], 3
	s_waitcnt lgkmcnt(0)
	s_add_u32 s4, s4, s12
	s_addc_u32 s5, s5, s13
	s_load_dwordx2 s[4:5], s[4:5], 0x0
	s_lshl_b64 s[6:7], s[6:7], 1
	s_waitcnt lgkmcnt(0)
	s_add_u32 s14, s4, s6
	s_addc_u32 s15, s5, s7
	s_branch .LBB689_8
.LBB689_7:
	s_mov_b64 s[14:15], 0
.LBB689_8:
	s_load_dwordx4 s[4:7], s[0:1], 0x68
	s_load_dword s12, s[0:1], 0x78
	s_lshl_b64 s[2:3], s[2:3], 3
	s_waitcnt lgkmcnt(0)
	s_add_u32 s2, s4, s2
	s_addc_u32 s3, s5, s3
	s_load_dwordx2 s[4:5], s[2:3], 0x0
	s_andn2_b64 vcc, exec, s[18:19]
	s_mov_b64 s[2:3], -1
	s_cbranch_vccnz .LBB689_23
; %bb.9:
	s_cmp_gt_i32 s9, 0
	s_cselect_b64 s[18:19], -1, 0
	v_cmp_neq_f32_e64 s[2:3], s22, 0
	v_cndmask_b32_e64 v1, 0, 1, s[18:19]
	s_and_b64 vcc, exec, s[2:3]
	v_cmp_ne_u32_e64 s[2:3], 1, v1
	s_cbranch_vccnz .LBB689_16
; %bb.10:
	s_and_b64 vcc, exec, s[2:3]
	s_cbranch_vccnz .LBB689_15
; %bb.11:
	v_mad_i64_i32 v[2:3], s[18:19], s12, v0, 0
	s_ashr_i32 s13, s12, 31
	s_lshl_b64 s[18:19], s[6:7], 2
	s_waitcnt lgkmcnt(0)
	s_add_u32 s18, s4, s18
	s_addc_u32 s19, s5, s19
	v_lshl_add_u64 v[2:3], v[2:3], 2, s[18:19]
	s_lshl_b64 s[18:19], s[12:13], 10
	s_mov_b32 s11, 0
	v_mov_b32_e32 v1, 0
	s_branch .LBB689_13
.LBB689_12:                             ;   in Loop: Header=BB689_13 Depth=1
	s_or_b64 exec, exec, s[20:21]
	s_addk_i32 s11, 0x100
	s_cmp_ge_i32 s11, s9
	v_lshl_add_u64 v[2:3], v[2:3], 0, s[18:19]
	s_cbranch_scc1 .LBB689_15
.LBB689_13:                             ; =>This Inner Loop Header: Depth=1
	v_add_u32_e32 v4, s11, v0
	v_cmp_gt_i32_e32 vcc, s9, v4
	s_and_saveexec_b64 s[20:21], vcc
	s_cbranch_execz .LBB689_12
; %bb.14:                               ;   in Loop: Header=BB689_13 Depth=1
	global_store_dword v[2:3], v1, off
	s_branch .LBB689_12
.LBB689_15:
	s_cbranch_execz .LBB689_17
	s_branch .LBB689_22
.LBB689_16:
.LBB689_17:
	s_and_b64 vcc, exec, s[2:3]
	s_cbranch_vccnz .LBB689_22
; %bb.18:
	v_mad_i64_i32 v[2:3], s[2:3], s12, v0, 0
	s_ashr_i32 s13, s12, 31
	s_lshl_b64 s[2:3], s[6:7], 2
	s_waitcnt lgkmcnt(0)
	s_add_u32 s2, s4, s2
	s_addc_u32 s3, s5, s3
	v_lshl_add_u64 v[2:3], v[2:3], 2, s[2:3]
	s_lshl_b64 s[2:3], s[12:13], 10
	s_mov_b32 s11, 0
	s_branch .LBB689_20
.LBB689_19:                             ;   in Loop: Header=BB689_20 Depth=1
	s_or_b64 exec, exec, s[18:19]
	s_addk_i32 s11, 0x100
	s_cmp_ge_i32 s11, s9
	v_lshl_add_u64 v[2:3], v[2:3], 0, s[2:3]
	s_cbranch_scc1 .LBB689_22
.LBB689_20:                             ; =>This Inner Loop Header: Depth=1
	v_add_u32_e32 v1, s11, v0
	v_cmp_gt_i32_e32 vcc, s9, v1
	s_and_saveexec_b64 s[18:19], vcc
	s_cbranch_execz .LBB689_19
; %bb.21:                               ;   in Loop: Header=BB689_20 Depth=1
	global_load_dword v1, v[2:3], off
	s_waitcnt vmcnt(0)
	v_mul_f32_e32 v1, s22, v1
	global_store_dword v[2:3], v1, off
	s_branch .LBB689_19
.LBB689_22:
	s_mov_b64 s[2:3], 0
.LBB689_23:
	s_andn2_b64 vcc, exec, s[2:3]
	s_cbranch_vccnz .LBB689_65
; %bb.24:
	v_cmp_gt_i32_e32 vcc, s8, v0
	s_and_saveexec_b64 s[2:3], vcc
	s_cbranch_execz .LBB689_30
; %bb.25:
	s_load_dword s11, s[0:1], 0x48
	s_waitcnt lgkmcnt(0)
	v_mad_i64_i32 v[2:3], s[18:19], s11, v0, 0
	v_lshl_add_u64 v[2:3], v[2:3], 1, s[14:15]
	flat_load_ushort v1, v[2:3]
	s_waitcnt vmcnt(0) lgkmcnt(0)
	v_lshlrev_b32_e32 v1, 16, v1
	v_mul_f32_e32 v1, s10, v1
	s_mov_b32 s10, 0x7f800000
	v_and_b32_e32 v2, 0x7f800000, v1
	v_cmp_ne_u32_e32 vcc, s10, v2
                                        ; implicit-def: $vgpr2
	s_and_saveexec_b64 s[10:11], vcc
	s_xor_b64 s[10:11], exec, s[10:11]
; %bb.26:
	v_bfe_u32 v2, v1, 16, 1
	s_movk_i32 s13, 0x7fff
	v_add3_u32 v2, v1, v2, s13
                                        ; implicit-def: $vgpr1
; %bb.27:
	s_andn2_saveexec_b64 s[10:11], s[10:11]
; %bb.28:
	v_mov_b32_e32 v2, 0
	v_or_b32_e32 v3, 0x10000, v1
	v_cmp_eq_u32_sdwa vcc, v1, v2 src0_sel:WORD_0 src1_sel:DWORD
	s_nop 1
	v_cndmask_b32_e32 v2, v3, v1, vcc
; %bb.29:
	s_or_b64 exec, exec, s[10:11]
	v_and_b32_e32 v1, 0xffff0000, v2
	v_lshlrev_b32_e32 v2, 2, v0
	ds_write_b32 v2, v1
.LBB689_30:
	s_or_b64 exec, exec, s[2:3]
	s_cmp_lt_i32 s9, 1
	s_waitcnt lgkmcnt(0)
	s_barrier
	s_cbranch_scc1 .LBB689_65
; %bb.31:
	s_load_dword s0, s[0:1], 0x28
	s_lshl_b64 s[2:3], s[6:7], 2
	s_add_u32 s10, s4, s2
	s_addc_u32 s11, s5, s3
	s_ashr_i32 s13, s12, 31
	s_waitcnt lgkmcnt(0)
	s_ashr_i32 s1, s0, 31
	s_cmp_gt_i32 s8, 0
	s_cselect_b64 s[2:3], -1, 0
	s_and_b32 s23, s8, 3
	s_cmp_gt_u32 s8, 3
	s_cselect_b64 s[4:5], -1, 0
	s_and_b32 s8, s8, 0x7ffffffc
	s_cmp_lg_u32 s23, 0
	v_mad_i64_i32 v[2:3], s[18:19], s0, v0, 0
	s_cselect_b64 s[6:7], -1, 0
	v_lshl_add_u64 v[2:3], v[2:3], 1, s[16:17]
	s_lshl_b64 s[16:17], s[0:1], 9
	v_cmp_neq_f32_e64 s[0:1], s22, 0
	s_mov_b32 s15, 0
	s_mov_b32 s24, 0x7f800000
	v_cndmask_b32_e64 v1, 0, 1, s[0:1]
	v_cmp_ne_u32_e64 s[0:1], 1, v1
	v_cndmask_b32_e64 v1, 0, 1, s[2:3]
	v_cmp_ne_u32_e64 s[2:3], 1, v1
	;; [unrolled: 2-line block ×3, first 2 shown]
	v_cndmask_b32_e64 v1, 0, 1, s[6:7]
	s_movk_i32 s25, 0x7fff
	v_cmp_ne_u32_e64 s[6:7], 1, v1
	v_mov_b32_e32 v1, 0
	s_mov_b32 s26, 0
	s_branch .LBB689_34
.LBB689_32:                             ;   in Loop: Header=BB689_34 Depth=1
	global_store_dword v[4:5], v8, off
.LBB689_33:                             ;   in Loop: Header=BB689_34 Depth=1
	s_or_b64 exec, exec, s[18:19]
	s_addk_i32 s26, 0x100
	s_cmp_ge_i32 s26, s9
	v_lshl_add_u64 v[2:3], v[2:3], 0, s[16:17]
	s_cbranch_scc1 .LBB689_65
.LBB689_34:                             ; =>This Loop Header: Depth=1
                                        ;     Child Loop BB689_41 Depth 2
                                        ;     Child Loop BB689_61 Depth 2
	v_add_u32_e32 v4, s26, v0
	v_cmp_gt_i32_e32 vcc, s9, v4
	s_and_saveexec_b64 s[18:19], vcc
	s_cbranch_execz .LBB689_33
; %bb.35:                               ;   in Loop: Header=BB689_34 Depth=1
	v_mad_u64_u32 v[6:7], s[20:21], v4, s12, 0
	v_mov_b32_e32 v8, v7
	v_mad_u64_u32 v[4:5], s[20:21], v4, s13, v[8:9]
	v_mov_b32_e32 v7, v4
	s_and_b64 vcc, exec, s[0:1]
	v_lshl_add_u64 v[4:5], v[6:7], 2, s[10:11]
	s_cbranch_vccnz .LBB689_37
; %bb.36:                               ;   in Loop: Header=BB689_34 Depth=1
	global_load_dword v6, v[4:5], off
	s_waitcnt vmcnt(0)
	v_mul_f32_e32 v8, s22, v6
	s_and_b64 vcc, exec, s[2:3]
	s_cbranch_vccz .LBB689_38
	s_branch .LBB689_32
.LBB689_37:                             ;   in Loop: Header=BB689_34 Depth=1
	v_mov_b32_e32 v8, 0
	s_and_b64 vcc, exec, s[2:3]
	s_cbranch_vccnz .LBB689_32
.LBB689_38:                             ;   in Loop: Header=BB689_34 Depth=1
	s_mov_b32 s14, 0
	s_and_b64 vcc, exec, s[4:5]
	s_cbranch_vccnz .LBB689_58
; %bb.39:                               ;   in Loop: Header=BB689_34 Depth=1
	s_mov_b32 s27, 0
	v_mov_b64_e32 v[6:7], v[2:3]
	s_branch .LBB689_41
.LBB689_40:                             ;   in Loop: Header=BB689_41 Depth=2
	s_or_b64 exec, exec, s[20:21]
	v_and_b32_e32 v9, 0xffff0000, v9
	v_add_f32_e32 v8, v8, v9
	v_and_b32_e32 v9, 0xffff0000, v10
	v_add_f32_e32 v8, v8, v9
	;; [unrolled: 2-line block ×3, first 2 shown]
	v_and_b32_e32 v9, 0xffff0000, v12
	s_add_i32 s27, s27, 4
	s_add_i32 s14, s14, 16
	v_add_f32_e32 v8, v8, v9
	s_cmp_eq_u32 s8, s27
	v_lshl_add_u64 v[6:7], v[6:7], 0, 8
	s_cbranch_scc1 .LBB689_57
.LBB689_41:                             ;   Parent Loop BB689_34 Depth=1
                                        ; =>  This Inner Loop Header: Depth=2
	flat_load_ushort v9, v[6:7]
	v_mov_b32_e32 v10, s14
	ds_read_b32 v10, v10
	s_waitcnt vmcnt(0) lgkmcnt(0)
	v_lshlrev_b32_e32 v9, 16, v9
	v_mul_f32_e32 v10, v10, v9
	v_and_b32_e32 v9, 0x7f800000, v10
	v_cmp_ne_u32_e32 vcc, s24, v9
                                        ; implicit-def: $vgpr9
	s_and_saveexec_b64 s[20:21], vcc
	s_xor_b64 s[20:21], exec, s[20:21]
; %bb.42:                               ;   in Loop: Header=BB689_41 Depth=2
	v_bfe_u32 v9, v10, 16, 1
	v_add3_u32 v9, v10, v9, s25
                                        ; implicit-def: $vgpr10
; %bb.43:                               ;   in Loop: Header=BB689_41 Depth=2
	s_andn2_saveexec_b64 s[20:21], s[20:21]
; %bb.44:                               ;   in Loop: Header=BB689_41 Depth=2
	v_or_b32_e32 v9, 0x10000, v10
	v_cmp_eq_u32_sdwa vcc, v10, v1 src0_sel:WORD_0 src1_sel:DWORD
	s_nop 1
	v_cndmask_b32_e32 v9, v9, v10, vcc
; %bb.45:                               ;   in Loop: Header=BB689_41 Depth=2
	s_or_b64 exec, exec, s[20:21]
	flat_load_ushort v10, v[6:7] offset:2
	v_mov_b32_e32 v11, s14
	ds_read_b32 v11, v11 offset:4
	s_waitcnt vmcnt(0) lgkmcnt(0)
	v_lshlrev_b32_e32 v10, 16, v10
	v_mul_f32_e32 v11, v11, v10
	v_and_b32_e32 v10, 0x7f800000, v11
	v_cmp_ne_u32_e32 vcc, s24, v10
                                        ; implicit-def: $vgpr10
	s_and_saveexec_b64 s[20:21], vcc
	s_xor_b64 s[20:21], exec, s[20:21]
; %bb.46:                               ;   in Loop: Header=BB689_41 Depth=2
	v_bfe_u32 v10, v11, 16, 1
	v_add3_u32 v10, v11, v10, s25
                                        ; implicit-def: $vgpr11
; %bb.47:                               ;   in Loop: Header=BB689_41 Depth=2
	s_andn2_saveexec_b64 s[20:21], s[20:21]
; %bb.48:                               ;   in Loop: Header=BB689_41 Depth=2
	v_or_b32_e32 v10, 0x10000, v11
	v_cmp_eq_u32_sdwa vcc, v11, v1 src0_sel:WORD_0 src1_sel:DWORD
	s_nop 1
	v_cndmask_b32_e32 v10, v10, v11, vcc
; %bb.49:                               ;   in Loop: Header=BB689_41 Depth=2
	s_or_b64 exec, exec, s[20:21]
	flat_load_ushort v11, v[6:7] offset:4
	v_mov_b32_e32 v12, s14
	ds_read_b32 v12, v12 offset:8
	s_waitcnt vmcnt(0) lgkmcnt(0)
	v_lshlrev_b32_e32 v11, 16, v11
	v_mul_f32_e32 v12, v12, v11
	v_and_b32_e32 v11, 0x7f800000, v12
	v_cmp_ne_u32_e32 vcc, s24, v11
                                        ; implicit-def: $vgpr11
	s_and_saveexec_b64 s[20:21], vcc
	s_xor_b64 s[20:21], exec, s[20:21]
; %bb.50:                               ;   in Loop: Header=BB689_41 Depth=2
	v_bfe_u32 v11, v12, 16, 1
	v_add3_u32 v11, v12, v11, s25
                                        ; implicit-def: $vgpr12
; %bb.51:                               ;   in Loop: Header=BB689_41 Depth=2
	s_andn2_saveexec_b64 s[20:21], s[20:21]
; %bb.52:                               ;   in Loop: Header=BB689_41 Depth=2
	v_or_b32_e32 v11, 0x10000, v12
	v_cmp_eq_u32_sdwa vcc, v12, v1 src0_sel:WORD_0 src1_sel:DWORD
	s_nop 1
	v_cndmask_b32_e32 v11, v11, v12, vcc
; %bb.53:                               ;   in Loop: Header=BB689_41 Depth=2
	s_or_b64 exec, exec, s[20:21]
	flat_load_ushort v12, v[6:7] offset:6
	v_mov_b32_e32 v13, s14
	ds_read_b32 v13, v13 offset:12
	s_waitcnt vmcnt(0) lgkmcnt(0)
	v_lshlrev_b32_e32 v12, 16, v12
	v_mul_f32_e32 v13, v13, v12
	v_and_b32_e32 v12, 0x7f800000, v13
	v_cmp_ne_u32_e32 vcc, s24, v12
                                        ; implicit-def: $vgpr12
	s_and_saveexec_b64 s[20:21], vcc
	s_xor_b64 s[20:21], exec, s[20:21]
; %bb.54:                               ;   in Loop: Header=BB689_41 Depth=2
	v_bfe_u32 v12, v13, 16, 1
	v_add3_u32 v12, v13, v12, s25
                                        ; implicit-def: $vgpr13
; %bb.55:                               ;   in Loop: Header=BB689_41 Depth=2
	s_andn2_saveexec_b64 s[20:21], s[20:21]
	s_cbranch_execz .LBB689_40
; %bb.56:                               ;   in Loop: Header=BB689_41 Depth=2
	v_or_b32_e32 v12, 0x10000, v13
	v_cmp_eq_u32_sdwa vcc, v13, v1 src0_sel:WORD_0 src1_sel:DWORD
	s_nop 1
	v_cndmask_b32_e32 v12, v12, v13, vcc
	s_branch .LBB689_40
.LBB689_57:                             ;   in Loop: Header=BB689_34 Depth=1
	s_mov_b32 s14, s8
.LBB689_58:                             ;   in Loop: Header=BB689_34 Depth=1
	s_and_b64 vcc, exec, s[6:7]
	s_cbranch_vccnz .LBB689_32
; %bb.59:                               ;   in Loop: Header=BB689_34 Depth=1
	s_lshl_b32 s27, s14, 2
	s_lshl_b32 s14, s14, 1
	v_lshl_add_u64 v[6:7], v[2:3], 0, s[14:15]
	s_mov_b32 s14, s23
	s_branch .LBB689_61
.LBB689_60:                             ;   in Loop: Header=BB689_61 Depth=2
	s_or_b64 exec, exec, s[20:21]
	v_and_b32_e32 v9, 0xffff0000, v10
	s_add_i32 s27, s27, 4
	s_add_i32 s14, s14, -1
	v_add_f32_e32 v8, v8, v9
	s_cmp_lg_u32 s14, 0
	v_lshl_add_u64 v[6:7], v[6:7], 0, 2
	s_cbranch_scc0 .LBB689_32
.LBB689_61:                             ;   Parent Loop BB689_34 Depth=1
                                        ; =>  This Inner Loop Header: Depth=2
	flat_load_ushort v9, v[6:7]
	v_mov_b32_e32 v10, s27
	ds_read_b32 v10, v10
	s_waitcnt vmcnt(0) lgkmcnt(0)
	v_lshlrev_b32_e32 v9, 16, v9
	v_mul_f32_e32 v9, v10, v9
	v_and_b32_e32 v10, 0x7f800000, v9
	v_cmp_ne_u32_e32 vcc, s24, v10
                                        ; implicit-def: $vgpr10
	s_and_saveexec_b64 s[20:21], vcc
	s_xor_b64 s[20:21], exec, s[20:21]
; %bb.62:                               ;   in Loop: Header=BB689_61 Depth=2
	v_bfe_u32 v10, v9, 16, 1
	v_add3_u32 v10, v9, v10, s25
                                        ; implicit-def: $vgpr9
; %bb.63:                               ;   in Loop: Header=BB689_61 Depth=2
	s_andn2_saveexec_b64 s[20:21], s[20:21]
	s_cbranch_execz .LBB689_60
; %bb.64:                               ;   in Loop: Header=BB689_61 Depth=2
	v_or_b32_e32 v10, 0x10000, v9
	v_cmp_eq_u32_sdwa vcc, v9, v1 src0_sel:WORD_0 src1_sel:DWORD
	s_nop 1
	v_cndmask_b32_e32 v10, v10, v9, vcc
	s_branch .LBB689_60
.LBB689_65:
	s_endpgm
	.section	.rodata,"a",@progbits
	.p2align	6, 0x0
	.amdhsa_kernel _ZL22rocblas_gemvtsm_kernelILb1ELi256EPK16rocblas_bfloat16fKPfEviiT2_lPKT1_lilS8_lilS5_lPT3_lil
		.amdhsa_group_segment_fixed_size 256
		.amdhsa_private_segment_fixed_size 0
		.amdhsa_kernarg_size 136
		.amdhsa_user_sgpr_count 2
		.amdhsa_user_sgpr_dispatch_ptr 0
		.amdhsa_user_sgpr_queue_ptr 0
		.amdhsa_user_sgpr_kernarg_segment_ptr 1
		.amdhsa_user_sgpr_dispatch_id 0
		.amdhsa_user_sgpr_kernarg_preload_length 0
		.amdhsa_user_sgpr_kernarg_preload_offset 0
		.amdhsa_user_sgpr_private_segment_size 0
		.amdhsa_uses_dynamic_stack 0
		.amdhsa_enable_private_segment 0
		.amdhsa_system_sgpr_workgroup_id_x 1
		.amdhsa_system_sgpr_workgroup_id_y 0
		.amdhsa_system_sgpr_workgroup_id_z 0
		.amdhsa_system_sgpr_workgroup_info 0
		.amdhsa_system_vgpr_workitem_id 0
		.amdhsa_next_free_vgpr 14
		.amdhsa_next_free_sgpr 28
		.amdhsa_accum_offset 16
		.amdhsa_reserve_vcc 1
		.amdhsa_float_round_mode_32 0
		.amdhsa_float_round_mode_16_64 0
		.amdhsa_float_denorm_mode_32 3
		.amdhsa_float_denorm_mode_16_64 3
		.amdhsa_dx10_clamp 1
		.amdhsa_ieee_mode 1
		.amdhsa_fp16_overflow 0
		.amdhsa_tg_split 0
		.amdhsa_exception_fp_ieee_invalid_op 0
		.amdhsa_exception_fp_denorm_src 0
		.amdhsa_exception_fp_ieee_div_zero 0
		.amdhsa_exception_fp_ieee_overflow 0
		.amdhsa_exception_fp_ieee_underflow 0
		.amdhsa_exception_fp_ieee_inexact 0
		.amdhsa_exception_int_div_zero 0
	.end_amdhsa_kernel
	.section	.text._ZL22rocblas_gemvtsm_kernelILb1ELi256EPK16rocblas_bfloat16fKPfEviiT2_lPKT1_lilS8_lilS5_lPT3_lil,"axG",@progbits,_ZL22rocblas_gemvtsm_kernelILb1ELi256EPK16rocblas_bfloat16fKPfEviiT2_lPKT1_lilS8_lilS5_lPT3_lil,comdat
.Lfunc_end689:
	.size	_ZL22rocblas_gemvtsm_kernelILb1ELi256EPK16rocblas_bfloat16fKPfEviiT2_lPKT1_lilS8_lilS5_lPT3_lil, .Lfunc_end689-_ZL22rocblas_gemvtsm_kernelILb1ELi256EPK16rocblas_bfloat16fKPfEviiT2_lPKT1_lilS8_lilS5_lPT3_lil
                                        ; -- End function
	.section	.AMDGPU.csdata,"",@progbits
; Kernel info:
; codeLenInByte = 1728
; NumSgprs: 34
; NumVgprs: 14
; NumAgprs: 0
; TotalNumVgprs: 14
; ScratchSize: 0
; MemoryBound: 0
; FloatMode: 240
; IeeeMode: 1
; LDSByteSize: 256 bytes/workgroup (compile time only)
; SGPRBlocks: 4
; VGPRBlocks: 1
; NumSGPRsForWavesPerEU: 34
; NumVGPRsForWavesPerEU: 14
; AccumOffset: 16
; Occupancy: 8
; WaveLimiterHint : 1
; COMPUTE_PGM_RSRC2:SCRATCH_EN: 0
; COMPUTE_PGM_RSRC2:USER_SGPR: 2
; COMPUTE_PGM_RSRC2:TRAP_HANDLER: 0
; COMPUTE_PGM_RSRC2:TGID_X_EN: 1
; COMPUTE_PGM_RSRC2:TGID_Y_EN: 0
; COMPUTE_PGM_RSRC2:TGID_Z_EN: 0
; COMPUTE_PGM_RSRC2:TIDIG_COMP_CNT: 0
; COMPUTE_PGM_RSRC3_GFX90A:ACCUM_OFFSET: 3
; COMPUTE_PGM_RSRC3_GFX90A:TG_SPLIT: 0
	.section	.text._ZL20rocblas_gemvt_kernelILb1ELi256EPK16rocblas_bfloat16PKfKPfEviiT2_lPKT1_lilSA_lilS7_lPT3_lili,"axG",@progbits,_ZL20rocblas_gemvt_kernelILb1ELi256EPK16rocblas_bfloat16PKfKPfEviiT2_lPKT1_lilSA_lilS7_lPT3_lili,comdat
	.globl	_ZL20rocblas_gemvt_kernelILb1ELi256EPK16rocblas_bfloat16PKfKPfEviiT2_lPKT1_lilSA_lilS7_lPT3_lili ; -- Begin function _ZL20rocblas_gemvt_kernelILb1ELi256EPK16rocblas_bfloat16PKfKPfEviiT2_lPKT1_lilSA_lilS7_lPT3_lili
	.p2align	8
	.type	_ZL20rocblas_gemvt_kernelILb1ELi256EPK16rocblas_bfloat16PKfKPfEviiT2_lPKT1_lilSA_lilS7_lPT3_lili,@function
_ZL20rocblas_gemvt_kernelILb1ELi256EPK16rocblas_bfloat16PKfKPfEviiT2_lPKT1_lilSA_lilS7_lPT3_lili: ; @_ZL20rocblas_gemvt_kernelILb1ELi256EPK16rocblas_bfloat16PKfKPfEviiT2_lPKT1_lilSA_lilS7_lPT3_lili
; %bb.0:
	s_load_dwordx8 s[12:19], s[0:1], 0x8
	s_load_dwordx8 s[4:11], s[0:1], 0x58
	s_mov_b32 s20, s3
	s_waitcnt lgkmcnt(0)
	s_mul_i32 s3, s3, s15
	s_mul_hi_u32 s15, s20, s14
	s_add_i32 s15, s15, s3
	s_mul_i32 s14, s20, s14
	s_lshl_b64 s[14:15], s[14:15], 2
	s_add_u32 s12, s12, s14
	s_addc_u32 s13, s13, s15
	s_load_dword s3, s[12:13], 0x0
	s_mul_i32 s7, s20, s7
	s_mul_hi_u32 s12, s20, s6
	s_add_i32 s7, s12, s7
	s_mul_i32 s6, s20, s6
	s_lshl_b64 s[6:7], s[6:7], 2
	s_add_u32 s4, s4, s6
	s_addc_u32 s5, s5, s7
	s_load_dword s22, s[4:5], 0x0
	s_waitcnt lgkmcnt(0)
	v_cmp_eq_f32_e64 s[4:5], s3, 0
	v_cmp_eq_f32_e64 s[6:7], s22, 1.0
	s_and_b64 s[6:7], s[4:5], s[6:7]
	s_and_b64 vcc, exec, s[6:7]
	s_cbranch_vccnz .LBB690_48
; %bb.1:
	s_mov_b32 s21, 0
	v_cmp_neq_f32_e64 s[6:7], s3, 0
	s_mov_b64 s[12:13], 0
	s_and_b64 vcc, exec, s[4:5]
	s_mov_b64 s[14:15], 0
	s_cbranch_vccnz .LBB690_3
; %bb.2:
	s_lshl_b64 s[14:15], s[20:21], 3
	s_add_u32 s14, s16, s14
	s_addc_u32 s15, s17, s15
	s_load_dwordx2 s[14:15], s[14:15], 0x0
	s_lshl_b64 s[16:17], s[18:19], 1
	s_waitcnt lgkmcnt(0)
	s_add_u32 s14, s14, s16
	s_addc_u32 s15, s15, s17
.LBB690_3:
	s_andn2_b64 vcc, exec, s[6:7]
	s_cbranch_vccnz .LBB690_5
; %bb.4:
	s_load_dwordx4 s[16:19], s[0:1], 0x38
	s_lshl_b64 s[6:7], s[20:21], 3
	s_waitcnt lgkmcnt(0)
	s_add_u32 s6, s16, s6
	s_addc_u32 s7, s17, s7
	s_load_dwordx2 s[6:7], s[6:7], 0x0
	s_lshl_b64 s[12:13], s[18:19], 1
	s_waitcnt lgkmcnt(0)
	s_add_u32 s12, s6, s12
	s_addc_u32 s13, s7, s13
.LBB690_5:
	s_lshl_b64 s[6:7], s[20:21], 3
	s_add_u32 s6, s8, s6
	s_addc_u32 s7, s9, s7
	s_load_dwordx2 s[8:9], s[6:7], 0x0
	s_load_dword s20, s[0:1], 0x78
	s_lshl_b64 s[6:7], s[10:11], 2
	s_waitcnt lgkmcnt(0)
	s_add_u32 s18, s8, s6
	s_addc_u32 s19, s9, s7
	s_andn2_b64 vcc, exec, s[4:5]
	v_cmp_eq_u32_e64 s[4:5], 0, v0
	s_cbranch_vccnz .LBB690_10
; %bb.6:
	s_mov_b64 s[10:11], 0
	s_mov_b64 s[6:7], 0
                                        ; implicit-def: $vgpr1
                                        ; implicit-def: $sgpr8_sgpr9
	s_and_saveexec_b64 s[16:17], s[4:5]
	s_cbranch_execz .LBB690_11
; %bb.7:
	v_cmp_eq_f32_e64 s[4:5], s22, 0
	v_mov_b32_e32 v1, 0
	s_mul_hi_i32 s9, s20, s2
	s_mul_i32 s8, s20, s2
	s_and_b64 vcc, exec, s[4:5]
	s_cbranch_vccnz .LBB690_9
; %bb.8:
	s_lshl_b64 s[4:5], s[8:9], 2
	s_add_u32 s4, s18, s4
	s_addc_u32 s5, s19, s5
	s_load_dword s4, s[4:5], 0x0
	s_waitcnt lgkmcnt(0)
	v_mov_b32_e32 v1, s4
	v_mul_f32_e32 v1, s22, v1
.LBB690_9:
	s_mov_b64 s[6:7], exec
	s_or_b64 exec, exec, s[16:17]
	s_and_b64 vcc, exec, s[10:11]
	s_cbranch_vccnz .LBB690_12
	s_branch .LBB690_46
.LBB690_10:
	s_mov_b64 s[6:7], 0
                                        ; implicit-def: $vgpr1
                                        ; implicit-def: $sgpr8_sgpr9
	s_cbranch_execnz .LBB690_12
	s_branch .LBB690_46
.LBB690_11:
	s_or_b64 exec, exec, s[16:17]
	s_and_b64 vcc, exec, s[10:11]
	s_cbranch_vccz .LBB690_46
.LBB690_12:
	s_load_dword s16, s[0:1], 0x0
	s_load_dword s5, s[0:1], 0x28
	;; [unrolled: 1-line block ×3, first 2 shown]
	v_mov_b32_e32 v3, 0
	s_mov_b32 s1, 0
	s_waitcnt lgkmcnt(0)
	v_cmp_gt_i32_e32 vcc, s16, v0
	s_mul_hi_i32 s9, s5, s2
	s_mul_i32 s8, s5, s2
	s_lshl_b64 s[8:9], s[8:9], 1
	s_add_u32 s8, s8, s14
	s_addc_u32 s9, s9, s15
	s_ashr_i32 s0, s16, 31
	s_lshr_b32 s0, s0, 24
	v_cndmask_b32_e32 v1, 0, v0, vcc
	s_add_i32 s0, s16, s0
	v_lshlrev_b32_e32 v2, 1, v1
	s_and_b32 s0, s0, 0xffffff00
	s_cmpk_lt_i32 s16, 0x100
	v_lshl_add_u64 v[4:5], s[8:9], 0, v[2:3]
	s_cbranch_scc1 .LBB690_19
; %bb.13:
	s_ashr_i32 s5, s4, 31
	v_mad_i64_i32 v[2:3], s[8:9], s4, v0, 0
	v_lshl_add_u64 v[6:7], v[2:3], 1, s[12:13]
	s_lshl_b64 s[8:9], s[4:5], 9
	v_mov_b32_e32 v1, 0
	s_mov_b32 s5, 0x7f800000
	s_movk_i32 s17, 0x7fff
	s_mov_b64 s[10:11], 0x200
	v_mov_b64_e32 v[8:9], v[4:5]
	v_mov_b32_e32 v3, 0
	s_branch .LBB690_15
.LBB690_14:                             ;   in Loop: Header=BB690_15 Depth=1
	s_or_b64 exec, exec, s[14:15]
	v_and_b32_e32 v2, 0xffff0000, v2
	s_addk_i32 s1, 0x100
	v_add_f32_e32 v3, v3, v2
	v_lshl_add_u64 v[6:7], v[6:7], 0, s[8:9]
	s_cmp_ge_i32 s1, s0
	v_lshl_add_u64 v[8:9], v[8:9], 0, s[10:11]
	s_cbranch_scc1 .LBB690_19
.LBB690_15:                             ; =>This Inner Loop Header: Depth=1
	flat_load_ushort v2, v[6:7]
	flat_load_ushort v10, v[8:9]
	s_waitcnt vmcnt(0) lgkmcnt(0)
	v_lshlrev_b32_e32 v2, 16, v2
	v_lshlrev_b32_e32 v10, 16, v10
	v_pk_mul_f32 v[10:11], v[2:3], v[10:11] op_sel_hi:[0,1]
	v_and_b32_e32 v2, 0x7f800000, v10
	v_cmp_ne_u32_e32 vcc, s5, v2
                                        ; implicit-def: $vgpr2
	s_and_saveexec_b64 s[14:15], vcc
	s_xor_b64 s[14:15], exec, s[14:15]
; %bb.16:                               ;   in Loop: Header=BB690_15 Depth=1
	v_bfe_u32 v2, v10, 16, 1
	v_add3_u32 v2, v10, v2, s17
                                        ; implicit-def: $vgpr10_vgpr11
; %bb.17:                               ;   in Loop: Header=BB690_15 Depth=1
	s_andn2_saveexec_b64 s[14:15], s[14:15]
	s_cbranch_execz .LBB690_14
; %bb.18:                               ;   in Loop: Header=BB690_15 Depth=1
	v_or_b32_e32 v2, 0x10000, v10
	v_cmp_eq_u32_sdwa vcc, v10, v1 src0_sel:WORD_0 src1_sel:DWORD
	s_nop 1
	v_cndmask_b32_e32 v2, v2, v10, vcc
	s_branch .LBB690_14
.LBB690_19:
	v_add_u32_e32 v1, s0, v0
	v_cmp_gt_i32_e32 vcc, s16, v1
	s_and_saveexec_b64 s[8:9], vcc
	s_cbranch_execz .LBB690_25
; %bb.20:
	s_ashr_i32 s1, s0, 31
	v_lshl_add_u64 v[4:5], s[0:1], 1, v[4:5]
	v_mad_i64_i32 v[6:7], s[0:1], s4, v1, 0
	v_lshl_add_u64 v[6:7], v[6:7], 1, s[12:13]
	flat_load_ushort v1, v[6:7]
	flat_load_ushort v8, v[4:5]
	s_mov_b32 s0, 0x7f800000
	s_waitcnt vmcnt(0) lgkmcnt(0)
	v_lshlrev_b32_e32 v2, 16, v1
	v_lshlrev_b32_e32 v4, 16, v8
	v_pk_mul_f32 v[4:5], v[2:3], v[4:5] op_sel_hi:[0,1]
	v_and_b32_e32 v1, 0x7f800000, v4
	v_cmp_ne_u32_e32 vcc, s0, v1
                                        ; implicit-def: $vgpr1
	s_and_saveexec_b64 s[0:1], vcc
	s_xor_b64 s[0:1], exec, s[0:1]
; %bb.21:
	v_bfe_u32 v1, v4, 16, 1
	s_movk_i32 s4, 0x7fff
	v_add3_u32 v1, v4, v1, s4
                                        ; implicit-def: $vgpr4_vgpr5
; %bb.22:
	s_andn2_saveexec_b64 s[0:1], s[0:1]
; %bb.23:
	v_mov_b32_e32 v1, 0
	v_or_b32_e32 v2, 0x10000, v4
	v_cmp_eq_u32_sdwa vcc, v4, v1 src0_sel:WORD_0 src1_sel:DWORD
	s_nop 1
	v_cndmask_b32_e32 v1, v2, v4, vcc
; %bb.24:
	s_or_b64 exec, exec, s[0:1]
	v_and_b32_e32 v1, 0xffff0000, v1
	v_add_f32_e32 v3, v3, v1
.LBB690_25:
	s_or_b64 exec, exec, s[8:9]
	s_movk_i32 s0, 0x80
	v_lshlrev_b32_e32 v1, 2, v0
	v_cmp_gt_u32_e32 vcc, s0, v0
	ds_write_b32 v1, v3
	s_waitcnt lgkmcnt(0)
	s_barrier
	s_and_saveexec_b64 s[0:1], vcc
	s_cbranch_execz .LBB690_27
; %bb.26:
	ds_read2st64_b32 v[2:3], v1 offset1:2
	s_waitcnt lgkmcnt(0)
	v_add_f32_e32 v2, v3, v2
	ds_write_b32 v1, v2
.LBB690_27:
	s_or_b64 exec, exec, s[0:1]
	v_cmp_gt_u32_e32 vcc, 64, v0
	s_waitcnt lgkmcnt(0)
	s_barrier
	s_and_saveexec_b64 s[0:1], vcc
	s_cbranch_execz .LBB690_29
; %bb.28:
	ds_read2st64_b32 v[2:3], v1 offset1:1
	s_waitcnt lgkmcnt(0)
	v_add_f32_e32 v2, v3, v2
	ds_write_b32 v1, v2
.LBB690_29:
	s_or_b64 exec, exec, s[0:1]
	v_cmp_gt_u32_e32 vcc, 32, v0
	s_waitcnt lgkmcnt(0)
	s_barrier
	s_and_saveexec_b64 s[0:1], vcc
	s_cbranch_execz .LBB690_31
; %bb.30:
	ds_read2_b32 v[2:3], v1 offset1:32
	s_waitcnt lgkmcnt(0)
	v_add_f32_e32 v2, v3, v2
	ds_write_b32 v1, v2
.LBB690_31:
	s_or_b64 exec, exec, s[0:1]
	v_cmp_gt_u32_e32 vcc, 16, v0
	s_waitcnt lgkmcnt(0)
	s_barrier
	s_and_saveexec_b64 s[0:1], vcc
	s_cbranch_execz .LBB690_33
; %bb.32:
	ds_read2_b32 v[2:3], v1 offset1:16
	s_waitcnt lgkmcnt(0)
	v_add_f32_e32 v2, v3, v2
	ds_write_b32 v1, v2
.LBB690_33:
	;; [unrolled: 12-line block ×5, first 2 shown]
	s_or_b64 exec, exec, s[0:1]
	v_cmp_eq_u32_e32 vcc, 0, v0
	s_waitcnt lgkmcnt(0)
	s_barrier
	s_and_saveexec_b64 s[0:1], vcc
	s_cbranch_execz .LBB690_41
; %bb.40:
	v_mov_b32_e32 v2, 0
	ds_read_b64 v[0:1], v2
	s_waitcnt lgkmcnt(0)
	v_add_f32_e32 v0, v1, v0
	ds_write_b32 v2, v0
.LBB690_41:
	s_or_b64 exec, exec, s[0:1]
	s_waitcnt lgkmcnt(0)
	s_barrier
	s_waitcnt lgkmcnt(0)
                                        ; implicit-def: $vgpr1
                                        ; implicit-def: $sgpr8_sgpr9
	s_and_saveexec_b64 s[0:1], vcc
	s_cbranch_execz .LBB690_45
; %bb.42:
	v_mov_b32_e32 v0, 0
	ds_read_b32 v0, v0
	v_cmp_eq_f32_e64 s[4:5], s22, 0
	s_mul_hi_i32 s9, s20, s2
	s_mul_i32 s8, s20, s2
	s_and_b64 vcc, exec, s[4:5]
	s_waitcnt lgkmcnt(0)
	v_mul_f32_e32 v1, s3, v0
	s_cbranch_vccnz .LBB690_44
; %bb.43:
	s_lshl_b64 s[2:3], s[8:9], 2
	s_add_u32 s2, s18, s2
	s_addc_u32 s3, s19, s3
	s_load_dword s2, s[2:3], 0x0
	s_waitcnt lgkmcnt(0)
	v_mov_b32_e32 v0, s2
	v_fmac_f32_e32 v1, s22, v0
.LBB690_44:
	s_or_b64 s[6:7], s[6:7], exec
.LBB690_45:
	s_or_b64 exec, exec, s[0:1]
.LBB690_46:
	s_and_saveexec_b64 s[0:1], s[6:7]
	s_cbranch_execz .LBB690_48
; %bb.47:
	s_lshl_b64 s[0:1], s[8:9], 2
	s_add_u32 s0, s18, s0
	s_addc_u32 s1, s19, s1
	v_mov_b32_e32 v0, 0
	global_store_dword v0, v1, s[0:1]
.LBB690_48:
	s_endpgm
	.section	.rodata,"a",@progbits
	.p2align	6, 0x0
	.amdhsa_kernel _ZL20rocblas_gemvt_kernelILb1ELi256EPK16rocblas_bfloat16PKfKPfEviiT2_lPKT1_lilSA_lilS7_lPT3_lili
		.amdhsa_group_segment_fixed_size 1024
		.amdhsa_private_segment_fixed_size 0
		.amdhsa_kernarg_size 140
		.amdhsa_user_sgpr_count 2
		.amdhsa_user_sgpr_dispatch_ptr 0
		.amdhsa_user_sgpr_queue_ptr 0
		.amdhsa_user_sgpr_kernarg_segment_ptr 1
		.amdhsa_user_sgpr_dispatch_id 0
		.amdhsa_user_sgpr_kernarg_preload_length 0
		.amdhsa_user_sgpr_kernarg_preload_offset 0
		.amdhsa_user_sgpr_private_segment_size 0
		.amdhsa_uses_dynamic_stack 0
		.amdhsa_enable_private_segment 0
		.amdhsa_system_sgpr_workgroup_id_x 1
		.amdhsa_system_sgpr_workgroup_id_y 0
		.amdhsa_system_sgpr_workgroup_id_z 1
		.amdhsa_system_sgpr_workgroup_info 0
		.amdhsa_system_vgpr_workitem_id 0
		.amdhsa_next_free_vgpr 12
		.amdhsa_next_free_sgpr 23
		.amdhsa_accum_offset 12
		.amdhsa_reserve_vcc 1
		.amdhsa_float_round_mode_32 0
		.amdhsa_float_round_mode_16_64 0
		.amdhsa_float_denorm_mode_32 3
		.amdhsa_float_denorm_mode_16_64 3
		.amdhsa_dx10_clamp 1
		.amdhsa_ieee_mode 1
		.amdhsa_fp16_overflow 0
		.amdhsa_tg_split 0
		.amdhsa_exception_fp_ieee_invalid_op 0
		.amdhsa_exception_fp_denorm_src 0
		.amdhsa_exception_fp_ieee_div_zero 0
		.amdhsa_exception_fp_ieee_overflow 0
		.amdhsa_exception_fp_ieee_underflow 0
		.amdhsa_exception_fp_ieee_inexact 0
		.amdhsa_exception_int_div_zero 0
	.end_amdhsa_kernel
	.section	.text._ZL20rocblas_gemvt_kernelILb1ELi256EPK16rocblas_bfloat16PKfKPfEviiT2_lPKT1_lilSA_lilS7_lPT3_lili,"axG",@progbits,_ZL20rocblas_gemvt_kernelILb1ELi256EPK16rocblas_bfloat16PKfKPfEviiT2_lPKT1_lilSA_lilS7_lPT3_lili,comdat
.Lfunc_end690:
	.size	_ZL20rocblas_gemvt_kernelILb1ELi256EPK16rocblas_bfloat16PKfKPfEviiT2_lPKT1_lilSA_lilS7_lPT3_lili, .Lfunc_end690-_ZL20rocblas_gemvt_kernelILb1ELi256EPK16rocblas_bfloat16PKfKPfEviiT2_lPKT1_lilSA_lilS7_lPT3_lili
                                        ; -- End function
	.section	.AMDGPU.csdata,"",@progbits
; Kernel info:
; codeLenInByte = 1468
; NumSgprs: 29
; NumVgprs: 12
; NumAgprs: 0
; TotalNumVgprs: 12
; ScratchSize: 0
; MemoryBound: 0
; FloatMode: 240
; IeeeMode: 1
; LDSByteSize: 1024 bytes/workgroup (compile time only)
; SGPRBlocks: 3
; VGPRBlocks: 1
; NumSGPRsForWavesPerEU: 29
; NumVGPRsForWavesPerEU: 12
; AccumOffset: 12
; Occupancy: 8
; WaveLimiterHint : 1
; COMPUTE_PGM_RSRC2:SCRATCH_EN: 0
; COMPUTE_PGM_RSRC2:USER_SGPR: 2
; COMPUTE_PGM_RSRC2:TRAP_HANDLER: 0
; COMPUTE_PGM_RSRC2:TGID_X_EN: 1
; COMPUTE_PGM_RSRC2:TGID_Y_EN: 0
; COMPUTE_PGM_RSRC2:TGID_Z_EN: 1
; COMPUTE_PGM_RSRC2:TIDIG_COMP_CNT: 0
; COMPUTE_PGM_RSRC3_GFX90A:ACCUM_OFFSET: 2
; COMPUTE_PGM_RSRC3_GFX90A:TG_SPLIT: 0
	.section	.text._ZL20rocblas_gemvt_kernelILb1ELi256EPK16rocblas_bfloat16fKPfEviiT2_lPKT1_lilS8_lilS5_lPT3_lili,"axG",@progbits,_ZL20rocblas_gemvt_kernelILb1ELi256EPK16rocblas_bfloat16fKPfEviiT2_lPKT1_lilS8_lilS5_lPT3_lili,comdat
	.globl	_ZL20rocblas_gemvt_kernelILb1ELi256EPK16rocblas_bfloat16fKPfEviiT2_lPKT1_lilS8_lilS5_lPT3_lili ; -- Begin function _ZL20rocblas_gemvt_kernelILb1ELi256EPK16rocblas_bfloat16fKPfEviiT2_lPKT1_lilS8_lilS5_lPT3_lili
	.p2align	8
	.type	_ZL20rocblas_gemvt_kernelILb1ELi256EPK16rocblas_bfloat16fKPfEviiT2_lPKT1_lilS8_lilS5_lPT3_lili,@function
_ZL20rocblas_gemvt_kernelILb1ELi256EPK16rocblas_bfloat16fKPfEviiT2_lPKT1_lilS8_lilS5_lPT3_lili: ; @_ZL20rocblas_gemvt_kernelILb1ELi256EPK16rocblas_bfloat16fKPfEviiT2_lPKT1_lilS8_lilS5_lPT3_lili
; %bb.0:
	s_mov_b32 s12, s3
	s_load_dword s18, s[0:1], 0x8
	s_load_dword s3, s[0:1], 0x58
	s_waitcnt lgkmcnt(0)
	v_cmp_eq_f32_e64 s[4:5], s18, 0
	v_cmp_eq_f32_e64 s[6:7], s3, 1.0
	s_and_b64 s[6:7], s[4:5], s[6:7]
	s_and_b64 vcc, exec, s[6:7]
	s_cbranch_vccnz .LBB691_50
; %bb.1:
	v_cmp_neq_f32_e64 s[8:9], s18, 0
	s_mov_b32 s13, 0
	s_and_b64 vcc, exec, s[8:9]
	s_cbranch_vccnz .LBB691_3
; %bb.2:
	s_mov_b64 s[10:11], 0
	s_cbranch_execz .LBB691_4
	s_branch .LBB691_5
.LBB691_3:
                                        ; implicit-def: $sgpr10_sgpr11
.LBB691_4:
	s_load_dwordx4 s[20:23], s[0:1], 0x18
	s_lshl_b64 s[6:7], s[12:13], 3
	s_waitcnt lgkmcnt(0)
	s_add_u32 s6, s20, s6
	s_addc_u32 s7, s21, s7
	s_load_dwordx2 s[6:7], s[6:7], 0x0
	s_lshl_b64 s[10:11], s[22:23], 1
	s_waitcnt lgkmcnt(0)
	s_add_u32 s10, s6, s10
	s_addc_u32 s11, s7, s11
.LBB691_5:
	s_mov_b64 s[6:7], 0
	s_andn2_b64 vcc, exec, s[8:9]
	s_mov_b64 s[8:9], 0
	s_cbranch_vccnz .LBB691_7
; %bb.6:
	s_load_dwordx4 s[20:23], s[0:1], 0x38
	s_lshl_b64 s[8:9], s[12:13], 3
	s_waitcnt lgkmcnt(0)
	s_add_u32 s8, s20, s8
	s_addc_u32 s9, s21, s9
	s_load_dwordx2 s[8:9], s[8:9], 0x0
	s_lshl_b64 s[14:15], s[22:23], 1
	s_waitcnt lgkmcnt(0)
	s_add_u32 s8, s8, s14
	s_addc_u32 s9, s9, s15
.LBB691_7:
	s_load_dwordx4 s[24:27], s[0:1], 0x68
	s_load_dword s21, s[0:1], 0x78
	s_lshl_b64 s[12:13], s[12:13], 3
	s_waitcnt lgkmcnt(0)
	s_add_u32 s12, s24, s12
	s_addc_u32 s13, s25, s13
	s_load_dwordx2 s[12:13], s[12:13], 0x0
	s_lshl_b64 s[14:15], s[26:27], 2
	s_waitcnt lgkmcnt(0)
	s_add_u32 s19, s12, s14
	s_addc_u32 s20, s13, s15
	s_andn2_b64 vcc, exec, s[4:5]
	v_cmp_eq_u32_e64 s[4:5], 0, v0
	s_cbranch_vccnz .LBB691_12
; %bb.8:
	s_mov_b64 s[14:15], 0
                                        ; implicit-def: $vgpr1
                                        ; implicit-def: $sgpr12_sgpr13
	s_and_saveexec_b64 s[16:17], s[4:5]
	s_cbranch_execz .LBB691_13
; %bb.9:
	v_cmp_eq_f32_e64 s[4:5], s3, 0
	v_mov_b32_e32 v1, 0
	s_mul_hi_i32 s13, s21, s2
	s_mul_i32 s12, s21, s2
	s_and_b64 vcc, exec, s[4:5]
	s_cbranch_vccnz .LBB691_11
; %bb.10:
	s_lshl_b64 s[4:5], s[12:13], 2
	s_add_u32 s4, s19, s4
	s_addc_u32 s5, s20, s5
	s_load_dword s4, s[4:5], 0x0
	v_mov_b32_e32 v1, s3
	s_waitcnt lgkmcnt(0)
	v_mul_f32_e32 v1, s4, v1
.LBB691_11:
	s_mov_b64 s[6:7], exec
	s_or_b64 exec, exec, s[16:17]
	s_and_b64 vcc, exec, s[14:15]
	s_cbranch_vccnz .LBB691_14
	s_branch .LBB691_48
.LBB691_12:
                                        ; implicit-def: $vgpr1
                                        ; implicit-def: $sgpr12_sgpr13
	s_cbranch_execnz .LBB691_14
	s_branch .LBB691_48
.LBB691_13:
	s_or_b64 exec, exec, s[16:17]
	s_and_b64 vcc, exec, s[14:15]
	s_cbranch_vccz .LBB691_48
.LBB691_14:
	s_load_dword s16, s[0:1], 0x0
	s_load_dword s5, s[0:1], 0x28
	;; [unrolled: 1-line block ×3, first 2 shown]
	v_mov_b32_e32 v3, 0
	s_mov_b32 s1, 0
	s_waitcnt lgkmcnt(0)
	v_cmp_gt_i32_e32 vcc, s16, v0
	s_mul_hi_i32 s13, s5, s2
	s_mul_i32 s12, s5, s2
	s_lshl_b64 s[12:13], s[12:13], 1
	s_add_u32 s10, s12, s10
	s_addc_u32 s11, s13, s11
	s_ashr_i32 s0, s16, 31
	s_lshr_b32 s0, s0, 24
	v_cndmask_b32_e32 v1, 0, v0, vcc
	s_add_i32 s0, s16, s0
	v_lshlrev_b32_e32 v2, 1, v1
	s_and_b32 s0, s0, 0xffffff00
	s_cmpk_lt_i32 s16, 0x100
	v_lshl_add_u64 v[4:5], s[10:11], 0, v[2:3]
	s_cbranch_scc1 .LBB691_21
; %bb.15:
	s_ashr_i32 s5, s4, 31
	v_mad_i64_i32 v[2:3], s[10:11], s4, v0, 0
	v_lshl_add_u64 v[6:7], v[2:3], 1, s[8:9]
	s_lshl_b64 s[10:11], s[4:5], 9
	v_mov_b32_e32 v1, 0
	s_mov_b32 s5, 0x7f800000
	s_movk_i32 s17, 0x7fff
	s_mov_b64 s[12:13], 0x200
	v_mov_b64_e32 v[8:9], v[4:5]
	v_mov_b32_e32 v3, 0
	s_branch .LBB691_17
.LBB691_16:                             ;   in Loop: Header=BB691_17 Depth=1
	s_or_b64 exec, exec, s[14:15]
	v_and_b32_e32 v2, 0xffff0000, v2
	s_addk_i32 s1, 0x100
	v_add_f32_e32 v3, v3, v2
	v_lshl_add_u64 v[6:7], v[6:7], 0, s[10:11]
	s_cmp_ge_i32 s1, s0
	v_lshl_add_u64 v[8:9], v[8:9], 0, s[12:13]
	s_cbranch_scc1 .LBB691_21
.LBB691_17:                             ; =>This Inner Loop Header: Depth=1
	flat_load_ushort v2, v[6:7]
	flat_load_ushort v10, v[8:9]
	s_waitcnt vmcnt(0) lgkmcnt(0)
	v_lshlrev_b32_e32 v2, 16, v2
	v_lshlrev_b32_e32 v10, 16, v10
	v_pk_mul_f32 v[10:11], v[2:3], v[10:11] op_sel_hi:[0,1]
	v_and_b32_e32 v2, 0x7f800000, v10
	v_cmp_ne_u32_e32 vcc, s5, v2
                                        ; implicit-def: $vgpr2
	s_and_saveexec_b64 s[14:15], vcc
	s_xor_b64 s[14:15], exec, s[14:15]
; %bb.18:                               ;   in Loop: Header=BB691_17 Depth=1
	v_bfe_u32 v2, v10, 16, 1
	v_add3_u32 v2, v10, v2, s17
                                        ; implicit-def: $vgpr10_vgpr11
; %bb.19:                               ;   in Loop: Header=BB691_17 Depth=1
	s_andn2_saveexec_b64 s[14:15], s[14:15]
	s_cbranch_execz .LBB691_16
; %bb.20:                               ;   in Loop: Header=BB691_17 Depth=1
	v_or_b32_e32 v2, 0x10000, v10
	v_cmp_eq_u32_sdwa vcc, v10, v1 src0_sel:WORD_0 src1_sel:DWORD
	s_nop 1
	v_cndmask_b32_e32 v2, v2, v10, vcc
	s_branch .LBB691_16
.LBB691_21:
	v_add_u32_e32 v1, s0, v0
	v_cmp_gt_i32_e32 vcc, s16, v1
	s_and_saveexec_b64 s[10:11], vcc
	s_cbranch_execz .LBB691_27
; %bb.22:
	s_ashr_i32 s1, s0, 31
	v_lshl_add_u64 v[4:5], s[0:1], 1, v[4:5]
	v_mad_i64_i32 v[6:7], s[0:1], s4, v1, 0
	v_lshl_add_u64 v[6:7], v[6:7], 1, s[8:9]
	flat_load_ushort v1, v[6:7]
	flat_load_ushort v8, v[4:5]
	s_mov_b32 s0, 0x7f800000
	s_waitcnt vmcnt(0) lgkmcnt(0)
	v_lshlrev_b32_e32 v2, 16, v1
	v_lshlrev_b32_e32 v4, 16, v8
	v_pk_mul_f32 v[4:5], v[2:3], v[4:5] op_sel_hi:[0,1]
	v_and_b32_e32 v1, 0x7f800000, v4
	v_cmp_ne_u32_e32 vcc, s0, v1
                                        ; implicit-def: $vgpr1
	s_and_saveexec_b64 s[0:1], vcc
	s_xor_b64 s[0:1], exec, s[0:1]
; %bb.23:
	v_bfe_u32 v1, v4, 16, 1
	s_movk_i32 s4, 0x7fff
	v_add3_u32 v1, v4, v1, s4
                                        ; implicit-def: $vgpr4_vgpr5
; %bb.24:
	s_andn2_saveexec_b64 s[0:1], s[0:1]
; %bb.25:
	v_mov_b32_e32 v1, 0
	v_or_b32_e32 v2, 0x10000, v4
	v_cmp_eq_u32_sdwa vcc, v4, v1 src0_sel:WORD_0 src1_sel:DWORD
	s_nop 1
	v_cndmask_b32_e32 v1, v2, v4, vcc
; %bb.26:
	s_or_b64 exec, exec, s[0:1]
	v_and_b32_e32 v1, 0xffff0000, v1
	v_add_f32_e32 v3, v3, v1
.LBB691_27:
	s_or_b64 exec, exec, s[10:11]
	s_movk_i32 s0, 0x80
	v_lshlrev_b32_e32 v1, 2, v0
	v_cmp_gt_u32_e32 vcc, s0, v0
	ds_write_b32 v1, v3
	s_waitcnt lgkmcnt(0)
	s_barrier
	s_and_saveexec_b64 s[0:1], vcc
	s_cbranch_execz .LBB691_29
; %bb.28:
	ds_read2st64_b32 v[2:3], v1 offset1:2
	s_waitcnt lgkmcnt(0)
	v_add_f32_e32 v2, v3, v2
	ds_write_b32 v1, v2
.LBB691_29:
	s_or_b64 exec, exec, s[0:1]
	v_cmp_gt_u32_e32 vcc, 64, v0
	s_waitcnt lgkmcnt(0)
	s_barrier
	s_and_saveexec_b64 s[0:1], vcc
	s_cbranch_execz .LBB691_31
; %bb.30:
	ds_read2st64_b32 v[2:3], v1 offset1:1
	s_waitcnt lgkmcnt(0)
	v_add_f32_e32 v2, v3, v2
	ds_write_b32 v1, v2
.LBB691_31:
	s_or_b64 exec, exec, s[0:1]
	v_cmp_gt_u32_e32 vcc, 32, v0
	s_waitcnt lgkmcnt(0)
	s_barrier
	s_and_saveexec_b64 s[0:1], vcc
	s_cbranch_execz .LBB691_33
; %bb.32:
	ds_read2_b32 v[2:3], v1 offset1:32
	s_waitcnt lgkmcnt(0)
	v_add_f32_e32 v2, v3, v2
	ds_write_b32 v1, v2
.LBB691_33:
	s_or_b64 exec, exec, s[0:1]
	v_cmp_gt_u32_e32 vcc, 16, v0
	s_waitcnt lgkmcnt(0)
	s_barrier
	s_and_saveexec_b64 s[0:1], vcc
	s_cbranch_execz .LBB691_35
; %bb.34:
	ds_read2_b32 v[2:3], v1 offset1:16
	s_waitcnt lgkmcnt(0)
	v_add_f32_e32 v2, v3, v2
	ds_write_b32 v1, v2
.LBB691_35:
	;; [unrolled: 12-line block ×5, first 2 shown]
	s_or_b64 exec, exec, s[0:1]
	v_cmp_eq_u32_e32 vcc, 0, v0
	s_waitcnt lgkmcnt(0)
	s_barrier
	s_and_saveexec_b64 s[0:1], vcc
	s_cbranch_execz .LBB691_43
; %bb.42:
	v_mov_b32_e32 v2, 0
	ds_read_b64 v[0:1], v2
	s_waitcnt lgkmcnt(0)
	v_add_f32_e32 v0, v1, v0
	ds_write_b32 v2, v0
.LBB691_43:
	s_or_b64 exec, exec, s[0:1]
	s_waitcnt lgkmcnt(0)
	s_barrier
	s_waitcnt lgkmcnt(0)
                                        ; implicit-def: $vgpr1
                                        ; implicit-def: $sgpr12_sgpr13
	s_and_saveexec_b64 s[0:1], vcc
	s_cbranch_execz .LBB691_47
; %bb.44:
	v_mov_b32_e32 v0, 0
	ds_read_b32 v0, v0
	v_cmp_eq_f32_e64 s[4:5], s3, 0
	s_mul_hi_i32 s13, s21, s2
	s_mul_i32 s12, s21, s2
	s_and_b64 vcc, exec, s[4:5]
	s_waitcnt lgkmcnt(0)
	v_mul_f32_e32 v1, s18, v0
	s_cbranch_vccnz .LBB691_46
; %bb.45:
	s_lshl_b64 s[4:5], s[12:13], 2
	s_add_u32 s4, s19, s4
	s_addc_u32 s5, s20, s5
	s_load_dword s2, s[4:5], 0x0
	v_mov_b32_e32 v0, s3
	s_waitcnt lgkmcnt(0)
	v_fmac_f32_e32 v1, s2, v0
.LBB691_46:
	s_or_b64 s[6:7], s[6:7], exec
.LBB691_47:
	s_or_b64 exec, exec, s[0:1]
.LBB691_48:
	s_and_saveexec_b64 s[0:1], s[6:7]
	s_cbranch_execz .LBB691_50
; %bb.49:
	s_lshl_b64 s[0:1], s[12:13], 2
	s_add_u32 s0, s19, s0
	s_addc_u32 s1, s20, s1
	v_mov_b32_e32 v0, 0
	global_store_dword v0, v1, s[0:1]
.LBB691_50:
	s_endpgm
	.section	.rodata,"a",@progbits
	.p2align	6, 0x0
	.amdhsa_kernel _ZL20rocblas_gemvt_kernelILb1ELi256EPK16rocblas_bfloat16fKPfEviiT2_lPKT1_lilS8_lilS5_lPT3_lili
		.amdhsa_group_segment_fixed_size 1024
		.amdhsa_private_segment_fixed_size 0
		.amdhsa_kernarg_size 140
		.amdhsa_user_sgpr_count 2
		.amdhsa_user_sgpr_dispatch_ptr 0
		.amdhsa_user_sgpr_queue_ptr 0
		.amdhsa_user_sgpr_kernarg_segment_ptr 1
		.amdhsa_user_sgpr_dispatch_id 0
		.amdhsa_user_sgpr_kernarg_preload_length 0
		.amdhsa_user_sgpr_kernarg_preload_offset 0
		.amdhsa_user_sgpr_private_segment_size 0
		.amdhsa_uses_dynamic_stack 0
		.amdhsa_enable_private_segment 0
		.amdhsa_system_sgpr_workgroup_id_x 1
		.amdhsa_system_sgpr_workgroup_id_y 0
		.amdhsa_system_sgpr_workgroup_id_z 1
		.amdhsa_system_sgpr_workgroup_info 0
		.amdhsa_system_vgpr_workitem_id 0
		.amdhsa_next_free_vgpr 12
		.amdhsa_next_free_sgpr 28
		.amdhsa_accum_offset 12
		.amdhsa_reserve_vcc 1
		.amdhsa_float_round_mode_32 0
		.amdhsa_float_round_mode_16_64 0
		.amdhsa_float_denorm_mode_32 3
		.amdhsa_float_denorm_mode_16_64 3
		.amdhsa_dx10_clamp 1
		.amdhsa_ieee_mode 1
		.amdhsa_fp16_overflow 0
		.amdhsa_tg_split 0
		.amdhsa_exception_fp_ieee_invalid_op 0
		.amdhsa_exception_fp_denorm_src 0
		.amdhsa_exception_fp_ieee_div_zero 0
		.amdhsa_exception_fp_ieee_overflow 0
		.amdhsa_exception_fp_ieee_underflow 0
		.amdhsa_exception_fp_ieee_inexact 0
		.amdhsa_exception_int_div_zero 0
	.end_amdhsa_kernel
	.section	.text._ZL20rocblas_gemvt_kernelILb1ELi256EPK16rocblas_bfloat16fKPfEviiT2_lPKT1_lilS8_lilS5_lPT3_lili,"axG",@progbits,_ZL20rocblas_gemvt_kernelILb1ELi256EPK16rocblas_bfloat16fKPfEviiT2_lPKT1_lilS8_lilS5_lPT3_lili,comdat
.Lfunc_end691:
	.size	_ZL20rocblas_gemvt_kernelILb1ELi256EPK16rocblas_bfloat16fKPfEviiT2_lPKT1_lilS8_lilS5_lPT3_lili, .Lfunc_end691-_ZL20rocblas_gemvt_kernelILb1ELi256EPK16rocblas_bfloat16fKPfEviiT2_lPKT1_lilS8_lilS5_lPT3_lili
                                        ; -- End function
	.section	.AMDGPU.csdata,"",@progbits
; Kernel info:
; codeLenInByte = 1420
; NumSgprs: 34
; NumVgprs: 12
; NumAgprs: 0
; TotalNumVgprs: 12
; ScratchSize: 0
; MemoryBound: 0
; FloatMode: 240
; IeeeMode: 1
; LDSByteSize: 1024 bytes/workgroup (compile time only)
; SGPRBlocks: 4
; VGPRBlocks: 1
; NumSGPRsForWavesPerEU: 34
; NumVGPRsForWavesPerEU: 12
; AccumOffset: 12
; Occupancy: 8
; WaveLimiterHint : 1
; COMPUTE_PGM_RSRC2:SCRATCH_EN: 0
; COMPUTE_PGM_RSRC2:USER_SGPR: 2
; COMPUTE_PGM_RSRC2:TRAP_HANDLER: 0
; COMPUTE_PGM_RSRC2:TGID_X_EN: 1
; COMPUTE_PGM_RSRC2:TGID_Y_EN: 0
; COMPUTE_PGM_RSRC2:TGID_Z_EN: 1
; COMPUTE_PGM_RSRC2:TIDIG_COMP_CNT: 0
; COMPUTE_PGM_RSRC3_GFX90A:ACCUM_OFFSET: 2
; COMPUTE_PGM_RSRC3_GFX90A:TG_SPLIT: 0
	.section	.text._ZL32rocblas_gemvt_warp_reduce_kernelILb1ELi1024EiPK16rocblas_bfloat16PKfKPfEviiT3_lPKT2_lT1_lSA_lSB_lS7_lPT4_lSB_li,"axG",@progbits,_ZL32rocblas_gemvt_warp_reduce_kernelILb1ELi1024EiPK16rocblas_bfloat16PKfKPfEviiT3_lPKT2_lT1_lSA_lSB_lS7_lPT4_lSB_li,comdat
	.globl	_ZL32rocblas_gemvt_warp_reduce_kernelILb1ELi1024EiPK16rocblas_bfloat16PKfKPfEviiT3_lPKT2_lT1_lSA_lSB_lS7_lPT4_lSB_li ; -- Begin function _ZL32rocblas_gemvt_warp_reduce_kernelILb1ELi1024EiPK16rocblas_bfloat16PKfKPfEviiT3_lPKT2_lT1_lSA_lSB_lS7_lPT4_lSB_li
	.p2align	8
	.type	_ZL32rocblas_gemvt_warp_reduce_kernelILb1ELi1024EiPK16rocblas_bfloat16PKfKPfEviiT3_lPKT2_lT1_lSA_lSB_lS7_lPT4_lSB_li,@function
_ZL32rocblas_gemvt_warp_reduce_kernelILb1ELi1024EiPK16rocblas_bfloat16PKfKPfEviiT3_lPKT2_lT1_lSA_lSB_lS7_lPT4_lSB_li: ; @_ZL32rocblas_gemvt_warp_reduce_kernelILb1ELi1024EiPK16rocblas_bfloat16PKfKPfEviiT3_lPKT2_lT1_lSA_lSB_lS7_lPT4_lSB_li
; %bb.0:
	s_load_dwordx8 s[12:19], s[0:1], 0x8
	s_load_dwordx8 s[4:11], s[0:1], 0x58
	s_mov_b32 s20, s3
	s_waitcnt lgkmcnt(0)
	s_mul_i32 s3, s3, s15
	s_mul_hi_u32 s15, s20, s14
	s_add_i32 s15, s15, s3
	s_mul_i32 s14, s20, s14
	s_lshl_b64 s[14:15], s[14:15], 2
	s_add_u32 s12, s12, s14
	s_mul_i32 s3, s20, s7
	s_mul_hi_u32 s7, s20, s6
	s_addc_u32 s13, s13, s15
	s_add_i32 s7, s7, s3
	s_mul_i32 s6, s20, s6
	s_lshl_b64 s[6:7], s[6:7], 2
	s_add_u32 s4, s4, s6
	s_addc_u32 s5, s5, s7
	s_load_dword s22, s[12:13], 0x0
	s_load_dword s3, s[4:5], 0x0
	s_waitcnt lgkmcnt(0)
	v_cmp_eq_f32_e64 s[4:5], s22, 0
	v_cmp_eq_f32_e64 s[6:7], s3, 1.0
	s_and_b64 s[6:7], s[4:5], s[6:7]
	s_and_b64 vcc, exec, s[6:7]
	s_cbranch_vccnz .LBB692_41
; %bb.1:
	s_mov_b32 s21, 0
	v_cmp_neq_f32_e64 s[6:7], s22, 0
	s_mov_b64 s[12:13], 0
	s_and_b64 vcc, exec, s[4:5]
	s_mov_b64 s[14:15], 0
	s_cbranch_vccnz .LBB692_3
; %bb.2:
	s_lshl_b64 s[14:15], s[20:21], 3
	s_add_u32 s14, s16, s14
	s_addc_u32 s15, s17, s15
	s_load_dwordx2 s[14:15], s[14:15], 0x0
	s_lshl_b64 s[16:17], s[18:19], 1
	s_waitcnt lgkmcnt(0)
	s_add_u32 s14, s14, s16
	s_addc_u32 s15, s15, s17
.LBB692_3:
	s_andn2_b64 vcc, exec, s[6:7]
	s_cbranch_vccnz .LBB692_5
; %bb.4:
	s_load_dwordx4 s[16:19], s[0:1], 0x38
	s_lshl_b64 s[6:7], s[20:21], 3
	s_waitcnt lgkmcnt(0)
	s_add_u32 s6, s16, s6
	s_addc_u32 s7, s17, s7
	s_load_dwordx2 s[6:7], s[6:7], 0x0
	s_lshl_b64 s[12:13], s[18:19], 1
	s_waitcnt lgkmcnt(0)
	s_add_u32 s12, s6, s12
	s_addc_u32 s13, s7, s13
.LBB692_5:
	s_lshl_b64 s[6:7], s[20:21], 3
	s_add_u32 s6, s8, s6
	s_addc_u32 s7, s9, s7
	s_load_dwordx2 s[8:9], s[6:7], 0x0
	s_load_dword s20, s[0:1], 0x78
	s_lshl_b64 s[6:7], s[10:11], 2
	s_waitcnt lgkmcnt(0)
	s_add_u32 s18, s8, s6
	s_addc_u32 s19, s9, s7
	s_andn2_b64 vcc, exec, s[4:5]
	v_cmp_eq_u32_e64 s[4:5], 0, v0
	s_cbranch_vccnz .LBB692_10
; %bb.6:
	s_mov_b64 s[10:11], 0
	s_mov_b64 s[6:7], 0
                                        ; implicit-def: $vgpr1
                                        ; implicit-def: $sgpr8_sgpr9
	s_and_saveexec_b64 s[16:17], s[4:5]
	s_cbranch_execz .LBB692_11
; %bb.7:
	v_cmp_eq_f32_e64 s[4:5], s3, 0
	s_mul_i32 s8, s2, s20
	v_mov_b32_e32 v1, 0
	s_ashr_i32 s9, s8, 31
	s_and_b64 vcc, exec, s[4:5]
	s_cbranch_vccnz .LBB692_9
; %bb.8:
	s_lshl_b64 s[4:5], s[8:9], 2
	s_add_u32 s4, s18, s4
	s_addc_u32 s5, s19, s5
	s_load_dword s4, s[4:5], 0x0
	s_waitcnt lgkmcnt(0)
	v_mov_b32_e32 v1, s4
	v_mul_f32_e32 v1, s3, v1
.LBB692_9:
	s_mov_b64 s[6:7], exec
	s_or_b64 exec, exec, s[16:17]
	s_and_b64 vcc, exec, s[10:11]
	s_cbranch_vccnz .LBB692_12
	s_branch .LBB692_39
.LBB692_10:
	s_mov_b64 s[6:7], 0
                                        ; implicit-def: $vgpr1
                                        ; implicit-def: $sgpr8_sgpr9
	s_cbranch_execnz .LBB692_12
	s_branch .LBB692_39
.LBB692_11:
	s_or_b64 exec, exec, s[16:17]
	s_and_b64 vcc, exec, s[10:11]
	s_cbranch_vccz .LBB692_39
.LBB692_12:
	s_load_dword s17, s[0:1], 0x0
	s_load_dword s4, s[0:1], 0x28
	;; [unrolled: 1-line block ×3, first 2 shown]
	v_mov_b32_e32 v3, 0
	s_waitcnt lgkmcnt(0)
	v_cmp_gt_i32_e32 vcc, s17, v0
	s_mul_i32 s0, s2, s4
	s_ashr_i32 s1, s0, 31
	s_lshl_b64 s[0:1], s[0:1], 1
	v_cndmask_b32_e32 v1, 0, v0, vcc
	s_add_u32 s0, s0, s14
	v_lshlrev_b32_e32 v2, 1, v1
	s_addc_u32 s1, s1, s15
	v_lshl_add_u64 v[4:5], s[0:1], 0, v[2:3]
	s_ashr_i32 s0, s17, 31
	s_lshr_b32 s0, s0, 22
	s_add_i32 s0, s17, s0
	s_and_b32 s0, s0, 0xfffffc00
	v_cmp_gt_i32_e32 vcc, s0, v0
	s_and_saveexec_b64 s[4:5], vcc
	s_cbranch_execz .LBB692_20
; %bb.13:
	v_mul_lo_u32 v6, v0, s16
	s_lshl_b32 s1, s16, 10
	s_mov_b64 s[8:9], 0
	v_mov_b32_e32 v1, 0
	s_mov_b32 s21, 0x7f800000
	s_movk_i32 s23, 0x7fff
	s_mov_b64 s[10:11], 0x800
	v_mov_b64_e32 v[8:9], v[4:5]
	v_mov_b32_e32 v2, v0
	v_mov_b32_e32 v3, 0
	s_branch .LBB692_15
.LBB692_14:                             ;   in Loop: Header=BB692_15 Depth=1
	s_or_b64 exec, exec, s[14:15]
	v_add_u32_e32 v2, 0x400, v2
	v_and_b32_e32 v7, 0xffff0000, v7
	v_cmp_le_i32_e32 vcc, s0, v2
	v_add_f32_e32 v3, v3, v7
	v_add_u32_e32 v6, s1, v6
	s_or_b64 s[8:9], vcc, s[8:9]
	v_lshl_add_u64 v[8:9], v[8:9], 0, s[10:11]
	s_andn2_b64 exec, exec, s[8:9]
	s_cbranch_execz .LBB692_19
.LBB692_15:                             ; =>This Inner Loop Header: Depth=1
	v_ashrrev_i32_e32 v7, 31, v6
	v_lshl_add_u64 v[10:11], v[6:7], 1, s[12:13]
	flat_load_ushort v7, v[10:11]
	flat_load_ushort v12, v[8:9]
	s_waitcnt vmcnt(0) lgkmcnt(0)
	v_lshlrev_b32_e32 v10, 16, v7
	v_lshlrev_b32_e32 v12, 16, v12
	v_pk_mul_f32 v[10:11], v[10:11], v[12:13] op_sel_hi:[0,1]
	v_and_b32_e32 v7, 0x7f800000, v10
	v_cmp_ne_u32_e32 vcc, s21, v7
                                        ; implicit-def: $vgpr7
	s_and_saveexec_b64 s[14:15], vcc
	s_xor_b64 s[14:15], exec, s[14:15]
; %bb.16:                               ;   in Loop: Header=BB692_15 Depth=1
	v_bfe_u32 v7, v10, 16, 1
	v_add3_u32 v7, v10, v7, s23
                                        ; implicit-def: $vgpr10_vgpr11
; %bb.17:                               ;   in Loop: Header=BB692_15 Depth=1
	s_andn2_saveexec_b64 s[14:15], s[14:15]
	s_cbranch_execz .LBB692_14
; %bb.18:                               ;   in Loop: Header=BB692_15 Depth=1
	v_or_b32_e32 v7, 0x10000, v10
	v_cmp_eq_u32_sdwa vcc, v10, v1 src0_sel:WORD_0 src1_sel:DWORD
	s_nop 1
	v_cndmask_b32_e32 v7, v7, v10, vcc
	s_branch .LBB692_14
.LBB692_19:
	s_or_b64 exec, exec, s[8:9]
.LBB692_20:
	s_or_b64 exec, exec, s[4:5]
	v_or_b32_e32 v1, s0, v0
	v_cmp_gt_i32_e32 vcc, s17, v1
	s_and_saveexec_b64 s[4:5], vcc
	s_cbranch_execz .LBB692_26
; %bb.21:
	s_ashr_i32 s1, s0, 31
	v_mul_lo_u32 v6, v1, s16
	v_lshl_add_u64 v[4:5], s[0:1], 1, v[4:5]
	v_ashrrev_i32_e32 v7, 31, v6
	v_lshl_add_u64 v[6:7], v[6:7], 1, s[12:13]
	flat_load_ushort v1, v[4:5]
	flat_load_ushort v8, v[6:7]
	s_mov_b32 s0, 0x7f800000
	s_waitcnt vmcnt(0) lgkmcnt(0)
	v_lshlrev_b32_e32 v2, 16, v1
	v_lshlrev_b32_e32 v4, 16, v8
	v_pk_mul_f32 v[4:5], v[4:5], v[2:3] op_sel_hi:[0,1]
	v_and_b32_e32 v1, 0x7f800000, v4
	v_cmp_ne_u32_e32 vcc, s0, v1
                                        ; implicit-def: $vgpr1
	s_and_saveexec_b64 s[0:1], vcc
	s_xor_b64 s[0:1], exec, s[0:1]
; %bb.22:
	v_bfe_u32 v1, v4, 16, 1
	s_movk_i32 s8, 0x7fff
	v_add3_u32 v1, v4, v1, s8
                                        ; implicit-def: $vgpr4_vgpr5
; %bb.23:
	s_andn2_saveexec_b64 s[0:1], s[0:1]
; %bb.24:
	v_mov_b32_e32 v1, 0
	v_or_b32_e32 v2, 0x10000, v4
	v_cmp_eq_u32_sdwa vcc, v4, v1 src0_sel:WORD_0 src1_sel:DWORD
	s_nop 1
	v_cndmask_b32_e32 v1, v2, v4, vcc
; %bb.25:
	s_or_b64 exec, exec, s[0:1]
	v_and_b32_e32 v1, 0xffff0000, v1
	v_add_f32_e32 v3, v3, v1
.LBB692_26:
	s_or_b64 exec, exec, s[4:5]
	v_and_b32_e32 v2, 63, v0
	v_cmp_gt_u32_e32 vcc, 64, v0
	v_lshlrev_b32_e32 v1, 2, v2
	s_and_saveexec_b64 s[0:1], vcc
	s_cbranch_execz .LBB692_28
; %bb.27:
	v_mov_b32_e32 v4, 0
	ds_write_b32 v1, v4
.LBB692_28:
	s_or_b64 exec, exec, s[0:1]
	v_mbcnt_lo_u32_b32 v4, -1, 0
	v_mbcnt_hi_u32_b32 v6, -1, v4
	v_and_b32_e32 v7, 63, v6
	v_cmp_gt_u32_e64 s[0:1], 32, v7
	s_waitcnt lgkmcnt(0)
	s_barrier
	v_cndmask_b32_e64 v4, 0, 1, s[0:1]
	v_lshlrev_b32_e32 v4, 5, v4
	v_add_lshl_u32 v4, v4, v6, 2
	ds_bpermute_b32 v4, v4, v3
	v_cmp_gt_u32_e64 s[0:1], 48, v7
	s_waitcnt lgkmcnt(0)
	v_add_f32_e32 v3, v3, v4
	v_cndmask_b32_e64 v5, 0, 1, s[0:1]
	v_lshlrev_b32_e32 v5, 4, v5
	v_add_lshl_u32 v4, v5, v6, 2
	ds_bpermute_b32 v4, v4, v3
	v_cmp_gt_u32_e64 s[0:1], 56, v7
	s_waitcnt lgkmcnt(0)
	v_add_f32_e32 v4, v3, v4
	;; [unrolled: 7-line block ×4, first 2 shown]
	v_cndmask_b32_e64 v9, 0, 1, s[0:1]
	v_lshlrev_b32_e32 v9, 1, v9
	v_add_lshl_u32 v5, v9, v6, 2
	ds_bpermute_b32 v9, v5, v8
	v_cmp_ne_u32_e64 s[0:1], 63, v7
	s_waitcnt lgkmcnt(0)
	v_add_f32_e32 v7, v8, v9
	v_addc_co_u32_e64 v6, s[0:1], 0, v6, s[0:1]
	v_lshlrev_b32_e32 v6, 2, v6
	ds_bpermute_b32 v8, v6, v7
	v_cmp_eq_u32_e64 s[0:1], 0, v2
	s_and_saveexec_b64 s[4:5], s[0:1]
	s_cbranch_execz .LBB692_30
; %bb.29:
	v_lshrrev_b32_e32 v2, 4, v0
	v_and_b32_e32 v2, 60, v2
	s_waitcnt lgkmcnt(0)
	v_add_f32_e32 v7, v7, v8
	ds_write_b32 v2, v7
.LBB692_30:
	s_or_b64 exec, exec, s[4:5]
	v_cmp_gt_u32_e64 s[0:1], 16, v0
	v_mov_b32_e32 v2, 0
	s_waitcnt lgkmcnt(0)
	s_barrier
	s_and_saveexec_b64 s[4:5], s[0:1]
	s_cbranch_execz .LBB692_32
; %bb.31:
	ds_read_b32 v2, v1
	s_or_b64 exec, exec, s[4:5]
	s_and_saveexec_b64 s[0:1], vcc
	s_cbranch_execz .LBB692_34
	s_branch .LBB692_33
.LBB692_32:
	s_or_b64 exec, exec, s[4:5]
	s_and_saveexec_b64 s[0:1], vcc
	s_cbranch_execz .LBB692_34
.LBB692_33:
	s_waitcnt lgkmcnt(0)
	ds_bpermute_b32 v1, v3, v2
	s_waitcnt lgkmcnt(0)
	v_add_f32_e32 v1, v2, v1
	ds_bpermute_b32 v2, v4, v1
	s_waitcnt lgkmcnt(0)
	v_add_f32_e32 v1, v1, v2
	;; [unrolled: 3-line block ×4, first 2 shown]
.LBB692_34:
	s_or_b64 exec, exec, s[0:1]
	v_cmp_eq_u32_e32 vcc, 0, v0
                                        ; implicit-def: $vgpr1
                                        ; implicit-def: $sgpr8_sgpr9
	s_and_saveexec_b64 s[0:1], vcc
	s_cbranch_execz .LBB692_38
; %bb.35:
	v_cmp_eq_f32_e64 s[4:5], s3, 0
	s_mul_i32 s8, s2, s20
	s_waitcnt lgkmcnt(0)
	v_mul_f32_e32 v1, s22, v2
	s_ashr_i32 s9, s8, 31
	s_and_b64 vcc, exec, s[4:5]
	s_cbranch_vccnz .LBB692_37
; %bb.36:
	s_lshl_b64 s[4:5], s[8:9], 2
	s_add_u32 s4, s18, s4
	s_addc_u32 s5, s19, s5
	s_load_dword s2, s[4:5], 0x0
	s_waitcnt lgkmcnt(0)
	v_mov_b32_e32 v0, s2
	v_fmac_f32_e32 v1, s3, v0
.LBB692_37:
	s_or_b64 s[6:7], s[6:7], exec
.LBB692_38:
	s_or_b64 exec, exec, s[0:1]
.LBB692_39:
	s_and_saveexec_b64 s[0:1], s[6:7]
	s_cbranch_execz .LBB692_41
; %bb.40:
	s_lshl_b64 s[0:1], s[8:9], 2
	s_add_u32 s0, s18, s0
	s_addc_u32 s1, s19, s1
	v_mov_b32_e32 v0, 0
	global_store_dword v0, v1, s[0:1]
.LBB692_41:
	s_endpgm
	.section	.rodata,"a",@progbits
	.p2align	6, 0x0
	.amdhsa_kernel _ZL32rocblas_gemvt_warp_reduce_kernelILb1ELi1024EiPK16rocblas_bfloat16PKfKPfEviiT3_lPKT2_lT1_lSA_lSB_lS7_lPT4_lSB_li
		.amdhsa_group_segment_fixed_size 256
		.amdhsa_private_segment_fixed_size 0
		.amdhsa_kernarg_size 140
		.amdhsa_user_sgpr_count 2
		.amdhsa_user_sgpr_dispatch_ptr 0
		.amdhsa_user_sgpr_queue_ptr 0
		.amdhsa_user_sgpr_kernarg_segment_ptr 1
		.amdhsa_user_sgpr_dispatch_id 0
		.amdhsa_user_sgpr_kernarg_preload_length 0
		.amdhsa_user_sgpr_kernarg_preload_offset 0
		.amdhsa_user_sgpr_private_segment_size 0
		.amdhsa_uses_dynamic_stack 0
		.amdhsa_enable_private_segment 0
		.amdhsa_system_sgpr_workgroup_id_x 1
		.amdhsa_system_sgpr_workgroup_id_y 0
		.amdhsa_system_sgpr_workgroup_id_z 1
		.amdhsa_system_sgpr_workgroup_info 0
		.amdhsa_system_vgpr_workitem_id 0
		.amdhsa_next_free_vgpr 14
		.amdhsa_next_free_sgpr 24
		.amdhsa_accum_offset 16
		.amdhsa_reserve_vcc 1
		.amdhsa_float_round_mode_32 0
		.amdhsa_float_round_mode_16_64 0
		.amdhsa_float_denorm_mode_32 3
		.amdhsa_float_denorm_mode_16_64 3
		.amdhsa_dx10_clamp 1
		.amdhsa_ieee_mode 1
		.amdhsa_fp16_overflow 0
		.amdhsa_tg_split 0
		.amdhsa_exception_fp_ieee_invalid_op 0
		.amdhsa_exception_fp_denorm_src 0
		.amdhsa_exception_fp_ieee_div_zero 0
		.amdhsa_exception_fp_ieee_overflow 0
		.amdhsa_exception_fp_ieee_underflow 0
		.amdhsa_exception_fp_ieee_inexact 0
		.amdhsa_exception_int_div_zero 0
	.end_amdhsa_kernel
	.section	.text._ZL32rocblas_gemvt_warp_reduce_kernelILb1ELi1024EiPK16rocblas_bfloat16PKfKPfEviiT3_lPKT2_lT1_lSA_lSB_lS7_lPT4_lSB_li,"axG",@progbits,_ZL32rocblas_gemvt_warp_reduce_kernelILb1ELi1024EiPK16rocblas_bfloat16PKfKPfEviiT3_lPKT2_lT1_lSA_lSB_lS7_lPT4_lSB_li,comdat
.Lfunc_end692:
	.size	_ZL32rocblas_gemvt_warp_reduce_kernelILb1ELi1024EiPK16rocblas_bfloat16PKfKPfEviiT3_lPKT2_lT1_lSA_lSB_lS7_lPT4_lSB_li, .Lfunc_end692-_ZL32rocblas_gemvt_warp_reduce_kernelILb1ELi1024EiPK16rocblas_bfloat16PKfKPfEviiT3_lPKT2_lT1_lSA_lSB_lS7_lPT4_lSB_li
                                        ; -- End function
	.section	.AMDGPU.csdata,"",@progbits
; Kernel info:
; codeLenInByte = 1564
; NumSgprs: 30
; NumVgprs: 14
; NumAgprs: 0
; TotalNumVgprs: 14
; ScratchSize: 0
; MemoryBound: 0
; FloatMode: 240
; IeeeMode: 1
; LDSByteSize: 256 bytes/workgroup (compile time only)
; SGPRBlocks: 3
; VGPRBlocks: 1
; NumSGPRsForWavesPerEU: 30
; NumVGPRsForWavesPerEU: 14
; AccumOffset: 16
; Occupancy: 8
; WaveLimiterHint : 1
; COMPUTE_PGM_RSRC2:SCRATCH_EN: 0
; COMPUTE_PGM_RSRC2:USER_SGPR: 2
; COMPUTE_PGM_RSRC2:TRAP_HANDLER: 0
; COMPUTE_PGM_RSRC2:TGID_X_EN: 1
; COMPUTE_PGM_RSRC2:TGID_Y_EN: 0
; COMPUTE_PGM_RSRC2:TGID_Z_EN: 1
; COMPUTE_PGM_RSRC2:TIDIG_COMP_CNT: 0
; COMPUTE_PGM_RSRC3_GFX90A:ACCUM_OFFSET: 3
; COMPUTE_PGM_RSRC3_GFX90A:TG_SPLIT: 0
	.section	.text._ZL32rocblas_gemvt_warp_reduce_kernelILb1ELi1024ElPK16rocblas_bfloat16PKfKPfEviiT3_lPKT2_lT1_lSA_lSB_lS7_lPT4_lSB_li,"axG",@progbits,_ZL32rocblas_gemvt_warp_reduce_kernelILb1ELi1024ElPK16rocblas_bfloat16PKfKPfEviiT3_lPKT2_lT1_lSA_lSB_lS7_lPT4_lSB_li,comdat
	.globl	_ZL32rocblas_gemvt_warp_reduce_kernelILb1ELi1024ElPK16rocblas_bfloat16PKfKPfEviiT3_lPKT2_lT1_lSA_lSB_lS7_lPT4_lSB_li ; -- Begin function _ZL32rocblas_gemvt_warp_reduce_kernelILb1ELi1024ElPK16rocblas_bfloat16PKfKPfEviiT3_lPKT2_lT1_lSA_lSB_lS7_lPT4_lSB_li
	.p2align	8
	.type	_ZL32rocblas_gemvt_warp_reduce_kernelILb1ELi1024ElPK16rocblas_bfloat16PKfKPfEviiT3_lPKT2_lT1_lSA_lSB_lS7_lPT4_lSB_li,@function
_ZL32rocblas_gemvt_warp_reduce_kernelILb1ELi1024ElPK16rocblas_bfloat16PKfKPfEviiT3_lPKT2_lT1_lSA_lSB_lS7_lPT4_lSB_li: ; @_ZL32rocblas_gemvt_warp_reduce_kernelILb1ELi1024ElPK16rocblas_bfloat16PKfKPfEviiT3_lPKT2_lT1_lSA_lSB_lS7_lPT4_lSB_li
; %bb.0:
	s_load_dwordx8 s[12:19], s[0:1], 0x8
	s_load_dwordx8 s[4:11], s[0:1], 0x58
	s_mov_b32 s24, s3
	s_waitcnt lgkmcnt(0)
	s_mul_i32 s3, s3, s15
	s_mul_hi_u32 s15, s24, s14
	s_add_i32 s15, s15, s3
	s_mul_i32 s14, s24, s14
	s_lshl_b64 s[14:15], s[14:15], 2
	s_add_u32 s12, s12, s14
	s_mul_i32 s3, s24, s7
	s_mul_hi_u32 s7, s24, s6
	s_addc_u32 s13, s13, s15
	s_add_i32 s7, s7, s3
	s_mul_i32 s6, s24, s6
	s_lshl_b64 s[6:7], s[6:7], 2
	s_add_u32 s4, s4, s6
	s_addc_u32 s5, s5, s7
	s_load_dword s30, s[12:13], 0x0
	s_load_dword s3, s[4:5], 0x0
	s_waitcnt lgkmcnt(0)
	v_cmp_eq_f32_e64 s[26:27], s30, 0
	v_cmp_eq_f32_e64 s[4:5], s3, 1.0
	s_and_b64 s[4:5], s[26:27], s[4:5]
	s_and_b64 vcc, exec, s[4:5]
	s_cbranch_vccnz .LBB693_41
; %bb.1:
	s_load_dwordx2 s[20:21], s[0:1], 0x28
	s_load_dwordx2 s[12:13], s[0:1], 0x78
	s_mov_b32 s25, 0
	v_cmp_neq_f32_e64 s[28:29], s30, 0
	s_mov_b64 s[14:15], 0
	s_and_b64 vcc, exec, s[26:27]
	s_mov_b64 s[22:23], 0
	s_cbranch_vccnz .LBB693_3
; %bb.2:
	s_lshl_b64 s[4:5], s[24:25], 3
	s_add_u32 s4, s16, s4
	s_addc_u32 s5, s17, s5
	s_load_dwordx2 s[4:5], s[4:5], 0x0
	s_lshl_b64 s[6:7], s[18:19], 1
	s_waitcnt lgkmcnt(0)
	s_add_u32 s22, s4, s6
	s_addc_u32 s23, s5, s7
.LBB693_3:
	s_load_dwordx4 s[4:7], s[0:1], 0x38
	s_load_dwordx2 s[16:17], s[0:1], 0x48
	s_andn2_b64 vcc, exec, s[28:29]
	s_cbranch_vccnz .LBB693_5
; %bb.4:
	s_lshl_b64 s[14:15], s[24:25], 3
	s_waitcnt lgkmcnt(0)
	s_add_u32 s4, s4, s14
	s_addc_u32 s5, s5, s15
	s_load_dwordx2 s[4:5], s[4:5], 0x0
	s_lshl_b64 s[6:7], s[6:7], 1
	s_waitcnt lgkmcnt(0)
	s_add_u32 s14, s4, s6
	s_addc_u32 s15, s5, s7
.LBB693_5:
	s_waitcnt lgkmcnt(0)
	s_lshl_b64 s[4:5], s[24:25], 3
	s_add_u32 s4, s8, s4
	s_addc_u32 s5, s9, s5
	s_load_dwordx2 s[4:5], s[4:5], 0x0
	s_lshl_b64 s[6:7], s[10:11], 2
	s_waitcnt lgkmcnt(0)
	s_add_u32 s24, s4, s6
	s_addc_u32 s25, s5, s7
	s_andn2_b64 vcc, exec, s[26:27]
	v_cmp_eq_u32_e64 s[4:5], 0, v0
	s_cbranch_vccnz .LBB693_10
; %bb.6:
	s_mov_b64 s[10:11], 0
	s_mov_b64 s[6:7], 0
                                        ; implicit-def: $vgpr1
                                        ; implicit-def: $sgpr8_sgpr9
	s_and_saveexec_b64 s[18:19], s[4:5]
	s_cbranch_execz .LBB693_11
; %bb.7:
	s_ashr_i32 s6, s2, 31
	s_mul_i32 s7, s2, s13
	s_mul_hi_u32 s8, s2, s12
	v_cmp_eq_f32_e64 s[4:5], s3, 0
	s_add_i32 s7, s8, s7
	s_mul_i32 s6, s6, s12
	v_mov_b32_e32 v1, 0
	s_add_i32 s9, s7, s6
	s_mul_i32 s8, s2, s12
	s_and_b64 vcc, exec, s[4:5]
	s_cbranch_vccnz .LBB693_9
; %bb.8:
	s_lshl_b64 s[4:5], s[8:9], 2
	s_add_u32 s4, s24, s4
	s_addc_u32 s5, s25, s5
	s_load_dword s4, s[4:5], 0x0
	s_waitcnt lgkmcnt(0)
	v_mov_b32_e32 v1, s4
	v_mul_f32_e32 v1, s3, v1
.LBB693_9:
	s_mov_b64 s[6:7], exec
	s_or_b64 exec, exec, s[18:19]
	s_and_b64 vcc, exec, s[10:11]
	s_cbranch_vccnz .LBB693_12
	s_branch .LBB693_39
.LBB693_10:
	s_mov_b64 s[6:7], 0
                                        ; implicit-def: $vgpr1
                                        ; implicit-def: $sgpr8_sgpr9
	s_cbranch_execnz .LBB693_12
	s_branch .LBB693_39
.LBB693_11:
	s_or_b64 exec, exec, s[18:19]
	s_and_b64 vcc, exec, s[10:11]
	s_cbranch_vccz .LBB693_39
.LBB693_12:
	s_load_dword s1, s[0:1], 0x0
	s_ashr_i32 s26, s2, 31
	s_mul_i32 s0, s2, s21
	s_mul_hi_u32 s4, s2, s20
	s_add_i32 s0, s4, s0
	s_mul_i32 s4, s26, s20
	s_add_i32 s5, s0, s4
	s_mul_i32 s4, s2, s20
	s_lshl_b64 s[4:5], s[4:5], 1
	s_add_u32 s4, s4, s22
	s_addc_u32 s5, s5, s23
	s_waitcnt lgkmcnt(0)
	s_ashr_i32 s0, s1, 31
	v_cmp_gt_i32_e32 vcc, s1, v0
	s_lshr_b32 s0, s0, 22
	s_add_i32 s0, s1, s0
	v_cndmask_b32_e32 v1, 0, v0, vcc
	v_mov_b32_e32 v3, 0
	v_lshlrev_b32_e32 v2, 1, v1
	s_and_b32 s0, s0, 0xfffffc00
	v_lshl_add_u64 v[4:5], s[4:5], 0, v[2:3]
	v_cmp_gt_i32_e32 vcc, s0, v0
	s_and_saveexec_b64 s[4:5], vcc
	s_cbranch_execz .LBB693_20
; %bb.13:
	v_mad_u64_u32 v[2:3], s[8:9], s16, v0, 0
	v_mov_b32_e32 v6, v3
	v_mad_u64_u32 v[6:7], s[8:9], s17, v0, v[6:7]
	v_mov_b32_e32 v3, v6
	v_lshl_add_u64 v[6:7], v[2:3], 1, s[14:15]
	s_lshl_b64 s[10:11], s[16:17], 11
	s_mov_b64 s[8:9], 0
	v_mov_b32_e32 v1, 0
	s_mov_b32 s22, 0x7f800000
	s_movk_i32 s23, 0x7fff
	s_mov_b64 s[18:19], 0x800
	v_mov_b64_e32 v[8:9], v[4:5]
	v_mov_b32_e32 v2, v0
	v_mov_b32_e32 v3, 0
	s_branch .LBB693_15
.LBB693_14:                             ;   in Loop: Header=BB693_15 Depth=1
	s_or_b64 exec, exec, s[20:21]
	v_add_u32_e32 v2, 0x400, v2
	v_and_b32_e32 v10, 0xffff0000, v12
	v_cmp_le_i32_e32 vcc, s0, v2
	v_add_f32_e32 v3, v3, v10
	v_lshl_add_u64 v[8:9], v[8:9], 0, s[18:19]
	s_or_b64 s[8:9], vcc, s[8:9]
	v_lshl_add_u64 v[6:7], v[6:7], 0, s[10:11]
	s_andn2_b64 exec, exec, s[8:9]
	s_cbranch_execz .LBB693_19
.LBB693_15:                             ; =>This Inner Loop Header: Depth=1
	flat_load_ushort v10, v[6:7]
	flat_load_ushort v11, v[8:9]
	s_waitcnt vmcnt(0) lgkmcnt(0)
	v_lshlrev_b32_e32 v10, 16, v10
	v_lshlrev_b32_e32 v12, 16, v11
	v_pk_mul_f32 v[10:11], v[10:11], v[12:13] op_sel_hi:[0,1]
	v_and_b32_e32 v11, 0x7f800000, v10
	v_cmp_ne_u32_e32 vcc, s22, v11
                                        ; implicit-def: $vgpr12
	s_and_saveexec_b64 s[20:21], vcc
	s_xor_b64 s[20:21], exec, s[20:21]
; %bb.16:                               ;   in Loop: Header=BB693_15 Depth=1
	v_bfe_u32 v11, v10, 16, 1
	v_add3_u32 v12, v10, v11, s23
                                        ; implicit-def: $vgpr10_vgpr11
; %bb.17:                               ;   in Loop: Header=BB693_15 Depth=1
	s_andn2_saveexec_b64 s[20:21], s[20:21]
	s_cbranch_execz .LBB693_14
; %bb.18:                               ;   in Loop: Header=BB693_15 Depth=1
	v_or_b32_e32 v11, 0x10000, v10
	v_cmp_eq_u32_sdwa vcc, v10, v1 src0_sel:WORD_0 src1_sel:DWORD
	s_nop 1
	v_cndmask_b32_e32 v12, v11, v10, vcc
	s_branch .LBB693_14
.LBB693_19:
	s_or_b64 exec, exec, s[8:9]
.LBB693_20:
	s_or_b64 exec, exec, s[4:5]
	v_or_b32_e32 v1, s0, v0
	v_cmp_gt_i32_e32 vcc, s1, v1
	s_and_saveexec_b64 s[4:5], vcc
	s_cbranch_execz .LBB693_26
; %bb.21:
	s_ashr_i32 s1, s0, 31
	v_ashrrev_i32_e32 v2, 31, v1
	v_lshl_add_u64 v[4:5], s[0:1], 1, v[4:5]
	v_mul_lo_u32 v8, v1, s17
	v_mul_lo_u32 v2, v2, s16
	v_mad_u64_u32 v[6:7], s[0:1], v1, s16, 0
	v_add3_u32 v7, v7, v8, v2
	v_lshl_add_u64 v[6:7], v[6:7], 1, s[14:15]
	flat_load_ushort v1, v[4:5]
	flat_load_ushort v8, v[6:7]
	s_mov_b32 s0, 0x7f800000
	s_waitcnt vmcnt(0) lgkmcnt(0)
	v_lshlrev_b32_e32 v2, 16, v1
	v_lshlrev_b32_e32 v4, 16, v8
	v_pk_mul_f32 v[4:5], v[4:5], v[2:3] op_sel_hi:[0,1]
	v_and_b32_e32 v1, 0x7f800000, v4
	v_cmp_ne_u32_e32 vcc, s0, v1
                                        ; implicit-def: $vgpr1
	s_and_saveexec_b64 s[0:1], vcc
	s_xor_b64 s[0:1], exec, s[0:1]
; %bb.22:
	v_bfe_u32 v1, v4, 16, 1
	s_movk_i32 s8, 0x7fff
	v_add3_u32 v1, v4, v1, s8
                                        ; implicit-def: $vgpr4_vgpr5
; %bb.23:
	s_andn2_saveexec_b64 s[0:1], s[0:1]
; %bb.24:
	v_mov_b32_e32 v1, 0
	v_or_b32_e32 v2, 0x10000, v4
	v_cmp_eq_u32_sdwa vcc, v4, v1 src0_sel:WORD_0 src1_sel:DWORD
	s_nop 1
	v_cndmask_b32_e32 v1, v2, v4, vcc
; %bb.25:
	s_or_b64 exec, exec, s[0:1]
	v_and_b32_e32 v1, 0xffff0000, v1
	v_add_f32_e32 v3, v3, v1
.LBB693_26:
	s_or_b64 exec, exec, s[4:5]
	v_and_b32_e32 v2, 63, v0
	v_cmp_gt_u32_e32 vcc, 64, v0
	v_lshlrev_b32_e32 v1, 2, v2
	s_and_saveexec_b64 s[0:1], vcc
	s_cbranch_execz .LBB693_28
; %bb.27:
	v_mov_b32_e32 v4, 0
	ds_write_b32 v1, v4
.LBB693_28:
	s_or_b64 exec, exec, s[0:1]
	v_mbcnt_lo_u32_b32 v4, -1, 0
	v_mbcnt_hi_u32_b32 v6, -1, v4
	v_and_b32_e32 v7, 63, v6
	v_cmp_gt_u32_e64 s[0:1], 32, v7
	s_waitcnt lgkmcnt(0)
	s_barrier
	v_cndmask_b32_e64 v4, 0, 1, s[0:1]
	v_lshlrev_b32_e32 v4, 5, v4
	v_add_lshl_u32 v4, v4, v6, 2
	ds_bpermute_b32 v4, v4, v3
	v_cmp_gt_u32_e64 s[0:1], 48, v7
	s_waitcnt lgkmcnt(0)
	v_add_f32_e32 v3, v3, v4
	v_cndmask_b32_e64 v5, 0, 1, s[0:1]
	v_lshlrev_b32_e32 v5, 4, v5
	v_add_lshl_u32 v4, v5, v6, 2
	ds_bpermute_b32 v4, v4, v3
	v_cmp_gt_u32_e64 s[0:1], 56, v7
	s_waitcnt lgkmcnt(0)
	v_add_f32_e32 v4, v3, v4
	;; [unrolled: 7-line block ×4, first 2 shown]
	v_cndmask_b32_e64 v9, 0, 1, s[0:1]
	v_lshlrev_b32_e32 v9, 1, v9
	v_add_lshl_u32 v5, v9, v6, 2
	ds_bpermute_b32 v9, v5, v8
	v_cmp_ne_u32_e64 s[0:1], 63, v7
	s_waitcnt lgkmcnt(0)
	v_add_f32_e32 v7, v8, v9
	v_addc_co_u32_e64 v6, s[0:1], 0, v6, s[0:1]
	v_lshlrev_b32_e32 v6, 2, v6
	ds_bpermute_b32 v8, v6, v7
	v_cmp_eq_u32_e64 s[0:1], 0, v2
	s_and_saveexec_b64 s[4:5], s[0:1]
	s_cbranch_execz .LBB693_30
; %bb.29:
	v_lshrrev_b32_e32 v2, 4, v0
	v_and_b32_e32 v2, 60, v2
	s_waitcnt lgkmcnt(0)
	v_add_f32_e32 v7, v7, v8
	ds_write_b32 v2, v7
.LBB693_30:
	s_or_b64 exec, exec, s[4:5]
	v_cmp_gt_u32_e64 s[0:1], 16, v0
	v_mov_b32_e32 v2, 0
	s_waitcnt lgkmcnt(0)
	s_barrier
	s_and_saveexec_b64 s[4:5], s[0:1]
	s_cbranch_execz .LBB693_32
; %bb.31:
	ds_read_b32 v2, v1
	s_or_b64 exec, exec, s[4:5]
	s_and_saveexec_b64 s[0:1], vcc
	s_cbranch_execz .LBB693_34
	s_branch .LBB693_33
.LBB693_32:
	s_or_b64 exec, exec, s[4:5]
	s_and_saveexec_b64 s[0:1], vcc
	s_cbranch_execz .LBB693_34
.LBB693_33:
	s_waitcnt lgkmcnt(0)
	ds_bpermute_b32 v1, v3, v2
	s_waitcnt lgkmcnt(0)
	v_add_f32_e32 v1, v2, v1
	ds_bpermute_b32 v2, v4, v1
	s_waitcnt lgkmcnt(0)
	v_add_f32_e32 v1, v1, v2
	;; [unrolled: 3-line block ×4, first 2 shown]
.LBB693_34:
	s_or_b64 exec, exec, s[0:1]
	v_cmp_eq_u32_e32 vcc, 0, v0
                                        ; implicit-def: $vgpr1
                                        ; implicit-def: $sgpr8_sgpr9
	s_and_saveexec_b64 s[0:1], vcc
	s_cbranch_execz .LBB693_38
; %bb.35:
	s_mul_i32 s8, s2, s13
	s_mul_hi_u32 s9, s2, s12
	v_cmp_eq_f32_e64 s[4:5], s3, 0
	s_add_i32 s8, s9, s8
	s_mul_i32 s9, s26, s12
	s_waitcnt lgkmcnt(0)
	v_mul_f32_e32 v1, s30, v2
	s_add_i32 s9, s8, s9
	s_mul_i32 s8, s2, s12
	s_and_b64 vcc, exec, s[4:5]
	s_cbranch_vccnz .LBB693_37
; %bb.36:
	s_lshl_b64 s[4:5], s[8:9], 2
	s_add_u32 s4, s24, s4
	s_addc_u32 s5, s25, s5
	s_load_dword s2, s[4:5], 0x0
	s_waitcnt lgkmcnt(0)
	v_mov_b32_e32 v0, s2
	v_fmac_f32_e32 v1, s3, v0
.LBB693_37:
	s_or_b64 s[6:7], s[6:7], exec
.LBB693_38:
	s_or_b64 exec, exec, s[0:1]
.LBB693_39:
	s_and_saveexec_b64 s[0:1], s[6:7]
	s_cbranch_execz .LBB693_41
; %bb.40:
	s_lshl_b64 s[0:1], s[8:9], 2
	s_add_u32 s0, s24, s0
	s_addc_u32 s1, s25, s1
	v_mov_b32_e32 v0, 0
	global_store_dword v0, v1, s[0:1]
.LBB693_41:
	s_endpgm
	.section	.rodata,"a",@progbits
	.p2align	6, 0x0
	.amdhsa_kernel _ZL32rocblas_gemvt_warp_reduce_kernelILb1ELi1024ElPK16rocblas_bfloat16PKfKPfEviiT3_lPKT2_lT1_lSA_lSB_lS7_lPT4_lSB_li
		.amdhsa_group_segment_fixed_size 256
		.amdhsa_private_segment_fixed_size 0
		.amdhsa_kernarg_size 140
		.amdhsa_user_sgpr_count 2
		.amdhsa_user_sgpr_dispatch_ptr 0
		.amdhsa_user_sgpr_queue_ptr 0
		.amdhsa_user_sgpr_kernarg_segment_ptr 1
		.amdhsa_user_sgpr_dispatch_id 0
		.amdhsa_user_sgpr_kernarg_preload_length 0
		.amdhsa_user_sgpr_kernarg_preload_offset 0
		.amdhsa_user_sgpr_private_segment_size 0
		.amdhsa_uses_dynamic_stack 0
		.amdhsa_enable_private_segment 0
		.amdhsa_system_sgpr_workgroup_id_x 1
		.amdhsa_system_sgpr_workgroup_id_y 0
		.amdhsa_system_sgpr_workgroup_id_z 1
		.amdhsa_system_sgpr_workgroup_info 0
		.amdhsa_system_vgpr_workitem_id 0
		.amdhsa_next_free_vgpr 14
		.amdhsa_next_free_sgpr 31
		.amdhsa_accum_offset 16
		.amdhsa_reserve_vcc 1
		.amdhsa_float_round_mode_32 0
		.amdhsa_float_round_mode_16_64 0
		.amdhsa_float_denorm_mode_32 3
		.amdhsa_float_denorm_mode_16_64 3
		.amdhsa_dx10_clamp 1
		.amdhsa_ieee_mode 1
		.amdhsa_fp16_overflow 0
		.amdhsa_tg_split 0
		.amdhsa_exception_fp_ieee_invalid_op 0
		.amdhsa_exception_fp_denorm_src 0
		.amdhsa_exception_fp_ieee_div_zero 0
		.amdhsa_exception_fp_ieee_overflow 0
		.amdhsa_exception_fp_ieee_underflow 0
		.amdhsa_exception_fp_ieee_inexact 0
		.amdhsa_exception_int_div_zero 0
	.end_amdhsa_kernel
	.section	.text._ZL32rocblas_gemvt_warp_reduce_kernelILb1ELi1024ElPK16rocblas_bfloat16PKfKPfEviiT3_lPKT2_lT1_lSA_lSB_lS7_lPT4_lSB_li,"axG",@progbits,_ZL32rocblas_gemvt_warp_reduce_kernelILb1ELi1024ElPK16rocblas_bfloat16PKfKPfEviiT3_lPKT2_lT1_lSA_lSB_lS7_lPT4_lSB_li,comdat
.Lfunc_end693:
	.size	_ZL32rocblas_gemvt_warp_reduce_kernelILb1ELi1024ElPK16rocblas_bfloat16PKfKPfEviiT3_lPKT2_lT1_lSA_lSB_lS7_lPT4_lSB_li, .Lfunc_end693-_ZL32rocblas_gemvt_warp_reduce_kernelILb1ELi1024ElPK16rocblas_bfloat16PKfKPfEviiT3_lPKT2_lT1_lSA_lSB_lS7_lPT4_lSB_li
                                        ; -- End function
	.section	.AMDGPU.csdata,"",@progbits
; Kernel info:
; codeLenInByte = 1664
; NumSgprs: 37
; NumVgprs: 14
; NumAgprs: 0
; TotalNumVgprs: 14
; ScratchSize: 0
; MemoryBound: 0
; FloatMode: 240
; IeeeMode: 1
; LDSByteSize: 256 bytes/workgroup (compile time only)
; SGPRBlocks: 4
; VGPRBlocks: 1
; NumSGPRsForWavesPerEU: 37
; NumVGPRsForWavesPerEU: 14
; AccumOffset: 16
; Occupancy: 8
; WaveLimiterHint : 1
; COMPUTE_PGM_RSRC2:SCRATCH_EN: 0
; COMPUTE_PGM_RSRC2:USER_SGPR: 2
; COMPUTE_PGM_RSRC2:TRAP_HANDLER: 0
; COMPUTE_PGM_RSRC2:TGID_X_EN: 1
; COMPUTE_PGM_RSRC2:TGID_Y_EN: 0
; COMPUTE_PGM_RSRC2:TGID_Z_EN: 1
; COMPUTE_PGM_RSRC2:TIDIG_COMP_CNT: 0
; COMPUTE_PGM_RSRC3_GFX90A:ACCUM_OFFSET: 3
; COMPUTE_PGM_RSRC3_GFX90A:TG_SPLIT: 0
	.section	.text._ZL32rocblas_gemvt_warp_reduce_kernelILb1ELi1024EiPK16rocblas_bfloat16fKPfEviiT3_lPKT2_lT1_lS8_lS9_lS5_lPT4_lS9_li,"axG",@progbits,_ZL32rocblas_gemvt_warp_reduce_kernelILb1ELi1024EiPK16rocblas_bfloat16fKPfEviiT3_lPKT2_lT1_lS8_lS9_lS5_lPT4_lS9_li,comdat
	.globl	_ZL32rocblas_gemvt_warp_reduce_kernelILb1ELi1024EiPK16rocblas_bfloat16fKPfEviiT3_lPKT2_lT1_lS8_lS9_lS5_lPT4_lS9_li ; -- Begin function _ZL32rocblas_gemvt_warp_reduce_kernelILb1ELi1024EiPK16rocblas_bfloat16fKPfEviiT3_lPKT2_lT1_lS8_lS9_lS5_lPT4_lS9_li
	.p2align	8
	.type	_ZL32rocblas_gemvt_warp_reduce_kernelILb1ELi1024EiPK16rocblas_bfloat16fKPfEviiT3_lPKT2_lT1_lS8_lS9_lS5_lPT4_lS9_li,@function
_ZL32rocblas_gemvt_warp_reduce_kernelILb1ELi1024EiPK16rocblas_bfloat16fKPfEviiT3_lPKT2_lT1_lS8_lS9_lS5_lPT4_lS9_li: ; @_ZL32rocblas_gemvt_warp_reduce_kernelILb1ELi1024EiPK16rocblas_bfloat16fKPfEviiT3_lPKT2_lT1_lS8_lS9_lS5_lPT4_lS9_li
; %bb.0:
	s_mov_b32 s12, s3
	s_load_dword s18, s[0:1], 0x8
	s_load_dword s3, s[0:1], 0x58
	s_waitcnt lgkmcnt(0)
	v_cmp_eq_f32_e64 s[4:5], s18, 0
	v_cmp_eq_f32_e64 s[6:7], s3, 1.0
	s_and_b64 s[6:7], s[4:5], s[6:7]
	s_and_b64 vcc, exec, s[6:7]
	s_cbranch_vccnz .LBB694_43
; %bb.1:
	v_cmp_neq_f32_e64 s[8:9], s18, 0
	s_mov_b32 s13, 0
	s_and_b64 vcc, exec, s[8:9]
	s_cbranch_vccnz .LBB694_3
; %bb.2:
	s_mov_b64 s[10:11], 0
	s_cbranch_execz .LBB694_4
	s_branch .LBB694_5
.LBB694_3:
                                        ; implicit-def: $sgpr10_sgpr11
.LBB694_4:
	s_load_dwordx4 s[20:23], s[0:1], 0x18
	s_lshl_b64 s[6:7], s[12:13], 3
	s_waitcnt lgkmcnt(0)
	s_add_u32 s6, s20, s6
	s_addc_u32 s7, s21, s7
	s_load_dwordx2 s[6:7], s[6:7], 0x0
	s_lshl_b64 s[10:11], s[22:23], 1
	s_waitcnt lgkmcnt(0)
	s_add_u32 s10, s6, s10
	s_addc_u32 s11, s7, s11
.LBB694_5:
	s_mov_b64 s[6:7], 0
	s_andn2_b64 vcc, exec, s[8:9]
	s_mov_b64 s[8:9], 0
	s_cbranch_vccnz .LBB694_7
; %bb.6:
	s_load_dwordx4 s[20:23], s[0:1], 0x38
	s_lshl_b64 s[8:9], s[12:13], 3
	s_waitcnt lgkmcnt(0)
	s_add_u32 s8, s20, s8
	s_addc_u32 s9, s21, s9
	s_load_dwordx2 s[8:9], s[8:9], 0x0
	s_lshl_b64 s[14:15], s[22:23], 1
	s_waitcnt lgkmcnt(0)
	s_add_u32 s8, s8, s14
	s_addc_u32 s9, s9, s15
.LBB694_7:
	s_load_dwordx4 s[24:27], s[0:1], 0x68
	s_load_dword s21, s[0:1], 0x78
	s_lshl_b64 s[12:13], s[12:13], 3
	s_waitcnt lgkmcnt(0)
	s_add_u32 s12, s24, s12
	s_addc_u32 s13, s25, s13
	s_load_dwordx2 s[12:13], s[12:13], 0x0
	s_lshl_b64 s[14:15], s[26:27], 2
	s_waitcnt lgkmcnt(0)
	s_add_u32 s19, s12, s14
	s_addc_u32 s20, s13, s15
	s_andn2_b64 vcc, exec, s[4:5]
	v_cmp_eq_u32_e64 s[4:5], 0, v0
	s_cbranch_vccnz .LBB694_12
; %bb.8:
	s_mov_b64 s[14:15], 0
                                        ; implicit-def: $vgpr1
                                        ; implicit-def: $sgpr12_sgpr13
	s_and_saveexec_b64 s[16:17], s[4:5]
	s_cbranch_execz .LBB694_13
; %bb.9:
	v_cmp_eq_f32_e64 s[4:5], s3, 0
	s_mul_i32 s12, s2, s21
	v_mov_b32_e32 v1, 0
	s_ashr_i32 s13, s12, 31
	s_and_b64 vcc, exec, s[4:5]
	s_cbranch_vccnz .LBB694_11
; %bb.10:
	s_lshl_b64 s[4:5], s[12:13], 2
	s_add_u32 s4, s19, s4
	s_addc_u32 s5, s20, s5
	s_load_dword s4, s[4:5], 0x0
	v_mov_b32_e32 v1, s3
	s_waitcnt lgkmcnt(0)
	v_mul_f32_e32 v1, s4, v1
.LBB694_11:
	s_mov_b64 s[6:7], exec
	s_or_b64 exec, exec, s[16:17]
	s_and_b64 vcc, exec, s[14:15]
	s_cbranch_vccnz .LBB694_14
	s_branch .LBB694_41
.LBB694_12:
                                        ; implicit-def: $vgpr1
                                        ; implicit-def: $sgpr12_sgpr13
	s_cbranch_execnz .LBB694_14
	s_branch .LBB694_41
.LBB694_13:
	s_or_b64 exec, exec, s[16:17]
	s_and_b64 vcc, exec, s[14:15]
	s_cbranch_vccz .LBB694_41
.LBB694_14:
	s_load_dword s17, s[0:1], 0x0
	s_load_dword s4, s[0:1], 0x28
	;; [unrolled: 1-line block ×3, first 2 shown]
	v_mov_b32_e32 v3, 0
	s_waitcnt lgkmcnt(0)
	v_cmp_gt_i32_e32 vcc, s17, v0
	s_mul_i32 s0, s2, s4
	s_ashr_i32 s1, s0, 31
	s_lshl_b64 s[0:1], s[0:1], 1
	v_cndmask_b32_e32 v1, 0, v0, vcc
	s_add_u32 s0, s0, s10
	v_lshlrev_b32_e32 v2, 1, v1
	s_addc_u32 s1, s1, s11
	v_lshl_add_u64 v[4:5], s[0:1], 0, v[2:3]
	s_ashr_i32 s0, s17, 31
	s_lshr_b32 s0, s0, 22
	s_add_i32 s0, s17, s0
	s_and_b32 s0, s0, 0xfffffc00
	v_cmp_gt_i32_e32 vcc, s0, v0
	s_and_saveexec_b64 s[4:5], vcc
	s_cbranch_execz .LBB694_22
; %bb.15:
	v_mul_lo_u32 v6, v0, s16
	s_lshl_b32 s1, s16, 10
	s_mov_b64 s[10:11], 0
	v_mov_b32_e32 v1, 0
	s_mov_b32 s22, 0x7f800000
	s_movk_i32 s23, 0x7fff
	s_mov_b64 s[12:13], 0x800
	v_mov_b64_e32 v[8:9], v[4:5]
	v_mov_b32_e32 v2, v0
	v_mov_b32_e32 v3, 0
	s_branch .LBB694_17
.LBB694_16:                             ;   in Loop: Header=BB694_17 Depth=1
	s_or_b64 exec, exec, s[14:15]
	v_add_u32_e32 v2, 0x400, v2
	v_and_b32_e32 v7, 0xffff0000, v7
	v_cmp_le_i32_e32 vcc, s0, v2
	v_add_f32_e32 v3, v3, v7
	v_add_u32_e32 v6, s1, v6
	s_or_b64 s[10:11], vcc, s[10:11]
	v_lshl_add_u64 v[8:9], v[8:9], 0, s[12:13]
	s_andn2_b64 exec, exec, s[10:11]
	s_cbranch_execz .LBB694_21
.LBB694_17:                             ; =>This Inner Loop Header: Depth=1
	v_ashrrev_i32_e32 v7, 31, v6
	v_lshl_add_u64 v[10:11], v[6:7], 1, s[8:9]
	flat_load_ushort v7, v[10:11]
	flat_load_ushort v12, v[8:9]
	s_waitcnt vmcnt(0) lgkmcnt(0)
	v_lshlrev_b32_e32 v10, 16, v7
	v_lshlrev_b32_e32 v12, 16, v12
	v_pk_mul_f32 v[10:11], v[10:11], v[12:13] op_sel_hi:[0,1]
	v_and_b32_e32 v7, 0x7f800000, v10
	v_cmp_ne_u32_e32 vcc, s22, v7
                                        ; implicit-def: $vgpr7
	s_and_saveexec_b64 s[14:15], vcc
	s_xor_b64 s[14:15], exec, s[14:15]
; %bb.18:                               ;   in Loop: Header=BB694_17 Depth=1
	v_bfe_u32 v7, v10, 16, 1
	v_add3_u32 v7, v10, v7, s23
                                        ; implicit-def: $vgpr10_vgpr11
; %bb.19:                               ;   in Loop: Header=BB694_17 Depth=1
	s_andn2_saveexec_b64 s[14:15], s[14:15]
	s_cbranch_execz .LBB694_16
; %bb.20:                               ;   in Loop: Header=BB694_17 Depth=1
	v_or_b32_e32 v7, 0x10000, v10
	v_cmp_eq_u32_sdwa vcc, v10, v1 src0_sel:WORD_0 src1_sel:DWORD
	s_nop 1
	v_cndmask_b32_e32 v7, v7, v10, vcc
	s_branch .LBB694_16
.LBB694_21:
	s_or_b64 exec, exec, s[10:11]
.LBB694_22:
	s_or_b64 exec, exec, s[4:5]
	v_or_b32_e32 v1, s0, v0
	v_cmp_gt_i32_e32 vcc, s17, v1
	s_and_saveexec_b64 s[4:5], vcc
	s_cbranch_execz .LBB694_28
; %bb.23:
	s_ashr_i32 s1, s0, 31
	v_mul_lo_u32 v6, v1, s16
	v_lshl_add_u64 v[4:5], s[0:1], 1, v[4:5]
	v_ashrrev_i32_e32 v7, 31, v6
	v_lshl_add_u64 v[6:7], v[6:7], 1, s[8:9]
	flat_load_ushort v1, v[4:5]
	flat_load_ushort v8, v[6:7]
	s_mov_b32 s0, 0x7f800000
	s_waitcnt vmcnt(0) lgkmcnt(0)
	v_lshlrev_b32_e32 v2, 16, v1
	v_lshlrev_b32_e32 v4, 16, v8
	v_pk_mul_f32 v[4:5], v[4:5], v[2:3] op_sel_hi:[0,1]
	v_and_b32_e32 v1, 0x7f800000, v4
	v_cmp_ne_u32_e32 vcc, s0, v1
                                        ; implicit-def: $vgpr1
	s_and_saveexec_b64 s[0:1], vcc
	s_xor_b64 s[0:1], exec, s[0:1]
; %bb.24:
	v_bfe_u32 v1, v4, 16, 1
	s_movk_i32 s8, 0x7fff
	v_add3_u32 v1, v4, v1, s8
                                        ; implicit-def: $vgpr4_vgpr5
; %bb.25:
	s_andn2_saveexec_b64 s[0:1], s[0:1]
; %bb.26:
	v_mov_b32_e32 v1, 0
	v_or_b32_e32 v2, 0x10000, v4
	v_cmp_eq_u32_sdwa vcc, v4, v1 src0_sel:WORD_0 src1_sel:DWORD
	s_nop 1
	v_cndmask_b32_e32 v1, v2, v4, vcc
; %bb.27:
	s_or_b64 exec, exec, s[0:1]
	v_and_b32_e32 v1, 0xffff0000, v1
	v_add_f32_e32 v3, v3, v1
.LBB694_28:
	s_or_b64 exec, exec, s[4:5]
	v_and_b32_e32 v2, 63, v0
	v_cmp_gt_u32_e32 vcc, 64, v0
	v_lshlrev_b32_e32 v1, 2, v2
	s_and_saveexec_b64 s[0:1], vcc
	s_cbranch_execz .LBB694_30
; %bb.29:
	v_mov_b32_e32 v4, 0
	ds_write_b32 v1, v4
.LBB694_30:
	s_or_b64 exec, exec, s[0:1]
	v_mbcnt_lo_u32_b32 v4, -1, 0
	v_mbcnt_hi_u32_b32 v6, -1, v4
	v_and_b32_e32 v7, 63, v6
	v_cmp_gt_u32_e64 s[0:1], 32, v7
	s_waitcnt lgkmcnt(0)
	s_barrier
	v_cndmask_b32_e64 v4, 0, 1, s[0:1]
	v_lshlrev_b32_e32 v4, 5, v4
	v_add_lshl_u32 v4, v4, v6, 2
	ds_bpermute_b32 v4, v4, v3
	v_cmp_gt_u32_e64 s[0:1], 48, v7
	s_waitcnt lgkmcnt(0)
	v_add_f32_e32 v3, v3, v4
	v_cndmask_b32_e64 v5, 0, 1, s[0:1]
	v_lshlrev_b32_e32 v5, 4, v5
	v_add_lshl_u32 v4, v5, v6, 2
	ds_bpermute_b32 v4, v4, v3
	v_cmp_gt_u32_e64 s[0:1], 56, v7
	s_waitcnt lgkmcnt(0)
	v_add_f32_e32 v4, v3, v4
	v_cndmask_b32_e64 v5, 0, 1, s[0:1]
	v_lshlrev_b32_e32 v5, 3, v5
	v_add_lshl_u32 v3, v5, v6, 2
	ds_bpermute_b32 v5, v3, v4
	v_cmp_gt_u32_e64 s[0:1], 60, v7
	s_waitcnt lgkmcnt(0)
	v_add_f32_e32 v5, v4, v5
	v_cndmask_b32_e64 v8, 0, 1, s[0:1]
	v_lshlrev_b32_e32 v8, 2, v8
	v_add_lshl_u32 v4, v8, v6, 2
	ds_bpermute_b32 v8, v4, v5
	v_cmp_gt_u32_e64 s[0:1], 62, v7
	s_waitcnt lgkmcnt(0)
	v_add_f32_e32 v8, v5, v8
	v_cndmask_b32_e64 v9, 0, 1, s[0:1]
	v_lshlrev_b32_e32 v9, 1, v9
	v_add_lshl_u32 v5, v9, v6, 2
	ds_bpermute_b32 v9, v5, v8
	v_cmp_ne_u32_e64 s[0:1], 63, v7
	s_waitcnt lgkmcnt(0)
	v_add_f32_e32 v7, v8, v9
	v_addc_co_u32_e64 v6, s[0:1], 0, v6, s[0:1]
	v_lshlrev_b32_e32 v6, 2, v6
	ds_bpermute_b32 v8, v6, v7
	v_cmp_eq_u32_e64 s[0:1], 0, v2
	s_and_saveexec_b64 s[4:5], s[0:1]
	s_cbranch_execz .LBB694_32
; %bb.31:
	v_lshrrev_b32_e32 v2, 4, v0
	v_and_b32_e32 v2, 60, v2
	s_waitcnt lgkmcnt(0)
	v_add_f32_e32 v7, v7, v8
	ds_write_b32 v2, v7
.LBB694_32:
	s_or_b64 exec, exec, s[4:5]
	v_cmp_gt_u32_e64 s[0:1], 16, v0
	v_mov_b32_e32 v2, 0
	s_waitcnt lgkmcnt(0)
	s_barrier
	s_and_saveexec_b64 s[4:5], s[0:1]
	s_cbranch_execz .LBB694_34
; %bb.33:
	ds_read_b32 v2, v1
	s_or_b64 exec, exec, s[4:5]
	s_and_saveexec_b64 s[0:1], vcc
	s_cbranch_execz .LBB694_36
	s_branch .LBB694_35
.LBB694_34:
	s_or_b64 exec, exec, s[4:5]
	s_and_saveexec_b64 s[0:1], vcc
	s_cbranch_execz .LBB694_36
.LBB694_35:
	s_waitcnt lgkmcnt(0)
	ds_bpermute_b32 v1, v3, v2
	s_waitcnt lgkmcnt(0)
	v_add_f32_e32 v1, v2, v1
	ds_bpermute_b32 v2, v4, v1
	s_waitcnt lgkmcnt(0)
	v_add_f32_e32 v1, v1, v2
	;; [unrolled: 3-line block ×4, first 2 shown]
.LBB694_36:
	s_or_b64 exec, exec, s[0:1]
	v_cmp_eq_u32_e32 vcc, 0, v0
                                        ; implicit-def: $vgpr1
                                        ; implicit-def: $sgpr12_sgpr13
	s_and_saveexec_b64 s[0:1], vcc
	s_cbranch_execz .LBB694_40
; %bb.37:
	v_cmp_eq_f32_e64 s[4:5], s3, 0
	s_mul_i32 s12, s2, s21
	s_waitcnt lgkmcnt(0)
	v_mul_f32_e32 v1, s18, v2
	s_ashr_i32 s13, s12, 31
	s_and_b64 vcc, exec, s[4:5]
	s_cbranch_vccnz .LBB694_39
; %bb.38:
	s_lshl_b64 s[4:5], s[12:13], 2
	s_add_u32 s4, s19, s4
	s_addc_u32 s5, s20, s5
	s_load_dword s2, s[4:5], 0x0
	v_mov_b32_e32 v0, s3
	s_waitcnt lgkmcnt(0)
	v_fmac_f32_e32 v1, s2, v0
.LBB694_39:
	s_or_b64 s[6:7], s[6:7], exec
.LBB694_40:
	s_or_b64 exec, exec, s[0:1]
.LBB694_41:
	s_and_saveexec_b64 s[0:1], s[6:7]
	s_cbranch_execz .LBB694_43
; %bb.42:
	s_lshl_b64 s[0:1], s[12:13], 2
	s_add_u32 s0, s19, s0
	s_addc_u32 s1, s20, s1
	v_mov_b32_e32 v0, 0
	global_store_dword v0, v1, s[0:1]
.LBB694_43:
	s_endpgm
	.section	.rodata,"a",@progbits
	.p2align	6, 0x0
	.amdhsa_kernel _ZL32rocblas_gemvt_warp_reduce_kernelILb1ELi1024EiPK16rocblas_bfloat16fKPfEviiT3_lPKT2_lT1_lS8_lS9_lS5_lPT4_lS9_li
		.amdhsa_group_segment_fixed_size 256
		.amdhsa_private_segment_fixed_size 0
		.amdhsa_kernarg_size 140
		.amdhsa_user_sgpr_count 2
		.amdhsa_user_sgpr_dispatch_ptr 0
		.amdhsa_user_sgpr_queue_ptr 0
		.amdhsa_user_sgpr_kernarg_segment_ptr 1
		.amdhsa_user_sgpr_dispatch_id 0
		.amdhsa_user_sgpr_kernarg_preload_length 0
		.amdhsa_user_sgpr_kernarg_preload_offset 0
		.amdhsa_user_sgpr_private_segment_size 0
		.amdhsa_uses_dynamic_stack 0
		.amdhsa_enable_private_segment 0
		.amdhsa_system_sgpr_workgroup_id_x 1
		.amdhsa_system_sgpr_workgroup_id_y 0
		.amdhsa_system_sgpr_workgroup_id_z 1
		.amdhsa_system_sgpr_workgroup_info 0
		.amdhsa_system_vgpr_workitem_id 0
		.amdhsa_next_free_vgpr 14
		.amdhsa_next_free_sgpr 28
		.amdhsa_accum_offset 16
		.amdhsa_reserve_vcc 1
		.amdhsa_float_round_mode_32 0
		.amdhsa_float_round_mode_16_64 0
		.amdhsa_float_denorm_mode_32 3
		.amdhsa_float_denorm_mode_16_64 3
		.amdhsa_dx10_clamp 1
		.amdhsa_ieee_mode 1
		.amdhsa_fp16_overflow 0
		.amdhsa_tg_split 0
		.amdhsa_exception_fp_ieee_invalid_op 0
		.amdhsa_exception_fp_denorm_src 0
		.amdhsa_exception_fp_ieee_div_zero 0
		.amdhsa_exception_fp_ieee_overflow 0
		.amdhsa_exception_fp_ieee_underflow 0
		.amdhsa_exception_fp_ieee_inexact 0
		.amdhsa_exception_int_div_zero 0
	.end_amdhsa_kernel
	.section	.text._ZL32rocblas_gemvt_warp_reduce_kernelILb1ELi1024EiPK16rocblas_bfloat16fKPfEviiT3_lPKT2_lT1_lS8_lS9_lS5_lPT4_lS9_li,"axG",@progbits,_ZL32rocblas_gemvt_warp_reduce_kernelILb1ELi1024EiPK16rocblas_bfloat16fKPfEviiT3_lPKT2_lT1_lS8_lS9_lS5_lPT4_lS9_li,comdat
.Lfunc_end694:
	.size	_ZL32rocblas_gemvt_warp_reduce_kernelILb1ELi1024EiPK16rocblas_bfloat16fKPfEviiT3_lPKT2_lT1_lS8_lS9_lS5_lPT4_lS9_li, .Lfunc_end694-_ZL32rocblas_gemvt_warp_reduce_kernelILb1ELi1024EiPK16rocblas_bfloat16fKPfEviiT3_lPKT2_lT1_lS8_lS9_lS5_lPT4_lS9_li
                                        ; -- End function
	.section	.AMDGPU.csdata,"",@progbits
; Kernel info:
; codeLenInByte = 1516
; NumSgprs: 34
; NumVgprs: 14
; NumAgprs: 0
; TotalNumVgprs: 14
; ScratchSize: 0
; MemoryBound: 0
; FloatMode: 240
; IeeeMode: 1
; LDSByteSize: 256 bytes/workgroup (compile time only)
; SGPRBlocks: 4
; VGPRBlocks: 1
; NumSGPRsForWavesPerEU: 34
; NumVGPRsForWavesPerEU: 14
; AccumOffset: 16
; Occupancy: 8
; WaveLimiterHint : 1
; COMPUTE_PGM_RSRC2:SCRATCH_EN: 0
; COMPUTE_PGM_RSRC2:USER_SGPR: 2
; COMPUTE_PGM_RSRC2:TRAP_HANDLER: 0
; COMPUTE_PGM_RSRC2:TGID_X_EN: 1
; COMPUTE_PGM_RSRC2:TGID_Y_EN: 0
; COMPUTE_PGM_RSRC2:TGID_Z_EN: 1
; COMPUTE_PGM_RSRC2:TIDIG_COMP_CNT: 0
; COMPUTE_PGM_RSRC3_GFX90A:ACCUM_OFFSET: 3
; COMPUTE_PGM_RSRC3_GFX90A:TG_SPLIT: 0
	.section	.text._ZL32rocblas_gemvt_warp_reduce_kernelILb1ELi1024ElPK16rocblas_bfloat16fKPfEviiT3_lPKT2_lT1_lS8_lS9_lS5_lPT4_lS9_li,"axG",@progbits,_ZL32rocblas_gemvt_warp_reduce_kernelILb1ELi1024ElPK16rocblas_bfloat16fKPfEviiT3_lPKT2_lT1_lS8_lS9_lS5_lPT4_lS9_li,comdat
	.globl	_ZL32rocblas_gemvt_warp_reduce_kernelILb1ELi1024ElPK16rocblas_bfloat16fKPfEviiT3_lPKT2_lT1_lS8_lS9_lS5_lPT4_lS9_li ; -- Begin function _ZL32rocblas_gemvt_warp_reduce_kernelILb1ELi1024ElPK16rocblas_bfloat16fKPfEviiT3_lPKT2_lT1_lS8_lS9_lS5_lPT4_lS9_li
	.p2align	8
	.type	_ZL32rocblas_gemvt_warp_reduce_kernelILb1ELi1024ElPK16rocblas_bfloat16fKPfEviiT3_lPKT2_lT1_lS8_lS9_lS5_lPT4_lS9_li,@function
_ZL32rocblas_gemvt_warp_reduce_kernelILb1ELi1024ElPK16rocblas_bfloat16fKPfEviiT3_lPKT2_lT1_lS8_lS9_lS5_lPT4_lS9_li: ; @_ZL32rocblas_gemvt_warp_reduce_kernelILb1ELi1024ElPK16rocblas_bfloat16fKPfEviiT3_lPKT2_lT1_lS8_lS9_lS5_lPT4_lS9_li
; %bb.0:
	s_mov_b32 s20, s3
	s_load_dword s24, s[0:1], 0x8
	s_load_dword s3, s[0:1], 0x58
	s_waitcnt lgkmcnt(0)
	v_cmp_eq_f32_e64 s[18:19], s24, 0
	v_cmp_eq_f32_e64 s[4:5], s3, 1.0
	s_and_b64 s[4:5], s[18:19], s[4:5]
	s_and_b64 vcc, exec, s[4:5]
	s_cbranch_vccnz .LBB695_43
; %bb.1:
	s_load_dwordx4 s[4:7], s[0:1], 0x18
	s_load_dwordx2 s[14:15], s[0:1], 0x28
	v_cmp_neq_f32_e64 s[12:13], s24, 0
	s_mov_b32 s21, 0
	s_and_b64 vcc, exec, s[12:13]
	s_cbranch_vccnz .LBB695_3
; %bb.2:
	s_mov_b64 s[16:17], 0
	s_cbranch_execz .LBB695_4
	s_branch .LBB695_5
.LBB695_3:
                                        ; implicit-def: $sgpr16_sgpr17
.LBB695_4:
	s_lshl_b64 s[8:9], s[20:21], 3
	s_waitcnt lgkmcnt(0)
	s_add_u32 s4, s4, s8
	s_addc_u32 s5, s5, s9
	s_load_dwordx2 s[4:5], s[4:5], 0x0
	s_lshl_b64 s[6:7], s[6:7], 1
	s_waitcnt lgkmcnt(0)
	s_add_u32 s16, s4, s6
	s_addc_u32 s17, s5, s7
.LBB695_5:
	s_waitcnt lgkmcnt(0)
	s_load_dwordx4 s[4:7], s[0:1], 0x38
	s_load_dwordx2 s[10:11], s[0:1], 0x48
	s_mov_b64 s[8:9], 0
	s_andn2_b64 vcc, exec, s[12:13]
	s_mov_b64 s[12:13], 0
	s_cbranch_vccnz .LBB695_7
; %bb.6:
	s_lshl_b64 s[12:13], s[20:21], 3
	s_waitcnt lgkmcnt(0)
	s_add_u32 s4, s4, s12
	s_addc_u32 s5, s5, s13
	s_load_dwordx2 s[4:5], s[4:5], 0x0
	s_lshl_b64 s[6:7], s[6:7], 1
	s_waitcnt lgkmcnt(0)
	s_add_u32 s12, s4, s6
	s_addc_u32 s13, s5, s7
.LBB695_7:
	s_load_dwordx4 s[28:31], s[0:1], 0x68
	s_waitcnt lgkmcnt(0)
	s_load_dwordx2 s[6:7], s[0:1], 0x78
	s_lshl_b64 s[4:5], s[20:21], 3
	s_add_u32 s4, s28, s4
	s_addc_u32 s5, s29, s5
	s_load_dwordx2 s[4:5], s[4:5], 0x0
	s_lshl_b64 s[20:21], s[30:31], 2
	s_waitcnt lgkmcnt(0)
	s_add_u32 s25, s4, s20
	s_addc_u32 s26, s5, s21
	s_andn2_b64 vcc, exec, s[18:19]
	v_cmp_eq_u32_e64 s[4:5], 0, v0
	s_cbranch_vccnz .LBB695_12
; %bb.8:
	s_mov_b64 s[20:21], 0
                                        ; implicit-def: $vgpr1
                                        ; implicit-def: $sgpr18_sgpr19
	s_and_saveexec_b64 s[22:23], s[4:5]
	s_cbranch_execz .LBB695_13
; %bb.9:
	s_ashr_i32 s8, s2, 31
	s_mul_i32 s9, s2, s7
	s_mul_hi_u32 s18, s2, s6
	v_cmp_eq_f32_e64 s[4:5], s3, 0
	s_add_i32 s9, s18, s9
	s_mul_i32 s8, s8, s6
	v_mov_b32_e32 v1, 0
	s_add_i32 s19, s9, s8
	s_mul_i32 s18, s2, s6
	s_and_b64 vcc, exec, s[4:5]
	s_cbranch_vccnz .LBB695_11
; %bb.10:
	s_lshl_b64 s[4:5], s[18:19], 2
	s_add_u32 s4, s25, s4
	s_addc_u32 s5, s26, s5
	s_load_dword s4, s[4:5], 0x0
	v_mov_b32_e32 v1, s3
	s_waitcnt lgkmcnt(0)
	v_mul_f32_e32 v1, s4, v1
.LBB695_11:
	s_mov_b64 s[8:9], exec
	s_or_b64 exec, exec, s[22:23]
	s_and_b64 vcc, exec, s[20:21]
	s_cbranch_vccnz .LBB695_14
	s_branch .LBB695_41
.LBB695_12:
                                        ; implicit-def: $vgpr1
                                        ; implicit-def: $sgpr18_sgpr19
	s_cbranch_execnz .LBB695_14
	s_branch .LBB695_41
.LBB695_13:
	s_or_b64 exec, exec, s[22:23]
	s_and_b64 vcc, exec, s[20:21]
	s_cbranch_vccz .LBB695_41
.LBB695_14:
	s_load_dword s1, s[0:1], 0x0
	s_ashr_i32 s22, s2, 31
	s_mul_i32 s0, s2, s15
	s_mul_hi_u32 s4, s2, s14
	s_add_i32 s0, s4, s0
	s_mul_i32 s4, s22, s14
	s_add_i32 s5, s0, s4
	s_mul_i32 s4, s2, s14
	s_lshl_b64 s[4:5], s[4:5], 1
	s_add_u32 s4, s4, s16
	s_addc_u32 s5, s5, s17
	s_waitcnt lgkmcnt(0)
	s_ashr_i32 s0, s1, 31
	v_cmp_gt_i32_e32 vcc, s1, v0
	s_lshr_b32 s0, s0, 22
	s_add_i32 s0, s1, s0
	v_cndmask_b32_e32 v1, 0, v0, vcc
	v_mov_b32_e32 v3, 0
	v_lshlrev_b32_e32 v2, 1, v1
	s_and_b32 s0, s0, 0xfffffc00
	v_lshl_add_u64 v[4:5], s[4:5], 0, v[2:3]
	v_cmp_gt_i32_e32 vcc, s0, v0
	s_and_saveexec_b64 s[4:5], vcc
	s_cbranch_execz .LBB695_22
; %bb.15:
	v_mad_u64_u32 v[2:3], s[14:15], s10, v0, 0
	v_mov_b32_e32 v6, v3
	v_mad_u64_u32 v[6:7], s[14:15], s11, v0, v[6:7]
	v_mov_b32_e32 v3, v6
	v_lshl_add_u64 v[6:7], v[2:3], 1, s[12:13]
	s_lshl_b64 s[16:17], s[10:11], 11
	s_mov_b64 s[14:15], 0
	v_mov_b32_e32 v1, 0
	s_mov_b32 s23, 0x7f800000
	s_movk_i32 s27, 0x7fff
	s_mov_b64 s[18:19], 0x800
	v_mov_b64_e32 v[8:9], v[4:5]
	v_mov_b32_e32 v2, v0
	v_mov_b32_e32 v3, 0
	s_branch .LBB695_17
.LBB695_16:                             ;   in Loop: Header=BB695_17 Depth=1
	s_or_b64 exec, exec, s[20:21]
	v_add_u32_e32 v2, 0x400, v2
	v_and_b32_e32 v10, 0xffff0000, v12
	v_cmp_le_i32_e32 vcc, s0, v2
	v_add_f32_e32 v3, v3, v10
	v_lshl_add_u64 v[8:9], v[8:9], 0, s[18:19]
	s_or_b64 s[14:15], vcc, s[14:15]
	v_lshl_add_u64 v[6:7], v[6:7], 0, s[16:17]
	s_andn2_b64 exec, exec, s[14:15]
	s_cbranch_execz .LBB695_21
.LBB695_17:                             ; =>This Inner Loop Header: Depth=1
	flat_load_ushort v10, v[6:7]
	flat_load_ushort v11, v[8:9]
	s_waitcnt vmcnt(0) lgkmcnt(0)
	v_lshlrev_b32_e32 v10, 16, v10
	v_lshlrev_b32_e32 v12, 16, v11
	v_pk_mul_f32 v[10:11], v[10:11], v[12:13] op_sel_hi:[0,1]
	v_and_b32_e32 v11, 0x7f800000, v10
	v_cmp_ne_u32_e32 vcc, s23, v11
                                        ; implicit-def: $vgpr12
	s_and_saveexec_b64 s[20:21], vcc
	s_xor_b64 s[20:21], exec, s[20:21]
; %bb.18:                               ;   in Loop: Header=BB695_17 Depth=1
	v_bfe_u32 v11, v10, 16, 1
	v_add3_u32 v12, v10, v11, s27
                                        ; implicit-def: $vgpr10_vgpr11
; %bb.19:                               ;   in Loop: Header=BB695_17 Depth=1
	s_andn2_saveexec_b64 s[20:21], s[20:21]
	s_cbranch_execz .LBB695_16
; %bb.20:                               ;   in Loop: Header=BB695_17 Depth=1
	v_or_b32_e32 v11, 0x10000, v10
	v_cmp_eq_u32_sdwa vcc, v10, v1 src0_sel:WORD_0 src1_sel:DWORD
	s_nop 1
	v_cndmask_b32_e32 v12, v11, v10, vcc
	s_branch .LBB695_16
.LBB695_21:
	s_or_b64 exec, exec, s[14:15]
.LBB695_22:
	s_or_b64 exec, exec, s[4:5]
	v_or_b32_e32 v1, s0, v0
	v_cmp_gt_i32_e32 vcc, s1, v1
	s_and_saveexec_b64 s[4:5], vcc
	s_cbranch_execz .LBB695_28
; %bb.23:
	s_ashr_i32 s1, s0, 31
	v_ashrrev_i32_e32 v2, 31, v1
	v_lshl_add_u64 v[4:5], s[0:1], 1, v[4:5]
	v_mul_lo_u32 v8, v1, s11
	v_mul_lo_u32 v2, v2, s10
	v_mad_u64_u32 v[6:7], s[0:1], v1, s10, 0
	v_add3_u32 v7, v7, v8, v2
	v_lshl_add_u64 v[6:7], v[6:7], 1, s[12:13]
	flat_load_ushort v1, v[4:5]
	flat_load_ushort v8, v[6:7]
	s_mov_b32 s0, 0x7f800000
	s_waitcnt vmcnt(0) lgkmcnt(0)
	v_lshlrev_b32_e32 v2, 16, v1
	v_lshlrev_b32_e32 v4, 16, v8
	v_pk_mul_f32 v[4:5], v[4:5], v[2:3] op_sel_hi:[0,1]
	v_and_b32_e32 v1, 0x7f800000, v4
	v_cmp_ne_u32_e32 vcc, s0, v1
                                        ; implicit-def: $vgpr1
	s_and_saveexec_b64 s[0:1], vcc
	s_xor_b64 s[0:1], exec, s[0:1]
; %bb.24:
	v_bfe_u32 v1, v4, 16, 1
	s_movk_i32 s10, 0x7fff
	v_add3_u32 v1, v4, v1, s10
                                        ; implicit-def: $vgpr4_vgpr5
; %bb.25:
	s_andn2_saveexec_b64 s[0:1], s[0:1]
; %bb.26:
	v_mov_b32_e32 v1, 0
	v_or_b32_e32 v2, 0x10000, v4
	v_cmp_eq_u32_sdwa vcc, v4, v1 src0_sel:WORD_0 src1_sel:DWORD
	s_nop 1
	v_cndmask_b32_e32 v1, v2, v4, vcc
; %bb.27:
	s_or_b64 exec, exec, s[0:1]
	v_and_b32_e32 v1, 0xffff0000, v1
	v_add_f32_e32 v3, v3, v1
.LBB695_28:
	s_or_b64 exec, exec, s[4:5]
	v_and_b32_e32 v2, 63, v0
	v_cmp_gt_u32_e32 vcc, 64, v0
	v_lshlrev_b32_e32 v1, 2, v2
	s_and_saveexec_b64 s[0:1], vcc
	s_cbranch_execz .LBB695_30
; %bb.29:
	v_mov_b32_e32 v4, 0
	ds_write_b32 v1, v4
.LBB695_30:
	s_or_b64 exec, exec, s[0:1]
	v_mbcnt_lo_u32_b32 v4, -1, 0
	v_mbcnt_hi_u32_b32 v6, -1, v4
	v_and_b32_e32 v7, 63, v6
	v_cmp_gt_u32_e64 s[0:1], 32, v7
	s_waitcnt lgkmcnt(0)
	s_barrier
	v_cndmask_b32_e64 v4, 0, 1, s[0:1]
	v_lshlrev_b32_e32 v4, 5, v4
	v_add_lshl_u32 v4, v4, v6, 2
	ds_bpermute_b32 v4, v4, v3
	v_cmp_gt_u32_e64 s[0:1], 48, v7
	s_waitcnt lgkmcnt(0)
	v_add_f32_e32 v3, v3, v4
	v_cndmask_b32_e64 v5, 0, 1, s[0:1]
	v_lshlrev_b32_e32 v5, 4, v5
	v_add_lshl_u32 v4, v5, v6, 2
	ds_bpermute_b32 v4, v4, v3
	v_cmp_gt_u32_e64 s[0:1], 56, v7
	s_waitcnt lgkmcnt(0)
	v_add_f32_e32 v4, v3, v4
	;; [unrolled: 7-line block ×4, first 2 shown]
	v_cndmask_b32_e64 v9, 0, 1, s[0:1]
	v_lshlrev_b32_e32 v9, 1, v9
	v_add_lshl_u32 v5, v9, v6, 2
	ds_bpermute_b32 v9, v5, v8
	v_cmp_ne_u32_e64 s[0:1], 63, v7
	s_waitcnt lgkmcnt(0)
	v_add_f32_e32 v7, v8, v9
	v_addc_co_u32_e64 v6, s[0:1], 0, v6, s[0:1]
	v_lshlrev_b32_e32 v6, 2, v6
	ds_bpermute_b32 v8, v6, v7
	v_cmp_eq_u32_e64 s[0:1], 0, v2
	s_and_saveexec_b64 s[4:5], s[0:1]
	s_cbranch_execz .LBB695_32
; %bb.31:
	v_lshrrev_b32_e32 v2, 4, v0
	v_and_b32_e32 v2, 60, v2
	s_waitcnt lgkmcnt(0)
	v_add_f32_e32 v7, v7, v8
	ds_write_b32 v2, v7
.LBB695_32:
	s_or_b64 exec, exec, s[4:5]
	v_cmp_gt_u32_e64 s[0:1], 16, v0
	v_mov_b32_e32 v2, 0
	s_waitcnt lgkmcnt(0)
	s_barrier
	s_and_saveexec_b64 s[4:5], s[0:1]
	s_cbranch_execz .LBB695_34
; %bb.33:
	ds_read_b32 v2, v1
	s_or_b64 exec, exec, s[4:5]
	s_and_saveexec_b64 s[0:1], vcc
	s_cbranch_execz .LBB695_36
	s_branch .LBB695_35
.LBB695_34:
	s_or_b64 exec, exec, s[4:5]
	s_and_saveexec_b64 s[0:1], vcc
	s_cbranch_execz .LBB695_36
.LBB695_35:
	s_waitcnt lgkmcnt(0)
	ds_bpermute_b32 v1, v3, v2
	s_waitcnt lgkmcnt(0)
	v_add_f32_e32 v1, v2, v1
	ds_bpermute_b32 v2, v4, v1
	s_waitcnt lgkmcnt(0)
	v_add_f32_e32 v1, v1, v2
	;; [unrolled: 3-line block ×4, first 2 shown]
.LBB695_36:
	s_or_b64 exec, exec, s[0:1]
	v_cmp_eq_u32_e32 vcc, 0, v0
                                        ; implicit-def: $vgpr1
                                        ; implicit-def: $sgpr18_sgpr19
	s_and_saveexec_b64 s[0:1], vcc
	s_cbranch_execz .LBB695_40
; %bb.37:
	s_mul_i32 s7, s2, s7
	s_mul_hi_u32 s10, s2, s6
	v_cmp_eq_f32_e64 s[4:5], s3, 0
	s_add_i32 s7, s10, s7
	s_mul_i32 s10, s22, s6
	s_waitcnt lgkmcnt(0)
	v_mul_f32_e32 v1, s24, v2
	s_add_i32 s19, s7, s10
	s_mul_i32 s18, s2, s6
	s_and_b64 vcc, exec, s[4:5]
	s_cbranch_vccnz .LBB695_39
; %bb.38:
	s_lshl_b64 s[4:5], s[18:19], 2
	s_add_u32 s4, s25, s4
	s_addc_u32 s5, s26, s5
	s_load_dword s2, s[4:5], 0x0
	v_mov_b32_e32 v0, s3
	s_waitcnt lgkmcnt(0)
	v_fmac_f32_e32 v1, s2, v0
.LBB695_39:
	s_or_b64 s[8:9], s[8:9], exec
.LBB695_40:
	s_or_b64 exec, exec, s[0:1]
.LBB695_41:
	s_and_saveexec_b64 s[0:1], s[8:9]
	s_cbranch_execz .LBB695_43
; %bb.42:
	s_lshl_b64 s[0:1], s[18:19], 2
	s_add_u32 s0, s25, s0
	s_addc_u32 s1, s26, s1
	v_mov_b32_e32 v0, 0
	global_store_dword v0, v1, s[0:1]
.LBB695_43:
	s_endpgm
	.section	.rodata,"a",@progbits
	.p2align	6, 0x0
	.amdhsa_kernel _ZL32rocblas_gemvt_warp_reduce_kernelILb1ELi1024ElPK16rocblas_bfloat16fKPfEviiT3_lPKT2_lT1_lS8_lS9_lS5_lPT4_lS9_li
		.amdhsa_group_segment_fixed_size 256
		.amdhsa_private_segment_fixed_size 0
		.amdhsa_kernarg_size 140
		.amdhsa_user_sgpr_count 2
		.amdhsa_user_sgpr_dispatch_ptr 0
		.amdhsa_user_sgpr_queue_ptr 0
		.amdhsa_user_sgpr_kernarg_segment_ptr 1
		.amdhsa_user_sgpr_dispatch_id 0
		.amdhsa_user_sgpr_kernarg_preload_length 0
		.amdhsa_user_sgpr_kernarg_preload_offset 0
		.amdhsa_user_sgpr_private_segment_size 0
		.amdhsa_uses_dynamic_stack 0
		.amdhsa_enable_private_segment 0
		.amdhsa_system_sgpr_workgroup_id_x 1
		.amdhsa_system_sgpr_workgroup_id_y 0
		.amdhsa_system_sgpr_workgroup_id_z 1
		.amdhsa_system_sgpr_workgroup_info 0
		.amdhsa_system_vgpr_workitem_id 0
		.amdhsa_next_free_vgpr 14
		.amdhsa_next_free_sgpr 32
		.amdhsa_accum_offset 16
		.amdhsa_reserve_vcc 1
		.amdhsa_float_round_mode_32 0
		.amdhsa_float_round_mode_16_64 0
		.amdhsa_float_denorm_mode_32 3
		.amdhsa_float_denorm_mode_16_64 3
		.amdhsa_dx10_clamp 1
		.amdhsa_ieee_mode 1
		.amdhsa_fp16_overflow 0
		.amdhsa_tg_split 0
		.amdhsa_exception_fp_ieee_invalid_op 0
		.amdhsa_exception_fp_denorm_src 0
		.amdhsa_exception_fp_ieee_div_zero 0
		.amdhsa_exception_fp_ieee_overflow 0
		.amdhsa_exception_fp_ieee_underflow 0
		.amdhsa_exception_fp_ieee_inexact 0
		.amdhsa_exception_int_div_zero 0
	.end_amdhsa_kernel
	.section	.text._ZL32rocblas_gemvt_warp_reduce_kernelILb1ELi1024ElPK16rocblas_bfloat16fKPfEviiT3_lPKT2_lT1_lS8_lS9_lS5_lPT4_lS9_li,"axG",@progbits,_ZL32rocblas_gemvt_warp_reduce_kernelILb1ELi1024ElPK16rocblas_bfloat16fKPfEviiT3_lPKT2_lT1_lS8_lS9_lS5_lPT4_lS9_li,comdat
.Lfunc_end695:
	.size	_ZL32rocblas_gemvt_warp_reduce_kernelILb1ELi1024ElPK16rocblas_bfloat16fKPfEviiT3_lPKT2_lT1_lS8_lS9_lS5_lPT4_lS9_li, .Lfunc_end695-_ZL32rocblas_gemvt_warp_reduce_kernelILb1ELi1024ElPK16rocblas_bfloat16fKPfEviiT3_lPKT2_lT1_lS8_lS9_lS5_lPT4_lS9_li
                                        ; -- End function
	.section	.AMDGPU.csdata,"",@progbits
; Kernel info:
; codeLenInByte = 1616
; NumSgprs: 38
; NumVgprs: 14
; NumAgprs: 0
; TotalNumVgprs: 14
; ScratchSize: 0
; MemoryBound: 0
; FloatMode: 240
; IeeeMode: 1
; LDSByteSize: 256 bytes/workgroup (compile time only)
; SGPRBlocks: 4
; VGPRBlocks: 1
; NumSGPRsForWavesPerEU: 38
; NumVGPRsForWavesPerEU: 14
; AccumOffset: 16
; Occupancy: 8
; WaveLimiterHint : 1
; COMPUTE_PGM_RSRC2:SCRATCH_EN: 0
; COMPUTE_PGM_RSRC2:USER_SGPR: 2
; COMPUTE_PGM_RSRC2:TRAP_HANDLER: 0
; COMPUTE_PGM_RSRC2:TGID_X_EN: 1
; COMPUTE_PGM_RSRC2:TGID_Y_EN: 0
; COMPUTE_PGM_RSRC2:TGID_Z_EN: 1
; COMPUTE_PGM_RSRC2:TIDIG_COMP_CNT: 0
; COMPUTE_PGM_RSRC3_GFX90A:ACCUM_OFFSET: 3
; COMPUTE_PGM_RSRC3_GFX90A:TG_SPLIT: 0
	.text
	.p2alignl 6, 3212836864
	.fill 256, 4, 3212836864
	.type	__hip_cuid_722d2b677a532512,@object ; @__hip_cuid_722d2b677a532512
	.section	.bss,"aw",@nobits
	.globl	__hip_cuid_722d2b677a532512
__hip_cuid_722d2b677a532512:
	.byte	0                               ; 0x0
	.size	__hip_cuid_722d2b677a532512, 1

	.ident	"AMD clang version 19.0.0git (https://github.com/RadeonOpenCompute/llvm-project roc-6.4.0 25133 c7fe45cf4b819c5991fe208aaa96edf142730f1d)"
	.section	".note.GNU-stack","",@progbits
	.addrsig
	.addrsig_sym __hip_cuid_722d2b677a532512
	.amdgpu_metadata
---
amdhsa.kernels:
  - .agpr_count:     0
    .args:
      - .offset:         0
        .size:           4
        .value_kind:     by_value
      - .offset:         4
        .size:           4
        .value_kind:     by_value
      - .address_space:  global
        .offset:         8
        .size:           8
        .value_kind:     global_buffer
      - .offset:         16
        .size:           8
        .value_kind:     by_value
      - .address_space:  global
        .offset:         24
        .size:           8
        .value_kind:     global_buffer
      - .offset:         32
        .size:           8
        .value_kind:     by_value
      - .offset:         40
        .size:           4
        .value_kind:     by_value
      - .offset:         48
        .size:           8
        .value_kind:     by_value
      - .address_space:  global
        .offset:         56
        .size:           8
        .value_kind:     global_buffer
      - .offset:         64
        .size:           8
        .value_kind:     by_value
      - .offset:         72
        .size:           4
        .value_kind:     by_value
      - .offset:         80
        .size:           8
        .value_kind:     by_value
      - .address_space:  global
        .offset:         88
        .size:           8
        .value_kind:     global_buffer
      - .offset:         96
        .size:           8
        .value_kind:     by_value
      - .address_space:  global
        .offset:         104
        .size:           8
        .value_kind:     global_buffer
      - .offset:         112
        .size:           8
        .value_kind:     by_value
      - .offset:         120
        .size:           4
        .value_kind:     by_value
      - .offset:         128
        .size:           8
        .value_kind:     by_value
      - .offset:         136
        .size:           4
        .value_kind:     by_value
      - .offset:         144
        .size:           4
        .value_kind:     hidden_block_count_x
      - .offset:         148
        .size:           4
        .value_kind:     hidden_block_count_y
      - .offset:         152
        .size:           4
        .value_kind:     hidden_block_count_z
      - .offset:         156
        .size:           2
        .value_kind:     hidden_group_size_x
      - .offset:         158
        .size:           2
        .value_kind:     hidden_group_size_y
      - .offset:         160
        .size:           2
        .value_kind:     hidden_group_size_z
      - .offset:         162
        .size:           2
        .value_kind:     hidden_remainder_x
      - .offset:         164
        .size:           2
        .value_kind:     hidden_remainder_y
      - .offset:         166
        .size:           2
        .value_kind:     hidden_remainder_z
      - .offset:         184
        .size:           8
        .value_kind:     hidden_global_offset_x
      - .offset:         192
        .size:           8
        .value_kind:     hidden_global_offset_y
      - .offset:         200
        .size:           8
        .value_kind:     hidden_global_offset_z
      - .offset:         208
        .size:           2
        .value_kind:     hidden_grid_dims
    .group_segment_fixed_size: 3072
    .kernarg_segment_align: 8
    .kernarg_segment_size: 400
    .language:       OpenCL C
    .language_version:
      - 2
      - 0
    .max_flat_workgroup_size: 768
    .name:           _ZL34rocblas_gemvn_sm_mn_batched_kernelILi32ELi24EfPKffEviiT2_lPKT1_lilS5_lilS2_lPT3_lili
    .private_segment_fixed_size: 0
    .sgpr_count:     76
    .sgpr_spill_count: 0
    .symbol:         _ZL34rocblas_gemvn_sm_mn_batched_kernelILi32ELi24EfPKffEviiT2_lPKT1_lilS5_lilS2_lPT3_lili.kd
    .uniform_work_group_size: 1
    .uses_dynamic_stack: false
    .vgpr_count:     42
    .vgpr_spill_count: 0
    .wavefront_size: 64
  - .agpr_count:     0
    .args:
      - .offset:         0
        .size:           4
        .value_kind:     by_value
      - .offset:         4
        .size:           4
        .value_kind:     by_value
      - .offset:         8
        .size:           4
        .value_kind:     by_value
      - .offset:         16
        .size:           8
        .value_kind:     by_value
      - .address_space:  global
        .offset:         24
        .size:           8
        .value_kind:     global_buffer
      - .offset:         32
        .size:           8
        .value_kind:     by_value
      - .offset:         40
        .size:           4
        .value_kind:     by_value
      - .offset:         48
        .size:           8
        .value_kind:     by_value
      - .address_space:  global
        .offset:         56
        .size:           8
        .value_kind:     global_buffer
      - .offset:         64
        .size:           8
        .value_kind:     by_value
      - .offset:         72
        .size:           4
        .value_kind:     by_value
      - .offset:         80
        .size:           8
        .value_kind:     by_value
      - .offset:         88
        .size:           4
        .value_kind:     by_value
      - .offset:         96
        .size:           8
        .value_kind:     by_value
      - .address_space:  global
        .offset:         104
        .size:           8
        .value_kind:     global_buffer
      - .offset:         112
        .size:           8
        .value_kind:     by_value
      - .offset:         120
        .size:           4
        .value_kind:     by_value
      - .offset:         128
        .size:           8
        .value_kind:     by_value
      - .offset:         136
        .size:           4
        .value_kind:     by_value
      - .offset:         144
        .size:           4
        .value_kind:     hidden_block_count_x
      - .offset:         148
        .size:           4
        .value_kind:     hidden_block_count_y
      - .offset:         152
        .size:           4
        .value_kind:     hidden_block_count_z
      - .offset:         156
        .size:           2
        .value_kind:     hidden_group_size_x
      - .offset:         158
        .size:           2
        .value_kind:     hidden_group_size_y
      - .offset:         160
        .size:           2
        .value_kind:     hidden_group_size_z
      - .offset:         162
        .size:           2
        .value_kind:     hidden_remainder_x
      - .offset:         164
        .size:           2
        .value_kind:     hidden_remainder_y
      - .offset:         166
        .size:           2
        .value_kind:     hidden_remainder_z
      - .offset:         184
        .size:           8
        .value_kind:     hidden_global_offset_x
      - .offset:         192
        .size:           8
        .value_kind:     hidden_global_offset_y
      - .offset:         200
        .size:           8
        .value_kind:     hidden_global_offset_z
      - .offset:         208
        .size:           2
        .value_kind:     hidden_grid_dims
    .group_segment_fixed_size: 3072
    .kernarg_segment_align: 8
    .kernarg_segment_size: 400
    .language:       OpenCL C
    .language_version:
      - 2
      - 0
    .max_flat_workgroup_size: 768
    .name:           _ZL34rocblas_gemvn_sm_mn_batched_kernelILi32ELi24EfffEviiT2_lPKT1_lilS3_lilS0_lPT3_lili
    .private_segment_fixed_size: 0
    .sgpr_count:     76
    .sgpr_spill_count: 0
    .symbol:         _ZL34rocblas_gemvn_sm_mn_batched_kernelILi32ELi24EfffEviiT2_lPKT1_lilS3_lilS0_lPT3_lili.kd
    .uniform_work_group_size: 1
    .uses_dynamic_stack: false
    .vgpr_count:     42
    .vgpr_spill_count: 0
    .wavefront_size: 64
  - .agpr_count:     0
    .args:
      - .offset:         0
        .size:           4
        .value_kind:     by_value
      - .offset:         4
        .size:           4
        .value_kind:     by_value
      - .address_space:  global
        .offset:         8
        .size:           8
        .value_kind:     global_buffer
      - .offset:         16
        .size:           8
        .value_kind:     by_value
      - .address_space:  global
        .offset:         24
        .size:           8
        .value_kind:     global_buffer
      - .offset:         32
        .size:           8
        .value_kind:     by_value
      - .offset:         40
        .size:           4
        .value_kind:     by_value
      - .offset:         48
        .size:           8
        .value_kind:     by_value
      - .address_space:  global
        .offset:         56
        .size:           8
        .value_kind:     global_buffer
      - .offset:         64
        .size:           8
        .value_kind:     by_value
      - .offset:         72
        .size:           4
        .value_kind:     by_value
      - .offset:         80
        .size:           8
        .value_kind:     by_value
      - .address_space:  global
        .offset:         88
        .size:           8
        .value_kind:     global_buffer
      - .offset:         96
        .size:           8
        .value_kind:     by_value
      - .address_space:  global
        .offset:         104
        .size:           8
        .value_kind:     global_buffer
      - .offset:         112
        .size:           8
        .value_kind:     by_value
      - .offset:         120
        .size:           4
        .value_kind:     by_value
      - .offset:         128
        .size:           8
        .value_kind:     by_value
      - .offset:         136
        .size:           4
        .value_kind:     by_value
      - .offset:         144
        .size:           4
        .value_kind:     hidden_block_count_x
      - .offset:         148
        .size:           4
        .value_kind:     hidden_block_count_y
      - .offset:         152
        .size:           4
        .value_kind:     hidden_block_count_z
      - .offset:         156
        .size:           2
        .value_kind:     hidden_group_size_x
      - .offset:         158
        .size:           2
        .value_kind:     hidden_group_size_y
      - .offset:         160
        .size:           2
        .value_kind:     hidden_group_size_z
      - .offset:         162
        .size:           2
        .value_kind:     hidden_remainder_x
      - .offset:         164
        .size:           2
        .value_kind:     hidden_remainder_y
      - .offset:         166
        .size:           2
        .value_kind:     hidden_remainder_z
      - .offset:         184
        .size:           8
        .value_kind:     hidden_global_offset_x
      - .offset:         192
        .size:           8
        .value_kind:     hidden_global_offset_y
      - .offset:         200
        .size:           8
        .value_kind:     hidden_global_offset_z
      - .offset:         208
        .size:           2
        .value_kind:     hidden_grid_dims
    .group_segment_fixed_size: 4096
    .kernarg_segment_align: 8
    .kernarg_segment_size: 400
    .language:       OpenCL C
    .language_version:
      - 2
      - 0
    .max_flat_workgroup_size: 256
    .name:           _ZL20rocblas_gemvn_kernelILi64ELi4EifPKffEviiT3_lPKT2_lT1_lS5_lS6_lS2_lPT4_lS6_li
    .private_segment_fixed_size: 0
    .sgpr_count:     45
    .sgpr_spill_count: 0
    .symbol:         _ZL20rocblas_gemvn_kernelILi64ELi4EifPKffEviiT3_lPKT2_lT1_lS5_lS6_lS2_lPT4_lS6_li.kd
    .uniform_work_group_size: 1
    .uses_dynamic_stack: false
    .vgpr_count:     45
    .vgpr_spill_count: 0
    .wavefront_size: 64
  - .agpr_count:     0
    .args:
      - .offset:         0
        .size:           4
        .value_kind:     by_value
      - .offset:         4
        .size:           4
        .value_kind:     by_value
      - .address_space:  global
        .offset:         8
        .size:           8
        .value_kind:     global_buffer
      - .offset:         16
        .size:           8
        .value_kind:     by_value
      - .address_space:  global
        .offset:         24
        .size:           8
        .value_kind:     global_buffer
      - .offset:         32
        .size:           8
        .value_kind:     by_value
      - .offset:         40
        .size:           8
        .value_kind:     by_value
      - .offset:         48
        .size:           8
        .value_kind:     by_value
      - .address_space:  global
        .offset:         56
        .size:           8
        .value_kind:     global_buffer
      - .offset:         64
        .size:           8
        .value_kind:     by_value
      - .offset:         72
        .size:           8
        .value_kind:     by_value
      - .offset:         80
        .size:           8
        .value_kind:     by_value
      - .address_space:  global
        .offset:         88
        .size:           8
        .value_kind:     global_buffer
      - .offset:         96
        .size:           8
        .value_kind:     by_value
      - .address_space:  global
        .offset:         104
        .size:           8
        .value_kind:     global_buffer
      - .offset:         112
        .size:           8
        .value_kind:     by_value
      - .offset:         120
        .size:           8
        .value_kind:     by_value
      - .offset:         128
        .size:           8
        .value_kind:     by_value
      - .offset:         136
        .size:           4
        .value_kind:     by_value
      - .offset:         144
        .size:           4
        .value_kind:     hidden_block_count_x
      - .offset:         148
        .size:           4
        .value_kind:     hidden_block_count_y
      - .offset:         152
        .size:           4
        .value_kind:     hidden_block_count_z
      - .offset:         156
        .size:           2
        .value_kind:     hidden_group_size_x
      - .offset:         158
        .size:           2
        .value_kind:     hidden_group_size_y
      - .offset:         160
        .size:           2
        .value_kind:     hidden_group_size_z
      - .offset:         162
        .size:           2
        .value_kind:     hidden_remainder_x
      - .offset:         164
        .size:           2
        .value_kind:     hidden_remainder_y
      - .offset:         166
        .size:           2
        .value_kind:     hidden_remainder_z
      - .offset:         184
        .size:           8
        .value_kind:     hidden_global_offset_x
      - .offset:         192
        .size:           8
        .value_kind:     hidden_global_offset_y
      - .offset:         200
        .size:           8
        .value_kind:     hidden_global_offset_z
      - .offset:         208
        .size:           2
        .value_kind:     hidden_grid_dims
    .group_segment_fixed_size: 4096
    .kernarg_segment_align: 8
    .kernarg_segment_size: 400
    .language:       OpenCL C
    .language_version:
      - 2
      - 0
    .max_flat_workgroup_size: 256
    .name:           _ZL20rocblas_gemvn_kernelILi64ELi4ElfPKffEviiT3_lPKT2_lT1_lS5_lS6_lS2_lPT4_lS6_li
    .private_segment_fixed_size: 0
    .sgpr_count:     59
    .sgpr_spill_count: 0
    .symbol:         _ZL20rocblas_gemvn_kernelILi64ELi4ElfPKffEviiT3_lPKT2_lT1_lS5_lS6_lS2_lPT4_lS6_li.kd
    .uniform_work_group_size: 1
    .uses_dynamic_stack: false
    .vgpr_count:     51
    .vgpr_spill_count: 0
    .wavefront_size: 64
  - .agpr_count:     0
    .args:
      - .offset:         0
        .size:           4
        .value_kind:     by_value
      - .offset:         4
        .size:           4
        .value_kind:     by_value
      - .offset:         8
        .size:           4
        .value_kind:     by_value
      - .offset:         16
        .size:           8
        .value_kind:     by_value
      - .address_space:  global
        .offset:         24
        .size:           8
        .value_kind:     global_buffer
      - .offset:         32
        .size:           8
        .value_kind:     by_value
      - .offset:         40
        .size:           4
        .value_kind:     by_value
      - .offset:         48
        .size:           8
        .value_kind:     by_value
      - .address_space:  global
        .offset:         56
        .size:           8
        .value_kind:     global_buffer
      - .offset:         64
        .size:           8
        .value_kind:     by_value
      - .offset:         72
        .size:           4
        .value_kind:     by_value
      - .offset:         80
        .size:           8
        .value_kind:     by_value
      - .offset:         88
        .size:           4
        .value_kind:     by_value
      - .offset:         96
        .size:           8
        .value_kind:     by_value
      - .address_space:  global
        .offset:         104
        .size:           8
        .value_kind:     global_buffer
      - .offset:         112
        .size:           8
        .value_kind:     by_value
      - .offset:         120
        .size:           4
        .value_kind:     by_value
      - .offset:         128
        .size:           8
        .value_kind:     by_value
      - .offset:         136
        .size:           4
        .value_kind:     by_value
      - .offset:         144
        .size:           4
        .value_kind:     hidden_block_count_x
      - .offset:         148
        .size:           4
        .value_kind:     hidden_block_count_y
      - .offset:         152
        .size:           4
        .value_kind:     hidden_block_count_z
      - .offset:         156
        .size:           2
        .value_kind:     hidden_group_size_x
      - .offset:         158
        .size:           2
        .value_kind:     hidden_group_size_y
      - .offset:         160
        .size:           2
        .value_kind:     hidden_group_size_z
      - .offset:         162
        .size:           2
        .value_kind:     hidden_remainder_x
      - .offset:         164
        .size:           2
        .value_kind:     hidden_remainder_y
      - .offset:         166
        .size:           2
        .value_kind:     hidden_remainder_z
      - .offset:         184
        .size:           8
        .value_kind:     hidden_global_offset_x
      - .offset:         192
        .size:           8
        .value_kind:     hidden_global_offset_y
      - .offset:         200
        .size:           8
        .value_kind:     hidden_global_offset_z
      - .offset:         208
        .size:           2
        .value_kind:     hidden_grid_dims
    .group_segment_fixed_size: 4096
    .kernarg_segment_align: 8
    .kernarg_segment_size: 400
    .language:       OpenCL C
    .language_version:
      - 2
      - 0
    .max_flat_workgroup_size: 256
    .name:           _ZL20rocblas_gemvn_kernelILi64ELi4EifffEviiT3_lPKT2_lT1_lS3_lS4_lS0_lPT4_lS4_li
    .private_segment_fixed_size: 0
    .sgpr_count:     45
    .sgpr_spill_count: 0
    .symbol:         _ZL20rocblas_gemvn_kernelILi64ELi4EifffEviiT3_lPKT2_lT1_lS3_lS4_lS0_lPT4_lS4_li.kd
    .uniform_work_group_size: 1
    .uses_dynamic_stack: false
    .vgpr_count:     45
    .vgpr_spill_count: 0
    .wavefront_size: 64
  - .agpr_count:     0
    .args:
      - .offset:         0
        .size:           4
        .value_kind:     by_value
      - .offset:         4
        .size:           4
        .value_kind:     by_value
      - .offset:         8
        .size:           4
        .value_kind:     by_value
      - .offset:         16
        .size:           8
        .value_kind:     by_value
      - .address_space:  global
        .offset:         24
        .size:           8
        .value_kind:     global_buffer
      - .offset:         32
        .size:           8
        .value_kind:     by_value
      - .offset:         40
        .size:           8
        .value_kind:     by_value
      - .offset:         48
        .size:           8
        .value_kind:     by_value
      - .address_space:  global
        .offset:         56
        .size:           8
        .value_kind:     global_buffer
      - .offset:         64
        .size:           8
        .value_kind:     by_value
      - .offset:         72
        .size:           8
        .value_kind:     by_value
      - .offset:         80
        .size:           8
        .value_kind:     by_value
      - .offset:         88
        .size:           4
        .value_kind:     by_value
      - .offset:         96
        .size:           8
        .value_kind:     by_value
      - .address_space:  global
        .offset:         104
        .size:           8
        .value_kind:     global_buffer
      - .offset:         112
        .size:           8
        .value_kind:     by_value
      - .offset:         120
        .size:           8
        .value_kind:     by_value
      - .offset:         128
        .size:           8
        .value_kind:     by_value
      - .offset:         136
        .size:           4
        .value_kind:     by_value
      - .offset:         144
        .size:           4
        .value_kind:     hidden_block_count_x
      - .offset:         148
        .size:           4
        .value_kind:     hidden_block_count_y
      - .offset:         152
        .size:           4
        .value_kind:     hidden_block_count_z
      - .offset:         156
        .size:           2
        .value_kind:     hidden_group_size_x
      - .offset:         158
        .size:           2
        .value_kind:     hidden_group_size_y
      - .offset:         160
        .size:           2
        .value_kind:     hidden_group_size_z
      - .offset:         162
        .size:           2
        .value_kind:     hidden_remainder_x
      - .offset:         164
        .size:           2
        .value_kind:     hidden_remainder_y
      - .offset:         166
        .size:           2
        .value_kind:     hidden_remainder_z
      - .offset:         184
        .size:           8
        .value_kind:     hidden_global_offset_x
      - .offset:         192
        .size:           8
        .value_kind:     hidden_global_offset_y
      - .offset:         200
        .size:           8
        .value_kind:     hidden_global_offset_z
      - .offset:         208
        .size:           2
        .value_kind:     hidden_grid_dims
    .group_segment_fixed_size: 4096
    .kernarg_segment_align: 8
    .kernarg_segment_size: 400
    .language:       OpenCL C
    .language_version:
      - 2
      - 0
    .max_flat_workgroup_size: 256
    .name:           _ZL20rocblas_gemvn_kernelILi64ELi4ElfffEviiT3_lPKT2_lT1_lS3_lS4_lS0_lPT4_lS4_li
    .private_segment_fixed_size: 0
    .sgpr_count:     59
    .sgpr_spill_count: 0
    .symbol:         _ZL20rocblas_gemvn_kernelILi64ELi4ElfffEviiT3_lPKT2_lT1_lS3_lS4_lS0_lPT4_lS4_li.kd
    .uniform_work_group_size: 1
    .uses_dynamic_stack: false
    .vgpr_count:     51
    .vgpr_spill_count: 0
    .wavefront_size: 64
  - .agpr_count:     0
    .args:
      - .offset:         0
        .size:           4
        .value_kind:     by_value
      - .address_space:  global
        .offset:         8
        .size:           8
        .value_kind:     global_buffer
      - .offset:         16
        .size:           8
        .value_kind:     by_value
      - .address_space:  global
        .offset:         24
        .size:           8
        .value_kind:     global_buffer
      - .offset:         32
        .size:           8
        .value_kind:     by_value
      - .offset:         40
        .size:           4
        .value_kind:     by_value
      - .offset:         48
        .size:           8
        .value_kind:     by_value
      - .offset:         56
        .size:           4
        .value_kind:     by_value
      - .offset:         64
        .size:           4
        .value_kind:     hidden_block_count_x
      - .offset:         68
        .size:           4
        .value_kind:     hidden_block_count_y
      - .offset:         72
        .size:           4
        .value_kind:     hidden_block_count_z
      - .offset:         76
        .size:           2
        .value_kind:     hidden_group_size_x
      - .offset:         78
        .size:           2
        .value_kind:     hidden_group_size_y
      - .offset:         80
        .size:           2
        .value_kind:     hidden_group_size_z
      - .offset:         82
        .size:           2
        .value_kind:     hidden_remainder_x
      - .offset:         84
        .size:           2
        .value_kind:     hidden_remainder_y
      - .offset:         86
        .size:           2
        .value_kind:     hidden_remainder_z
      - .offset:         104
        .size:           8
        .value_kind:     hidden_global_offset_x
      - .offset:         112
        .size:           8
        .value_kind:     hidden_global_offset_y
      - .offset:         120
        .size:           8
        .value_kind:     hidden_global_offset_z
      - .offset:         128
        .size:           2
        .value_kind:     hidden_grid_dims
    .group_segment_fixed_size: 0
    .kernarg_segment_align: 8
    .kernarg_segment_size: 320
    .language:       OpenCL C
    .language_version:
      - 2
      - 0
    .max_flat_workgroup_size: 256
    .name:           _ZL24rocblas_gemv_scal_kernelILi256EPKfPfEviT0_lT1_lili
    .private_segment_fixed_size: 0
    .sgpr_count:     19
    .sgpr_spill_count: 0
    .symbol:         _ZL24rocblas_gemv_scal_kernelILi256EPKfPfEviT0_lT1_lili.kd
    .uniform_work_group_size: 1
    .uses_dynamic_stack: false
    .vgpr_count:     6
    .vgpr_spill_count: 0
    .wavefront_size: 64
  - .agpr_count:     0
    .args:
      - .offset:         0
        .size:           4
        .value_kind:     by_value
      - .offset:         4
        .size:           4
        .value_kind:     by_value
      - .offset:         8
        .size:           8
        .value_kind:     by_value
      - .address_space:  global
        .offset:         16
        .size:           8
        .value_kind:     global_buffer
      - .offset:         24
        .size:           8
        .value_kind:     by_value
      - .offset:         32
        .size:           4
        .value_kind:     by_value
      - .offset:         40
        .size:           8
        .value_kind:     by_value
      - .offset:         48
        .size:           4
        .value_kind:     by_value
      - .offset:         56
        .size:           4
        .value_kind:     hidden_block_count_x
      - .offset:         60
        .size:           4
        .value_kind:     hidden_block_count_y
      - .offset:         64
        .size:           4
        .value_kind:     hidden_block_count_z
      - .offset:         68
        .size:           2
        .value_kind:     hidden_group_size_x
      - .offset:         70
        .size:           2
        .value_kind:     hidden_group_size_y
      - .offset:         72
        .size:           2
        .value_kind:     hidden_group_size_z
      - .offset:         74
        .size:           2
        .value_kind:     hidden_remainder_x
      - .offset:         76
        .size:           2
        .value_kind:     hidden_remainder_y
      - .offset:         78
        .size:           2
        .value_kind:     hidden_remainder_z
      - .offset:         96
        .size:           8
        .value_kind:     hidden_global_offset_x
      - .offset:         104
        .size:           8
        .value_kind:     hidden_global_offset_y
      - .offset:         112
        .size:           8
        .value_kind:     hidden_global_offset_z
      - .offset:         120
        .size:           2
        .value_kind:     hidden_grid_dims
    .group_segment_fixed_size: 0
    .kernarg_segment_align: 8
    .kernarg_segment_size: 312
    .language:       OpenCL C
    .language_version:
      - 2
      - 0
    .max_flat_workgroup_size: 256
    .name:           _ZL24rocblas_gemv_scal_kernelILi256EfPfEviT0_lT1_lili
    .private_segment_fixed_size: 0
    .sgpr_count:     19
    .sgpr_spill_count: 0
    .symbol:         _ZL24rocblas_gemv_scal_kernelILi256EfPfEviT0_lT1_lili.kd
    .uniform_work_group_size: 1
    .uses_dynamic_stack: false
    .vgpr_count:     6
    .vgpr_spill_count: 0
    .wavefront_size: 64
  - .agpr_count:     0
    .args:
      - .offset:         0
        .size:           4
        .value_kind:     by_value
      - .offset:         4
        .size:           4
        .value_kind:     by_value
      - .address_space:  global
        .offset:         8
        .size:           8
        .value_kind:     global_buffer
      - .offset:         16
        .size:           8
        .value_kind:     by_value
      - .address_space:  global
        .offset:         24
        .size:           8
        .value_kind:     global_buffer
      - .offset:         32
        .size:           8
        .value_kind:     by_value
      - .offset:         40
        .size:           4
        .value_kind:     by_value
      - .offset:         48
        .size:           8
        .value_kind:     by_value
      - .address_space:  global
        .offset:         56
        .size:           8
        .value_kind:     global_buffer
      - .offset:         64
        .size:           8
        .value_kind:     by_value
      - .offset:         72
        .size:           4
        .value_kind:     by_value
      - .offset:         80
        .size:           8
        .value_kind:     by_value
      - .address_space:  global
        .offset:         88
        .size:           8
        .value_kind:     global_buffer
      - .offset:         96
        .size:           8
        .value_kind:     by_value
      - .offset:         104
        .size:           4
        .value_kind:     by_value
      - .offset:         112
        .size:           8
        .value_kind:     by_value
      - .offset:         120
        .size:           4
        .value_kind:     by_value
      - .offset:         128
        .size:           4
        .value_kind:     hidden_block_count_x
      - .offset:         132
        .size:           4
        .value_kind:     hidden_block_count_y
      - .offset:         136
        .size:           4
        .value_kind:     hidden_block_count_z
      - .offset:         140
        .size:           2
        .value_kind:     hidden_group_size_x
      - .offset:         142
        .size:           2
        .value_kind:     hidden_group_size_y
      - .offset:         144
        .size:           2
        .value_kind:     hidden_group_size_z
      - .offset:         146
        .size:           2
        .value_kind:     hidden_remainder_x
      - .offset:         148
        .size:           2
        .value_kind:     hidden_remainder_y
      - .offset:         150
        .size:           2
        .value_kind:     hidden_remainder_z
      - .offset:         168
        .size:           8
        .value_kind:     hidden_global_offset_x
      - .offset:         176
        .size:           8
        .value_kind:     hidden_global_offset_y
      - .offset:         184
        .size:           8
        .value_kind:     hidden_global_offset_z
      - .offset:         192
        .size:           2
        .value_kind:     hidden_grid_dims
    .group_segment_fixed_size: 8192
    .kernarg_segment_align: 8
    .kernarg_segment_size: 384
    .language:       OpenCL C
    .language_version:
      - 2
      - 0
    .max_flat_workgroup_size: 1024
    .name:           _ZL36rocblas_gemvn_double_buffered_kernelILi128ELi8ELi8EfPKffEviiT3_lPKT2_lilS5_lilPT4_lili
    .private_segment_fixed_size: 0
    .sgpr_count:     46
    .sgpr_spill_count: 0
    .symbol:         _ZL36rocblas_gemvn_double_buffered_kernelILi128ELi8ELi8EfPKffEviiT3_lPKT2_lilS5_lilPT4_lili.kd
    .uniform_work_group_size: 1
    .uses_dynamic_stack: false
    .vgpr_count:     62
    .vgpr_spill_count: 0
    .wavefront_size: 64
  - .agpr_count:     0
    .args:
      - .offset:         0
        .size:           4
        .value_kind:     by_value
      - .offset:         4
        .size:           4
        .value_kind:     by_value
      - .offset:         8
        .size:           4
        .value_kind:     by_value
      - .offset:         16
        .size:           8
        .value_kind:     by_value
      - .address_space:  global
        .offset:         24
        .size:           8
        .value_kind:     global_buffer
      - .offset:         32
        .size:           8
        .value_kind:     by_value
      - .offset:         40
        .size:           4
        .value_kind:     by_value
      - .offset:         48
        .size:           8
        .value_kind:     by_value
      - .address_space:  global
        .offset:         56
        .size:           8
        .value_kind:     global_buffer
      - .offset:         64
        .size:           8
        .value_kind:     by_value
      - .offset:         72
        .size:           4
        .value_kind:     by_value
      - .offset:         80
        .size:           8
        .value_kind:     by_value
      - .address_space:  global
        .offset:         88
        .size:           8
        .value_kind:     global_buffer
      - .offset:         96
        .size:           8
        .value_kind:     by_value
      - .offset:         104
        .size:           4
        .value_kind:     by_value
      - .offset:         112
        .size:           8
        .value_kind:     by_value
      - .offset:         120
        .size:           4
        .value_kind:     by_value
      - .offset:         128
        .size:           4
        .value_kind:     hidden_block_count_x
      - .offset:         132
        .size:           4
        .value_kind:     hidden_block_count_y
      - .offset:         136
        .size:           4
        .value_kind:     hidden_block_count_z
      - .offset:         140
        .size:           2
        .value_kind:     hidden_group_size_x
      - .offset:         142
        .size:           2
        .value_kind:     hidden_group_size_y
      - .offset:         144
        .size:           2
        .value_kind:     hidden_group_size_z
      - .offset:         146
        .size:           2
        .value_kind:     hidden_remainder_x
      - .offset:         148
        .size:           2
        .value_kind:     hidden_remainder_y
      - .offset:         150
        .size:           2
        .value_kind:     hidden_remainder_z
      - .offset:         168
        .size:           8
        .value_kind:     hidden_global_offset_x
      - .offset:         176
        .size:           8
        .value_kind:     hidden_global_offset_y
      - .offset:         184
        .size:           8
        .value_kind:     hidden_global_offset_z
      - .offset:         192
        .size:           2
        .value_kind:     hidden_grid_dims
    .group_segment_fixed_size: 8192
    .kernarg_segment_align: 8
    .kernarg_segment_size: 384
    .language:       OpenCL C
    .language_version:
      - 2
      - 0
    .max_flat_workgroup_size: 1024
    .name:           _ZL36rocblas_gemvn_double_buffered_kernelILi128ELi8ELi8EfffEviiT3_lPKT2_lilS3_lilPT4_lili
    .private_segment_fixed_size: 0
    .sgpr_count:     46
    .sgpr_spill_count: 0
    .symbol:         _ZL36rocblas_gemvn_double_buffered_kernelILi128ELi8ELi8EfffEviiT3_lPKT2_lilS3_lilPT4_lili.kd
    .uniform_work_group_size: 1
    .uses_dynamic_stack: false
    .vgpr_count:     62
    .vgpr_spill_count: 0
    .wavefront_size: 64
  - .agpr_count:     0
    .args:
      - .offset:         0
        .size:           4
        .value_kind:     by_value
      - .offset:         4
        .size:           4
        .value_kind:     by_value
      - .address_space:  global
        .offset:         8
        .size:           8
        .value_kind:     global_buffer
      - .offset:         16
        .size:           8
        .value_kind:     by_value
      - .address_space:  global
        .offset:         24
        .size:           8
        .value_kind:     global_buffer
      - .offset:         32
        .size:           8
        .value_kind:     by_value
      - .offset:         40
        .size:           4
        .value_kind:     by_value
      - .offset:         48
        .size:           8
        .value_kind:     by_value
      - .address_space:  global
        .offset:         56
        .size:           8
        .value_kind:     global_buffer
      - .offset:         64
        .size:           8
        .value_kind:     by_value
      - .offset:         72
        .size:           4
        .value_kind:     by_value
      - .offset:         80
        .size:           8
        .value_kind:     by_value
      - .address_space:  global
        .offset:         88
        .size:           8
        .value_kind:     global_buffer
      - .offset:         96
        .size:           8
        .value_kind:     by_value
      - .address_space:  global
        .offset:         104
        .size:           8
        .value_kind:     global_buffer
      - .offset:         112
        .size:           8
        .value_kind:     by_value
      - .offset:         120
        .size:           4
        .value_kind:     by_value
      - .offset:         128
        .size:           8
        .value_kind:     by_value
      - .offset:         136
        .size:           4
        .value_kind:     by_value
      - .offset:         144
        .size:           4
        .value_kind:     hidden_block_count_x
      - .offset:         148
        .size:           4
        .value_kind:     hidden_block_count_y
      - .offset:         152
        .size:           4
        .value_kind:     hidden_block_count_z
      - .offset:         156
        .size:           2
        .value_kind:     hidden_group_size_x
      - .offset:         158
        .size:           2
        .value_kind:     hidden_group_size_y
      - .offset:         160
        .size:           2
        .value_kind:     hidden_group_size_z
      - .offset:         162
        .size:           2
        .value_kind:     hidden_remainder_x
      - .offset:         164
        .size:           2
        .value_kind:     hidden_remainder_y
      - .offset:         166
        .size:           2
        .value_kind:     hidden_remainder_z
      - .offset:         184
        .size:           8
        .value_kind:     hidden_global_offset_x
      - .offset:         192
        .size:           8
        .value_kind:     hidden_global_offset_y
      - .offset:         200
        .size:           8
        .value_kind:     hidden_global_offset_z
      - .offset:         208
        .size:           2
        .value_kind:     hidden_grid_dims
    .group_segment_fixed_size: 8192
    .kernarg_segment_align: 8
    .kernarg_segment_size: 400
    .language:       OpenCL C
    .language_version:
      - 2
      - 0
    .max_flat_workgroup_size: 512
    .name:           _ZL20rocblas_gemvn_kernelILi32ELi16EifPKffEviiT3_lPKT2_lT1_lS5_lS6_lS2_lPT4_lS6_li
    .private_segment_fixed_size: 0
    .sgpr_count:     45
    .sgpr_spill_count: 0
    .symbol:         _ZL20rocblas_gemvn_kernelILi32ELi16EifPKffEviiT3_lPKT2_lT1_lS5_lS6_lS2_lPT4_lS6_li.kd
    .uniform_work_group_size: 1
    .uses_dynamic_stack: false
    .vgpr_count:     45
    .vgpr_spill_count: 0
    .wavefront_size: 64
  - .agpr_count:     0
    .args:
      - .offset:         0
        .size:           4
        .value_kind:     by_value
      - .offset:         4
        .size:           4
        .value_kind:     by_value
      - .address_space:  global
        .offset:         8
        .size:           8
        .value_kind:     global_buffer
      - .offset:         16
        .size:           8
        .value_kind:     by_value
      - .address_space:  global
        .offset:         24
        .size:           8
        .value_kind:     global_buffer
      - .offset:         32
        .size:           8
        .value_kind:     by_value
      - .offset:         40
        .size:           8
        .value_kind:     by_value
      - .offset:         48
        .size:           8
        .value_kind:     by_value
      - .address_space:  global
        .offset:         56
        .size:           8
        .value_kind:     global_buffer
      - .offset:         64
        .size:           8
        .value_kind:     by_value
      - .offset:         72
        .size:           8
        .value_kind:     by_value
      - .offset:         80
        .size:           8
        .value_kind:     by_value
      - .address_space:  global
        .offset:         88
        .size:           8
        .value_kind:     global_buffer
      - .offset:         96
        .size:           8
        .value_kind:     by_value
      - .address_space:  global
        .offset:         104
        .size:           8
        .value_kind:     global_buffer
      - .offset:         112
        .size:           8
        .value_kind:     by_value
      - .offset:         120
        .size:           8
        .value_kind:     by_value
      - .offset:         128
        .size:           8
        .value_kind:     by_value
      - .offset:         136
        .size:           4
        .value_kind:     by_value
      - .offset:         144
        .size:           4
        .value_kind:     hidden_block_count_x
      - .offset:         148
        .size:           4
        .value_kind:     hidden_block_count_y
      - .offset:         152
        .size:           4
        .value_kind:     hidden_block_count_z
      - .offset:         156
        .size:           2
        .value_kind:     hidden_group_size_x
      - .offset:         158
        .size:           2
        .value_kind:     hidden_group_size_y
      - .offset:         160
        .size:           2
        .value_kind:     hidden_group_size_z
      - .offset:         162
        .size:           2
        .value_kind:     hidden_remainder_x
      - .offset:         164
        .size:           2
        .value_kind:     hidden_remainder_y
      - .offset:         166
        .size:           2
        .value_kind:     hidden_remainder_z
      - .offset:         184
        .size:           8
        .value_kind:     hidden_global_offset_x
      - .offset:         192
        .size:           8
        .value_kind:     hidden_global_offset_y
      - .offset:         200
        .size:           8
        .value_kind:     hidden_global_offset_z
      - .offset:         208
        .size:           2
        .value_kind:     hidden_grid_dims
    .group_segment_fixed_size: 8192
    .kernarg_segment_align: 8
    .kernarg_segment_size: 400
    .language:       OpenCL C
    .language_version:
      - 2
      - 0
    .max_flat_workgroup_size: 512
    .name:           _ZL20rocblas_gemvn_kernelILi32ELi16ElfPKffEviiT3_lPKT2_lT1_lS5_lS6_lS2_lPT4_lS6_li
    .private_segment_fixed_size: 0
    .sgpr_count:     59
    .sgpr_spill_count: 0
    .symbol:         _ZL20rocblas_gemvn_kernelILi32ELi16ElfPKffEviiT3_lPKT2_lT1_lS5_lS6_lS2_lPT4_lS6_li.kd
    .uniform_work_group_size: 1
    .uses_dynamic_stack: false
    .vgpr_count:     51
    .vgpr_spill_count: 0
    .wavefront_size: 64
  - .agpr_count:     0
    .args:
      - .offset:         0
        .size:           4
        .value_kind:     by_value
      - .offset:         4
        .size:           4
        .value_kind:     by_value
      - .offset:         8
        .size:           4
        .value_kind:     by_value
      - .offset:         16
        .size:           8
        .value_kind:     by_value
      - .address_space:  global
        .offset:         24
        .size:           8
        .value_kind:     global_buffer
      - .offset:         32
        .size:           8
        .value_kind:     by_value
      - .offset:         40
        .size:           4
        .value_kind:     by_value
      - .offset:         48
        .size:           8
        .value_kind:     by_value
      - .address_space:  global
        .offset:         56
        .size:           8
        .value_kind:     global_buffer
      - .offset:         64
        .size:           8
        .value_kind:     by_value
      - .offset:         72
        .size:           4
        .value_kind:     by_value
      - .offset:         80
        .size:           8
        .value_kind:     by_value
      - .offset:         88
        .size:           4
        .value_kind:     by_value
      - .offset:         96
        .size:           8
        .value_kind:     by_value
      - .address_space:  global
        .offset:         104
        .size:           8
        .value_kind:     global_buffer
      - .offset:         112
        .size:           8
        .value_kind:     by_value
      - .offset:         120
        .size:           4
        .value_kind:     by_value
      - .offset:         128
        .size:           8
        .value_kind:     by_value
      - .offset:         136
        .size:           4
        .value_kind:     by_value
      - .offset:         144
        .size:           4
        .value_kind:     hidden_block_count_x
      - .offset:         148
        .size:           4
        .value_kind:     hidden_block_count_y
      - .offset:         152
        .size:           4
        .value_kind:     hidden_block_count_z
      - .offset:         156
        .size:           2
        .value_kind:     hidden_group_size_x
      - .offset:         158
        .size:           2
        .value_kind:     hidden_group_size_y
      - .offset:         160
        .size:           2
        .value_kind:     hidden_group_size_z
      - .offset:         162
        .size:           2
        .value_kind:     hidden_remainder_x
      - .offset:         164
        .size:           2
        .value_kind:     hidden_remainder_y
      - .offset:         166
        .size:           2
        .value_kind:     hidden_remainder_z
      - .offset:         184
        .size:           8
        .value_kind:     hidden_global_offset_x
      - .offset:         192
        .size:           8
        .value_kind:     hidden_global_offset_y
      - .offset:         200
        .size:           8
        .value_kind:     hidden_global_offset_z
      - .offset:         208
        .size:           2
        .value_kind:     hidden_grid_dims
    .group_segment_fixed_size: 8192
    .kernarg_segment_align: 8
    .kernarg_segment_size: 400
    .language:       OpenCL C
    .language_version:
      - 2
      - 0
    .max_flat_workgroup_size: 512
    .name:           _ZL20rocblas_gemvn_kernelILi32ELi16EifffEviiT3_lPKT2_lT1_lS3_lS4_lS0_lPT4_lS4_li
    .private_segment_fixed_size: 0
    .sgpr_count:     45
    .sgpr_spill_count: 0
    .symbol:         _ZL20rocblas_gemvn_kernelILi32ELi16EifffEviiT3_lPKT2_lT1_lS3_lS4_lS0_lPT4_lS4_li.kd
    .uniform_work_group_size: 1
    .uses_dynamic_stack: false
    .vgpr_count:     45
    .vgpr_spill_count: 0
    .wavefront_size: 64
  - .agpr_count:     0
    .args:
      - .offset:         0
        .size:           4
        .value_kind:     by_value
      - .offset:         4
        .size:           4
        .value_kind:     by_value
      - .offset:         8
        .size:           4
        .value_kind:     by_value
      - .offset:         16
        .size:           8
        .value_kind:     by_value
      - .address_space:  global
        .offset:         24
        .size:           8
        .value_kind:     global_buffer
      - .offset:         32
        .size:           8
        .value_kind:     by_value
      - .offset:         40
        .size:           8
        .value_kind:     by_value
      - .offset:         48
        .size:           8
        .value_kind:     by_value
      - .address_space:  global
        .offset:         56
        .size:           8
        .value_kind:     global_buffer
      - .offset:         64
        .size:           8
        .value_kind:     by_value
      - .offset:         72
        .size:           8
        .value_kind:     by_value
      - .offset:         80
        .size:           8
        .value_kind:     by_value
      - .offset:         88
        .size:           4
        .value_kind:     by_value
      - .offset:         96
        .size:           8
        .value_kind:     by_value
      - .address_space:  global
        .offset:         104
        .size:           8
        .value_kind:     global_buffer
      - .offset:         112
        .size:           8
        .value_kind:     by_value
      - .offset:         120
        .size:           8
        .value_kind:     by_value
      - .offset:         128
        .size:           8
        .value_kind:     by_value
      - .offset:         136
        .size:           4
        .value_kind:     by_value
      - .offset:         144
        .size:           4
        .value_kind:     hidden_block_count_x
      - .offset:         148
        .size:           4
        .value_kind:     hidden_block_count_y
      - .offset:         152
        .size:           4
        .value_kind:     hidden_block_count_z
      - .offset:         156
        .size:           2
        .value_kind:     hidden_group_size_x
      - .offset:         158
        .size:           2
        .value_kind:     hidden_group_size_y
      - .offset:         160
        .size:           2
        .value_kind:     hidden_group_size_z
      - .offset:         162
        .size:           2
        .value_kind:     hidden_remainder_x
      - .offset:         164
        .size:           2
        .value_kind:     hidden_remainder_y
      - .offset:         166
        .size:           2
        .value_kind:     hidden_remainder_z
      - .offset:         184
        .size:           8
        .value_kind:     hidden_global_offset_x
      - .offset:         192
        .size:           8
        .value_kind:     hidden_global_offset_y
      - .offset:         200
        .size:           8
        .value_kind:     hidden_global_offset_z
      - .offset:         208
        .size:           2
        .value_kind:     hidden_grid_dims
    .group_segment_fixed_size: 8192
    .kernarg_segment_align: 8
    .kernarg_segment_size: 400
    .language:       OpenCL C
    .language_version:
      - 2
      - 0
    .max_flat_workgroup_size: 512
    .name:           _ZL20rocblas_gemvn_kernelILi32ELi16ElfffEviiT3_lPKT2_lT1_lS3_lS4_lS0_lPT4_lS4_li
    .private_segment_fixed_size: 0
    .sgpr_count:     59
    .sgpr_spill_count: 0
    .symbol:         _ZL20rocblas_gemvn_kernelILi32ELi16ElfffEviiT3_lPKT2_lT1_lS3_lS4_lS0_lPT4_lS4_li.kd
    .uniform_work_group_size: 1
    .uses_dynamic_stack: false
    .vgpr_count:     51
    .vgpr_spill_count: 0
    .wavefront_size: 64
  - .agpr_count:     0
    .args:
      - .offset:         0
        .size:           4
        .value_kind:     by_value
      - .offset:         4
        .size:           4
        .value_kind:     by_value
      - .address_space:  global
        .offset:         8
        .size:           8
        .value_kind:     global_buffer
      - .offset:         16
        .size:           8
        .value_kind:     by_value
      - .address_space:  global
        .offset:         24
        .size:           8
        .value_kind:     global_buffer
      - .offset:         32
        .size:           8
        .value_kind:     by_value
      - .offset:         40
        .size:           4
        .value_kind:     by_value
      - .offset:         48
        .size:           8
        .value_kind:     by_value
      - .address_space:  global
        .offset:         56
        .size:           8
        .value_kind:     global_buffer
      - .offset:         64
        .size:           8
        .value_kind:     by_value
      - .offset:         72
        .size:           4
        .value_kind:     by_value
      - .offset:         80
        .size:           8
        .value_kind:     by_value
      - .address_space:  global
        .offset:         88
        .size:           8
        .value_kind:     global_buffer
      - .offset:         96
        .size:           8
        .value_kind:     by_value
      - .address_space:  global
        .offset:         104
        .size:           8
        .value_kind:     global_buffer
      - .offset:         112
        .size:           8
        .value_kind:     by_value
      - .offset:         120
        .size:           4
        .value_kind:     by_value
      - .offset:         128
        .size:           8
        .value_kind:     by_value
      - .offset:         136
        .size:           4
        .value_kind:     by_value
      - .offset:         144
        .size:           4
        .value_kind:     hidden_block_count_x
      - .offset:         148
        .size:           4
        .value_kind:     hidden_block_count_y
      - .offset:         152
        .size:           4
        .value_kind:     hidden_block_count_z
      - .offset:         156
        .size:           2
        .value_kind:     hidden_group_size_x
      - .offset:         158
        .size:           2
        .value_kind:     hidden_group_size_y
      - .offset:         160
        .size:           2
        .value_kind:     hidden_group_size_z
      - .offset:         162
        .size:           2
        .value_kind:     hidden_remainder_x
      - .offset:         164
        .size:           2
        .value_kind:     hidden_remainder_y
      - .offset:         166
        .size:           2
        .value_kind:     hidden_remainder_z
      - .offset:         184
        .size:           8
        .value_kind:     hidden_global_offset_x
      - .offset:         192
        .size:           8
        .value_kind:     hidden_global_offset_y
      - .offset:         200
        .size:           8
        .value_kind:     hidden_global_offset_z
      - .offset:         208
        .size:           2
        .value_kind:     hidden_grid_dims
    .group_segment_fixed_size: 16384
    .kernarg_segment_align: 8
    .kernarg_segment_size: 400
    .language:       OpenCL C
    .language_version:
      - 2
      - 0
    .max_flat_workgroup_size: 1024
    .name:           _ZL20rocblas_gemvn_kernelILi64ELi16EifPKffEviiT3_lPKT2_lT1_lS5_lS6_lS2_lPT4_lS6_li
    .private_segment_fixed_size: 0
    .sgpr_count:     45
    .sgpr_spill_count: 0
    .symbol:         _ZL20rocblas_gemvn_kernelILi64ELi16EifPKffEviiT3_lPKT2_lT1_lS5_lS6_lS2_lPT4_lS6_li.kd
    .uniform_work_group_size: 1
    .uses_dynamic_stack: false
    .vgpr_count:     45
    .vgpr_spill_count: 0
    .wavefront_size: 64
  - .agpr_count:     0
    .args:
      - .offset:         0
        .size:           4
        .value_kind:     by_value
      - .offset:         4
        .size:           4
        .value_kind:     by_value
      - .address_space:  global
        .offset:         8
        .size:           8
        .value_kind:     global_buffer
      - .offset:         16
        .size:           8
        .value_kind:     by_value
      - .address_space:  global
        .offset:         24
        .size:           8
        .value_kind:     global_buffer
      - .offset:         32
        .size:           8
        .value_kind:     by_value
      - .offset:         40
        .size:           8
        .value_kind:     by_value
      - .offset:         48
        .size:           8
        .value_kind:     by_value
      - .address_space:  global
        .offset:         56
        .size:           8
        .value_kind:     global_buffer
      - .offset:         64
        .size:           8
        .value_kind:     by_value
      - .offset:         72
        .size:           8
        .value_kind:     by_value
      - .offset:         80
        .size:           8
        .value_kind:     by_value
      - .address_space:  global
        .offset:         88
        .size:           8
        .value_kind:     global_buffer
      - .offset:         96
        .size:           8
        .value_kind:     by_value
      - .address_space:  global
        .offset:         104
        .size:           8
        .value_kind:     global_buffer
      - .offset:         112
        .size:           8
        .value_kind:     by_value
      - .offset:         120
        .size:           8
        .value_kind:     by_value
      - .offset:         128
        .size:           8
        .value_kind:     by_value
      - .offset:         136
        .size:           4
        .value_kind:     by_value
      - .offset:         144
        .size:           4
        .value_kind:     hidden_block_count_x
      - .offset:         148
        .size:           4
        .value_kind:     hidden_block_count_y
      - .offset:         152
        .size:           4
        .value_kind:     hidden_block_count_z
      - .offset:         156
        .size:           2
        .value_kind:     hidden_group_size_x
      - .offset:         158
        .size:           2
        .value_kind:     hidden_group_size_y
      - .offset:         160
        .size:           2
        .value_kind:     hidden_group_size_z
      - .offset:         162
        .size:           2
        .value_kind:     hidden_remainder_x
      - .offset:         164
        .size:           2
        .value_kind:     hidden_remainder_y
      - .offset:         166
        .size:           2
        .value_kind:     hidden_remainder_z
      - .offset:         184
        .size:           8
        .value_kind:     hidden_global_offset_x
      - .offset:         192
        .size:           8
        .value_kind:     hidden_global_offset_y
      - .offset:         200
        .size:           8
        .value_kind:     hidden_global_offset_z
      - .offset:         208
        .size:           2
        .value_kind:     hidden_grid_dims
    .group_segment_fixed_size: 16384
    .kernarg_segment_align: 8
    .kernarg_segment_size: 400
    .language:       OpenCL C
    .language_version:
      - 2
      - 0
    .max_flat_workgroup_size: 1024
    .name:           _ZL20rocblas_gemvn_kernelILi64ELi16ElfPKffEviiT3_lPKT2_lT1_lS5_lS6_lS2_lPT4_lS6_li
    .private_segment_fixed_size: 0
    .sgpr_count:     59
    .sgpr_spill_count: 0
    .symbol:         _ZL20rocblas_gemvn_kernelILi64ELi16ElfPKffEviiT3_lPKT2_lT1_lS5_lS6_lS2_lPT4_lS6_li.kd
    .uniform_work_group_size: 1
    .uses_dynamic_stack: false
    .vgpr_count:     51
    .vgpr_spill_count: 0
    .wavefront_size: 64
  - .agpr_count:     0
    .args:
      - .offset:         0
        .size:           4
        .value_kind:     by_value
      - .offset:         4
        .size:           4
        .value_kind:     by_value
      - .offset:         8
        .size:           4
        .value_kind:     by_value
      - .offset:         16
        .size:           8
        .value_kind:     by_value
      - .address_space:  global
        .offset:         24
        .size:           8
        .value_kind:     global_buffer
      - .offset:         32
        .size:           8
        .value_kind:     by_value
      - .offset:         40
        .size:           4
        .value_kind:     by_value
      - .offset:         48
        .size:           8
        .value_kind:     by_value
      - .address_space:  global
        .offset:         56
        .size:           8
        .value_kind:     global_buffer
      - .offset:         64
        .size:           8
        .value_kind:     by_value
      - .offset:         72
        .size:           4
        .value_kind:     by_value
      - .offset:         80
        .size:           8
        .value_kind:     by_value
      - .offset:         88
        .size:           4
        .value_kind:     by_value
      - .offset:         96
        .size:           8
        .value_kind:     by_value
      - .address_space:  global
        .offset:         104
        .size:           8
        .value_kind:     global_buffer
      - .offset:         112
        .size:           8
        .value_kind:     by_value
      - .offset:         120
        .size:           4
        .value_kind:     by_value
      - .offset:         128
        .size:           8
        .value_kind:     by_value
      - .offset:         136
        .size:           4
        .value_kind:     by_value
      - .offset:         144
        .size:           4
        .value_kind:     hidden_block_count_x
      - .offset:         148
        .size:           4
        .value_kind:     hidden_block_count_y
      - .offset:         152
        .size:           4
        .value_kind:     hidden_block_count_z
      - .offset:         156
        .size:           2
        .value_kind:     hidden_group_size_x
      - .offset:         158
        .size:           2
        .value_kind:     hidden_group_size_y
      - .offset:         160
        .size:           2
        .value_kind:     hidden_group_size_z
      - .offset:         162
        .size:           2
        .value_kind:     hidden_remainder_x
      - .offset:         164
        .size:           2
        .value_kind:     hidden_remainder_y
      - .offset:         166
        .size:           2
        .value_kind:     hidden_remainder_z
      - .offset:         184
        .size:           8
        .value_kind:     hidden_global_offset_x
      - .offset:         192
        .size:           8
        .value_kind:     hidden_global_offset_y
      - .offset:         200
        .size:           8
        .value_kind:     hidden_global_offset_z
      - .offset:         208
        .size:           2
        .value_kind:     hidden_grid_dims
    .group_segment_fixed_size: 16384
    .kernarg_segment_align: 8
    .kernarg_segment_size: 400
    .language:       OpenCL C
    .language_version:
      - 2
      - 0
    .max_flat_workgroup_size: 1024
    .name:           _ZL20rocblas_gemvn_kernelILi64ELi16EifffEviiT3_lPKT2_lT1_lS3_lS4_lS0_lPT4_lS4_li
    .private_segment_fixed_size: 0
    .sgpr_count:     45
    .sgpr_spill_count: 0
    .symbol:         _ZL20rocblas_gemvn_kernelILi64ELi16EifffEviiT3_lPKT2_lT1_lS3_lS4_lS0_lPT4_lS4_li.kd
    .uniform_work_group_size: 1
    .uses_dynamic_stack: false
    .vgpr_count:     45
    .vgpr_spill_count: 0
    .wavefront_size: 64
  - .agpr_count:     0
    .args:
      - .offset:         0
        .size:           4
        .value_kind:     by_value
      - .offset:         4
        .size:           4
        .value_kind:     by_value
      - .offset:         8
        .size:           4
        .value_kind:     by_value
      - .offset:         16
        .size:           8
        .value_kind:     by_value
      - .address_space:  global
        .offset:         24
        .size:           8
        .value_kind:     global_buffer
      - .offset:         32
        .size:           8
        .value_kind:     by_value
      - .offset:         40
        .size:           8
        .value_kind:     by_value
      - .offset:         48
        .size:           8
        .value_kind:     by_value
      - .address_space:  global
        .offset:         56
        .size:           8
        .value_kind:     global_buffer
      - .offset:         64
        .size:           8
        .value_kind:     by_value
      - .offset:         72
        .size:           8
        .value_kind:     by_value
      - .offset:         80
        .size:           8
        .value_kind:     by_value
      - .offset:         88
        .size:           4
        .value_kind:     by_value
      - .offset:         96
        .size:           8
        .value_kind:     by_value
      - .address_space:  global
        .offset:         104
        .size:           8
        .value_kind:     global_buffer
      - .offset:         112
        .size:           8
        .value_kind:     by_value
      - .offset:         120
        .size:           8
        .value_kind:     by_value
      - .offset:         128
        .size:           8
        .value_kind:     by_value
      - .offset:         136
        .size:           4
        .value_kind:     by_value
      - .offset:         144
        .size:           4
        .value_kind:     hidden_block_count_x
      - .offset:         148
        .size:           4
        .value_kind:     hidden_block_count_y
      - .offset:         152
        .size:           4
        .value_kind:     hidden_block_count_z
      - .offset:         156
        .size:           2
        .value_kind:     hidden_group_size_x
      - .offset:         158
        .size:           2
        .value_kind:     hidden_group_size_y
      - .offset:         160
        .size:           2
        .value_kind:     hidden_group_size_z
      - .offset:         162
        .size:           2
        .value_kind:     hidden_remainder_x
      - .offset:         164
        .size:           2
        .value_kind:     hidden_remainder_y
      - .offset:         166
        .size:           2
        .value_kind:     hidden_remainder_z
      - .offset:         184
        .size:           8
        .value_kind:     hidden_global_offset_x
      - .offset:         192
        .size:           8
        .value_kind:     hidden_global_offset_y
      - .offset:         200
        .size:           8
        .value_kind:     hidden_global_offset_z
      - .offset:         208
        .size:           2
        .value_kind:     hidden_grid_dims
    .group_segment_fixed_size: 16384
    .kernarg_segment_align: 8
    .kernarg_segment_size: 400
    .language:       OpenCL C
    .language_version:
      - 2
      - 0
    .max_flat_workgroup_size: 1024
    .name:           _ZL20rocblas_gemvn_kernelILi64ELi16ElfffEviiT3_lPKT2_lT1_lS3_lS4_lS0_lPT4_lS4_li
    .private_segment_fixed_size: 0
    .sgpr_count:     59
    .sgpr_spill_count: 0
    .symbol:         _ZL20rocblas_gemvn_kernelILi64ELi16ElfffEviiT3_lPKT2_lT1_lS3_lS4_lS0_lPT4_lS4_li.kd
    .uniform_work_group_size: 1
    .uses_dynamic_stack: false
    .vgpr_count:     51
    .vgpr_spill_count: 0
    .wavefront_size: 64
  - .agpr_count:     0
    .args:
      - .offset:         0
        .size:           4
        .value_kind:     by_value
      - .offset:         4
        .size:           4
        .value_kind:     by_value
      - .address_space:  global
        .offset:         8
        .size:           8
        .value_kind:     global_buffer
      - .offset:         16
        .size:           8
        .value_kind:     by_value
      - .address_space:  global
        .offset:         24
        .size:           8
        .value_kind:     global_buffer
      - .offset:         32
        .size:           8
        .value_kind:     by_value
      - .offset:         40
        .size:           4
        .value_kind:     by_value
      - .offset:         48
        .size:           8
        .value_kind:     by_value
      - .address_space:  global
        .offset:         56
        .size:           8
        .value_kind:     global_buffer
      - .offset:         64
        .size:           8
        .value_kind:     by_value
      - .offset:         72
        .size:           4
        .value_kind:     by_value
      - .offset:         80
        .size:           8
        .value_kind:     by_value
      - .address_space:  global
        .offset:         88
        .size:           8
        .value_kind:     global_buffer
      - .offset:         96
        .size:           8
        .value_kind:     by_value
      - .address_space:  global
        .offset:         104
        .size:           8
        .value_kind:     global_buffer
      - .offset:         112
        .size:           8
        .value_kind:     by_value
      - .offset:         120
        .size:           4
        .value_kind:     by_value
      - .offset:         128
        .size:           8
        .value_kind:     by_value
    .group_segment_fixed_size: 256
    .kernarg_segment_align: 8
    .kernarg_segment_size: 136
    .language:       OpenCL C
    .language_version:
      - 2
      - 0
    .max_flat_workgroup_size: 256
    .name:           _ZL22rocblas_gemvtsm_kernelILb0ELi256EfPKffEviiT2_lPKT1_lilS5_lilS2_lPT3_lil
    .private_segment_fixed_size: 0
    .sgpr_count:     35
    .sgpr_spill_count: 0
    .symbol:         _ZL22rocblas_gemvtsm_kernelILb0ELi256EfPKffEviiT2_lPKT1_lilS5_lilS2_lPT3_lil.kd
    .uniform_work_group_size: 1
    .uses_dynamic_stack: false
    .vgpr_count:     26
    .vgpr_spill_count: 0
    .wavefront_size: 64
  - .agpr_count:     0
    .args:
      - .offset:         0
        .size:           4
        .value_kind:     by_value
      - .offset:         4
        .size:           4
        .value_kind:     by_value
      - .offset:         8
        .size:           4
        .value_kind:     by_value
      - .offset:         16
        .size:           8
        .value_kind:     by_value
      - .address_space:  global
        .offset:         24
        .size:           8
        .value_kind:     global_buffer
      - .offset:         32
        .size:           8
        .value_kind:     by_value
      - .offset:         40
        .size:           4
        .value_kind:     by_value
      - .offset:         48
        .size:           8
        .value_kind:     by_value
      - .address_space:  global
        .offset:         56
        .size:           8
        .value_kind:     global_buffer
      - .offset:         64
        .size:           8
        .value_kind:     by_value
      - .offset:         72
        .size:           4
        .value_kind:     by_value
      - .offset:         80
        .size:           8
        .value_kind:     by_value
      - .offset:         88
        .size:           4
        .value_kind:     by_value
      - .offset:         96
        .size:           8
        .value_kind:     by_value
      - .address_space:  global
        .offset:         104
        .size:           8
        .value_kind:     global_buffer
      - .offset:         112
        .size:           8
        .value_kind:     by_value
      - .offset:         120
        .size:           4
        .value_kind:     by_value
      - .offset:         128
        .size:           8
        .value_kind:     by_value
    .group_segment_fixed_size: 256
    .kernarg_segment_align: 8
    .kernarg_segment_size: 136
    .language:       OpenCL C
    .language_version:
      - 2
      - 0
    .max_flat_workgroup_size: 256
    .name:           _ZL22rocblas_gemvtsm_kernelILb0ELi256EfffEviiT2_lPKT1_lilS3_lilS0_lPT3_lil
    .private_segment_fixed_size: 0
    .sgpr_count:     38
    .sgpr_spill_count: 0
    .symbol:         _ZL22rocblas_gemvtsm_kernelILb0ELi256EfffEviiT2_lPKT1_lilS3_lilS0_lPT3_lil.kd
    .uniform_work_group_size: 1
    .uses_dynamic_stack: false
    .vgpr_count:     26
    .vgpr_spill_count: 0
    .wavefront_size: 64
  - .agpr_count:     0
    .args:
      - .offset:         0
        .size:           4
        .value_kind:     by_value
      - .offset:         4
        .size:           4
        .value_kind:     by_value
      - .address_space:  global
        .offset:         8
        .size:           8
        .value_kind:     global_buffer
      - .offset:         16
        .size:           8
        .value_kind:     by_value
      - .address_space:  global
        .offset:         24
        .size:           8
        .value_kind:     global_buffer
      - .offset:         32
        .size:           8
        .value_kind:     by_value
      - .offset:         40
        .size:           4
        .value_kind:     by_value
      - .offset:         48
        .size:           8
        .value_kind:     by_value
      - .address_space:  global
        .offset:         56
        .size:           8
        .value_kind:     global_buffer
      - .offset:         64
        .size:           8
        .value_kind:     by_value
      - .offset:         72
        .size:           4
        .value_kind:     by_value
      - .offset:         80
        .size:           8
        .value_kind:     by_value
      - .address_space:  global
        .offset:         88
        .size:           8
        .value_kind:     global_buffer
      - .offset:         96
        .size:           4
        .value_kind:     by_value
      - .offset:         104
        .size:           4
        .value_kind:     hidden_block_count_x
      - .offset:         108
        .size:           4
        .value_kind:     hidden_block_count_y
      - .offset:         112
        .size:           4
        .value_kind:     hidden_block_count_z
      - .offset:         116
        .size:           2
        .value_kind:     hidden_group_size_x
      - .offset:         118
        .size:           2
        .value_kind:     hidden_group_size_y
      - .offset:         120
        .size:           2
        .value_kind:     hidden_group_size_z
      - .offset:         122
        .size:           2
        .value_kind:     hidden_remainder_x
      - .offset:         124
        .size:           2
        .value_kind:     hidden_remainder_y
      - .offset:         126
        .size:           2
        .value_kind:     hidden_remainder_z
      - .offset:         144
        .size:           8
        .value_kind:     hidden_global_offset_x
      - .offset:         152
        .size:           8
        .value_kind:     hidden_global_offset_y
      - .offset:         160
        .size:           8
        .value_kind:     hidden_global_offset_z
      - .offset:         168
        .size:           2
        .value_kind:     hidden_grid_dims
    .group_segment_fixed_size: 256
    .kernarg_segment_align: 8
    .kernarg_segment_size: 360
    .language:       OpenCL C
    .language_version:
      - 2
      - 0
    .max_flat_workgroup_size: 256
    .name:           _ZL23rocblas_gemvt_sn_kernelILb0ELi256ELi4EifPKffEviiT4_lPKT3_lilS5_lilPT5_i
    .private_segment_fixed_size: 0
    .sgpr_count:     66
    .sgpr_spill_count: 0
    .symbol:         _ZL23rocblas_gemvt_sn_kernelILb0ELi256ELi4EifPKffEviiT4_lPKT3_lilS5_lilPT5_i.kd
    .uniform_work_group_size: 1
    .uses_dynamic_stack: false
    .vgpr_count:     54
    .vgpr_spill_count: 0
    .wavefront_size: 64
  - .agpr_count:     0
    .args:
      - .offset:         0
        .size:           4
        .value_kind:     by_value
      - .offset:         4
        .size:           4
        .value_kind:     by_value
      - .address_space:  global
        .offset:         8
        .size:           8
        .value_kind:     global_buffer
      - .offset:         16
        .size:           8
        .value_kind:     by_value
      - .address_space:  global
        .offset:         24
        .size:           8
        .value_kind:     global_buffer
      - .offset:         32
        .size:           8
        .value_kind:     by_value
      - .offset:         40
        .size:           4
        .value_kind:     by_value
      - .offset:         48
        .size:           8
        .value_kind:     by_value
      - .address_space:  global
        .offset:         56
        .size:           8
        .value_kind:     global_buffer
      - .offset:         64
        .size:           8
        .value_kind:     by_value
      - .offset:         72
        .size:           4
        .value_kind:     by_value
      - .offset:         80
        .size:           8
        .value_kind:     by_value
      - .address_space:  global
        .offset:         88
        .size:           8
        .value_kind:     global_buffer
      - .offset:         96
        .size:           4
        .value_kind:     by_value
      - .offset:         104
        .size:           4
        .value_kind:     hidden_block_count_x
      - .offset:         108
        .size:           4
        .value_kind:     hidden_block_count_y
      - .offset:         112
        .size:           4
        .value_kind:     hidden_block_count_z
      - .offset:         116
        .size:           2
        .value_kind:     hidden_group_size_x
      - .offset:         118
        .size:           2
        .value_kind:     hidden_group_size_y
      - .offset:         120
        .size:           2
        .value_kind:     hidden_group_size_z
      - .offset:         122
        .size:           2
        .value_kind:     hidden_remainder_x
      - .offset:         124
        .size:           2
        .value_kind:     hidden_remainder_y
      - .offset:         126
        .size:           2
        .value_kind:     hidden_remainder_z
      - .offset:         144
        .size:           8
        .value_kind:     hidden_global_offset_x
      - .offset:         152
        .size:           8
        .value_kind:     hidden_global_offset_y
      - .offset:         160
        .size:           8
        .value_kind:     hidden_global_offset_z
      - .offset:         168
        .size:           2
        .value_kind:     hidden_grid_dims
    .group_segment_fixed_size: 256
    .kernarg_segment_align: 8
    .kernarg_segment_size: 360
    .language:       OpenCL C
    .language_version:
      - 2
      - 0
    .max_flat_workgroup_size: 256
    .name:           _ZL23rocblas_gemvt_sn_kernelILb0ELi256ELi4ElfPKffEviiT4_lPKT3_lilS5_lilPT5_i
    .private_segment_fixed_size: 0
    .sgpr_count:     75
    .sgpr_spill_count: 0
    .symbol:         _ZL23rocblas_gemvt_sn_kernelILb0ELi256ELi4ElfPKffEviiT4_lPKT3_lilS5_lilPT5_i.kd
    .uniform_work_group_size: 1
    .uses_dynamic_stack: false
    .vgpr_count:     58
    .vgpr_spill_count: 0
    .wavefront_size: 64
  - .agpr_count:     0
    .args:
      - .offset:         0
        .size:           4
        .value_kind:     by_value
      - .offset:         4
        .size:           4
        .value_kind:     by_value
      - .offset:         8
        .size:           4
        .value_kind:     by_value
      - .offset:         16
        .size:           8
        .value_kind:     by_value
      - .address_space:  global
        .offset:         24
        .size:           8
        .value_kind:     global_buffer
      - .offset:         32
        .size:           8
        .value_kind:     by_value
      - .offset:         40
        .size:           4
        .value_kind:     by_value
      - .offset:         48
        .size:           8
        .value_kind:     by_value
      - .address_space:  global
        .offset:         56
        .size:           8
        .value_kind:     global_buffer
      - .offset:         64
        .size:           8
        .value_kind:     by_value
      - .offset:         72
        .size:           4
        .value_kind:     by_value
      - .offset:         80
        .size:           8
        .value_kind:     by_value
      - .address_space:  global
        .offset:         88
        .size:           8
        .value_kind:     global_buffer
      - .offset:         96
        .size:           4
        .value_kind:     by_value
      - .offset:         104
        .size:           4
        .value_kind:     hidden_block_count_x
      - .offset:         108
        .size:           4
        .value_kind:     hidden_block_count_y
      - .offset:         112
        .size:           4
        .value_kind:     hidden_block_count_z
      - .offset:         116
        .size:           2
        .value_kind:     hidden_group_size_x
      - .offset:         118
        .size:           2
        .value_kind:     hidden_group_size_y
      - .offset:         120
        .size:           2
        .value_kind:     hidden_group_size_z
      - .offset:         122
        .size:           2
        .value_kind:     hidden_remainder_x
      - .offset:         124
        .size:           2
        .value_kind:     hidden_remainder_y
      - .offset:         126
        .size:           2
        .value_kind:     hidden_remainder_z
      - .offset:         144
        .size:           8
        .value_kind:     hidden_global_offset_x
      - .offset:         152
        .size:           8
        .value_kind:     hidden_global_offset_y
      - .offset:         160
        .size:           8
        .value_kind:     hidden_global_offset_z
      - .offset:         168
        .size:           2
        .value_kind:     hidden_grid_dims
    .group_segment_fixed_size: 256
    .kernarg_segment_align: 8
    .kernarg_segment_size: 360
    .language:       OpenCL C
    .language_version:
      - 2
      - 0
    .max_flat_workgroup_size: 256
    .name:           _ZL23rocblas_gemvt_sn_kernelILb0ELi256ELi4EifffEviiT4_lPKT3_lilS3_lilPT5_i
    .private_segment_fixed_size: 0
    .sgpr_count:     67
    .sgpr_spill_count: 0
    .symbol:         _ZL23rocblas_gemvt_sn_kernelILb0ELi256ELi4EifffEviiT4_lPKT3_lilS3_lilPT5_i.kd
    .uniform_work_group_size: 1
    .uses_dynamic_stack: false
    .vgpr_count:     54
    .vgpr_spill_count: 0
    .wavefront_size: 64
  - .agpr_count:     0
    .args:
      - .offset:         0
        .size:           4
        .value_kind:     by_value
      - .offset:         4
        .size:           4
        .value_kind:     by_value
      - .offset:         8
        .size:           4
        .value_kind:     by_value
      - .offset:         16
        .size:           8
        .value_kind:     by_value
      - .address_space:  global
        .offset:         24
        .size:           8
        .value_kind:     global_buffer
      - .offset:         32
        .size:           8
        .value_kind:     by_value
      - .offset:         40
        .size:           4
        .value_kind:     by_value
      - .offset:         48
        .size:           8
        .value_kind:     by_value
      - .address_space:  global
        .offset:         56
        .size:           8
        .value_kind:     global_buffer
      - .offset:         64
        .size:           8
        .value_kind:     by_value
      - .offset:         72
        .size:           4
        .value_kind:     by_value
      - .offset:         80
        .size:           8
        .value_kind:     by_value
      - .address_space:  global
        .offset:         88
        .size:           8
        .value_kind:     global_buffer
      - .offset:         96
        .size:           4
        .value_kind:     by_value
      - .offset:         104
        .size:           4
        .value_kind:     hidden_block_count_x
      - .offset:         108
        .size:           4
        .value_kind:     hidden_block_count_y
      - .offset:         112
        .size:           4
        .value_kind:     hidden_block_count_z
      - .offset:         116
        .size:           2
        .value_kind:     hidden_group_size_x
      - .offset:         118
        .size:           2
        .value_kind:     hidden_group_size_y
      - .offset:         120
        .size:           2
        .value_kind:     hidden_group_size_z
      - .offset:         122
        .size:           2
        .value_kind:     hidden_remainder_x
      - .offset:         124
        .size:           2
        .value_kind:     hidden_remainder_y
      - .offset:         126
        .size:           2
        .value_kind:     hidden_remainder_z
      - .offset:         144
        .size:           8
        .value_kind:     hidden_global_offset_x
      - .offset:         152
        .size:           8
        .value_kind:     hidden_global_offset_y
      - .offset:         160
        .size:           8
        .value_kind:     hidden_global_offset_z
      - .offset:         168
        .size:           2
        .value_kind:     hidden_grid_dims
    .group_segment_fixed_size: 256
    .kernarg_segment_align: 8
    .kernarg_segment_size: 360
    .language:       OpenCL C
    .language_version:
      - 2
      - 0
    .max_flat_workgroup_size: 256
    .name:           _ZL23rocblas_gemvt_sn_kernelILb0ELi256ELi4ElfffEviiT4_lPKT3_lilS3_lilPT5_i
    .private_segment_fixed_size: 0
    .sgpr_count:     75
    .sgpr_spill_count: 0
    .symbol:         _ZL23rocblas_gemvt_sn_kernelILb0ELi256ELi4ElfffEviiT4_lPKT3_lilS3_lilPT5_i.kd
    .uniform_work_group_size: 1
    .uses_dynamic_stack: false
    .vgpr_count:     58
    .vgpr_spill_count: 0
    .wavefront_size: 64
  - .agpr_count:     0
    .args:
      - .offset:         0
        .size:           4
        .value_kind:     by_value
      - .offset:         4
        .size:           4
        .value_kind:     by_value
      - .address_space:  global
        .offset:         8
        .size:           8
        .value_kind:     global_buffer
      - .offset:         16
        .size:           8
        .value_kind:     by_value
      - .address_space:  global
        .offset:         24
        .size:           8
        .value_kind:     global_buffer
      - .offset:         32
        .size:           8
        .value_kind:     by_value
      - .offset:         40
        .size:           4
        .value_kind:     by_value
      - .offset:         48
        .size:           8
        .value_kind:     by_value
      - .address_space:  global
        .offset:         56
        .size:           8
        .value_kind:     global_buffer
      - .offset:         64
        .size:           8
        .value_kind:     by_value
      - .offset:         72
        .size:           4
        .value_kind:     by_value
      - .offset:         80
        .size:           8
        .value_kind:     by_value
      - .address_space:  global
        .offset:         88
        .size:           8
        .value_kind:     global_buffer
      - .offset:         96
        .size:           8
        .value_kind:     by_value
      - .offset:         104
        .size:           4
        .value_kind:     by_value
      - .offset:         112
        .size:           8
        .value_kind:     by_value
      - .offset:         120
        .size:           4
        .value_kind:     by_value
      - .offset:         128
        .size:           4
        .value_kind:     hidden_block_count_x
      - .offset:         132
        .size:           4
        .value_kind:     hidden_block_count_y
      - .offset:         136
        .size:           4
        .value_kind:     hidden_block_count_z
      - .offset:         140
        .size:           2
        .value_kind:     hidden_group_size_x
      - .offset:         142
        .size:           2
        .value_kind:     hidden_group_size_y
      - .offset:         144
        .size:           2
        .value_kind:     hidden_group_size_z
      - .offset:         146
        .size:           2
        .value_kind:     hidden_remainder_x
      - .offset:         148
        .size:           2
        .value_kind:     hidden_remainder_y
      - .offset:         150
        .size:           2
        .value_kind:     hidden_remainder_z
      - .offset:         168
        .size:           8
        .value_kind:     hidden_global_offset_x
      - .offset:         176
        .size:           8
        .value_kind:     hidden_global_offset_y
      - .offset:         184
        .size:           8
        .value_kind:     hidden_global_offset_z
      - .offset:         192
        .size:           2
        .value_kind:     hidden_grid_dims
    .group_segment_fixed_size: 32768
    .kernarg_segment_align: 8
    .kernarg_segment_size: 384
    .language:       OpenCL C
    .language_version:
      - 2
      - 0
    .max_flat_workgroup_size: 1024
    .name:           _ZL36rocblas_gemvt_double_buffered_kernelILb0ELi128ELi8ELi8EfPKffEviiT4_lPKT3_lilS5_lilPT5_lili
    .private_segment_fixed_size: 0
    .sgpr_count:     42
    .sgpr_spill_count: 0
    .symbol:         _ZL36rocblas_gemvt_double_buffered_kernelILb0ELi128ELi8ELi8EfPKffEviiT4_lPKT3_lilS5_lilPT5_lili.kd
    .uniform_work_group_size: 1
    .uses_dynamic_stack: false
    .vgpr_count:     64
    .vgpr_spill_count: 0
    .wavefront_size: 64
  - .agpr_count:     0
    .args:
      - .offset:         0
        .size:           4
        .value_kind:     by_value
      - .offset:         4
        .size:           4
        .value_kind:     by_value
      - .offset:         8
        .size:           4
        .value_kind:     by_value
      - .offset:         16
        .size:           8
        .value_kind:     by_value
      - .address_space:  global
        .offset:         24
        .size:           8
        .value_kind:     global_buffer
      - .offset:         32
        .size:           8
        .value_kind:     by_value
      - .offset:         40
        .size:           4
        .value_kind:     by_value
      - .offset:         48
        .size:           8
        .value_kind:     by_value
      - .address_space:  global
        .offset:         56
        .size:           8
        .value_kind:     global_buffer
      - .offset:         64
        .size:           8
        .value_kind:     by_value
      - .offset:         72
        .size:           4
        .value_kind:     by_value
      - .offset:         80
        .size:           8
        .value_kind:     by_value
      - .address_space:  global
        .offset:         88
        .size:           8
        .value_kind:     global_buffer
      - .offset:         96
        .size:           8
        .value_kind:     by_value
      - .offset:         104
        .size:           4
        .value_kind:     by_value
      - .offset:         112
        .size:           8
        .value_kind:     by_value
      - .offset:         120
        .size:           4
        .value_kind:     by_value
      - .offset:         128
        .size:           4
        .value_kind:     hidden_block_count_x
      - .offset:         132
        .size:           4
        .value_kind:     hidden_block_count_y
      - .offset:         136
        .size:           4
        .value_kind:     hidden_block_count_z
      - .offset:         140
        .size:           2
        .value_kind:     hidden_group_size_x
      - .offset:         142
        .size:           2
        .value_kind:     hidden_group_size_y
      - .offset:         144
        .size:           2
        .value_kind:     hidden_group_size_z
      - .offset:         146
        .size:           2
        .value_kind:     hidden_remainder_x
      - .offset:         148
        .size:           2
        .value_kind:     hidden_remainder_y
      - .offset:         150
        .size:           2
        .value_kind:     hidden_remainder_z
      - .offset:         168
        .size:           8
        .value_kind:     hidden_global_offset_x
      - .offset:         176
        .size:           8
        .value_kind:     hidden_global_offset_y
      - .offset:         184
        .size:           8
        .value_kind:     hidden_global_offset_z
      - .offset:         192
        .size:           2
        .value_kind:     hidden_grid_dims
    .group_segment_fixed_size: 32768
    .kernarg_segment_align: 8
    .kernarg_segment_size: 384
    .language:       OpenCL C
    .language_version:
      - 2
      - 0
    .max_flat_workgroup_size: 1024
    .name:           _ZL36rocblas_gemvt_double_buffered_kernelILb0ELi128ELi8ELi8EfffEviiT4_lPKT3_lilS3_lilPT5_lili
    .private_segment_fixed_size: 0
    .sgpr_count:     42
    .sgpr_spill_count: 0
    .symbol:         _ZL36rocblas_gemvt_double_buffered_kernelILb0ELi128ELi8ELi8EfffEviiT4_lPKT3_lilS3_lilPT5_lili.kd
    .uniform_work_group_size: 1
    .uses_dynamic_stack: false
    .vgpr_count:     64
    .vgpr_spill_count: 0
    .wavefront_size: 64
  - .agpr_count:     0
    .args:
      - .offset:         0
        .size:           4
        .value_kind:     by_value
      - .offset:         4
        .size:           4
        .value_kind:     by_value
      - .address_space:  global
        .offset:         8
        .size:           8
        .value_kind:     global_buffer
      - .offset:         16
        .size:           8
        .value_kind:     by_value
      - .address_space:  global
        .offset:         24
        .size:           8
        .value_kind:     global_buffer
      - .offset:         32
        .size:           8
        .value_kind:     by_value
      - .offset:         40
        .size:           4
        .value_kind:     by_value
      - .offset:         48
        .size:           8
        .value_kind:     by_value
      - .address_space:  global
        .offset:         56
        .size:           8
        .value_kind:     global_buffer
      - .offset:         64
        .size:           8
        .value_kind:     by_value
      - .offset:         72
        .size:           4
        .value_kind:     by_value
      - .offset:         80
        .size:           8
        .value_kind:     by_value
      - .address_space:  global
        .offset:         88
        .size:           8
        .value_kind:     global_buffer
      - .offset:         96
        .size:           8
        .value_kind:     by_value
      - .address_space:  global
        .offset:         104
        .size:           8
        .value_kind:     global_buffer
      - .offset:         112
        .size:           8
        .value_kind:     by_value
      - .offset:         120
        .size:           4
        .value_kind:     by_value
      - .offset:         128
        .size:           8
        .value_kind:     by_value
      - .offset:         136
        .size:           4
        .value_kind:     by_value
    .group_segment_fixed_size: 256
    .kernarg_segment_align: 8
    .kernarg_segment_size: 140
    .language:       OpenCL C
    .language_version:
      - 2
      - 0
    .max_flat_workgroup_size: 256
    .name:           _ZL32rocblas_gemvt_warp_reduce_kernelILb0ELi256EifPKffEviiT3_lPKT2_lT1_lS5_lS6_lS2_lPT4_lS6_li
    .private_segment_fixed_size: 0
    .sgpr_count:     32
    .sgpr_spill_count: 0
    .symbol:         _ZL32rocblas_gemvt_warp_reduce_kernelILb0ELi256EifPKffEviiT3_lPKT2_lT1_lS5_lS6_lS2_lPT4_lS6_li.kd
    .uniform_work_group_size: 1
    .uses_dynamic_stack: false
    .vgpr_count:     12
    .vgpr_spill_count: 0
    .wavefront_size: 64
  - .agpr_count:     0
    .args:
      - .offset:         0
        .size:           4
        .value_kind:     by_value
      - .offset:         4
        .size:           4
        .value_kind:     by_value
      - .address_space:  global
        .offset:         8
        .size:           8
        .value_kind:     global_buffer
      - .offset:         16
        .size:           8
        .value_kind:     by_value
      - .address_space:  global
        .offset:         24
        .size:           8
        .value_kind:     global_buffer
      - .offset:         32
        .size:           8
        .value_kind:     by_value
      - .offset:         40
        .size:           8
        .value_kind:     by_value
      - .offset:         48
        .size:           8
        .value_kind:     by_value
      - .address_space:  global
        .offset:         56
        .size:           8
        .value_kind:     global_buffer
      - .offset:         64
        .size:           8
        .value_kind:     by_value
      - .offset:         72
        .size:           8
        .value_kind:     by_value
      - .offset:         80
        .size:           8
        .value_kind:     by_value
      - .address_space:  global
        .offset:         88
        .size:           8
        .value_kind:     global_buffer
      - .offset:         96
        .size:           8
        .value_kind:     by_value
      - .address_space:  global
        .offset:         104
        .size:           8
        .value_kind:     global_buffer
      - .offset:         112
        .size:           8
        .value_kind:     by_value
      - .offset:         120
        .size:           8
        .value_kind:     by_value
      - .offset:         128
        .size:           8
        .value_kind:     by_value
      - .offset:         136
        .size:           4
        .value_kind:     by_value
    .group_segment_fixed_size: 256
    .kernarg_segment_align: 8
    .kernarg_segment_size: 140
    .language:       OpenCL C
    .language_version:
      - 2
      - 0
    .max_flat_workgroup_size: 256
    .name:           _ZL32rocblas_gemvt_warp_reduce_kernelILb0ELi256ElfPKffEviiT3_lPKT2_lT1_lS5_lS6_lS2_lPT4_lS6_li
    .private_segment_fixed_size: 0
    .sgpr_count:     58
    .sgpr_spill_count: 0
    .symbol:         _ZL32rocblas_gemvt_warp_reduce_kernelILb0ELi256ElfPKffEviiT3_lPKT2_lT1_lS5_lS6_lS2_lPT4_lS6_li.kd
    .uniform_work_group_size: 1
    .uses_dynamic_stack: false
    .vgpr_count:     11
    .vgpr_spill_count: 0
    .wavefront_size: 64
  - .agpr_count:     0
    .args:
      - .offset:         0
        .size:           4
        .value_kind:     by_value
      - .offset:         4
        .size:           4
        .value_kind:     by_value
      - .offset:         8
        .size:           4
        .value_kind:     by_value
      - .offset:         16
        .size:           8
        .value_kind:     by_value
      - .address_space:  global
        .offset:         24
        .size:           8
        .value_kind:     global_buffer
      - .offset:         32
        .size:           8
        .value_kind:     by_value
      - .offset:         40
        .size:           4
        .value_kind:     by_value
      - .offset:         48
        .size:           8
        .value_kind:     by_value
      - .address_space:  global
        .offset:         56
        .size:           8
        .value_kind:     global_buffer
      - .offset:         64
        .size:           8
        .value_kind:     by_value
      - .offset:         72
        .size:           4
        .value_kind:     by_value
      - .offset:         80
        .size:           8
        .value_kind:     by_value
      - .offset:         88
        .size:           4
        .value_kind:     by_value
      - .offset:         96
        .size:           8
        .value_kind:     by_value
      - .address_space:  global
        .offset:         104
        .size:           8
        .value_kind:     global_buffer
      - .offset:         112
        .size:           8
        .value_kind:     by_value
      - .offset:         120
        .size:           4
        .value_kind:     by_value
      - .offset:         128
        .size:           8
        .value_kind:     by_value
      - .offset:         136
        .size:           4
        .value_kind:     by_value
    .group_segment_fixed_size: 256
    .kernarg_segment_align: 8
    .kernarg_segment_size: 140
    .language:       OpenCL C
    .language_version:
      - 2
      - 0
    .max_flat_workgroup_size: 256
    .name:           _ZL32rocblas_gemvt_warp_reduce_kernelILb0ELi256EifffEviiT3_lPKT2_lT1_lS3_lS4_lS0_lPT4_lS4_li
    .private_segment_fixed_size: 0
    .sgpr_count:     32
    .sgpr_spill_count: 0
    .symbol:         _ZL32rocblas_gemvt_warp_reduce_kernelILb0ELi256EifffEviiT3_lPKT2_lT1_lS3_lS4_lS0_lPT4_lS4_li.kd
    .uniform_work_group_size: 1
    .uses_dynamic_stack: false
    .vgpr_count:     12
    .vgpr_spill_count: 0
    .wavefront_size: 64
  - .agpr_count:     0
    .args:
      - .offset:         0
        .size:           4
        .value_kind:     by_value
      - .offset:         4
        .size:           4
        .value_kind:     by_value
      - .offset:         8
        .size:           4
        .value_kind:     by_value
      - .offset:         16
        .size:           8
        .value_kind:     by_value
      - .address_space:  global
        .offset:         24
        .size:           8
        .value_kind:     global_buffer
      - .offset:         32
        .size:           8
        .value_kind:     by_value
      - .offset:         40
        .size:           8
        .value_kind:     by_value
      - .offset:         48
        .size:           8
        .value_kind:     by_value
      - .address_space:  global
        .offset:         56
        .size:           8
        .value_kind:     global_buffer
      - .offset:         64
        .size:           8
        .value_kind:     by_value
      - .offset:         72
        .size:           8
        .value_kind:     by_value
      - .offset:         80
        .size:           8
        .value_kind:     by_value
      - .offset:         88
        .size:           4
        .value_kind:     by_value
      - .offset:         96
        .size:           8
        .value_kind:     by_value
      - .address_space:  global
        .offset:         104
        .size:           8
        .value_kind:     global_buffer
      - .offset:         112
        .size:           8
        .value_kind:     by_value
      - .offset:         120
        .size:           8
        .value_kind:     by_value
      - .offset:         128
        .size:           8
        .value_kind:     by_value
      - .offset:         136
        .size:           4
        .value_kind:     by_value
    .group_segment_fixed_size: 256
    .kernarg_segment_align: 8
    .kernarg_segment_size: 140
    .language:       OpenCL C
    .language_version:
      - 2
      - 0
    .max_flat_workgroup_size: 256
    .name:           _ZL32rocblas_gemvt_warp_reduce_kernelILb0ELi256ElfffEviiT3_lPKT2_lT1_lS3_lS4_lS0_lPT4_lS4_li
    .private_segment_fixed_size: 0
    .sgpr_count:     35
    .sgpr_spill_count: 0
    .symbol:         _ZL32rocblas_gemvt_warp_reduce_kernelILb0ELi256ElfffEviiT3_lPKT2_lT1_lS3_lS4_lS0_lPT4_lS4_li.kd
    .uniform_work_group_size: 1
    .uses_dynamic_stack: false
    .vgpr_count:     11
    .vgpr_spill_count: 0
    .wavefront_size: 64
  - .agpr_count:     0
    .args:
      - .offset:         0
        .size:           4
        .value_kind:     by_value
      - .offset:         4
        .size:           4
        .value_kind:     by_value
      - .address_space:  global
        .offset:         8
        .size:           8
        .value_kind:     global_buffer
      - .offset:         16
        .size:           8
        .value_kind:     by_value
      - .address_space:  global
        .offset:         24
        .size:           8
        .value_kind:     global_buffer
      - .offset:         32
        .size:           8
        .value_kind:     by_value
      - .offset:         40
        .size:           4
        .value_kind:     by_value
      - .offset:         48
        .size:           8
        .value_kind:     by_value
      - .address_space:  global
        .offset:         56
        .size:           8
        .value_kind:     global_buffer
      - .offset:         64
        .size:           8
        .value_kind:     by_value
      - .offset:         72
        .size:           4
        .value_kind:     by_value
      - .offset:         80
        .size:           8
        .value_kind:     by_value
      - .address_space:  global
        .offset:         88
        .size:           8
        .value_kind:     global_buffer
      - .offset:         96
        .size:           8
        .value_kind:     by_value
      - .address_space:  global
        .offset:         104
        .size:           8
        .value_kind:     global_buffer
      - .offset:         112
        .size:           8
        .value_kind:     by_value
      - .offset:         120
        .size:           4
        .value_kind:     by_value
      - .offset:         128
        .size:           8
        .value_kind:     by_value
      - .offset:         136
        .size:           4
        .value_kind:     by_value
    .group_segment_fixed_size: 1024
    .kernarg_segment_align: 8
    .kernarg_segment_size: 140
    .language:       OpenCL C
    .language_version:
      - 2
      - 0
    .max_flat_workgroup_size: 256
    .name:           _ZL20rocblas_gemvt_kernelILb0ELi256EfPKffEviiT2_lPKT1_lilS5_lilS2_lPT3_lili
    .private_segment_fixed_size: 0
    .sgpr_count:     32
    .sgpr_spill_count: 0
    .symbol:         _ZL20rocblas_gemvt_kernelILb0ELi256EfPKffEviiT2_lPKT1_lilS5_lilS2_lPT3_lili.kd
    .uniform_work_group_size: 1
    .uses_dynamic_stack: false
    .vgpr_count:     10
    .vgpr_spill_count: 0
    .wavefront_size: 64
  - .agpr_count:     0
    .args:
      - .offset:         0
        .size:           4
        .value_kind:     by_value
      - .offset:         4
        .size:           4
        .value_kind:     by_value
      - .offset:         8
        .size:           4
        .value_kind:     by_value
      - .offset:         16
        .size:           8
        .value_kind:     by_value
      - .address_space:  global
        .offset:         24
        .size:           8
        .value_kind:     global_buffer
      - .offset:         32
        .size:           8
        .value_kind:     by_value
      - .offset:         40
        .size:           4
        .value_kind:     by_value
      - .offset:         48
        .size:           8
        .value_kind:     by_value
      - .address_space:  global
        .offset:         56
        .size:           8
        .value_kind:     global_buffer
      - .offset:         64
        .size:           8
        .value_kind:     by_value
      - .offset:         72
        .size:           4
        .value_kind:     by_value
      - .offset:         80
        .size:           8
        .value_kind:     by_value
      - .offset:         88
        .size:           4
        .value_kind:     by_value
      - .offset:         96
        .size:           8
        .value_kind:     by_value
      - .address_space:  global
        .offset:         104
        .size:           8
        .value_kind:     global_buffer
      - .offset:         112
        .size:           8
        .value_kind:     by_value
      - .offset:         120
        .size:           4
        .value_kind:     by_value
      - .offset:         128
        .size:           8
        .value_kind:     by_value
      - .offset:         136
        .size:           4
        .value_kind:     by_value
    .group_segment_fixed_size: 1024
    .kernarg_segment_align: 8
    .kernarg_segment_size: 140
    .language:       OpenCL C
    .language_version:
      - 2
      - 0
    .max_flat_workgroup_size: 256
    .name:           _ZL20rocblas_gemvt_kernelILb0ELi256EfffEviiT2_lPKT1_lilS3_lilS0_lPT3_lili
    .private_segment_fixed_size: 0
    .sgpr_count:     34
    .sgpr_spill_count: 0
    .symbol:         _ZL20rocblas_gemvt_kernelILb0ELi256EfffEviiT2_lPKT1_lilS3_lilS0_lPT3_lili.kd
    .uniform_work_group_size: 1
    .uses_dynamic_stack: false
    .vgpr_count:     10
    .vgpr_spill_count: 0
    .wavefront_size: 64
  - .agpr_count:     0
    .args:
      - .offset:         0
        .size:           4
        .value_kind:     by_value
      - .offset:         4
        .size:           4
        .value_kind:     by_value
      - .address_space:  global
        .offset:         8
        .size:           8
        .value_kind:     global_buffer
      - .offset:         16
        .size:           8
        .value_kind:     by_value
      - .address_space:  global
        .offset:         24
        .size:           8
        .value_kind:     global_buffer
      - .offset:         32
        .size:           8
        .value_kind:     by_value
      - .offset:         40
        .size:           4
        .value_kind:     by_value
      - .offset:         48
        .size:           8
        .value_kind:     by_value
      - .address_space:  global
        .offset:         56
        .size:           8
        .value_kind:     global_buffer
      - .offset:         64
        .size:           8
        .value_kind:     by_value
      - .offset:         72
        .size:           4
        .value_kind:     by_value
      - .offset:         80
        .size:           8
        .value_kind:     by_value
      - .address_space:  global
        .offset:         88
        .size:           8
        .value_kind:     global_buffer
      - .offset:         96
        .size:           8
        .value_kind:     by_value
      - .address_space:  global
        .offset:         104
        .size:           8
        .value_kind:     global_buffer
      - .offset:         112
        .size:           8
        .value_kind:     by_value
      - .offset:         120
        .size:           4
        .value_kind:     by_value
      - .offset:         128
        .size:           8
        .value_kind:     by_value
      - .offset:         136
        .size:           4
        .value_kind:     by_value
    .group_segment_fixed_size: 256
    .kernarg_segment_align: 8
    .kernarg_segment_size: 140
    .language:       OpenCL C
    .language_version:
      - 2
      - 0
    .max_flat_workgroup_size: 1024
    .name:           _ZL32rocblas_gemvt_warp_reduce_kernelILb0ELi1024EifPKffEviiT3_lPKT2_lT1_lS5_lS6_lS2_lPT4_lS6_li
    .private_segment_fixed_size: 0
    .sgpr_count:     32
    .sgpr_spill_count: 0
    .symbol:         _ZL32rocblas_gemvt_warp_reduce_kernelILb0ELi1024EifPKffEviiT3_lPKT2_lT1_lS5_lS6_lS2_lPT4_lS6_li.kd
    .uniform_work_group_size: 1
    .uses_dynamic_stack: false
    .vgpr_count:     12
    .vgpr_spill_count: 0
    .wavefront_size: 64
  - .agpr_count:     0
    .args:
      - .offset:         0
        .size:           4
        .value_kind:     by_value
      - .offset:         4
        .size:           4
        .value_kind:     by_value
      - .address_space:  global
        .offset:         8
        .size:           8
        .value_kind:     global_buffer
      - .offset:         16
        .size:           8
        .value_kind:     by_value
      - .address_space:  global
        .offset:         24
        .size:           8
        .value_kind:     global_buffer
      - .offset:         32
        .size:           8
        .value_kind:     by_value
      - .offset:         40
        .size:           8
        .value_kind:     by_value
      - .offset:         48
        .size:           8
        .value_kind:     by_value
      - .address_space:  global
        .offset:         56
        .size:           8
        .value_kind:     global_buffer
      - .offset:         64
        .size:           8
        .value_kind:     by_value
      - .offset:         72
        .size:           8
        .value_kind:     by_value
      - .offset:         80
        .size:           8
        .value_kind:     by_value
      - .address_space:  global
        .offset:         88
        .size:           8
        .value_kind:     global_buffer
      - .offset:         96
        .size:           8
        .value_kind:     by_value
      - .address_space:  global
        .offset:         104
        .size:           8
        .value_kind:     global_buffer
      - .offset:         112
        .size:           8
        .value_kind:     by_value
      - .offset:         120
        .size:           8
        .value_kind:     by_value
      - .offset:         128
        .size:           8
        .value_kind:     by_value
      - .offset:         136
        .size:           4
        .value_kind:     by_value
    .group_segment_fixed_size: 256
    .kernarg_segment_align: 8
    .kernarg_segment_size: 140
    .language:       OpenCL C
    .language_version:
      - 2
      - 0
    .max_flat_workgroup_size: 1024
    .name:           _ZL32rocblas_gemvt_warp_reduce_kernelILb0ELi1024ElfPKffEviiT3_lPKT2_lT1_lS5_lS6_lS2_lPT4_lS6_li
    .private_segment_fixed_size: 0
    .sgpr_count:     58
    .sgpr_spill_count: 0
    .symbol:         _ZL32rocblas_gemvt_warp_reduce_kernelILb0ELi1024ElfPKffEviiT3_lPKT2_lT1_lS5_lS6_lS2_lPT4_lS6_li.kd
    .uniform_work_group_size: 1
    .uses_dynamic_stack: false
    .vgpr_count:     11
    .vgpr_spill_count: 0
    .wavefront_size: 64
  - .agpr_count:     0
    .args:
      - .offset:         0
        .size:           4
        .value_kind:     by_value
      - .offset:         4
        .size:           4
        .value_kind:     by_value
      - .offset:         8
        .size:           4
        .value_kind:     by_value
      - .offset:         16
        .size:           8
        .value_kind:     by_value
      - .address_space:  global
        .offset:         24
        .size:           8
        .value_kind:     global_buffer
      - .offset:         32
        .size:           8
        .value_kind:     by_value
      - .offset:         40
        .size:           4
        .value_kind:     by_value
      - .offset:         48
        .size:           8
        .value_kind:     by_value
      - .address_space:  global
        .offset:         56
        .size:           8
        .value_kind:     global_buffer
      - .offset:         64
        .size:           8
        .value_kind:     by_value
      - .offset:         72
        .size:           4
        .value_kind:     by_value
      - .offset:         80
        .size:           8
        .value_kind:     by_value
      - .offset:         88
        .size:           4
        .value_kind:     by_value
      - .offset:         96
        .size:           8
        .value_kind:     by_value
      - .address_space:  global
        .offset:         104
        .size:           8
        .value_kind:     global_buffer
      - .offset:         112
        .size:           8
        .value_kind:     by_value
      - .offset:         120
        .size:           4
        .value_kind:     by_value
      - .offset:         128
        .size:           8
        .value_kind:     by_value
      - .offset:         136
        .size:           4
        .value_kind:     by_value
    .group_segment_fixed_size: 256
    .kernarg_segment_align: 8
    .kernarg_segment_size: 140
    .language:       OpenCL C
    .language_version:
      - 2
      - 0
    .max_flat_workgroup_size: 1024
    .name:           _ZL32rocblas_gemvt_warp_reduce_kernelILb0ELi1024EifffEviiT3_lPKT2_lT1_lS3_lS4_lS0_lPT4_lS4_li
    .private_segment_fixed_size: 0
    .sgpr_count:     32
    .sgpr_spill_count: 0
    .symbol:         _ZL32rocblas_gemvt_warp_reduce_kernelILb0ELi1024EifffEviiT3_lPKT2_lT1_lS3_lS4_lS0_lPT4_lS4_li.kd
    .uniform_work_group_size: 1
    .uses_dynamic_stack: false
    .vgpr_count:     12
    .vgpr_spill_count: 0
    .wavefront_size: 64
  - .agpr_count:     0
    .args:
      - .offset:         0
        .size:           4
        .value_kind:     by_value
      - .offset:         4
        .size:           4
        .value_kind:     by_value
      - .offset:         8
        .size:           4
        .value_kind:     by_value
      - .offset:         16
        .size:           8
        .value_kind:     by_value
      - .address_space:  global
        .offset:         24
        .size:           8
        .value_kind:     global_buffer
      - .offset:         32
        .size:           8
        .value_kind:     by_value
      - .offset:         40
        .size:           8
        .value_kind:     by_value
      - .offset:         48
        .size:           8
        .value_kind:     by_value
      - .address_space:  global
        .offset:         56
        .size:           8
        .value_kind:     global_buffer
      - .offset:         64
        .size:           8
        .value_kind:     by_value
      - .offset:         72
        .size:           8
        .value_kind:     by_value
      - .offset:         80
        .size:           8
        .value_kind:     by_value
      - .offset:         88
        .size:           4
        .value_kind:     by_value
      - .offset:         96
        .size:           8
        .value_kind:     by_value
      - .address_space:  global
        .offset:         104
        .size:           8
        .value_kind:     global_buffer
      - .offset:         112
        .size:           8
        .value_kind:     by_value
      - .offset:         120
        .size:           8
        .value_kind:     by_value
      - .offset:         128
        .size:           8
        .value_kind:     by_value
      - .offset:         136
        .size:           4
        .value_kind:     by_value
    .group_segment_fixed_size: 256
    .kernarg_segment_align: 8
    .kernarg_segment_size: 140
    .language:       OpenCL C
    .language_version:
      - 2
      - 0
    .max_flat_workgroup_size: 1024
    .name:           _ZL32rocblas_gemvt_warp_reduce_kernelILb0ELi1024ElfffEviiT3_lPKT2_lT1_lS3_lS4_lS0_lPT4_lS4_li
    .private_segment_fixed_size: 0
    .sgpr_count:     35
    .sgpr_spill_count: 0
    .symbol:         _ZL32rocblas_gemvt_warp_reduce_kernelILb0ELi1024ElfffEviiT3_lPKT2_lT1_lS3_lS4_lS0_lPT4_lS4_li.kd
    .uniform_work_group_size: 1
    .uses_dynamic_stack: false
    .vgpr_count:     11
    .vgpr_spill_count: 0
    .wavefront_size: 64
  - .agpr_count:     0
    .args:
      - .offset:         0
        .size:           4
        .value_kind:     by_value
      - .offset:         4
        .size:           4
        .value_kind:     by_value
      - .address_space:  global
        .offset:         8
        .size:           8
        .value_kind:     global_buffer
      - .offset:         16
        .size:           8
        .value_kind:     by_value
      - .address_space:  global
        .offset:         24
        .size:           8
        .value_kind:     global_buffer
      - .offset:         32
        .size:           8
        .value_kind:     by_value
      - .offset:         40
        .size:           4
        .value_kind:     by_value
      - .offset:         48
        .size:           8
        .value_kind:     by_value
      - .address_space:  global
        .offset:         56
        .size:           8
        .value_kind:     global_buffer
      - .offset:         64
        .size:           8
        .value_kind:     by_value
      - .offset:         72
        .size:           4
        .value_kind:     by_value
      - .offset:         80
        .size:           8
        .value_kind:     by_value
      - .address_space:  global
        .offset:         88
        .size:           8
        .value_kind:     global_buffer
      - .offset:         96
        .size:           8
        .value_kind:     by_value
      - .address_space:  global
        .offset:         104
        .size:           8
        .value_kind:     global_buffer
      - .offset:         112
        .size:           8
        .value_kind:     by_value
      - .offset:         120
        .size:           4
        .value_kind:     by_value
      - .offset:         128
        .size:           8
        .value_kind:     by_value
    .group_segment_fixed_size: 256
    .kernarg_segment_align: 8
    .kernarg_segment_size: 136
    .language:       OpenCL C
    .language_version:
      - 2
      - 0
    .max_flat_workgroup_size: 256
    .name:           _ZL22rocblas_gemvtsm_kernelILb1ELi256EfPKffEviiT2_lPKT1_lilS5_lilS2_lPT3_lil
    .private_segment_fixed_size: 0
    .sgpr_count:     35
    .sgpr_spill_count: 0
    .symbol:         _ZL22rocblas_gemvtsm_kernelILb1ELi256EfPKffEviiT2_lPKT1_lilS5_lilS2_lPT3_lil.kd
    .uniform_work_group_size: 1
    .uses_dynamic_stack: false
    .vgpr_count:     26
    .vgpr_spill_count: 0
    .wavefront_size: 64
  - .agpr_count:     0
    .args:
      - .offset:         0
        .size:           4
        .value_kind:     by_value
      - .offset:         4
        .size:           4
        .value_kind:     by_value
      - .offset:         8
        .size:           4
        .value_kind:     by_value
      - .offset:         16
        .size:           8
        .value_kind:     by_value
      - .address_space:  global
        .offset:         24
        .size:           8
        .value_kind:     global_buffer
      - .offset:         32
        .size:           8
        .value_kind:     by_value
      - .offset:         40
        .size:           4
        .value_kind:     by_value
      - .offset:         48
        .size:           8
        .value_kind:     by_value
      - .address_space:  global
        .offset:         56
        .size:           8
        .value_kind:     global_buffer
      - .offset:         64
        .size:           8
        .value_kind:     by_value
      - .offset:         72
        .size:           4
        .value_kind:     by_value
      - .offset:         80
        .size:           8
        .value_kind:     by_value
      - .offset:         88
        .size:           4
        .value_kind:     by_value
      - .offset:         96
        .size:           8
        .value_kind:     by_value
      - .address_space:  global
        .offset:         104
        .size:           8
        .value_kind:     global_buffer
      - .offset:         112
        .size:           8
        .value_kind:     by_value
      - .offset:         120
        .size:           4
        .value_kind:     by_value
      - .offset:         128
        .size:           8
        .value_kind:     by_value
    .group_segment_fixed_size: 256
    .kernarg_segment_align: 8
    .kernarg_segment_size: 136
    .language:       OpenCL C
    .language_version:
      - 2
      - 0
    .max_flat_workgroup_size: 256
    .name:           _ZL22rocblas_gemvtsm_kernelILb1ELi256EfffEviiT2_lPKT1_lilS3_lilS0_lPT3_lil
    .private_segment_fixed_size: 0
    .sgpr_count:     38
    .sgpr_spill_count: 0
    .symbol:         _ZL22rocblas_gemvtsm_kernelILb1ELi256EfffEviiT2_lPKT1_lilS3_lilS0_lPT3_lil.kd
    .uniform_work_group_size: 1
    .uses_dynamic_stack: false
    .vgpr_count:     26
    .vgpr_spill_count: 0
    .wavefront_size: 64
  - .agpr_count:     0
    .args:
      - .offset:         0
        .size:           4
        .value_kind:     by_value
      - .offset:         4
        .size:           4
        .value_kind:     by_value
      - .address_space:  global
        .offset:         8
        .size:           8
        .value_kind:     global_buffer
      - .offset:         16
        .size:           8
        .value_kind:     by_value
      - .address_space:  global
        .offset:         24
        .size:           8
        .value_kind:     global_buffer
      - .offset:         32
        .size:           8
        .value_kind:     by_value
      - .offset:         40
        .size:           4
        .value_kind:     by_value
      - .offset:         48
        .size:           8
        .value_kind:     by_value
      - .address_space:  global
        .offset:         56
        .size:           8
        .value_kind:     global_buffer
      - .offset:         64
        .size:           8
        .value_kind:     by_value
      - .offset:         72
        .size:           4
        .value_kind:     by_value
      - .offset:         80
        .size:           8
        .value_kind:     by_value
      - .address_space:  global
        .offset:         88
        .size:           8
        .value_kind:     global_buffer
      - .offset:         96
        .size:           4
        .value_kind:     by_value
      - .offset:         104
        .size:           4
        .value_kind:     hidden_block_count_x
      - .offset:         108
        .size:           4
        .value_kind:     hidden_block_count_y
      - .offset:         112
        .size:           4
        .value_kind:     hidden_block_count_z
      - .offset:         116
        .size:           2
        .value_kind:     hidden_group_size_x
      - .offset:         118
        .size:           2
        .value_kind:     hidden_group_size_y
      - .offset:         120
        .size:           2
        .value_kind:     hidden_group_size_z
      - .offset:         122
        .size:           2
        .value_kind:     hidden_remainder_x
      - .offset:         124
        .size:           2
        .value_kind:     hidden_remainder_y
      - .offset:         126
        .size:           2
        .value_kind:     hidden_remainder_z
      - .offset:         144
        .size:           8
        .value_kind:     hidden_global_offset_x
      - .offset:         152
        .size:           8
        .value_kind:     hidden_global_offset_y
      - .offset:         160
        .size:           8
        .value_kind:     hidden_global_offset_z
      - .offset:         168
        .size:           2
        .value_kind:     hidden_grid_dims
    .group_segment_fixed_size: 256
    .kernarg_segment_align: 8
    .kernarg_segment_size: 360
    .language:       OpenCL C
    .language_version:
      - 2
      - 0
    .max_flat_workgroup_size: 256
    .name:           _ZL23rocblas_gemvt_sn_kernelILb1ELi256ELi4EifPKffEviiT4_lPKT3_lilS5_lilPT5_i
    .private_segment_fixed_size: 0
    .sgpr_count:     66
    .sgpr_spill_count: 0
    .symbol:         _ZL23rocblas_gemvt_sn_kernelILb1ELi256ELi4EifPKffEviiT4_lPKT3_lilS5_lilPT5_i.kd
    .uniform_work_group_size: 1
    .uses_dynamic_stack: false
    .vgpr_count:     54
    .vgpr_spill_count: 0
    .wavefront_size: 64
  - .agpr_count:     0
    .args:
      - .offset:         0
        .size:           4
        .value_kind:     by_value
      - .offset:         4
        .size:           4
        .value_kind:     by_value
      - .address_space:  global
        .offset:         8
        .size:           8
        .value_kind:     global_buffer
      - .offset:         16
        .size:           8
        .value_kind:     by_value
      - .address_space:  global
        .offset:         24
        .size:           8
        .value_kind:     global_buffer
      - .offset:         32
        .size:           8
        .value_kind:     by_value
      - .offset:         40
        .size:           4
        .value_kind:     by_value
      - .offset:         48
        .size:           8
        .value_kind:     by_value
      - .address_space:  global
        .offset:         56
        .size:           8
        .value_kind:     global_buffer
      - .offset:         64
        .size:           8
        .value_kind:     by_value
      - .offset:         72
        .size:           4
        .value_kind:     by_value
      - .offset:         80
        .size:           8
        .value_kind:     by_value
      - .address_space:  global
        .offset:         88
        .size:           8
        .value_kind:     global_buffer
      - .offset:         96
        .size:           4
        .value_kind:     by_value
      - .offset:         104
        .size:           4
        .value_kind:     hidden_block_count_x
      - .offset:         108
        .size:           4
        .value_kind:     hidden_block_count_y
      - .offset:         112
        .size:           4
        .value_kind:     hidden_block_count_z
      - .offset:         116
        .size:           2
        .value_kind:     hidden_group_size_x
      - .offset:         118
        .size:           2
        .value_kind:     hidden_group_size_y
      - .offset:         120
        .size:           2
        .value_kind:     hidden_group_size_z
      - .offset:         122
        .size:           2
        .value_kind:     hidden_remainder_x
      - .offset:         124
        .size:           2
        .value_kind:     hidden_remainder_y
      - .offset:         126
        .size:           2
        .value_kind:     hidden_remainder_z
      - .offset:         144
        .size:           8
        .value_kind:     hidden_global_offset_x
      - .offset:         152
        .size:           8
        .value_kind:     hidden_global_offset_y
      - .offset:         160
        .size:           8
        .value_kind:     hidden_global_offset_z
      - .offset:         168
        .size:           2
        .value_kind:     hidden_grid_dims
    .group_segment_fixed_size: 256
    .kernarg_segment_align: 8
    .kernarg_segment_size: 360
    .language:       OpenCL C
    .language_version:
      - 2
      - 0
    .max_flat_workgroup_size: 256
    .name:           _ZL23rocblas_gemvt_sn_kernelILb1ELi256ELi4ElfPKffEviiT4_lPKT3_lilS5_lilPT5_i
    .private_segment_fixed_size: 0
    .sgpr_count:     75
    .sgpr_spill_count: 0
    .symbol:         _ZL23rocblas_gemvt_sn_kernelILb1ELi256ELi4ElfPKffEviiT4_lPKT3_lilS5_lilPT5_i.kd
    .uniform_work_group_size: 1
    .uses_dynamic_stack: false
    .vgpr_count:     58
    .vgpr_spill_count: 0
    .wavefront_size: 64
  - .agpr_count:     0
    .args:
      - .offset:         0
        .size:           4
        .value_kind:     by_value
      - .offset:         4
        .size:           4
        .value_kind:     by_value
      - .offset:         8
        .size:           4
        .value_kind:     by_value
      - .offset:         16
        .size:           8
        .value_kind:     by_value
      - .address_space:  global
        .offset:         24
        .size:           8
        .value_kind:     global_buffer
      - .offset:         32
        .size:           8
        .value_kind:     by_value
      - .offset:         40
        .size:           4
        .value_kind:     by_value
      - .offset:         48
        .size:           8
        .value_kind:     by_value
      - .address_space:  global
        .offset:         56
        .size:           8
        .value_kind:     global_buffer
      - .offset:         64
        .size:           8
        .value_kind:     by_value
      - .offset:         72
        .size:           4
        .value_kind:     by_value
      - .offset:         80
        .size:           8
        .value_kind:     by_value
      - .address_space:  global
        .offset:         88
        .size:           8
        .value_kind:     global_buffer
      - .offset:         96
        .size:           4
        .value_kind:     by_value
      - .offset:         104
        .size:           4
        .value_kind:     hidden_block_count_x
      - .offset:         108
        .size:           4
        .value_kind:     hidden_block_count_y
      - .offset:         112
        .size:           4
        .value_kind:     hidden_block_count_z
      - .offset:         116
        .size:           2
        .value_kind:     hidden_group_size_x
      - .offset:         118
        .size:           2
        .value_kind:     hidden_group_size_y
      - .offset:         120
        .size:           2
        .value_kind:     hidden_group_size_z
      - .offset:         122
        .size:           2
        .value_kind:     hidden_remainder_x
      - .offset:         124
        .size:           2
        .value_kind:     hidden_remainder_y
      - .offset:         126
        .size:           2
        .value_kind:     hidden_remainder_z
      - .offset:         144
        .size:           8
        .value_kind:     hidden_global_offset_x
      - .offset:         152
        .size:           8
        .value_kind:     hidden_global_offset_y
      - .offset:         160
        .size:           8
        .value_kind:     hidden_global_offset_z
      - .offset:         168
        .size:           2
        .value_kind:     hidden_grid_dims
    .group_segment_fixed_size: 256
    .kernarg_segment_align: 8
    .kernarg_segment_size: 360
    .language:       OpenCL C
    .language_version:
      - 2
      - 0
    .max_flat_workgroup_size: 256
    .name:           _ZL23rocblas_gemvt_sn_kernelILb1ELi256ELi4EifffEviiT4_lPKT3_lilS3_lilPT5_i
    .private_segment_fixed_size: 0
    .sgpr_count:     67
    .sgpr_spill_count: 0
    .symbol:         _ZL23rocblas_gemvt_sn_kernelILb1ELi256ELi4EifffEviiT4_lPKT3_lilS3_lilPT5_i.kd
    .uniform_work_group_size: 1
    .uses_dynamic_stack: false
    .vgpr_count:     54
    .vgpr_spill_count: 0
    .wavefront_size: 64
  - .agpr_count:     0
    .args:
      - .offset:         0
        .size:           4
        .value_kind:     by_value
      - .offset:         4
        .size:           4
        .value_kind:     by_value
      - .offset:         8
        .size:           4
        .value_kind:     by_value
      - .offset:         16
        .size:           8
        .value_kind:     by_value
      - .address_space:  global
        .offset:         24
        .size:           8
        .value_kind:     global_buffer
      - .offset:         32
        .size:           8
        .value_kind:     by_value
      - .offset:         40
        .size:           4
        .value_kind:     by_value
      - .offset:         48
        .size:           8
        .value_kind:     by_value
      - .address_space:  global
        .offset:         56
        .size:           8
        .value_kind:     global_buffer
      - .offset:         64
        .size:           8
        .value_kind:     by_value
      - .offset:         72
        .size:           4
        .value_kind:     by_value
      - .offset:         80
        .size:           8
        .value_kind:     by_value
      - .address_space:  global
        .offset:         88
        .size:           8
        .value_kind:     global_buffer
      - .offset:         96
        .size:           4
        .value_kind:     by_value
      - .offset:         104
        .size:           4
        .value_kind:     hidden_block_count_x
      - .offset:         108
        .size:           4
        .value_kind:     hidden_block_count_y
      - .offset:         112
        .size:           4
        .value_kind:     hidden_block_count_z
      - .offset:         116
        .size:           2
        .value_kind:     hidden_group_size_x
      - .offset:         118
        .size:           2
        .value_kind:     hidden_group_size_y
      - .offset:         120
        .size:           2
        .value_kind:     hidden_group_size_z
      - .offset:         122
        .size:           2
        .value_kind:     hidden_remainder_x
      - .offset:         124
        .size:           2
        .value_kind:     hidden_remainder_y
      - .offset:         126
        .size:           2
        .value_kind:     hidden_remainder_z
      - .offset:         144
        .size:           8
        .value_kind:     hidden_global_offset_x
      - .offset:         152
        .size:           8
        .value_kind:     hidden_global_offset_y
      - .offset:         160
        .size:           8
        .value_kind:     hidden_global_offset_z
      - .offset:         168
        .size:           2
        .value_kind:     hidden_grid_dims
    .group_segment_fixed_size: 256
    .kernarg_segment_align: 8
    .kernarg_segment_size: 360
    .language:       OpenCL C
    .language_version:
      - 2
      - 0
    .max_flat_workgroup_size: 256
    .name:           _ZL23rocblas_gemvt_sn_kernelILb1ELi256ELi4ElfffEviiT4_lPKT3_lilS3_lilPT5_i
    .private_segment_fixed_size: 0
    .sgpr_count:     75
    .sgpr_spill_count: 0
    .symbol:         _ZL23rocblas_gemvt_sn_kernelILb1ELi256ELi4ElfffEviiT4_lPKT3_lilS3_lilPT5_i.kd
    .uniform_work_group_size: 1
    .uses_dynamic_stack: false
    .vgpr_count:     58
    .vgpr_spill_count: 0
    .wavefront_size: 64
  - .agpr_count:     0
    .args:
      - .offset:         0
        .size:           4
        .value_kind:     by_value
      - .offset:         4
        .size:           4
        .value_kind:     by_value
      - .address_space:  global
        .offset:         8
        .size:           8
        .value_kind:     global_buffer
      - .offset:         16
        .size:           8
        .value_kind:     by_value
      - .address_space:  global
        .offset:         24
        .size:           8
        .value_kind:     global_buffer
      - .offset:         32
        .size:           8
        .value_kind:     by_value
      - .offset:         40
        .size:           4
        .value_kind:     by_value
      - .offset:         48
        .size:           8
        .value_kind:     by_value
      - .address_space:  global
        .offset:         56
        .size:           8
        .value_kind:     global_buffer
      - .offset:         64
        .size:           8
        .value_kind:     by_value
      - .offset:         72
        .size:           4
        .value_kind:     by_value
      - .offset:         80
        .size:           8
        .value_kind:     by_value
      - .address_space:  global
        .offset:         88
        .size:           8
        .value_kind:     global_buffer
      - .offset:         96
        .size:           8
        .value_kind:     by_value
      - .offset:         104
        .size:           4
        .value_kind:     by_value
      - .offset:         112
        .size:           8
        .value_kind:     by_value
      - .offset:         120
        .size:           4
        .value_kind:     by_value
      - .offset:         128
        .size:           4
        .value_kind:     hidden_block_count_x
      - .offset:         132
        .size:           4
        .value_kind:     hidden_block_count_y
      - .offset:         136
        .size:           4
        .value_kind:     hidden_block_count_z
      - .offset:         140
        .size:           2
        .value_kind:     hidden_group_size_x
      - .offset:         142
        .size:           2
        .value_kind:     hidden_group_size_y
      - .offset:         144
        .size:           2
        .value_kind:     hidden_group_size_z
      - .offset:         146
        .size:           2
        .value_kind:     hidden_remainder_x
      - .offset:         148
        .size:           2
        .value_kind:     hidden_remainder_y
      - .offset:         150
        .size:           2
        .value_kind:     hidden_remainder_z
      - .offset:         168
        .size:           8
        .value_kind:     hidden_global_offset_x
      - .offset:         176
        .size:           8
        .value_kind:     hidden_global_offset_y
      - .offset:         184
        .size:           8
        .value_kind:     hidden_global_offset_z
      - .offset:         192
        .size:           2
        .value_kind:     hidden_grid_dims
    .group_segment_fixed_size: 32768
    .kernarg_segment_align: 8
    .kernarg_segment_size: 384
    .language:       OpenCL C
    .language_version:
      - 2
      - 0
    .max_flat_workgroup_size: 1024
    .name:           _ZL36rocblas_gemvt_double_buffered_kernelILb1ELi128ELi8ELi8EfPKffEviiT4_lPKT3_lilS5_lilPT5_lili
    .private_segment_fixed_size: 0
    .sgpr_count:     42
    .sgpr_spill_count: 0
    .symbol:         _ZL36rocblas_gemvt_double_buffered_kernelILb1ELi128ELi8ELi8EfPKffEviiT4_lPKT3_lilS5_lilPT5_lili.kd
    .uniform_work_group_size: 1
    .uses_dynamic_stack: false
    .vgpr_count:     64
    .vgpr_spill_count: 0
    .wavefront_size: 64
  - .agpr_count:     0
    .args:
      - .offset:         0
        .size:           4
        .value_kind:     by_value
      - .offset:         4
        .size:           4
        .value_kind:     by_value
      - .offset:         8
        .size:           4
        .value_kind:     by_value
      - .offset:         16
        .size:           8
        .value_kind:     by_value
      - .address_space:  global
        .offset:         24
        .size:           8
        .value_kind:     global_buffer
      - .offset:         32
        .size:           8
        .value_kind:     by_value
      - .offset:         40
        .size:           4
        .value_kind:     by_value
      - .offset:         48
        .size:           8
        .value_kind:     by_value
      - .address_space:  global
        .offset:         56
        .size:           8
        .value_kind:     global_buffer
      - .offset:         64
        .size:           8
        .value_kind:     by_value
      - .offset:         72
        .size:           4
        .value_kind:     by_value
      - .offset:         80
        .size:           8
        .value_kind:     by_value
      - .address_space:  global
        .offset:         88
        .size:           8
        .value_kind:     global_buffer
      - .offset:         96
        .size:           8
        .value_kind:     by_value
      - .offset:         104
        .size:           4
        .value_kind:     by_value
      - .offset:         112
        .size:           8
        .value_kind:     by_value
      - .offset:         120
        .size:           4
        .value_kind:     by_value
      - .offset:         128
        .size:           4
        .value_kind:     hidden_block_count_x
      - .offset:         132
        .size:           4
        .value_kind:     hidden_block_count_y
      - .offset:         136
        .size:           4
        .value_kind:     hidden_block_count_z
      - .offset:         140
        .size:           2
        .value_kind:     hidden_group_size_x
      - .offset:         142
        .size:           2
        .value_kind:     hidden_group_size_y
      - .offset:         144
        .size:           2
        .value_kind:     hidden_group_size_z
      - .offset:         146
        .size:           2
        .value_kind:     hidden_remainder_x
      - .offset:         148
        .size:           2
        .value_kind:     hidden_remainder_y
      - .offset:         150
        .size:           2
        .value_kind:     hidden_remainder_z
      - .offset:         168
        .size:           8
        .value_kind:     hidden_global_offset_x
      - .offset:         176
        .size:           8
        .value_kind:     hidden_global_offset_y
      - .offset:         184
        .size:           8
        .value_kind:     hidden_global_offset_z
      - .offset:         192
        .size:           2
        .value_kind:     hidden_grid_dims
    .group_segment_fixed_size: 32768
    .kernarg_segment_align: 8
    .kernarg_segment_size: 384
    .language:       OpenCL C
    .language_version:
      - 2
      - 0
    .max_flat_workgroup_size: 1024
    .name:           _ZL36rocblas_gemvt_double_buffered_kernelILb1ELi128ELi8ELi8EfffEviiT4_lPKT3_lilS3_lilPT5_lili
    .private_segment_fixed_size: 0
    .sgpr_count:     42
    .sgpr_spill_count: 0
    .symbol:         _ZL36rocblas_gemvt_double_buffered_kernelILb1ELi128ELi8ELi8EfffEviiT4_lPKT3_lilS3_lilPT5_lili.kd
    .uniform_work_group_size: 1
    .uses_dynamic_stack: false
    .vgpr_count:     64
    .vgpr_spill_count: 0
    .wavefront_size: 64
  - .agpr_count:     0
    .args:
      - .offset:         0
        .size:           4
        .value_kind:     by_value
      - .offset:         4
        .size:           4
        .value_kind:     by_value
      - .address_space:  global
        .offset:         8
        .size:           8
        .value_kind:     global_buffer
      - .offset:         16
        .size:           8
        .value_kind:     by_value
      - .address_space:  global
        .offset:         24
        .size:           8
        .value_kind:     global_buffer
      - .offset:         32
        .size:           8
        .value_kind:     by_value
      - .offset:         40
        .size:           4
        .value_kind:     by_value
      - .offset:         48
        .size:           8
        .value_kind:     by_value
      - .address_space:  global
        .offset:         56
        .size:           8
        .value_kind:     global_buffer
      - .offset:         64
        .size:           8
        .value_kind:     by_value
      - .offset:         72
        .size:           4
        .value_kind:     by_value
      - .offset:         80
        .size:           8
        .value_kind:     by_value
      - .address_space:  global
        .offset:         88
        .size:           8
        .value_kind:     global_buffer
      - .offset:         96
        .size:           8
        .value_kind:     by_value
      - .address_space:  global
        .offset:         104
        .size:           8
        .value_kind:     global_buffer
      - .offset:         112
        .size:           8
        .value_kind:     by_value
      - .offset:         120
        .size:           4
        .value_kind:     by_value
      - .offset:         128
        .size:           8
        .value_kind:     by_value
      - .offset:         136
        .size:           4
        .value_kind:     by_value
    .group_segment_fixed_size: 1024
    .kernarg_segment_align: 8
    .kernarg_segment_size: 140
    .language:       OpenCL C
    .language_version:
      - 2
      - 0
    .max_flat_workgroup_size: 256
    .name:           _ZL20rocblas_gemvt_kernelILb1ELi256EfPKffEviiT2_lPKT1_lilS5_lilS2_lPT3_lili
    .private_segment_fixed_size: 0
    .sgpr_count:     32
    .sgpr_spill_count: 0
    .symbol:         _ZL20rocblas_gemvt_kernelILb1ELi256EfPKffEviiT2_lPKT1_lilS5_lilS2_lPT3_lili.kd
    .uniform_work_group_size: 1
    .uses_dynamic_stack: false
    .vgpr_count:     10
    .vgpr_spill_count: 0
    .wavefront_size: 64
  - .agpr_count:     0
    .args:
      - .offset:         0
        .size:           4
        .value_kind:     by_value
      - .offset:         4
        .size:           4
        .value_kind:     by_value
      - .offset:         8
        .size:           4
        .value_kind:     by_value
      - .offset:         16
        .size:           8
        .value_kind:     by_value
      - .address_space:  global
        .offset:         24
        .size:           8
        .value_kind:     global_buffer
      - .offset:         32
        .size:           8
        .value_kind:     by_value
      - .offset:         40
        .size:           4
        .value_kind:     by_value
      - .offset:         48
        .size:           8
        .value_kind:     by_value
      - .address_space:  global
        .offset:         56
        .size:           8
        .value_kind:     global_buffer
      - .offset:         64
        .size:           8
        .value_kind:     by_value
      - .offset:         72
        .size:           4
        .value_kind:     by_value
      - .offset:         80
        .size:           8
        .value_kind:     by_value
      - .offset:         88
        .size:           4
        .value_kind:     by_value
      - .offset:         96
        .size:           8
        .value_kind:     by_value
      - .address_space:  global
        .offset:         104
        .size:           8
        .value_kind:     global_buffer
      - .offset:         112
        .size:           8
        .value_kind:     by_value
      - .offset:         120
        .size:           4
        .value_kind:     by_value
      - .offset:         128
        .size:           8
        .value_kind:     by_value
      - .offset:         136
        .size:           4
        .value_kind:     by_value
    .group_segment_fixed_size: 1024
    .kernarg_segment_align: 8
    .kernarg_segment_size: 140
    .language:       OpenCL C
    .language_version:
      - 2
      - 0
    .max_flat_workgroup_size: 256
    .name:           _ZL20rocblas_gemvt_kernelILb1ELi256EfffEviiT2_lPKT1_lilS3_lilS0_lPT3_lili
    .private_segment_fixed_size: 0
    .sgpr_count:     34
    .sgpr_spill_count: 0
    .symbol:         _ZL20rocblas_gemvt_kernelILb1ELi256EfffEviiT2_lPKT1_lilS3_lilS0_lPT3_lili.kd
    .uniform_work_group_size: 1
    .uses_dynamic_stack: false
    .vgpr_count:     10
    .vgpr_spill_count: 0
    .wavefront_size: 64
  - .agpr_count:     0
    .args:
      - .offset:         0
        .size:           4
        .value_kind:     by_value
      - .offset:         4
        .size:           4
        .value_kind:     by_value
      - .address_space:  global
        .offset:         8
        .size:           8
        .value_kind:     global_buffer
      - .offset:         16
        .size:           8
        .value_kind:     by_value
      - .address_space:  global
        .offset:         24
        .size:           8
        .value_kind:     global_buffer
      - .offset:         32
        .size:           8
        .value_kind:     by_value
      - .offset:         40
        .size:           4
        .value_kind:     by_value
      - .offset:         48
        .size:           8
        .value_kind:     by_value
      - .address_space:  global
        .offset:         56
        .size:           8
        .value_kind:     global_buffer
      - .offset:         64
        .size:           8
        .value_kind:     by_value
      - .offset:         72
        .size:           4
        .value_kind:     by_value
      - .offset:         80
        .size:           8
        .value_kind:     by_value
      - .address_space:  global
        .offset:         88
        .size:           8
        .value_kind:     global_buffer
      - .offset:         96
        .size:           8
        .value_kind:     by_value
      - .address_space:  global
        .offset:         104
        .size:           8
        .value_kind:     global_buffer
      - .offset:         112
        .size:           8
        .value_kind:     by_value
      - .offset:         120
        .size:           4
        .value_kind:     by_value
      - .offset:         128
        .size:           8
        .value_kind:     by_value
      - .offset:         136
        .size:           4
        .value_kind:     by_value
    .group_segment_fixed_size: 256
    .kernarg_segment_align: 8
    .kernarg_segment_size: 140
    .language:       OpenCL C
    .language_version:
      - 2
      - 0
    .max_flat_workgroup_size: 1024
    .name:           _ZL32rocblas_gemvt_warp_reduce_kernelILb1ELi1024EifPKffEviiT3_lPKT2_lT1_lS5_lS6_lS2_lPT4_lS6_li
    .private_segment_fixed_size: 0
    .sgpr_count:     32
    .sgpr_spill_count: 0
    .symbol:         _ZL32rocblas_gemvt_warp_reduce_kernelILb1ELi1024EifPKffEviiT3_lPKT2_lT1_lS5_lS6_lS2_lPT4_lS6_li.kd
    .uniform_work_group_size: 1
    .uses_dynamic_stack: false
    .vgpr_count:     12
    .vgpr_spill_count: 0
    .wavefront_size: 64
  - .agpr_count:     0
    .args:
      - .offset:         0
        .size:           4
        .value_kind:     by_value
      - .offset:         4
        .size:           4
        .value_kind:     by_value
      - .address_space:  global
        .offset:         8
        .size:           8
        .value_kind:     global_buffer
      - .offset:         16
        .size:           8
        .value_kind:     by_value
      - .address_space:  global
        .offset:         24
        .size:           8
        .value_kind:     global_buffer
      - .offset:         32
        .size:           8
        .value_kind:     by_value
      - .offset:         40
        .size:           8
        .value_kind:     by_value
      - .offset:         48
        .size:           8
        .value_kind:     by_value
      - .address_space:  global
        .offset:         56
        .size:           8
        .value_kind:     global_buffer
      - .offset:         64
        .size:           8
        .value_kind:     by_value
      - .offset:         72
        .size:           8
        .value_kind:     by_value
      - .offset:         80
        .size:           8
        .value_kind:     by_value
      - .address_space:  global
        .offset:         88
        .size:           8
        .value_kind:     global_buffer
      - .offset:         96
        .size:           8
        .value_kind:     by_value
      - .address_space:  global
        .offset:         104
        .size:           8
        .value_kind:     global_buffer
      - .offset:         112
        .size:           8
        .value_kind:     by_value
      - .offset:         120
        .size:           8
        .value_kind:     by_value
      - .offset:         128
        .size:           8
        .value_kind:     by_value
      - .offset:         136
        .size:           4
        .value_kind:     by_value
    .group_segment_fixed_size: 256
    .kernarg_segment_align: 8
    .kernarg_segment_size: 140
    .language:       OpenCL C
    .language_version:
      - 2
      - 0
    .max_flat_workgroup_size: 1024
    .name:           _ZL32rocblas_gemvt_warp_reduce_kernelILb1ELi1024ElfPKffEviiT3_lPKT2_lT1_lS5_lS6_lS2_lPT4_lS6_li
    .private_segment_fixed_size: 0
    .sgpr_count:     58
    .sgpr_spill_count: 0
    .symbol:         _ZL32rocblas_gemvt_warp_reduce_kernelILb1ELi1024ElfPKffEviiT3_lPKT2_lT1_lS5_lS6_lS2_lPT4_lS6_li.kd
    .uniform_work_group_size: 1
    .uses_dynamic_stack: false
    .vgpr_count:     11
    .vgpr_spill_count: 0
    .wavefront_size: 64
  - .agpr_count:     0
    .args:
      - .offset:         0
        .size:           4
        .value_kind:     by_value
      - .offset:         4
        .size:           4
        .value_kind:     by_value
      - .offset:         8
        .size:           4
        .value_kind:     by_value
      - .offset:         16
        .size:           8
        .value_kind:     by_value
      - .address_space:  global
        .offset:         24
        .size:           8
        .value_kind:     global_buffer
      - .offset:         32
        .size:           8
        .value_kind:     by_value
      - .offset:         40
        .size:           4
        .value_kind:     by_value
      - .offset:         48
        .size:           8
        .value_kind:     by_value
      - .address_space:  global
        .offset:         56
        .size:           8
        .value_kind:     global_buffer
      - .offset:         64
        .size:           8
        .value_kind:     by_value
      - .offset:         72
        .size:           4
        .value_kind:     by_value
      - .offset:         80
        .size:           8
        .value_kind:     by_value
      - .offset:         88
        .size:           4
        .value_kind:     by_value
      - .offset:         96
        .size:           8
        .value_kind:     by_value
      - .address_space:  global
        .offset:         104
        .size:           8
        .value_kind:     global_buffer
      - .offset:         112
        .size:           8
        .value_kind:     by_value
      - .offset:         120
        .size:           4
        .value_kind:     by_value
      - .offset:         128
        .size:           8
        .value_kind:     by_value
      - .offset:         136
        .size:           4
        .value_kind:     by_value
    .group_segment_fixed_size: 256
    .kernarg_segment_align: 8
    .kernarg_segment_size: 140
    .language:       OpenCL C
    .language_version:
      - 2
      - 0
    .max_flat_workgroup_size: 1024
    .name:           _ZL32rocblas_gemvt_warp_reduce_kernelILb1ELi1024EifffEviiT3_lPKT2_lT1_lS3_lS4_lS0_lPT4_lS4_li
    .private_segment_fixed_size: 0
    .sgpr_count:     32
    .sgpr_spill_count: 0
    .symbol:         _ZL32rocblas_gemvt_warp_reduce_kernelILb1ELi1024EifffEviiT3_lPKT2_lT1_lS3_lS4_lS0_lPT4_lS4_li.kd
    .uniform_work_group_size: 1
    .uses_dynamic_stack: false
    .vgpr_count:     12
    .vgpr_spill_count: 0
    .wavefront_size: 64
  - .agpr_count:     0
    .args:
      - .offset:         0
        .size:           4
        .value_kind:     by_value
      - .offset:         4
        .size:           4
        .value_kind:     by_value
      - .offset:         8
        .size:           4
        .value_kind:     by_value
      - .offset:         16
        .size:           8
        .value_kind:     by_value
      - .address_space:  global
        .offset:         24
        .size:           8
        .value_kind:     global_buffer
      - .offset:         32
        .size:           8
        .value_kind:     by_value
      - .offset:         40
        .size:           8
        .value_kind:     by_value
      - .offset:         48
        .size:           8
        .value_kind:     by_value
      - .address_space:  global
        .offset:         56
        .size:           8
        .value_kind:     global_buffer
      - .offset:         64
        .size:           8
        .value_kind:     by_value
      - .offset:         72
        .size:           8
        .value_kind:     by_value
      - .offset:         80
        .size:           8
        .value_kind:     by_value
      - .offset:         88
        .size:           4
        .value_kind:     by_value
      - .offset:         96
        .size:           8
        .value_kind:     by_value
      - .address_space:  global
        .offset:         104
        .size:           8
        .value_kind:     global_buffer
      - .offset:         112
        .size:           8
        .value_kind:     by_value
      - .offset:         120
        .size:           8
        .value_kind:     by_value
      - .offset:         128
        .size:           8
        .value_kind:     by_value
      - .offset:         136
        .size:           4
        .value_kind:     by_value
    .group_segment_fixed_size: 256
    .kernarg_segment_align: 8
    .kernarg_segment_size: 140
    .language:       OpenCL C
    .language_version:
      - 2
      - 0
    .max_flat_workgroup_size: 1024
    .name:           _ZL32rocblas_gemvt_warp_reduce_kernelILb1ELi1024ElfffEviiT3_lPKT2_lT1_lS3_lS4_lS0_lPT4_lS4_li
    .private_segment_fixed_size: 0
    .sgpr_count:     35
    .sgpr_spill_count: 0
    .symbol:         _ZL32rocblas_gemvt_warp_reduce_kernelILb1ELi1024ElfffEviiT3_lPKT2_lT1_lS3_lS4_lS0_lPT4_lS4_li.kd
    .uniform_work_group_size: 1
    .uses_dynamic_stack: false
    .vgpr_count:     11
    .vgpr_spill_count: 0
    .wavefront_size: 64
  - .agpr_count:     0
    .args:
      - .offset:         0
        .size:           4
        .value_kind:     by_value
      - .offset:         4
        .size:           4
        .value_kind:     by_value
      - .address_space:  global
        .offset:         8
        .size:           8
        .value_kind:     global_buffer
      - .offset:         16
        .size:           8
        .value_kind:     by_value
      - .address_space:  global
        .offset:         24
        .size:           8
        .value_kind:     global_buffer
      - .offset:         32
        .size:           8
        .value_kind:     by_value
      - .offset:         40
        .size:           4
        .value_kind:     by_value
      - .offset:         48
        .size:           8
        .value_kind:     by_value
      - .address_space:  global
        .offset:         56
        .size:           8
        .value_kind:     global_buffer
      - .offset:         64
        .size:           8
        .value_kind:     by_value
      - .offset:         72
        .size:           4
        .value_kind:     by_value
      - .offset:         80
        .size:           8
        .value_kind:     by_value
      - .address_space:  global
        .offset:         88
        .size:           8
        .value_kind:     global_buffer
      - .offset:         96
        .size:           8
        .value_kind:     by_value
      - .address_space:  global
        .offset:         104
        .size:           8
        .value_kind:     global_buffer
      - .offset:         112
        .size:           8
        .value_kind:     by_value
      - .offset:         120
        .size:           4
        .value_kind:     by_value
      - .offset:         128
        .size:           8
        .value_kind:     by_value
      - .offset:         136
        .size:           4
        .value_kind:     by_value
      - .offset:         144
        .size:           4
        .value_kind:     hidden_block_count_x
      - .offset:         148
        .size:           4
        .value_kind:     hidden_block_count_y
      - .offset:         152
        .size:           4
        .value_kind:     hidden_block_count_z
      - .offset:         156
        .size:           2
        .value_kind:     hidden_group_size_x
      - .offset:         158
        .size:           2
        .value_kind:     hidden_group_size_y
      - .offset:         160
        .size:           2
        .value_kind:     hidden_group_size_z
      - .offset:         162
        .size:           2
        .value_kind:     hidden_remainder_x
      - .offset:         164
        .size:           2
        .value_kind:     hidden_remainder_y
      - .offset:         166
        .size:           2
        .value_kind:     hidden_remainder_z
      - .offset:         184
        .size:           8
        .value_kind:     hidden_global_offset_x
      - .offset:         192
        .size:           8
        .value_kind:     hidden_global_offset_y
      - .offset:         200
        .size:           8
        .value_kind:     hidden_global_offset_z
      - .offset:         208
        .size:           2
        .value_kind:     hidden_grid_dims
    .group_segment_fixed_size: 6144
    .kernarg_segment_align: 8
    .kernarg_segment_size: 400
    .language:       OpenCL C
    .language_version:
      - 2
      - 0
    .max_flat_workgroup_size: 768
    .name:           _ZL34rocblas_gemvn_sm_mn_batched_kernelILi32ELi24EdPKddEviiT2_lPKT1_lilS5_lilS2_lPT3_lili
    .private_segment_fixed_size: 0
    .sgpr_count:     76
    .sgpr_spill_count: 0
    .symbol:         _ZL34rocblas_gemvn_sm_mn_batched_kernelILi32ELi24EdPKddEviiT2_lPKT1_lilS5_lilS2_lPT3_lili.kd
    .uniform_work_group_size: 1
    .uses_dynamic_stack: false
    .vgpr_count:     74
    .vgpr_spill_count: 0
    .wavefront_size: 64
  - .agpr_count:     0
    .args:
      - .offset:         0
        .size:           4
        .value_kind:     by_value
      - .offset:         4
        .size:           4
        .value_kind:     by_value
      - .offset:         8
        .size:           8
        .value_kind:     by_value
      - .offset:         16
        .size:           8
        .value_kind:     by_value
      - .address_space:  global
        .offset:         24
        .size:           8
        .value_kind:     global_buffer
      - .offset:         32
        .size:           8
        .value_kind:     by_value
      - .offset:         40
        .size:           4
        .value_kind:     by_value
      - .offset:         48
        .size:           8
        .value_kind:     by_value
      - .address_space:  global
        .offset:         56
        .size:           8
        .value_kind:     global_buffer
      - .offset:         64
        .size:           8
        .value_kind:     by_value
      - .offset:         72
        .size:           4
        .value_kind:     by_value
      - .offset:         80
        .size:           8
        .value_kind:     by_value
      - .offset:         88
        .size:           8
        .value_kind:     by_value
      - .offset:         96
        .size:           8
        .value_kind:     by_value
      - .address_space:  global
        .offset:         104
        .size:           8
        .value_kind:     global_buffer
      - .offset:         112
        .size:           8
        .value_kind:     by_value
      - .offset:         120
        .size:           4
        .value_kind:     by_value
      - .offset:         128
        .size:           8
        .value_kind:     by_value
      - .offset:         136
        .size:           4
        .value_kind:     by_value
      - .offset:         144
        .size:           4
        .value_kind:     hidden_block_count_x
      - .offset:         148
        .size:           4
        .value_kind:     hidden_block_count_y
      - .offset:         152
        .size:           4
        .value_kind:     hidden_block_count_z
      - .offset:         156
        .size:           2
        .value_kind:     hidden_group_size_x
      - .offset:         158
        .size:           2
        .value_kind:     hidden_group_size_y
      - .offset:         160
        .size:           2
        .value_kind:     hidden_group_size_z
      - .offset:         162
        .size:           2
        .value_kind:     hidden_remainder_x
      - .offset:         164
        .size:           2
        .value_kind:     hidden_remainder_y
      - .offset:         166
        .size:           2
        .value_kind:     hidden_remainder_z
      - .offset:         184
        .size:           8
        .value_kind:     hidden_global_offset_x
      - .offset:         192
        .size:           8
        .value_kind:     hidden_global_offset_y
      - .offset:         200
        .size:           8
        .value_kind:     hidden_global_offset_z
      - .offset:         208
        .size:           2
        .value_kind:     hidden_grid_dims
    .group_segment_fixed_size: 6144
    .kernarg_segment_align: 8
    .kernarg_segment_size: 400
    .language:       OpenCL C
    .language_version:
      - 2
      - 0
    .max_flat_workgroup_size: 768
    .name:           _ZL34rocblas_gemvn_sm_mn_batched_kernelILi32ELi24EdddEviiT2_lPKT1_lilS3_lilS0_lPT3_lili
    .private_segment_fixed_size: 0
    .sgpr_count:     76
    .sgpr_spill_count: 0
    .symbol:         _ZL34rocblas_gemvn_sm_mn_batched_kernelILi32ELi24EdddEviiT2_lPKT1_lilS3_lilS0_lPT3_lili.kd
    .uniform_work_group_size: 1
    .uses_dynamic_stack: false
    .vgpr_count:     74
    .vgpr_spill_count: 0
    .wavefront_size: 64
  - .agpr_count:     0
    .args:
      - .offset:         0
        .size:           4
        .value_kind:     by_value
      - .offset:         4
        .size:           4
        .value_kind:     by_value
      - .address_space:  global
        .offset:         8
        .size:           8
        .value_kind:     global_buffer
      - .offset:         16
        .size:           8
        .value_kind:     by_value
      - .address_space:  global
        .offset:         24
        .size:           8
        .value_kind:     global_buffer
      - .offset:         32
        .size:           8
        .value_kind:     by_value
      - .offset:         40
        .size:           4
        .value_kind:     by_value
      - .offset:         48
        .size:           8
        .value_kind:     by_value
      - .address_space:  global
        .offset:         56
        .size:           8
        .value_kind:     global_buffer
      - .offset:         64
        .size:           8
        .value_kind:     by_value
      - .offset:         72
        .size:           4
        .value_kind:     by_value
      - .offset:         80
        .size:           8
        .value_kind:     by_value
      - .address_space:  global
        .offset:         88
        .size:           8
        .value_kind:     global_buffer
      - .offset:         96
        .size:           8
        .value_kind:     by_value
      - .address_space:  global
        .offset:         104
        .size:           8
        .value_kind:     global_buffer
      - .offset:         112
        .size:           8
        .value_kind:     by_value
      - .offset:         120
        .size:           4
        .value_kind:     by_value
      - .offset:         128
        .size:           8
        .value_kind:     by_value
      - .offset:         136
        .size:           4
        .value_kind:     by_value
      - .offset:         144
        .size:           4
        .value_kind:     hidden_block_count_x
      - .offset:         148
        .size:           4
        .value_kind:     hidden_block_count_y
      - .offset:         152
        .size:           4
        .value_kind:     hidden_block_count_z
      - .offset:         156
        .size:           2
        .value_kind:     hidden_group_size_x
      - .offset:         158
        .size:           2
        .value_kind:     hidden_group_size_y
      - .offset:         160
        .size:           2
        .value_kind:     hidden_group_size_z
      - .offset:         162
        .size:           2
        .value_kind:     hidden_remainder_x
      - .offset:         164
        .size:           2
        .value_kind:     hidden_remainder_y
      - .offset:         166
        .size:           2
        .value_kind:     hidden_remainder_z
      - .offset:         184
        .size:           8
        .value_kind:     hidden_global_offset_x
      - .offset:         192
        .size:           8
        .value_kind:     hidden_global_offset_y
      - .offset:         200
        .size:           8
        .value_kind:     hidden_global_offset_z
      - .offset:         208
        .size:           2
        .value_kind:     hidden_grid_dims
    .group_segment_fixed_size: 8192
    .kernarg_segment_align: 8
    .kernarg_segment_size: 400
    .language:       OpenCL C
    .language_version:
      - 2
      - 0
    .max_flat_workgroup_size: 256
    .name:           _ZL20rocblas_gemvn_kernelILi64ELi4EidPKddEviiT3_lPKT2_lT1_lS5_lS6_lS2_lPT4_lS6_li
    .private_segment_fixed_size: 0
    .sgpr_count:     47
    .sgpr_spill_count: 0
    .symbol:         _ZL20rocblas_gemvn_kernelILi64ELi4EidPKddEviiT3_lPKT2_lT1_lS5_lS6_lS2_lPT4_lS6_li.kd
    .uniform_work_group_size: 1
    .uses_dynamic_stack: false
    .vgpr_count:     70
    .vgpr_spill_count: 0
    .wavefront_size: 64
  - .agpr_count:     0
    .args:
      - .offset:         0
        .size:           4
        .value_kind:     by_value
      - .offset:         4
        .size:           4
        .value_kind:     by_value
      - .address_space:  global
        .offset:         8
        .size:           8
        .value_kind:     global_buffer
      - .offset:         16
        .size:           8
        .value_kind:     by_value
      - .address_space:  global
        .offset:         24
        .size:           8
        .value_kind:     global_buffer
      - .offset:         32
        .size:           8
        .value_kind:     by_value
      - .offset:         40
        .size:           8
        .value_kind:     by_value
      - .offset:         48
        .size:           8
        .value_kind:     by_value
      - .address_space:  global
        .offset:         56
        .size:           8
        .value_kind:     global_buffer
      - .offset:         64
        .size:           8
        .value_kind:     by_value
      - .offset:         72
        .size:           8
        .value_kind:     by_value
      - .offset:         80
        .size:           8
        .value_kind:     by_value
      - .address_space:  global
        .offset:         88
        .size:           8
        .value_kind:     global_buffer
      - .offset:         96
        .size:           8
        .value_kind:     by_value
      - .address_space:  global
        .offset:         104
        .size:           8
        .value_kind:     global_buffer
      - .offset:         112
        .size:           8
        .value_kind:     by_value
      - .offset:         120
        .size:           8
        .value_kind:     by_value
      - .offset:         128
        .size:           8
        .value_kind:     by_value
      - .offset:         136
        .size:           4
        .value_kind:     by_value
      - .offset:         144
        .size:           4
        .value_kind:     hidden_block_count_x
      - .offset:         148
        .size:           4
        .value_kind:     hidden_block_count_y
      - .offset:         152
        .size:           4
        .value_kind:     hidden_block_count_z
      - .offset:         156
        .size:           2
        .value_kind:     hidden_group_size_x
      - .offset:         158
        .size:           2
        .value_kind:     hidden_group_size_y
      - .offset:         160
        .size:           2
        .value_kind:     hidden_group_size_z
      - .offset:         162
        .size:           2
        .value_kind:     hidden_remainder_x
      - .offset:         164
        .size:           2
        .value_kind:     hidden_remainder_y
      - .offset:         166
        .size:           2
        .value_kind:     hidden_remainder_z
      - .offset:         184
        .size:           8
        .value_kind:     hidden_global_offset_x
      - .offset:         192
        .size:           8
        .value_kind:     hidden_global_offset_y
      - .offset:         200
        .size:           8
        .value_kind:     hidden_global_offset_z
      - .offset:         208
        .size:           2
        .value_kind:     hidden_grid_dims
    .group_segment_fixed_size: 8192
    .kernarg_segment_align: 8
    .kernarg_segment_size: 400
    .language:       OpenCL C
    .language_version:
      - 2
      - 0
    .max_flat_workgroup_size: 256
    .name:           _ZL20rocblas_gemvn_kernelILi64ELi4EldPKddEviiT3_lPKT2_lT1_lS5_lS6_lS2_lPT4_lS6_li
    .private_segment_fixed_size: 0
    .sgpr_count:     61
    .sgpr_spill_count: 0
    .symbol:         _ZL20rocblas_gemvn_kernelILi64ELi4EldPKddEviiT3_lPKT2_lT1_lS5_lS6_lS2_lPT4_lS6_li.kd
    .uniform_work_group_size: 1
    .uses_dynamic_stack: false
    .vgpr_count:     72
    .vgpr_spill_count: 0
    .wavefront_size: 64
  - .agpr_count:     0
    .args:
      - .offset:         0
        .size:           4
        .value_kind:     by_value
      - .offset:         4
        .size:           4
        .value_kind:     by_value
      - .offset:         8
        .size:           8
        .value_kind:     by_value
      - .offset:         16
        .size:           8
        .value_kind:     by_value
      - .address_space:  global
        .offset:         24
        .size:           8
        .value_kind:     global_buffer
      - .offset:         32
        .size:           8
        .value_kind:     by_value
      - .offset:         40
        .size:           4
        .value_kind:     by_value
      - .offset:         48
        .size:           8
        .value_kind:     by_value
      - .address_space:  global
        .offset:         56
        .size:           8
        .value_kind:     global_buffer
      - .offset:         64
        .size:           8
        .value_kind:     by_value
      - .offset:         72
        .size:           4
        .value_kind:     by_value
      - .offset:         80
        .size:           8
        .value_kind:     by_value
      - .offset:         88
        .size:           8
        .value_kind:     by_value
      - .offset:         96
        .size:           8
        .value_kind:     by_value
      - .address_space:  global
        .offset:         104
        .size:           8
        .value_kind:     global_buffer
      - .offset:         112
        .size:           8
        .value_kind:     by_value
      - .offset:         120
        .size:           4
        .value_kind:     by_value
      - .offset:         128
        .size:           8
        .value_kind:     by_value
      - .offset:         136
        .size:           4
        .value_kind:     by_value
      - .offset:         144
        .size:           4
        .value_kind:     hidden_block_count_x
      - .offset:         148
        .size:           4
        .value_kind:     hidden_block_count_y
      - .offset:         152
        .size:           4
        .value_kind:     hidden_block_count_z
      - .offset:         156
        .size:           2
        .value_kind:     hidden_group_size_x
      - .offset:         158
        .size:           2
        .value_kind:     hidden_group_size_y
      - .offset:         160
        .size:           2
        .value_kind:     hidden_group_size_z
      - .offset:         162
        .size:           2
        .value_kind:     hidden_remainder_x
      - .offset:         164
        .size:           2
        .value_kind:     hidden_remainder_y
      - .offset:         166
        .size:           2
        .value_kind:     hidden_remainder_z
      - .offset:         184
        .size:           8
        .value_kind:     hidden_global_offset_x
      - .offset:         192
        .size:           8
        .value_kind:     hidden_global_offset_y
      - .offset:         200
        .size:           8
        .value_kind:     hidden_global_offset_z
      - .offset:         208
        .size:           2
        .value_kind:     hidden_grid_dims
    .group_segment_fixed_size: 8192
    .kernarg_segment_align: 8
    .kernarg_segment_size: 400
    .language:       OpenCL C
    .language_version:
      - 2
      - 0
    .max_flat_workgroup_size: 256
    .name:           _ZL20rocblas_gemvn_kernelILi64ELi4EidddEviiT3_lPKT2_lT1_lS3_lS4_lS0_lPT4_lS4_li
    .private_segment_fixed_size: 0
    .sgpr_count:     47
    .sgpr_spill_count: 0
    .symbol:         _ZL20rocblas_gemvn_kernelILi64ELi4EidddEviiT3_lPKT2_lT1_lS3_lS4_lS0_lPT4_lS4_li.kd
    .uniform_work_group_size: 1
    .uses_dynamic_stack: false
    .vgpr_count:     70
    .vgpr_spill_count: 0
    .wavefront_size: 64
  - .agpr_count:     0
    .args:
      - .offset:         0
        .size:           4
        .value_kind:     by_value
      - .offset:         4
        .size:           4
        .value_kind:     by_value
      - .offset:         8
        .size:           8
        .value_kind:     by_value
      - .offset:         16
        .size:           8
        .value_kind:     by_value
      - .address_space:  global
        .offset:         24
        .size:           8
        .value_kind:     global_buffer
      - .offset:         32
        .size:           8
        .value_kind:     by_value
      - .offset:         40
        .size:           8
        .value_kind:     by_value
      - .offset:         48
        .size:           8
        .value_kind:     by_value
      - .address_space:  global
        .offset:         56
        .size:           8
        .value_kind:     global_buffer
      - .offset:         64
        .size:           8
        .value_kind:     by_value
      - .offset:         72
        .size:           8
        .value_kind:     by_value
      - .offset:         80
        .size:           8
        .value_kind:     by_value
      - .offset:         88
        .size:           8
        .value_kind:     by_value
      - .offset:         96
        .size:           8
        .value_kind:     by_value
      - .address_space:  global
        .offset:         104
        .size:           8
        .value_kind:     global_buffer
      - .offset:         112
        .size:           8
        .value_kind:     by_value
      - .offset:         120
        .size:           8
        .value_kind:     by_value
      - .offset:         128
        .size:           8
        .value_kind:     by_value
      - .offset:         136
        .size:           4
        .value_kind:     by_value
      - .offset:         144
        .size:           4
        .value_kind:     hidden_block_count_x
      - .offset:         148
        .size:           4
        .value_kind:     hidden_block_count_y
      - .offset:         152
        .size:           4
        .value_kind:     hidden_block_count_z
      - .offset:         156
        .size:           2
        .value_kind:     hidden_group_size_x
      - .offset:         158
        .size:           2
        .value_kind:     hidden_group_size_y
      - .offset:         160
        .size:           2
        .value_kind:     hidden_group_size_z
      - .offset:         162
        .size:           2
        .value_kind:     hidden_remainder_x
      - .offset:         164
        .size:           2
        .value_kind:     hidden_remainder_y
      - .offset:         166
        .size:           2
        .value_kind:     hidden_remainder_z
      - .offset:         184
        .size:           8
        .value_kind:     hidden_global_offset_x
      - .offset:         192
        .size:           8
        .value_kind:     hidden_global_offset_y
      - .offset:         200
        .size:           8
        .value_kind:     hidden_global_offset_z
      - .offset:         208
        .size:           2
        .value_kind:     hidden_grid_dims
    .group_segment_fixed_size: 8192
    .kernarg_segment_align: 8
    .kernarg_segment_size: 400
    .language:       OpenCL C
    .language_version:
      - 2
      - 0
    .max_flat_workgroup_size: 256
    .name:           _ZL20rocblas_gemvn_kernelILi64ELi4EldddEviiT3_lPKT2_lT1_lS3_lS4_lS0_lPT4_lS4_li
    .private_segment_fixed_size: 0
    .sgpr_count:     61
    .sgpr_spill_count: 0
    .symbol:         _ZL20rocblas_gemvn_kernelILi64ELi4EldddEviiT3_lPKT2_lT1_lS3_lS4_lS0_lPT4_lS4_li.kd
    .uniform_work_group_size: 1
    .uses_dynamic_stack: false
    .vgpr_count:     72
    .vgpr_spill_count: 0
    .wavefront_size: 64
  - .agpr_count:     0
    .args:
      - .offset:         0
        .size:           4
        .value_kind:     by_value
      - .address_space:  global
        .offset:         8
        .size:           8
        .value_kind:     global_buffer
      - .offset:         16
        .size:           8
        .value_kind:     by_value
      - .address_space:  global
        .offset:         24
        .size:           8
        .value_kind:     global_buffer
      - .offset:         32
        .size:           8
        .value_kind:     by_value
      - .offset:         40
        .size:           4
        .value_kind:     by_value
      - .offset:         48
        .size:           8
        .value_kind:     by_value
      - .offset:         56
        .size:           4
        .value_kind:     by_value
      - .offset:         64
        .size:           4
        .value_kind:     hidden_block_count_x
      - .offset:         68
        .size:           4
        .value_kind:     hidden_block_count_y
      - .offset:         72
        .size:           4
        .value_kind:     hidden_block_count_z
      - .offset:         76
        .size:           2
        .value_kind:     hidden_group_size_x
      - .offset:         78
        .size:           2
        .value_kind:     hidden_group_size_y
      - .offset:         80
        .size:           2
        .value_kind:     hidden_group_size_z
      - .offset:         82
        .size:           2
        .value_kind:     hidden_remainder_x
      - .offset:         84
        .size:           2
        .value_kind:     hidden_remainder_y
      - .offset:         86
        .size:           2
        .value_kind:     hidden_remainder_z
      - .offset:         104
        .size:           8
        .value_kind:     hidden_global_offset_x
      - .offset:         112
        .size:           8
        .value_kind:     hidden_global_offset_y
      - .offset:         120
        .size:           8
        .value_kind:     hidden_global_offset_z
      - .offset:         128
        .size:           2
        .value_kind:     hidden_grid_dims
    .group_segment_fixed_size: 0
    .kernarg_segment_align: 8
    .kernarg_segment_size: 320
    .language:       OpenCL C
    .language_version:
      - 2
      - 0
    .max_flat_workgroup_size: 256
    .name:           _ZL24rocblas_gemv_scal_kernelILi256EPKdPdEviT0_lT1_lili
    .private_segment_fixed_size: 0
    .sgpr_count:     20
    .sgpr_spill_count: 0
    .symbol:         _ZL24rocblas_gemv_scal_kernelILi256EPKdPdEviT0_lT1_lili.kd
    .uniform_work_group_size: 1
    .uses_dynamic_stack: false
    .vgpr_count:     8
    .vgpr_spill_count: 0
    .wavefront_size: 64
  - .agpr_count:     0
    .args:
      - .offset:         0
        .size:           4
        .value_kind:     by_value
      - .offset:         8
        .size:           8
        .value_kind:     by_value
      - .offset:         16
        .size:           8
        .value_kind:     by_value
      - .address_space:  global
        .offset:         24
        .size:           8
        .value_kind:     global_buffer
      - .offset:         32
        .size:           8
        .value_kind:     by_value
      - .offset:         40
        .size:           4
        .value_kind:     by_value
      - .offset:         48
        .size:           8
        .value_kind:     by_value
      - .offset:         56
        .size:           4
        .value_kind:     by_value
      - .offset:         64
        .size:           4
        .value_kind:     hidden_block_count_x
      - .offset:         68
        .size:           4
        .value_kind:     hidden_block_count_y
      - .offset:         72
        .size:           4
        .value_kind:     hidden_block_count_z
      - .offset:         76
        .size:           2
        .value_kind:     hidden_group_size_x
      - .offset:         78
        .size:           2
        .value_kind:     hidden_group_size_y
      - .offset:         80
        .size:           2
        .value_kind:     hidden_group_size_z
      - .offset:         82
        .size:           2
        .value_kind:     hidden_remainder_x
      - .offset:         84
        .size:           2
        .value_kind:     hidden_remainder_y
      - .offset:         86
        .size:           2
        .value_kind:     hidden_remainder_z
      - .offset:         104
        .size:           8
        .value_kind:     hidden_global_offset_x
      - .offset:         112
        .size:           8
        .value_kind:     hidden_global_offset_y
      - .offset:         120
        .size:           8
        .value_kind:     hidden_global_offset_z
      - .offset:         128
        .size:           2
        .value_kind:     hidden_grid_dims
    .group_segment_fixed_size: 0
    .kernarg_segment_align: 8
    .kernarg_segment_size: 320
    .language:       OpenCL C
    .language_version:
      - 2
      - 0
    .max_flat_workgroup_size: 256
    .name:           _ZL24rocblas_gemv_scal_kernelILi256EdPdEviT0_lT1_lili
    .private_segment_fixed_size: 0
    .sgpr_count:     20
    .sgpr_spill_count: 0
    .symbol:         _ZL24rocblas_gemv_scal_kernelILi256EdPdEviT0_lT1_lili.kd
    .uniform_work_group_size: 1
    .uses_dynamic_stack: false
    .vgpr_count:     8
    .vgpr_spill_count: 0
    .wavefront_size: 64
  - .agpr_count:     0
    .args:
      - .offset:         0
        .size:           4
        .value_kind:     by_value
      - .offset:         4
        .size:           4
        .value_kind:     by_value
      - .address_space:  global
        .offset:         8
        .size:           8
        .value_kind:     global_buffer
      - .offset:         16
        .size:           8
        .value_kind:     by_value
      - .address_space:  global
        .offset:         24
        .size:           8
        .value_kind:     global_buffer
      - .offset:         32
        .size:           8
        .value_kind:     by_value
      - .offset:         40
        .size:           4
        .value_kind:     by_value
      - .offset:         48
        .size:           8
        .value_kind:     by_value
      - .address_space:  global
        .offset:         56
        .size:           8
        .value_kind:     global_buffer
      - .offset:         64
        .size:           8
        .value_kind:     by_value
      - .offset:         72
        .size:           4
        .value_kind:     by_value
      - .offset:         80
        .size:           8
        .value_kind:     by_value
      - .address_space:  global
        .offset:         88
        .size:           8
        .value_kind:     global_buffer
      - .offset:         96
        .size:           8
        .value_kind:     by_value
      - .offset:         104
        .size:           4
        .value_kind:     by_value
      - .offset:         112
        .size:           8
        .value_kind:     by_value
      - .offset:         120
        .size:           4
        .value_kind:     by_value
      - .offset:         128
        .size:           4
        .value_kind:     hidden_block_count_x
      - .offset:         132
        .size:           4
        .value_kind:     hidden_block_count_y
      - .offset:         136
        .size:           4
        .value_kind:     hidden_block_count_z
      - .offset:         140
        .size:           2
        .value_kind:     hidden_group_size_x
      - .offset:         142
        .size:           2
        .value_kind:     hidden_group_size_y
      - .offset:         144
        .size:           2
        .value_kind:     hidden_group_size_z
      - .offset:         146
        .size:           2
        .value_kind:     hidden_remainder_x
      - .offset:         148
        .size:           2
        .value_kind:     hidden_remainder_y
      - .offset:         150
        .size:           2
        .value_kind:     hidden_remainder_z
      - .offset:         168
        .size:           8
        .value_kind:     hidden_global_offset_x
      - .offset:         176
        .size:           8
        .value_kind:     hidden_global_offset_y
      - .offset:         184
        .size:           8
        .value_kind:     hidden_global_offset_z
      - .offset:         192
        .size:           2
        .value_kind:     hidden_grid_dims
    .group_segment_fixed_size: 8192
    .kernarg_segment_align: 8
    .kernarg_segment_size: 384
    .language:       OpenCL C
    .language_version:
      - 2
      - 0
    .max_flat_workgroup_size: 512
    .name:           _ZL36rocblas_gemvn_double_buffered_kernelILi128ELi4ELi16EdPKddEviiT3_lPKT2_lilS5_lilPT4_lili
    .private_segment_fixed_size: 0
    .sgpr_count:     46
    .sgpr_spill_count: 0
    .symbol:         _ZL36rocblas_gemvn_double_buffered_kernelILi128ELi4ELi16EdPKddEviiT3_lPKT2_lilS5_lilPT4_lili.kd
    .uniform_work_group_size: 1
    .uses_dynamic_stack: false
    .vgpr_count:     173
    .vgpr_spill_count: 0
    .wavefront_size: 64
  - .agpr_count:     0
    .args:
      - .offset:         0
        .size:           4
        .value_kind:     by_value
      - .offset:         4
        .size:           4
        .value_kind:     by_value
      - .offset:         8
        .size:           8
        .value_kind:     by_value
      - .offset:         16
        .size:           8
        .value_kind:     by_value
      - .address_space:  global
        .offset:         24
        .size:           8
        .value_kind:     global_buffer
      - .offset:         32
        .size:           8
        .value_kind:     by_value
      - .offset:         40
        .size:           4
        .value_kind:     by_value
      - .offset:         48
        .size:           8
        .value_kind:     by_value
      - .address_space:  global
        .offset:         56
        .size:           8
        .value_kind:     global_buffer
      - .offset:         64
        .size:           8
        .value_kind:     by_value
      - .offset:         72
        .size:           4
        .value_kind:     by_value
      - .offset:         80
        .size:           8
        .value_kind:     by_value
      - .address_space:  global
        .offset:         88
        .size:           8
        .value_kind:     global_buffer
      - .offset:         96
        .size:           8
        .value_kind:     by_value
      - .offset:         104
        .size:           4
        .value_kind:     by_value
      - .offset:         112
        .size:           8
        .value_kind:     by_value
      - .offset:         120
        .size:           4
        .value_kind:     by_value
      - .offset:         128
        .size:           4
        .value_kind:     hidden_block_count_x
      - .offset:         132
        .size:           4
        .value_kind:     hidden_block_count_y
      - .offset:         136
        .size:           4
        .value_kind:     hidden_block_count_z
      - .offset:         140
        .size:           2
        .value_kind:     hidden_group_size_x
      - .offset:         142
        .size:           2
        .value_kind:     hidden_group_size_y
      - .offset:         144
        .size:           2
        .value_kind:     hidden_group_size_z
      - .offset:         146
        .size:           2
        .value_kind:     hidden_remainder_x
      - .offset:         148
        .size:           2
        .value_kind:     hidden_remainder_y
      - .offset:         150
        .size:           2
        .value_kind:     hidden_remainder_z
      - .offset:         168
        .size:           8
        .value_kind:     hidden_global_offset_x
      - .offset:         176
        .size:           8
        .value_kind:     hidden_global_offset_y
      - .offset:         184
        .size:           8
        .value_kind:     hidden_global_offset_z
      - .offset:         192
        .size:           2
        .value_kind:     hidden_grid_dims
    .group_segment_fixed_size: 8192
    .kernarg_segment_align: 8
    .kernarg_segment_size: 384
    .language:       OpenCL C
    .language_version:
      - 2
      - 0
    .max_flat_workgroup_size: 512
    .name:           _ZL36rocblas_gemvn_double_buffered_kernelILi128ELi4ELi16EdddEviiT3_lPKT2_lilS3_lilPT4_lili
    .private_segment_fixed_size: 0
    .sgpr_count:     46
    .sgpr_spill_count: 0
    .symbol:         _ZL36rocblas_gemvn_double_buffered_kernelILi128ELi4ELi16EdddEviiT3_lPKT2_lilS3_lilPT4_lili.kd
    .uniform_work_group_size: 1
    .uses_dynamic_stack: false
    .vgpr_count:     173
    .vgpr_spill_count: 0
    .wavefront_size: 64
  - .agpr_count:     0
    .args:
      - .offset:         0
        .size:           4
        .value_kind:     by_value
      - .offset:         4
        .size:           4
        .value_kind:     by_value
      - .address_space:  global
        .offset:         8
        .size:           8
        .value_kind:     global_buffer
      - .offset:         16
        .size:           8
        .value_kind:     by_value
      - .address_space:  global
        .offset:         24
        .size:           8
        .value_kind:     global_buffer
      - .offset:         32
        .size:           8
        .value_kind:     by_value
      - .offset:         40
        .size:           4
        .value_kind:     by_value
      - .offset:         48
        .size:           8
        .value_kind:     by_value
      - .address_space:  global
        .offset:         56
        .size:           8
        .value_kind:     global_buffer
      - .offset:         64
        .size:           8
        .value_kind:     by_value
      - .offset:         72
        .size:           4
        .value_kind:     by_value
      - .offset:         80
        .size:           8
        .value_kind:     by_value
      - .address_space:  global
        .offset:         88
        .size:           8
        .value_kind:     global_buffer
      - .offset:         96
        .size:           8
        .value_kind:     by_value
      - .address_space:  global
        .offset:         104
        .size:           8
        .value_kind:     global_buffer
      - .offset:         112
        .size:           8
        .value_kind:     by_value
      - .offset:         120
        .size:           4
        .value_kind:     by_value
      - .offset:         128
        .size:           8
        .value_kind:     by_value
      - .offset:         136
        .size:           4
        .value_kind:     by_value
      - .offset:         144
        .size:           4
        .value_kind:     hidden_block_count_x
      - .offset:         148
        .size:           4
        .value_kind:     hidden_block_count_y
      - .offset:         152
        .size:           4
        .value_kind:     hidden_block_count_z
      - .offset:         156
        .size:           2
        .value_kind:     hidden_group_size_x
      - .offset:         158
        .size:           2
        .value_kind:     hidden_group_size_y
      - .offset:         160
        .size:           2
        .value_kind:     hidden_group_size_z
      - .offset:         162
        .size:           2
        .value_kind:     hidden_remainder_x
      - .offset:         164
        .size:           2
        .value_kind:     hidden_remainder_y
      - .offset:         166
        .size:           2
        .value_kind:     hidden_remainder_z
      - .offset:         184
        .size:           8
        .value_kind:     hidden_global_offset_x
      - .offset:         192
        .size:           8
        .value_kind:     hidden_global_offset_y
      - .offset:         200
        .size:           8
        .value_kind:     hidden_global_offset_z
      - .offset:         208
        .size:           2
        .value_kind:     hidden_grid_dims
    .group_segment_fixed_size: 16384
    .kernarg_segment_align: 8
    .kernarg_segment_size: 400
    .language:       OpenCL C
    .language_version:
      - 2
      - 0
    .max_flat_workgroup_size: 512
    .name:           _ZL20rocblas_gemvn_kernelILi32ELi16EidPKddEviiT3_lPKT2_lT1_lS5_lS6_lS2_lPT4_lS6_li
    .private_segment_fixed_size: 0
    .sgpr_count:     47
    .sgpr_spill_count: 0
    .symbol:         _ZL20rocblas_gemvn_kernelILi32ELi16EidPKddEviiT3_lPKT2_lT1_lS5_lS6_lS2_lPT4_lS6_li.kd
    .uniform_work_group_size: 1
    .uses_dynamic_stack: false
    .vgpr_count:     70
    .vgpr_spill_count: 0
    .wavefront_size: 64
  - .agpr_count:     0
    .args:
      - .offset:         0
        .size:           4
        .value_kind:     by_value
      - .offset:         4
        .size:           4
        .value_kind:     by_value
      - .address_space:  global
        .offset:         8
        .size:           8
        .value_kind:     global_buffer
      - .offset:         16
        .size:           8
        .value_kind:     by_value
      - .address_space:  global
        .offset:         24
        .size:           8
        .value_kind:     global_buffer
      - .offset:         32
        .size:           8
        .value_kind:     by_value
      - .offset:         40
        .size:           8
        .value_kind:     by_value
      - .offset:         48
        .size:           8
        .value_kind:     by_value
      - .address_space:  global
        .offset:         56
        .size:           8
        .value_kind:     global_buffer
      - .offset:         64
        .size:           8
        .value_kind:     by_value
      - .offset:         72
        .size:           8
        .value_kind:     by_value
      - .offset:         80
        .size:           8
        .value_kind:     by_value
      - .address_space:  global
        .offset:         88
        .size:           8
        .value_kind:     global_buffer
      - .offset:         96
        .size:           8
        .value_kind:     by_value
      - .address_space:  global
        .offset:         104
        .size:           8
        .value_kind:     global_buffer
      - .offset:         112
        .size:           8
        .value_kind:     by_value
      - .offset:         120
        .size:           8
        .value_kind:     by_value
      - .offset:         128
        .size:           8
        .value_kind:     by_value
      - .offset:         136
        .size:           4
        .value_kind:     by_value
      - .offset:         144
        .size:           4
        .value_kind:     hidden_block_count_x
      - .offset:         148
        .size:           4
        .value_kind:     hidden_block_count_y
      - .offset:         152
        .size:           4
        .value_kind:     hidden_block_count_z
      - .offset:         156
        .size:           2
        .value_kind:     hidden_group_size_x
      - .offset:         158
        .size:           2
        .value_kind:     hidden_group_size_y
      - .offset:         160
        .size:           2
        .value_kind:     hidden_group_size_z
      - .offset:         162
        .size:           2
        .value_kind:     hidden_remainder_x
      - .offset:         164
        .size:           2
        .value_kind:     hidden_remainder_y
      - .offset:         166
        .size:           2
        .value_kind:     hidden_remainder_z
      - .offset:         184
        .size:           8
        .value_kind:     hidden_global_offset_x
      - .offset:         192
        .size:           8
        .value_kind:     hidden_global_offset_y
      - .offset:         200
        .size:           8
        .value_kind:     hidden_global_offset_z
      - .offset:         208
        .size:           2
        .value_kind:     hidden_grid_dims
    .group_segment_fixed_size: 16384
    .kernarg_segment_align: 8
    .kernarg_segment_size: 400
    .language:       OpenCL C
    .language_version:
      - 2
      - 0
    .max_flat_workgroup_size: 512
    .name:           _ZL20rocblas_gemvn_kernelILi32ELi16EldPKddEviiT3_lPKT2_lT1_lS5_lS6_lS2_lPT4_lS6_li
    .private_segment_fixed_size: 0
    .sgpr_count:     61
    .sgpr_spill_count: 0
    .symbol:         _ZL20rocblas_gemvn_kernelILi32ELi16EldPKddEviiT3_lPKT2_lT1_lS5_lS6_lS2_lPT4_lS6_li.kd
    .uniform_work_group_size: 1
    .uses_dynamic_stack: false
    .vgpr_count:     72
    .vgpr_spill_count: 0
    .wavefront_size: 64
  - .agpr_count:     0
    .args:
      - .offset:         0
        .size:           4
        .value_kind:     by_value
      - .offset:         4
        .size:           4
        .value_kind:     by_value
      - .offset:         8
        .size:           8
        .value_kind:     by_value
      - .offset:         16
        .size:           8
        .value_kind:     by_value
      - .address_space:  global
        .offset:         24
        .size:           8
        .value_kind:     global_buffer
      - .offset:         32
        .size:           8
        .value_kind:     by_value
      - .offset:         40
        .size:           4
        .value_kind:     by_value
      - .offset:         48
        .size:           8
        .value_kind:     by_value
      - .address_space:  global
        .offset:         56
        .size:           8
        .value_kind:     global_buffer
      - .offset:         64
        .size:           8
        .value_kind:     by_value
      - .offset:         72
        .size:           4
        .value_kind:     by_value
      - .offset:         80
        .size:           8
        .value_kind:     by_value
      - .offset:         88
        .size:           8
        .value_kind:     by_value
      - .offset:         96
        .size:           8
        .value_kind:     by_value
      - .address_space:  global
        .offset:         104
        .size:           8
        .value_kind:     global_buffer
      - .offset:         112
        .size:           8
        .value_kind:     by_value
      - .offset:         120
        .size:           4
        .value_kind:     by_value
      - .offset:         128
        .size:           8
        .value_kind:     by_value
      - .offset:         136
        .size:           4
        .value_kind:     by_value
      - .offset:         144
        .size:           4
        .value_kind:     hidden_block_count_x
      - .offset:         148
        .size:           4
        .value_kind:     hidden_block_count_y
      - .offset:         152
        .size:           4
        .value_kind:     hidden_block_count_z
      - .offset:         156
        .size:           2
        .value_kind:     hidden_group_size_x
      - .offset:         158
        .size:           2
        .value_kind:     hidden_group_size_y
      - .offset:         160
        .size:           2
        .value_kind:     hidden_group_size_z
      - .offset:         162
        .size:           2
        .value_kind:     hidden_remainder_x
      - .offset:         164
        .size:           2
        .value_kind:     hidden_remainder_y
      - .offset:         166
        .size:           2
        .value_kind:     hidden_remainder_z
      - .offset:         184
        .size:           8
        .value_kind:     hidden_global_offset_x
      - .offset:         192
        .size:           8
        .value_kind:     hidden_global_offset_y
      - .offset:         200
        .size:           8
        .value_kind:     hidden_global_offset_z
      - .offset:         208
        .size:           2
        .value_kind:     hidden_grid_dims
    .group_segment_fixed_size: 16384
    .kernarg_segment_align: 8
    .kernarg_segment_size: 400
    .language:       OpenCL C
    .language_version:
      - 2
      - 0
    .max_flat_workgroup_size: 512
    .name:           _ZL20rocblas_gemvn_kernelILi32ELi16EidddEviiT3_lPKT2_lT1_lS3_lS4_lS0_lPT4_lS4_li
    .private_segment_fixed_size: 0
    .sgpr_count:     47
    .sgpr_spill_count: 0
    .symbol:         _ZL20rocblas_gemvn_kernelILi32ELi16EidddEviiT3_lPKT2_lT1_lS3_lS4_lS0_lPT4_lS4_li.kd
    .uniform_work_group_size: 1
    .uses_dynamic_stack: false
    .vgpr_count:     70
    .vgpr_spill_count: 0
    .wavefront_size: 64
  - .agpr_count:     0
    .args:
      - .offset:         0
        .size:           4
        .value_kind:     by_value
      - .offset:         4
        .size:           4
        .value_kind:     by_value
      - .offset:         8
        .size:           8
        .value_kind:     by_value
      - .offset:         16
        .size:           8
        .value_kind:     by_value
      - .address_space:  global
        .offset:         24
        .size:           8
        .value_kind:     global_buffer
      - .offset:         32
        .size:           8
        .value_kind:     by_value
      - .offset:         40
        .size:           8
        .value_kind:     by_value
      - .offset:         48
        .size:           8
        .value_kind:     by_value
      - .address_space:  global
        .offset:         56
        .size:           8
        .value_kind:     global_buffer
      - .offset:         64
        .size:           8
        .value_kind:     by_value
      - .offset:         72
        .size:           8
        .value_kind:     by_value
      - .offset:         80
        .size:           8
        .value_kind:     by_value
      - .offset:         88
        .size:           8
        .value_kind:     by_value
      - .offset:         96
        .size:           8
        .value_kind:     by_value
      - .address_space:  global
        .offset:         104
        .size:           8
        .value_kind:     global_buffer
      - .offset:         112
        .size:           8
        .value_kind:     by_value
      - .offset:         120
        .size:           8
        .value_kind:     by_value
      - .offset:         128
        .size:           8
        .value_kind:     by_value
      - .offset:         136
        .size:           4
        .value_kind:     by_value
      - .offset:         144
        .size:           4
        .value_kind:     hidden_block_count_x
      - .offset:         148
        .size:           4
        .value_kind:     hidden_block_count_y
      - .offset:         152
        .size:           4
        .value_kind:     hidden_block_count_z
      - .offset:         156
        .size:           2
        .value_kind:     hidden_group_size_x
      - .offset:         158
        .size:           2
        .value_kind:     hidden_group_size_y
      - .offset:         160
        .size:           2
        .value_kind:     hidden_group_size_z
      - .offset:         162
        .size:           2
        .value_kind:     hidden_remainder_x
      - .offset:         164
        .size:           2
        .value_kind:     hidden_remainder_y
      - .offset:         166
        .size:           2
        .value_kind:     hidden_remainder_z
      - .offset:         184
        .size:           8
        .value_kind:     hidden_global_offset_x
      - .offset:         192
        .size:           8
        .value_kind:     hidden_global_offset_y
      - .offset:         200
        .size:           8
        .value_kind:     hidden_global_offset_z
      - .offset:         208
        .size:           2
        .value_kind:     hidden_grid_dims
    .group_segment_fixed_size: 16384
    .kernarg_segment_align: 8
    .kernarg_segment_size: 400
    .language:       OpenCL C
    .language_version:
      - 2
      - 0
    .max_flat_workgroup_size: 512
    .name:           _ZL20rocblas_gemvn_kernelILi32ELi16EldddEviiT3_lPKT2_lT1_lS3_lS4_lS0_lPT4_lS4_li
    .private_segment_fixed_size: 0
    .sgpr_count:     61
    .sgpr_spill_count: 0
    .symbol:         _ZL20rocblas_gemvn_kernelILi32ELi16EldddEviiT3_lPKT2_lT1_lS3_lS4_lS0_lPT4_lS4_li.kd
    .uniform_work_group_size: 1
    .uses_dynamic_stack: false
    .vgpr_count:     72
    .vgpr_spill_count: 0
    .wavefront_size: 64
  - .agpr_count:     0
    .args:
      - .offset:         0
        .size:           4
        .value_kind:     by_value
      - .offset:         4
        .size:           4
        .value_kind:     by_value
      - .address_space:  global
        .offset:         8
        .size:           8
        .value_kind:     global_buffer
      - .offset:         16
        .size:           8
        .value_kind:     by_value
      - .address_space:  global
        .offset:         24
        .size:           8
        .value_kind:     global_buffer
      - .offset:         32
        .size:           8
        .value_kind:     by_value
      - .offset:         40
        .size:           4
        .value_kind:     by_value
      - .offset:         48
        .size:           8
        .value_kind:     by_value
      - .address_space:  global
        .offset:         56
        .size:           8
        .value_kind:     global_buffer
      - .offset:         64
        .size:           8
        .value_kind:     by_value
      - .offset:         72
        .size:           4
        .value_kind:     by_value
      - .offset:         80
        .size:           8
        .value_kind:     by_value
      - .address_space:  global
        .offset:         88
        .size:           8
        .value_kind:     global_buffer
      - .offset:         96
        .size:           8
        .value_kind:     by_value
      - .address_space:  global
        .offset:         104
        .size:           8
        .value_kind:     global_buffer
      - .offset:         112
        .size:           8
        .value_kind:     by_value
      - .offset:         120
        .size:           4
        .value_kind:     by_value
      - .offset:         128
        .size:           8
        .value_kind:     by_value
      - .offset:         136
        .size:           4
        .value_kind:     by_value
      - .offset:         144
        .size:           4
        .value_kind:     hidden_block_count_x
      - .offset:         148
        .size:           4
        .value_kind:     hidden_block_count_y
      - .offset:         152
        .size:           4
        .value_kind:     hidden_block_count_z
      - .offset:         156
        .size:           2
        .value_kind:     hidden_group_size_x
      - .offset:         158
        .size:           2
        .value_kind:     hidden_group_size_y
      - .offset:         160
        .size:           2
        .value_kind:     hidden_group_size_z
      - .offset:         162
        .size:           2
        .value_kind:     hidden_remainder_x
      - .offset:         164
        .size:           2
        .value_kind:     hidden_remainder_y
      - .offset:         166
        .size:           2
        .value_kind:     hidden_remainder_z
      - .offset:         184
        .size:           8
        .value_kind:     hidden_global_offset_x
      - .offset:         192
        .size:           8
        .value_kind:     hidden_global_offset_y
      - .offset:         200
        .size:           8
        .value_kind:     hidden_global_offset_z
      - .offset:         208
        .size:           2
        .value_kind:     hidden_grid_dims
    .group_segment_fixed_size: 32768
    .kernarg_segment_align: 8
    .kernarg_segment_size: 400
    .language:       OpenCL C
    .language_version:
      - 2
      - 0
    .max_flat_workgroup_size: 1024
    .name:           _ZL20rocblas_gemvn_kernelILi64ELi16EidPKddEviiT3_lPKT2_lT1_lS5_lS6_lS2_lPT4_lS6_li
    .private_segment_fixed_size: 0
    .sgpr_count:     47
    .sgpr_spill_count: 0
    .symbol:         _ZL20rocblas_gemvn_kernelILi64ELi16EidPKddEviiT3_lPKT2_lT1_lS5_lS6_lS2_lPT4_lS6_li.kd
    .uniform_work_group_size: 1
    .uses_dynamic_stack: false
    .vgpr_count:     61
    .vgpr_spill_count: 0
    .wavefront_size: 64
  - .agpr_count:     0
    .args:
      - .offset:         0
        .size:           4
        .value_kind:     by_value
      - .offset:         4
        .size:           4
        .value_kind:     by_value
      - .address_space:  global
        .offset:         8
        .size:           8
        .value_kind:     global_buffer
      - .offset:         16
        .size:           8
        .value_kind:     by_value
      - .address_space:  global
        .offset:         24
        .size:           8
        .value_kind:     global_buffer
      - .offset:         32
        .size:           8
        .value_kind:     by_value
      - .offset:         40
        .size:           8
        .value_kind:     by_value
      - .offset:         48
        .size:           8
        .value_kind:     by_value
      - .address_space:  global
        .offset:         56
        .size:           8
        .value_kind:     global_buffer
      - .offset:         64
        .size:           8
        .value_kind:     by_value
      - .offset:         72
        .size:           8
        .value_kind:     by_value
      - .offset:         80
        .size:           8
        .value_kind:     by_value
      - .address_space:  global
        .offset:         88
        .size:           8
        .value_kind:     global_buffer
      - .offset:         96
        .size:           8
        .value_kind:     by_value
      - .address_space:  global
        .offset:         104
        .size:           8
        .value_kind:     global_buffer
      - .offset:         112
        .size:           8
        .value_kind:     by_value
      - .offset:         120
        .size:           8
        .value_kind:     by_value
      - .offset:         128
        .size:           8
        .value_kind:     by_value
      - .offset:         136
        .size:           4
        .value_kind:     by_value
      - .offset:         144
        .size:           4
        .value_kind:     hidden_block_count_x
      - .offset:         148
        .size:           4
        .value_kind:     hidden_block_count_y
      - .offset:         152
        .size:           4
        .value_kind:     hidden_block_count_z
      - .offset:         156
        .size:           2
        .value_kind:     hidden_group_size_x
      - .offset:         158
        .size:           2
        .value_kind:     hidden_group_size_y
      - .offset:         160
        .size:           2
        .value_kind:     hidden_group_size_z
      - .offset:         162
        .size:           2
        .value_kind:     hidden_remainder_x
      - .offset:         164
        .size:           2
        .value_kind:     hidden_remainder_y
      - .offset:         166
        .size:           2
        .value_kind:     hidden_remainder_z
      - .offset:         184
        .size:           8
        .value_kind:     hidden_global_offset_x
      - .offset:         192
        .size:           8
        .value_kind:     hidden_global_offset_y
      - .offset:         200
        .size:           8
        .value_kind:     hidden_global_offset_z
      - .offset:         208
        .size:           2
        .value_kind:     hidden_grid_dims
    .group_segment_fixed_size: 32768
    .kernarg_segment_align: 8
    .kernarg_segment_size: 400
    .language:       OpenCL C
    .language_version:
      - 2
      - 0
    .max_flat_workgroup_size: 1024
    .name:           _ZL20rocblas_gemvn_kernelILi64ELi16EldPKddEviiT3_lPKT2_lT1_lS5_lS6_lS2_lPT4_lS6_li
    .private_segment_fixed_size: 0
    .sgpr_count:     61
    .sgpr_spill_count: 0
    .symbol:         _ZL20rocblas_gemvn_kernelILi64ELi16EldPKddEviiT3_lPKT2_lT1_lS5_lS6_lS2_lPT4_lS6_li.kd
    .uniform_work_group_size: 1
    .uses_dynamic_stack: false
    .vgpr_count:     72
    .vgpr_spill_count: 0
    .wavefront_size: 64
  - .agpr_count:     0
    .args:
      - .offset:         0
        .size:           4
        .value_kind:     by_value
      - .offset:         4
        .size:           4
        .value_kind:     by_value
      - .offset:         8
        .size:           8
        .value_kind:     by_value
      - .offset:         16
        .size:           8
        .value_kind:     by_value
      - .address_space:  global
        .offset:         24
        .size:           8
        .value_kind:     global_buffer
      - .offset:         32
        .size:           8
        .value_kind:     by_value
      - .offset:         40
        .size:           4
        .value_kind:     by_value
      - .offset:         48
        .size:           8
        .value_kind:     by_value
      - .address_space:  global
        .offset:         56
        .size:           8
        .value_kind:     global_buffer
      - .offset:         64
        .size:           8
        .value_kind:     by_value
      - .offset:         72
        .size:           4
        .value_kind:     by_value
      - .offset:         80
        .size:           8
        .value_kind:     by_value
      - .offset:         88
        .size:           8
        .value_kind:     by_value
      - .offset:         96
        .size:           8
        .value_kind:     by_value
      - .address_space:  global
        .offset:         104
        .size:           8
        .value_kind:     global_buffer
      - .offset:         112
        .size:           8
        .value_kind:     by_value
      - .offset:         120
        .size:           4
        .value_kind:     by_value
      - .offset:         128
        .size:           8
        .value_kind:     by_value
      - .offset:         136
        .size:           4
        .value_kind:     by_value
      - .offset:         144
        .size:           4
        .value_kind:     hidden_block_count_x
      - .offset:         148
        .size:           4
        .value_kind:     hidden_block_count_y
      - .offset:         152
        .size:           4
        .value_kind:     hidden_block_count_z
      - .offset:         156
        .size:           2
        .value_kind:     hidden_group_size_x
      - .offset:         158
        .size:           2
        .value_kind:     hidden_group_size_y
      - .offset:         160
        .size:           2
        .value_kind:     hidden_group_size_z
      - .offset:         162
        .size:           2
        .value_kind:     hidden_remainder_x
      - .offset:         164
        .size:           2
        .value_kind:     hidden_remainder_y
      - .offset:         166
        .size:           2
        .value_kind:     hidden_remainder_z
      - .offset:         184
        .size:           8
        .value_kind:     hidden_global_offset_x
      - .offset:         192
        .size:           8
        .value_kind:     hidden_global_offset_y
      - .offset:         200
        .size:           8
        .value_kind:     hidden_global_offset_z
      - .offset:         208
        .size:           2
        .value_kind:     hidden_grid_dims
    .group_segment_fixed_size: 32768
    .kernarg_segment_align: 8
    .kernarg_segment_size: 400
    .language:       OpenCL C
    .language_version:
      - 2
      - 0
    .max_flat_workgroup_size: 1024
    .name:           _ZL20rocblas_gemvn_kernelILi64ELi16EidddEviiT3_lPKT2_lT1_lS3_lS4_lS0_lPT4_lS4_li
    .private_segment_fixed_size: 0
    .sgpr_count:     47
    .sgpr_spill_count: 0
    .symbol:         _ZL20rocblas_gemvn_kernelILi64ELi16EidddEviiT3_lPKT2_lT1_lS3_lS4_lS0_lPT4_lS4_li.kd
    .uniform_work_group_size: 1
    .uses_dynamic_stack: false
    .vgpr_count:     61
    .vgpr_spill_count: 0
    .wavefront_size: 64
  - .agpr_count:     0
    .args:
      - .offset:         0
        .size:           4
        .value_kind:     by_value
      - .offset:         4
        .size:           4
        .value_kind:     by_value
      - .offset:         8
        .size:           8
        .value_kind:     by_value
      - .offset:         16
        .size:           8
        .value_kind:     by_value
      - .address_space:  global
        .offset:         24
        .size:           8
        .value_kind:     global_buffer
      - .offset:         32
        .size:           8
        .value_kind:     by_value
      - .offset:         40
        .size:           8
        .value_kind:     by_value
      - .offset:         48
        .size:           8
        .value_kind:     by_value
      - .address_space:  global
        .offset:         56
        .size:           8
        .value_kind:     global_buffer
      - .offset:         64
        .size:           8
        .value_kind:     by_value
      - .offset:         72
        .size:           8
        .value_kind:     by_value
      - .offset:         80
        .size:           8
        .value_kind:     by_value
      - .offset:         88
        .size:           8
        .value_kind:     by_value
      - .offset:         96
        .size:           8
        .value_kind:     by_value
      - .address_space:  global
        .offset:         104
        .size:           8
        .value_kind:     global_buffer
      - .offset:         112
        .size:           8
        .value_kind:     by_value
      - .offset:         120
        .size:           8
        .value_kind:     by_value
      - .offset:         128
        .size:           8
        .value_kind:     by_value
      - .offset:         136
        .size:           4
        .value_kind:     by_value
      - .offset:         144
        .size:           4
        .value_kind:     hidden_block_count_x
      - .offset:         148
        .size:           4
        .value_kind:     hidden_block_count_y
      - .offset:         152
        .size:           4
        .value_kind:     hidden_block_count_z
      - .offset:         156
        .size:           2
        .value_kind:     hidden_group_size_x
      - .offset:         158
        .size:           2
        .value_kind:     hidden_group_size_y
      - .offset:         160
        .size:           2
        .value_kind:     hidden_group_size_z
      - .offset:         162
        .size:           2
        .value_kind:     hidden_remainder_x
      - .offset:         164
        .size:           2
        .value_kind:     hidden_remainder_y
      - .offset:         166
        .size:           2
        .value_kind:     hidden_remainder_z
      - .offset:         184
        .size:           8
        .value_kind:     hidden_global_offset_x
      - .offset:         192
        .size:           8
        .value_kind:     hidden_global_offset_y
      - .offset:         200
        .size:           8
        .value_kind:     hidden_global_offset_z
      - .offset:         208
        .size:           2
        .value_kind:     hidden_grid_dims
    .group_segment_fixed_size: 32768
    .kernarg_segment_align: 8
    .kernarg_segment_size: 400
    .language:       OpenCL C
    .language_version:
      - 2
      - 0
    .max_flat_workgroup_size: 1024
    .name:           _ZL20rocblas_gemvn_kernelILi64ELi16EldddEviiT3_lPKT2_lT1_lS3_lS4_lS0_lPT4_lS4_li
    .private_segment_fixed_size: 0
    .sgpr_count:     61
    .sgpr_spill_count: 0
    .symbol:         _ZL20rocblas_gemvn_kernelILi64ELi16EldddEviiT3_lPKT2_lT1_lS3_lS4_lS0_lPT4_lS4_li.kd
    .uniform_work_group_size: 1
    .uses_dynamic_stack: false
    .vgpr_count:     72
    .vgpr_spill_count: 0
    .wavefront_size: 64
  - .agpr_count:     0
    .args:
      - .offset:         0
        .size:           4
        .value_kind:     by_value
      - .offset:         4
        .size:           4
        .value_kind:     by_value
      - .address_space:  global
        .offset:         8
        .size:           8
        .value_kind:     global_buffer
      - .offset:         16
        .size:           8
        .value_kind:     by_value
      - .address_space:  global
        .offset:         24
        .size:           8
        .value_kind:     global_buffer
      - .offset:         32
        .size:           8
        .value_kind:     by_value
      - .offset:         40
        .size:           4
        .value_kind:     by_value
      - .offset:         48
        .size:           8
        .value_kind:     by_value
      - .address_space:  global
        .offset:         56
        .size:           8
        .value_kind:     global_buffer
      - .offset:         64
        .size:           8
        .value_kind:     by_value
      - .offset:         72
        .size:           4
        .value_kind:     by_value
      - .offset:         80
        .size:           8
        .value_kind:     by_value
      - .address_space:  global
        .offset:         88
        .size:           8
        .value_kind:     global_buffer
      - .offset:         96
        .size:           8
        .value_kind:     by_value
      - .address_space:  global
        .offset:         104
        .size:           8
        .value_kind:     global_buffer
      - .offset:         112
        .size:           8
        .value_kind:     by_value
      - .offset:         120
        .size:           4
        .value_kind:     by_value
      - .offset:         128
        .size:           8
        .value_kind:     by_value
    .group_segment_fixed_size: 512
    .kernarg_segment_align: 8
    .kernarg_segment_size: 136
    .language:       OpenCL C
    .language_version:
      - 2
      - 0
    .max_flat_workgroup_size: 256
    .name:           _ZL22rocblas_gemvtsm_kernelILb0ELi256EdPKddEviiT2_lPKT1_lilS5_lilS2_lPT3_lil
    .private_segment_fixed_size: 0
    .sgpr_count:     38
    .sgpr_spill_count: 0
    .symbol:         _ZL22rocblas_gemvtsm_kernelILb0ELi256EdPKddEviiT2_lPKT1_lilS5_lilS2_lPT3_lil.kd
    .uniform_work_group_size: 1
    .uses_dynamic_stack: false
    .vgpr_count:     44
    .vgpr_spill_count: 0
    .wavefront_size: 64
  - .agpr_count:     0
    .args:
      - .offset:         0
        .size:           4
        .value_kind:     by_value
      - .offset:         4
        .size:           4
        .value_kind:     by_value
      - .offset:         8
        .size:           8
        .value_kind:     by_value
      - .offset:         16
        .size:           8
        .value_kind:     by_value
      - .address_space:  global
        .offset:         24
        .size:           8
        .value_kind:     global_buffer
      - .offset:         32
        .size:           8
        .value_kind:     by_value
      - .offset:         40
        .size:           4
        .value_kind:     by_value
      - .offset:         48
        .size:           8
        .value_kind:     by_value
      - .address_space:  global
        .offset:         56
        .size:           8
        .value_kind:     global_buffer
      - .offset:         64
        .size:           8
        .value_kind:     by_value
      - .offset:         72
        .size:           4
        .value_kind:     by_value
      - .offset:         80
        .size:           8
        .value_kind:     by_value
      - .offset:         88
        .size:           8
        .value_kind:     by_value
      - .offset:         96
        .size:           8
        .value_kind:     by_value
      - .address_space:  global
        .offset:         104
        .size:           8
        .value_kind:     global_buffer
      - .offset:         112
        .size:           8
        .value_kind:     by_value
      - .offset:         120
        .size:           4
        .value_kind:     by_value
      - .offset:         128
        .size:           8
        .value_kind:     by_value
    .group_segment_fixed_size: 512
    .kernarg_segment_align: 8
    .kernarg_segment_size: 136
    .language:       OpenCL C
    .language_version:
      - 2
      - 0
    .max_flat_workgroup_size: 256
    .name:           _ZL22rocblas_gemvtsm_kernelILb0ELi256EdddEviiT2_lPKT1_lilS3_lilS0_lPT3_lil
    .private_segment_fixed_size: 0
    .sgpr_count:     38
    .sgpr_spill_count: 0
    .symbol:         _ZL22rocblas_gemvtsm_kernelILb0ELi256EdddEviiT2_lPKT1_lilS3_lilS0_lPT3_lil.kd
    .uniform_work_group_size: 1
    .uses_dynamic_stack: false
    .vgpr_count:     44
    .vgpr_spill_count: 0
    .wavefront_size: 64
  - .agpr_count:     0
    .args:
      - .offset:         0
        .size:           4
        .value_kind:     by_value
      - .offset:         4
        .size:           4
        .value_kind:     by_value
      - .address_space:  global
        .offset:         8
        .size:           8
        .value_kind:     global_buffer
      - .offset:         16
        .size:           8
        .value_kind:     by_value
      - .address_space:  global
        .offset:         24
        .size:           8
        .value_kind:     global_buffer
      - .offset:         32
        .size:           8
        .value_kind:     by_value
      - .offset:         40
        .size:           4
        .value_kind:     by_value
      - .offset:         48
        .size:           8
        .value_kind:     by_value
      - .address_space:  global
        .offset:         56
        .size:           8
        .value_kind:     global_buffer
      - .offset:         64
        .size:           8
        .value_kind:     by_value
      - .offset:         72
        .size:           4
        .value_kind:     by_value
      - .offset:         80
        .size:           8
        .value_kind:     by_value
      - .address_space:  global
        .offset:         88
        .size:           8
        .value_kind:     global_buffer
      - .offset:         96
        .size:           4
        .value_kind:     by_value
      - .offset:         104
        .size:           4
        .value_kind:     hidden_block_count_x
      - .offset:         108
        .size:           4
        .value_kind:     hidden_block_count_y
      - .offset:         112
        .size:           4
        .value_kind:     hidden_block_count_z
      - .offset:         116
        .size:           2
        .value_kind:     hidden_group_size_x
      - .offset:         118
        .size:           2
        .value_kind:     hidden_group_size_y
      - .offset:         120
        .size:           2
        .value_kind:     hidden_group_size_z
      - .offset:         122
        .size:           2
        .value_kind:     hidden_remainder_x
      - .offset:         124
        .size:           2
        .value_kind:     hidden_remainder_y
      - .offset:         126
        .size:           2
        .value_kind:     hidden_remainder_z
      - .offset:         144
        .size:           8
        .value_kind:     hidden_global_offset_x
      - .offset:         152
        .size:           8
        .value_kind:     hidden_global_offset_y
      - .offset:         160
        .size:           8
        .value_kind:     hidden_global_offset_z
      - .offset:         168
        .size:           2
        .value_kind:     hidden_grid_dims
    .group_segment_fixed_size: 512
    .kernarg_segment_align: 8
    .kernarg_segment_size: 360
    .language:       OpenCL C
    .language_version:
      - 2
      - 0
    .max_flat_workgroup_size: 256
    .name:           _ZL23rocblas_gemvt_sn_kernelILb0ELi256ELi4EidPKddEviiT4_lPKT3_lilS5_lilPT5_i
    .private_segment_fixed_size: 0
    .sgpr_count:     70
    .sgpr_spill_count: 0
    .symbol:         _ZL23rocblas_gemvt_sn_kernelILb0ELi256ELi4EidPKddEviiT4_lPKT3_lilS5_lilPT5_i.kd
    .uniform_work_group_size: 1
    .uses_dynamic_stack: false
    .vgpr_count:     80
    .vgpr_spill_count: 0
    .wavefront_size: 64
  - .agpr_count:     0
    .args:
      - .offset:         0
        .size:           4
        .value_kind:     by_value
      - .offset:         4
        .size:           4
        .value_kind:     by_value
      - .address_space:  global
        .offset:         8
        .size:           8
        .value_kind:     global_buffer
      - .offset:         16
        .size:           8
        .value_kind:     by_value
      - .address_space:  global
        .offset:         24
        .size:           8
        .value_kind:     global_buffer
      - .offset:         32
        .size:           8
        .value_kind:     by_value
      - .offset:         40
        .size:           4
        .value_kind:     by_value
      - .offset:         48
        .size:           8
        .value_kind:     by_value
      - .address_space:  global
        .offset:         56
        .size:           8
        .value_kind:     global_buffer
      - .offset:         64
        .size:           8
        .value_kind:     by_value
      - .offset:         72
        .size:           4
        .value_kind:     by_value
      - .offset:         80
        .size:           8
        .value_kind:     by_value
      - .address_space:  global
        .offset:         88
        .size:           8
        .value_kind:     global_buffer
      - .offset:         96
        .size:           4
        .value_kind:     by_value
      - .offset:         104
        .size:           4
        .value_kind:     hidden_block_count_x
      - .offset:         108
        .size:           4
        .value_kind:     hidden_block_count_y
      - .offset:         112
        .size:           4
        .value_kind:     hidden_block_count_z
      - .offset:         116
        .size:           2
        .value_kind:     hidden_group_size_x
      - .offset:         118
        .size:           2
        .value_kind:     hidden_group_size_y
      - .offset:         120
        .size:           2
        .value_kind:     hidden_group_size_z
      - .offset:         122
        .size:           2
        .value_kind:     hidden_remainder_x
      - .offset:         124
        .size:           2
        .value_kind:     hidden_remainder_y
      - .offset:         126
        .size:           2
        .value_kind:     hidden_remainder_z
      - .offset:         144
        .size:           8
        .value_kind:     hidden_global_offset_x
      - .offset:         152
        .size:           8
        .value_kind:     hidden_global_offset_y
      - .offset:         160
        .size:           8
        .value_kind:     hidden_global_offset_z
      - .offset:         168
        .size:           2
        .value_kind:     hidden_grid_dims
    .group_segment_fixed_size: 512
    .kernarg_segment_align: 8
    .kernarg_segment_size: 360
    .language:       OpenCL C
    .language_version:
      - 2
      - 0
    .max_flat_workgroup_size: 256
    .name:           _ZL23rocblas_gemvt_sn_kernelILb0ELi256ELi4EldPKddEviiT4_lPKT3_lilS5_lilPT5_i
    .private_segment_fixed_size: 0
    .sgpr_count:     76
    .sgpr_spill_count: 0
    .symbol:         _ZL23rocblas_gemvt_sn_kernelILb0ELi256ELi4EldPKddEviiT4_lPKT3_lilS5_lilPT5_i.kd
    .uniform_work_group_size: 1
    .uses_dynamic_stack: false
    .vgpr_count:     82
    .vgpr_spill_count: 0
    .wavefront_size: 64
  - .agpr_count:     0
    .args:
      - .offset:         0
        .size:           4
        .value_kind:     by_value
      - .address_space:  global
        .offset:         8
        .size:           8
        .value_kind:     global_buffer
      - .offset:         16
        .size:           8
        .value_kind:     by_value
      - .address_space:  global
        .offset:         24
        .size:           8
        .value_kind:     global_buffer
      - .offset:         32
        .size:           8
        .value_kind:     by_value
      - .offset:         40
        .size:           4
        .value_kind:     by_value
      - .offset:         48
        .size:           8
        .value_kind:     by_value
      - .actual_access:  read_only
        .address_space:  global
        .offset:         56
        .size:           8
        .value_kind:     global_buffer
      - .offset:         64
        .size:           4
        .value_kind:     by_value
      - .offset:         72
        .size:           4
        .value_kind:     hidden_block_count_x
      - .offset:         76
        .size:           4
        .value_kind:     hidden_block_count_y
      - .offset:         80
        .size:           4
        .value_kind:     hidden_block_count_z
      - .offset:         84
        .size:           2
        .value_kind:     hidden_group_size_x
      - .offset:         86
        .size:           2
        .value_kind:     hidden_group_size_y
      - .offset:         88
        .size:           2
        .value_kind:     hidden_group_size_z
      - .offset:         90
        .size:           2
        .value_kind:     hidden_remainder_x
      - .offset:         92
        .size:           2
        .value_kind:     hidden_remainder_y
      - .offset:         94
        .size:           2
        .value_kind:     hidden_remainder_z
      - .offset:         112
        .size:           8
        .value_kind:     hidden_global_offset_x
      - .offset:         120
        .size:           8
        .value_kind:     hidden_global_offset_y
      - .offset:         128
        .size:           8
        .value_kind:     hidden_global_offset_z
      - .offset:         136
        .size:           2
        .value_kind:     hidden_grid_dims
    .group_segment_fixed_size: 512
    .kernarg_segment_align: 8
    .kernarg_segment_size: 328
    .language:       OpenCL C
    .language_version:
      - 2
      - 0
    .max_flat_workgroup_size: 256
    .name:           _ZL23rocblas_gemvt_sn_reduceILi256ELi8EdPKddEviT2_lPT3_lilPT1_i
    .private_segment_fixed_size: 0
    .sgpr_count:     29
    .sgpr_spill_count: 0
    .symbol:         _ZL23rocblas_gemvt_sn_reduceILi256ELi8EdPKddEviT2_lPT3_lilPT1_i.kd
    .uniform_work_group_size: 1
    .uses_dynamic_stack: false
    .vgpr_count:     22
    .vgpr_spill_count: 0
    .wavefront_size: 64
  - .agpr_count:     0
    .args:
      - .offset:         0
        .size:           4
        .value_kind:     by_value
      - .offset:         4
        .size:           4
        .value_kind:     by_value
      - .offset:         8
        .size:           8
        .value_kind:     by_value
      - .offset:         16
        .size:           8
        .value_kind:     by_value
      - .address_space:  global
        .offset:         24
        .size:           8
        .value_kind:     global_buffer
      - .offset:         32
        .size:           8
        .value_kind:     by_value
      - .offset:         40
        .size:           4
        .value_kind:     by_value
      - .offset:         48
        .size:           8
        .value_kind:     by_value
      - .address_space:  global
        .offset:         56
        .size:           8
        .value_kind:     global_buffer
      - .offset:         64
        .size:           8
        .value_kind:     by_value
      - .offset:         72
        .size:           4
        .value_kind:     by_value
      - .offset:         80
        .size:           8
        .value_kind:     by_value
      - .address_space:  global
        .offset:         88
        .size:           8
        .value_kind:     global_buffer
      - .offset:         96
        .size:           4
        .value_kind:     by_value
      - .offset:         104
        .size:           4
        .value_kind:     hidden_block_count_x
      - .offset:         108
        .size:           4
        .value_kind:     hidden_block_count_y
      - .offset:         112
        .size:           4
        .value_kind:     hidden_block_count_z
      - .offset:         116
        .size:           2
        .value_kind:     hidden_group_size_x
      - .offset:         118
        .size:           2
        .value_kind:     hidden_group_size_y
      - .offset:         120
        .size:           2
        .value_kind:     hidden_group_size_z
      - .offset:         122
        .size:           2
        .value_kind:     hidden_remainder_x
      - .offset:         124
        .size:           2
        .value_kind:     hidden_remainder_y
      - .offset:         126
        .size:           2
        .value_kind:     hidden_remainder_z
      - .offset:         144
        .size:           8
        .value_kind:     hidden_global_offset_x
      - .offset:         152
        .size:           8
        .value_kind:     hidden_global_offset_y
      - .offset:         160
        .size:           8
        .value_kind:     hidden_global_offset_z
      - .offset:         168
        .size:           2
        .value_kind:     hidden_grid_dims
    .group_segment_fixed_size: 512
    .kernarg_segment_align: 8
    .kernarg_segment_size: 360
    .language:       OpenCL C
    .language_version:
      - 2
      - 0
    .max_flat_workgroup_size: 256
    .name:           _ZL23rocblas_gemvt_sn_kernelILb0ELi256ELi4EidddEviiT4_lPKT3_lilS3_lilPT5_i
    .private_segment_fixed_size: 0
    .sgpr_count:     70
    .sgpr_spill_count: 0
    .symbol:         _ZL23rocblas_gemvt_sn_kernelILb0ELi256ELi4EidddEviiT4_lPKT3_lilS3_lilPT5_i.kd
    .uniform_work_group_size: 1
    .uses_dynamic_stack: false
    .vgpr_count:     80
    .vgpr_spill_count: 0
    .wavefront_size: 64
  - .agpr_count:     0
    .args:
      - .offset:         0
        .size:           4
        .value_kind:     by_value
      - .offset:         4
        .size:           4
        .value_kind:     by_value
      - .offset:         8
        .size:           8
        .value_kind:     by_value
      - .offset:         16
        .size:           8
        .value_kind:     by_value
      - .address_space:  global
        .offset:         24
        .size:           8
        .value_kind:     global_buffer
      - .offset:         32
        .size:           8
        .value_kind:     by_value
      - .offset:         40
        .size:           4
        .value_kind:     by_value
      - .offset:         48
        .size:           8
        .value_kind:     by_value
      - .address_space:  global
        .offset:         56
        .size:           8
        .value_kind:     global_buffer
      - .offset:         64
        .size:           8
        .value_kind:     by_value
      - .offset:         72
        .size:           4
        .value_kind:     by_value
      - .offset:         80
        .size:           8
        .value_kind:     by_value
      - .address_space:  global
        .offset:         88
        .size:           8
        .value_kind:     global_buffer
      - .offset:         96
        .size:           4
        .value_kind:     by_value
      - .offset:         104
        .size:           4
        .value_kind:     hidden_block_count_x
      - .offset:         108
        .size:           4
        .value_kind:     hidden_block_count_y
      - .offset:         112
        .size:           4
        .value_kind:     hidden_block_count_z
      - .offset:         116
        .size:           2
        .value_kind:     hidden_group_size_x
      - .offset:         118
        .size:           2
        .value_kind:     hidden_group_size_y
      - .offset:         120
        .size:           2
        .value_kind:     hidden_group_size_z
      - .offset:         122
        .size:           2
        .value_kind:     hidden_remainder_x
      - .offset:         124
        .size:           2
        .value_kind:     hidden_remainder_y
      - .offset:         126
        .size:           2
        .value_kind:     hidden_remainder_z
      - .offset:         144
        .size:           8
        .value_kind:     hidden_global_offset_x
      - .offset:         152
        .size:           8
        .value_kind:     hidden_global_offset_y
      - .offset:         160
        .size:           8
        .value_kind:     hidden_global_offset_z
      - .offset:         168
        .size:           2
        .value_kind:     hidden_grid_dims
    .group_segment_fixed_size: 512
    .kernarg_segment_align: 8
    .kernarg_segment_size: 360
    .language:       OpenCL C
    .language_version:
      - 2
      - 0
    .max_flat_workgroup_size: 256
    .name:           _ZL23rocblas_gemvt_sn_kernelILb0ELi256ELi4EldddEviiT4_lPKT3_lilS3_lilPT5_i
    .private_segment_fixed_size: 0
    .sgpr_count:     76
    .sgpr_spill_count: 0
    .symbol:         _ZL23rocblas_gemvt_sn_kernelILb0ELi256ELi4EldddEviiT4_lPKT3_lilS3_lilPT5_i.kd
    .uniform_work_group_size: 1
    .uses_dynamic_stack: false
    .vgpr_count:     82
    .vgpr_spill_count: 0
    .wavefront_size: 64
  - .agpr_count:     0
    .args:
      - .offset:         0
        .size:           4
        .value_kind:     by_value
      - .offset:         8
        .size:           8
        .value_kind:     by_value
      - .offset:         16
        .size:           8
        .value_kind:     by_value
      - .address_space:  global
        .offset:         24
        .size:           8
        .value_kind:     global_buffer
      - .offset:         32
        .size:           8
        .value_kind:     by_value
      - .offset:         40
        .size:           4
        .value_kind:     by_value
      - .offset:         48
        .size:           8
        .value_kind:     by_value
      - .actual_access:  read_only
        .address_space:  global
        .offset:         56
        .size:           8
        .value_kind:     global_buffer
      - .offset:         64
        .size:           4
        .value_kind:     by_value
      - .offset:         72
        .size:           4
        .value_kind:     hidden_block_count_x
      - .offset:         76
        .size:           4
        .value_kind:     hidden_block_count_y
      - .offset:         80
        .size:           4
        .value_kind:     hidden_block_count_z
      - .offset:         84
        .size:           2
        .value_kind:     hidden_group_size_x
      - .offset:         86
        .size:           2
        .value_kind:     hidden_group_size_y
      - .offset:         88
        .size:           2
        .value_kind:     hidden_group_size_z
      - .offset:         90
        .size:           2
        .value_kind:     hidden_remainder_x
      - .offset:         92
        .size:           2
        .value_kind:     hidden_remainder_y
      - .offset:         94
        .size:           2
        .value_kind:     hidden_remainder_z
      - .offset:         112
        .size:           8
        .value_kind:     hidden_global_offset_x
      - .offset:         120
        .size:           8
        .value_kind:     hidden_global_offset_y
      - .offset:         128
        .size:           8
        .value_kind:     hidden_global_offset_z
      - .offset:         136
        .size:           2
        .value_kind:     hidden_grid_dims
    .group_segment_fixed_size: 512
    .kernarg_segment_align: 8
    .kernarg_segment_size: 328
    .language:       OpenCL C
    .language_version:
      - 2
      - 0
    .max_flat_workgroup_size: 256
    .name:           _ZL23rocblas_gemvt_sn_reduceILi256ELi8EdddEviT2_lPT3_lilPT1_i
    .private_segment_fixed_size: 0
    .sgpr_count:     23
    .sgpr_spill_count: 0
    .symbol:         _ZL23rocblas_gemvt_sn_reduceILi256ELi8EdddEviT2_lPT3_lilPT1_i.kd
    .uniform_work_group_size: 1
    .uses_dynamic_stack: false
    .vgpr_count:     22
    .vgpr_spill_count: 0
    .wavefront_size: 64
  - .agpr_count:     0
    .args:
      - .offset:         0
        .size:           4
        .value_kind:     by_value
      - .offset:         4
        .size:           4
        .value_kind:     by_value
      - .address_space:  global
        .offset:         8
        .size:           8
        .value_kind:     global_buffer
      - .offset:         16
        .size:           8
        .value_kind:     by_value
      - .address_space:  global
        .offset:         24
        .size:           8
        .value_kind:     global_buffer
      - .offset:         32
        .size:           8
        .value_kind:     by_value
      - .offset:         40
        .size:           4
        .value_kind:     by_value
      - .offset:         48
        .size:           8
        .value_kind:     by_value
      - .address_space:  global
        .offset:         56
        .size:           8
        .value_kind:     global_buffer
      - .offset:         64
        .size:           8
        .value_kind:     by_value
      - .offset:         72
        .size:           4
        .value_kind:     by_value
      - .offset:         80
        .size:           8
        .value_kind:     by_value
      - .address_space:  global
        .offset:         88
        .size:           8
        .value_kind:     global_buffer
      - .offset:         96
        .size:           8
        .value_kind:     by_value
      - .offset:         104
        .size:           4
        .value_kind:     by_value
      - .offset:         112
        .size:           8
        .value_kind:     by_value
      - .offset:         120
        .size:           4
        .value_kind:     by_value
      - .offset:         128
        .size:           4
        .value_kind:     hidden_block_count_x
      - .offset:         132
        .size:           4
        .value_kind:     hidden_block_count_y
      - .offset:         136
        .size:           4
        .value_kind:     hidden_block_count_z
      - .offset:         140
        .size:           2
        .value_kind:     hidden_group_size_x
      - .offset:         142
        .size:           2
        .value_kind:     hidden_group_size_y
      - .offset:         144
        .size:           2
        .value_kind:     hidden_group_size_z
      - .offset:         146
        .size:           2
        .value_kind:     hidden_remainder_x
      - .offset:         148
        .size:           2
        .value_kind:     hidden_remainder_y
      - .offset:         150
        .size:           2
        .value_kind:     hidden_remainder_z
      - .offset:         168
        .size:           8
        .value_kind:     hidden_global_offset_x
      - .offset:         176
        .size:           8
        .value_kind:     hidden_global_offset_y
      - .offset:         184
        .size:           8
        .value_kind:     hidden_global_offset_z
      - .offset:         192
        .size:           2
        .value_kind:     hidden_grid_dims
    .group_segment_fixed_size: 65536
    .kernarg_segment_align: 8
    .kernarg_segment_size: 384
    .language:       OpenCL C
    .language_version:
      - 2
      - 0
    .max_flat_workgroup_size: 512
    .name:           _ZL36rocblas_gemvt_double_buffered_kernelILb0ELi128ELi4ELi16EdPKddEviiT4_lPKT3_lilS5_lilPT5_lili
    .private_segment_fixed_size: 0
    .sgpr_count:     46
    .sgpr_spill_count: 0
    .symbol:         _ZL36rocblas_gemvt_double_buffered_kernelILb0ELi128ELi4ELi16EdPKddEviiT4_lPKT3_lilS5_lilPT5_lili.kd
    .uniform_work_group_size: 1
    .uses_dynamic_stack: false
    .vgpr_count:     176
    .vgpr_spill_count: 0
    .wavefront_size: 64
  - .agpr_count:     0
    .args:
      - .offset:         0
        .size:           4
        .value_kind:     by_value
      - .offset:         4
        .size:           4
        .value_kind:     by_value
      - .offset:         8
        .size:           8
        .value_kind:     by_value
      - .offset:         16
        .size:           8
        .value_kind:     by_value
      - .address_space:  global
        .offset:         24
        .size:           8
        .value_kind:     global_buffer
      - .offset:         32
        .size:           8
        .value_kind:     by_value
      - .offset:         40
        .size:           4
        .value_kind:     by_value
      - .offset:         48
        .size:           8
        .value_kind:     by_value
      - .address_space:  global
        .offset:         56
        .size:           8
        .value_kind:     global_buffer
      - .offset:         64
        .size:           8
        .value_kind:     by_value
      - .offset:         72
        .size:           4
        .value_kind:     by_value
      - .offset:         80
        .size:           8
        .value_kind:     by_value
      - .address_space:  global
        .offset:         88
        .size:           8
        .value_kind:     global_buffer
      - .offset:         96
        .size:           8
        .value_kind:     by_value
      - .offset:         104
        .size:           4
        .value_kind:     by_value
      - .offset:         112
        .size:           8
        .value_kind:     by_value
      - .offset:         120
        .size:           4
        .value_kind:     by_value
      - .offset:         128
        .size:           4
        .value_kind:     hidden_block_count_x
      - .offset:         132
        .size:           4
        .value_kind:     hidden_block_count_y
      - .offset:         136
        .size:           4
        .value_kind:     hidden_block_count_z
      - .offset:         140
        .size:           2
        .value_kind:     hidden_group_size_x
      - .offset:         142
        .size:           2
        .value_kind:     hidden_group_size_y
      - .offset:         144
        .size:           2
        .value_kind:     hidden_group_size_z
      - .offset:         146
        .size:           2
        .value_kind:     hidden_remainder_x
      - .offset:         148
        .size:           2
        .value_kind:     hidden_remainder_y
      - .offset:         150
        .size:           2
        .value_kind:     hidden_remainder_z
      - .offset:         168
        .size:           8
        .value_kind:     hidden_global_offset_x
      - .offset:         176
        .size:           8
        .value_kind:     hidden_global_offset_y
      - .offset:         184
        .size:           8
        .value_kind:     hidden_global_offset_z
      - .offset:         192
        .size:           2
        .value_kind:     hidden_grid_dims
    .group_segment_fixed_size: 65536
    .kernarg_segment_align: 8
    .kernarg_segment_size: 384
    .language:       OpenCL C
    .language_version:
      - 2
      - 0
    .max_flat_workgroup_size: 512
    .name:           _ZL36rocblas_gemvt_double_buffered_kernelILb0ELi128ELi4ELi16EdddEviiT4_lPKT3_lilS3_lilPT5_lili
    .private_segment_fixed_size: 0
    .sgpr_count:     46
    .sgpr_spill_count: 0
    .symbol:         _ZL36rocblas_gemvt_double_buffered_kernelILb0ELi128ELi4ELi16EdddEviiT4_lPKT3_lilS3_lilPT5_lili.kd
    .uniform_work_group_size: 1
    .uses_dynamic_stack: false
    .vgpr_count:     176
    .vgpr_spill_count: 0
    .wavefront_size: 64
  - .agpr_count:     0
    .args:
      - .offset:         0
        .size:           4
        .value_kind:     by_value
      - .offset:         4
        .size:           4
        .value_kind:     by_value
      - .address_space:  global
        .offset:         8
        .size:           8
        .value_kind:     global_buffer
      - .offset:         16
        .size:           8
        .value_kind:     by_value
      - .address_space:  global
        .offset:         24
        .size:           8
        .value_kind:     global_buffer
      - .offset:         32
        .size:           8
        .value_kind:     by_value
      - .offset:         40
        .size:           4
        .value_kind:     by_value
      - .offset:         48
        .size:           8
        .value_kind:     by_value
      - .address_space:  global
        .offset:         56
        .size:           8
        .value_kind:     global_buffer
      - .offset:         64
        .size:           8
        .value_kind:     by_value
      - .offset:         72
        .size:           4
        .value_kind:     by_value
      - .offset:         80
        .size:           8
        .value_kind:     by_value
      - .address_space:  global
        .offset:         88
        .size:           8
        .value_kind:     global_buffer
      - .offset:         96
        .size:           8
        .value_kind:     by_value
      - .address_space:  global
        .offset:         104
        .size:           8
        .value_kind:     global_buffer
      - .offset:         112
        .size:           8
        .value_kind:     by_value
      - .offset:         120
        .size:           4
        .value_kind:     by_value
      - .offset:         128
        .size:           8
        .value_kind:     by_value
      - .offset:         136
        .size:           4
        .value_kind:     by_value
    .group_segment_fixed_size: 512
    .kernarg_segment_align: 8
    .kernarg_segment_size: 140
    .language:       OpenCL C
    .language_version:
      - 2
      - 0
    .max_flat_workgroup_size: 256
    .name:           _ZL32rocblas_gemvt_warp_reduce_kernelILb0ELi256EidPKddEviiT3_lPKT2_lT1_lS5_lS6_lS2_lPT4_lS6_li
    .private_segment_fixed_size: 0
    .sgpr_count:     38
    .sgpr_spill_count: 0
    .symbol:         _ZL32rocblas_gemvt_warp_reduce_kernelILb0ELi256EidPKddEviiT3_lPKT2_lT1_lS5_lS6_lS2_lPT4_lS6_li.kd
    .uniform_work_group_size: 1
    .uses_dynamic_stack: false
    .vgpr_count:     14
    .vgpr_spill_count: 0
    .wavefront_size: 64
  - .agpr_count:     0
    .args:
      - .offset:         0
        .size:           4
        .value_kind:     by_value
      - .offset:         4
        .size:           4
        .value_kind:     by_value
      - .address_space:  global
        .offset:         8
        .size:           8
        .value_kind:     global_buffer
      - .offset:         16
        .size:           8
        .value_kind:     by_value
      - .address_space:  global
        .offset:         24
        .size:           8
        .value_kind:     global_buffer
      - .offset:         32
        .size:           8
        .value_kind:     by_value
      - .offset:         40
        .size:           8
        .value_kind:     by_value
      - .offset:         48
        .size:           8
        .value_kind:     by_value
      - .address_space:  global
        .offset:         56
        .size:           8
        .value_kind:     global_buffer
      - .offset:         64
        .size:           8
        .value_kind:     by_value
      - .offset:         72
        .size:           8
        .value_kind:     by_value
      - .offset:         80
        .size:           8
        .value_kind:     by_value
      - .address_space:  global
        .offset:         88
        .size:           8
        .value_kind:     global_buffer
      - .offset:         96
        .size:           8
        .value_kind:     by_value
      - .address_space:  global
        .offset:         104
        .size:           8
        .value_kind:     global_buffer
      - .offset:         112
        .size:           8
        .value_kind:     by_value
      - .offset:         120
        .size:           8
        .value_kind:     by_value
      - .offset:         128
        .size:           8
        .value_kind:     by_value
      - .offset:         136
        .size:           4
        .value_kind:     by_value
    .group_segment_fixed_size: 512
    .kernarg_segment_align: 8
    .kernarg_segment_size: 140
    .language:       OpenCL C
    .language_version:
      - 2
      - 0
    .max_flat_workgroup_size: 256
    .name:           _ZL32rocblas_gemvt_warp_reduce_kernelILb0ELi256EldPKddEviiT3_lPKT2_lT1_lS5_lS6_lS2_lPT4_lS6_li
    .private_segment_fixed_size: 0
    .sgpr_count:     58
    .sgpr_spill_count: 0
    .symbol:         _ZL32rocblas_gemvt_warp_reduce_kernelILb0ELi256EldPKddEviiT3_lPKT2_lT1_lS5_lS6_lS2_lPT4_lS6_li.kd
    .uniform_work_group_size: 1
    .uses_dynamic_stack: false
    .vgpr_count:     14
    .vgpr_spill_count: 0
    .wavefront_size: 64
  - .agpr_count:     0
    .args:
      - .offset:         0
        .size:           4
        .value_kind:     by_value
      - .offset:         4
        .size:           4
        .value_kind:     by_value
      - .offset:         8
        .size:           8
        .value_kind:     by_value
      - .offset:         16
        .size:           8
        .value_kind:     by_value
      - .address_space:  global
        .offset:         24
        .size:           8
        .value_kind:     global_buffer
      - .offset:         32
        .size:           8
        .value_kind:     by_value
      - .offset:         40
        .size:           4
        .value_kind:     by_value
      - .offset:         48
        .size:           8
        .value_kind:     by_value
      - .address_space:  global
        .offset:         56
        .size:           8
        .value_kind:     global_buffer
      - .offset:         64
        .size:           8
        .value_kind:     by_value
      - .offset:         72
        .size:           4
        .value_kind:     by_value
      - .offset:         80
        .size:           8
        .value_kind:     by_value
      - .offset:         88
        .size:           8
        .value_kind:     by_value
      - .offset:         96
        .size:           8
        .value_kind:     by_value
      - .address_space:  global
        .offset:         104
        .size:           8
        .value_kind:     global_buffer
      - .offset:         112
        .size:           8
        .value_kind:     by_value
      - .offset:         120
        .size:           4
        .value_kind:     by_value
      - .offset:         128
        .size:           8
        .value_kind:     by_value
      - .offset:         136
        .size:           4
        .value_kind:     by_value
    .group_segment_fixed_size: 512
    .kernarg_segment_align: 8
    .kernarg_segment_size: 140
    .language:       OpenCL C
    .language_version:
      - 2
      - 0
    .max_flat_workgroup_size: 256
    .name:           _ZL32rocblas_gemvt_warp_reduce_kernelILb0ELi256EidddEviiT3_lPKT2_lT1_lS3_lS4_lS0_lPT4_lS4_li
    .private_segment_fixed_size: 0
    .sgpr_count:     38
    .sgpr_spill_count: 0
    .symbol:         _ZL32rocblas_gemvt_warp_reduce_kernelILb0ELi256EidddEviiT3_lPKT2_lT1_lS3_lS4_lS0_lPT4_lS4_li.kd
    .uniform_work_group_size: 1
    .uses_dynamic_stack: false
    .vgpr_count:     14
    .vgpr_spill_count: 0
    .wavefront_size: 64
  - .agpr_count:     0
    .args:
      - .offset:         0
        .size:           4
        .value_kind:     by_value
      - .offset:         4
        .size:           4
        .value_kind:     by_value
      - .offset:         8
        .size:           8
        .value_kind:     by_value
      - .offset:         16
        .size:           8
        .value_kind:     by_value
      - .address_space:  global
        .offset:         24
        .size:           8
        .value_kind:     global_buffer
      - .offset:         32
        .size:           8
        .value_kind:     by_value
      - .offset:         40
        .size:           8
        .value_kind:     by_value
      - .offset:         48
        .size:           8
        .value_kind:     by_value
      - .address_space:  global
        .offset:         56
        .size:           8
        .value_kind:     global_buffer
      - .offset:         64
        .size:           8
        .value_kind:     by_value
      - .offset:         72
        .size:           8
        .value_kind:     by_value
      - .offset:         80
        .size:           8
        .value_kind:     by_value
      - .offset:         88
        .size:           8
        .value_kind:     by_value
      - .offset:         96
        .size:           8
        .value_kind:     by_value
      - .address_space:  global
        .offset:         104
        .size:           8
        .value_kind:     global_buffer
      - .offset:         112
        .size:           8
        .value_kind:     by_value
      - .offset:         120
        .size:           8
        .value_kind:     by_value
      - .offset:         128
        .size:           8
        .value_kind:     by_value
      - .offset:         136
        .size:           4
        .value_kind:     by_value
    .group_segment_fixed_size: 512
    .kernarg_segment_align: 8
    .kernarg_segment_size: 140
    .language:       OpenCL C
    .language_version:
      - 2
      - 0
    .max_flat_workgroup_size: 256
    .name:           _ZL32rocblas_gemvt_warp_reduce_kernelILb0ELi256EldddEviiT3_lPKT2_lT1_lS3_lS4_lS0_lPT4_lS4_li
    .private_segment_fixed_size: 0
    .sgpr_count:     37
    .sgpr_spill_count: 0
    .symbol:         _ZL32rocblas_gemvt_warp_reduce_kernelILb0ELi256EldddEviiT3_lPKT2_lT1_lS3_lS4_lS0_lPT4_lS4_li.kd
    .uniform_work_group_size: 1
    .uses_dynamic_stack: false
    .vgpr_count:     14
    .vgpr_spill_count: 0
    .wavefront_size: 64
  - .agpr_count:     0
    .args:
      - .offset:         0
        .size:           4
        .value_kind:     by_value
      - .offset:         4
        .size:           4
        .value_kind:     by_value
      - .address_space:  global
        .offset:         8
        .size:           8
        .value_kind:     global_buffer
      - .offset:         16
        .size:           8
        .value_kind:     by_value
      - .address_space:  global
        .offset:         24
        .size:           8
        .value_kind:     global_buffer
      - .offset:         32
        .size:           8
        .value_kind:     by_value
      - .offset:         40
        .size:           4
        .value_kind:     by_value
      - .offset:         48
        .size:           8
        .value_kind:     by_value
      - .address_space:  global
        .offset:         56
        .size:           8
        .value_kind:     global_buffer
      - .offset:         64
        .size:           8
        .value_kind:     by_value
      - .offset:         72
        .size:           4
        .value_kind:     by_value
      - .offset:         80
        .size:           8
        .value_kind:     by_value
      - .address_space:  global
        .offset:         88
        .size:           8
        .value_kind:     global_buffer
      - .offset:         96
        .size:           8
        .value_kind:     by_value
      - .address_space:  global
        .offset:         104
        .size:           8
        .value_kind:     global_buffer
      - .offset:         112
        .size:           8
        .value_kind:     by_value
      - .offset:         120
        .size:           4
        .value_kind:     by_value
      - .offset:         128
        .size:           8
        .value_kind:     by_value
      - .offset:         136
        .size:           4
        .value_kind:     by_value
    .group_segment_fixed_size: 2048
    .kernarg_segment_align: 8
    .kernarg_segment_size: 140
    .language:       OpenCL C
    .language_version:
      - 2
      - 0
    .max_flat_workgroup_size: 256
    .name:           _ZL20rocblas_gemvt_kernelILb0ELi256EdPKddEviiT2_lPKT1_lilS5_lilS2_lPT3_lili
    .private_segment_fixed_size: 0
    .sgpr_count:     34
    .sgpr_spill_count: 0
    .symbol:         _ZL20rocblas_gemvt_kernelILb0ELi256EdPKddEviiT2_lPKT1_lilS5_lilS2_lPT3_lili.kd
    .uniform_work_group_size: 1
    .uses_dynamic_stack: false
    .vgpr_count:     14
    .vgpr_spill_count: 0
    .wavefront_size: 64
  - .agpr_count:     0
    .args:
      - .offset:         0
        .size:           4
        .value_kind:     by_value
      - .offset:         4
        .size:           4
        .value_kind:     by_value
      - .offset:         8
        .size:           8
        .value_kind:     by_value
      - .offset:         16
        .size:           8
        .value_kind:     by_value
      - .address_space:  global
        .offset:         24
        .size:           8
        .value_kind:     global_buffer
      - .offset:         32
        .size:           8
        .value_kind:     by_value
      - .offset:         40
        .size:           4
        .value_kind:     by_value
      - .offset:         48
        .size:           8
        .value_kind:     by_value
      - .address_space:  global
        .offset:         56
        .size:           8
        .value_kind:     global_buffer
      - .offset:         64
        .size:           8
        .value_kind:     by_value
      - .offset:         72
        .size:           4
        .value_kind:     by_value
      - .offset:         80
        .size:           8
        .value_kind:     by_value
      - .offset:         88
        .size:           8
        .value_kind:     by_value
      - .offset:         96
        .size:           8
        .value_kind:     by_value
      - .address_space:  global
        .offset:         104
        .size:           8
        .value_kind:     global_buffer
      - .offset:         112
        .size:           8
        .value_kind:     by_value
      - .offset:         120
        .size:           4
        .value_kind:     by_value
      - .offset:         128
        .size:           8
        .value_kind:     by_value
      - .offset:         136
        .size:           4
        .value_kind:     by_value
    .group_segment_fixed_size: 2048
    .kernarg_segment_align: 8
    .kernarg_segment_size: 140
    .language:       OpenCL C
    .language_version:
      - 2
      - 0
    .max_flat_workgroup_size: 256
    .name:           _ZL20rocblas_gemvt_kernelILb0ELi256EdddEviiT2_lPKT1_lilS3_lilS0_lPT3_lili
    .private_segment_fixed_size: 0
    .sgpr_count:     38
    .sgpr_spill_count: 0
    .symbol:         _ZL20rocblas_gemvt_kernelILb0ELi256EdddEviiT2_lPKT1_lilS3_lilS0_lPT3_lili.kd
    .uniform_work_group_size: 1
    .uses_dynamic_stack: false
    .vgpr_count:     14
    .vgpr_spill_count: 0
    .wavefront_size: 64
  - .agpr_count:     0
    .args:
      - .offset:         0
        .size:           4
        .value_kind:     by_value
      - .offset:         4
        .size:           4
        .value_kind:     by_value
      - .address_space:  global
        .offset:         8
        .size:           8
        .value_kind:     global_buffer
      - .offset:         16
        .size:           8
        .value_kind:     by_value
      - .address_space:  global
        .offset:         24
        .size:           8
        .value_kind:     global_buffer
      - .offset:         32
        .size:           8
        .value_kind:     by_value
      - .offset:         40
        .size:           4
        .value_kind:     by_value
      - .offset:         48
        .size:           8
        .value_kind:     by_value
      - .address_space:  global
        .offset:         56
        .size:           8
        .value_kind:     global_buffer
      - .offset:         64
        .size:           8
        .value_kind:     by_value
      - .offset:         72
        .size:           4
        .value_kind:     by_value
      - .offset:         80
        .size:           8
        .value_kind:     by_value
      - .address_space:  global
        .offset:         88
        .size:           8
        .value_kind:     global_buffer
      - .offset:         96
        .size:           8
        .value_kind:     by_value
      - .address_space:  global
        .offset:         104
        .size:           8
        .value_kind:     global_buffer
      - .offset:         112
        .size:           8
        .value_kind:     by_value
      - .offset:         120
        .size:           4
        .value_kind:     by_value
      - .offset:         128
        .size:           8
        .value_kind:     by_value
      - .offset:         136
        .size:           4
        .value_kind:     by_value
    .group_segment_fixed_size: 512
    .kernarg_segment_align: 8
    .kernarg_segment_size: 140
    .language:       OpenCL C
    .language_version:
      - 2
      - 0
    .max_flat_workgroup_size: 1024
    .name:           _ZL32rocblas_gemvt_warp_reduce_kernelILb0ELi1024EidPKddEviiT3_lPKT2_lT1_lS5_lS6_lS2_lPT4_lS6_li
    .private_segment_fixed_size: 0
    .sgpr_count:     38
    .sgpr_spill_count: 0
    .symbol:         _ZL32rocblas_gemvt_warp_reduce_kernelILb0ELi1024EidPKddEviiT3_lPKT2_lT1_lS5_lS6_lS2_lPT4_lS6_li.kd
    .uniform_work_group_size: 1
    .uses_dynamic_stack: false
    .vgpr_count:     14
    .vgpr_spill_count: 0
    .wavefront_size: 64
  - .agpr_count:     0
    .args:
      - .offset:         0
        .size:           4
        .value_kind:     by_value
      - .offset:         4
        .size:           4
        .value_kind:     by_value
      - .address_space:  global
        .offset:         8
        .size:           8
        .value_kind:     global_buffer
      - .offset:         16
        .size:           8
        .value_kind:     by_value
      - .address_space:  global
        .offset:         24
        .size:           8
        .value_kind:     global_buffer
      - .offset:         32
        .size:           8
        .value_kind:     by_value
      - .offset:         40
        .size:           8
        .value_kind:     by_value
      - .offset:         48
        .size:           8
        .value_kind:     by_value
      - .address_space:  global
        .offset:         56
        .size:           8
        .value_kind:     global_buffer
      - .offset:         64
        .size:           8
        .value_kind:     by_value
      - .offset:         72
        .size:           8
        .value_kind:     by_value
      - .offset:         80
        .size:           8
        .value_kind:     by_value
      - .address_space:  global
        .offset:         88
        .size:           8
        .value_kind:     global_buffer
      - .offset:         96
        .size:           8
        .value_kind:     by_value
      - .address_space:  global
        .offset:         104
        .size:           8
        .value_kind:     global_buffer
      - .offset:         112
        .size:           8
        .value_kind:     by_value
      - .offset:         120
        .size:           8
        .value_kind:     by_value
      - .offset:         128
        .size:           8
        .value_kind:     by_value
      - .offset:         136
        .size:           4
        .value_kind:     by_value
    .group_segment_fixed_size: 512
    .kernarg_segment_align: 8
    .kernarg_segment_size: 140
    .language:       OpenCL C
    .language_version:
      - 2
      - 0
    .max_flat_workgroup_size: 1024
    .name:           _ZL32rocblas_gemvt_warp_reduce_kernelILb0ELi1024EldPKddEviiT3_lPKT2_lT1_lS5_lS6_lS2_lPT4_lS6_li
    .private_segment_fixed_size: 0
    .sgpr_count:     58
    .sgpr_spill_count: 0
    .symbol:         _ZL32rocblas_gemvt_warp_reduce_kernelILb0ELi1024EldPKddEviiT3_lPKT2_lT1_lS5_lS6_lS2_lPT4_lS6_li.kd
    .uniform_work_group_size: 1
    .uses_dynamic_stack: false
    .vgpr_count:     14
    .vgpr_spill_count: 0
    .wavefront_size: 64
  - .agpr_count:     0
    .args:
      - .offset:         0
        .size:           4
        .value_kind:     by_value
      - .offset:         4
        .size:           4
        .value_kind:     by_value
      - .offset:         8
        .size:           8
        .value_kind:     by_value
      - .offset:         16
        .size:           8
        .value_kind:     by_value
      - .address_space:  global
        .offset:         24
        .size:           8
        .value_kind:     global_buffer
      - .offset:         32
        .size:           8
        .value_kind:     by_value
      - .offset:         40
        .size:           4
        .value_kind:     by_value
      - .offset:         48
        .size:           8
        .value_kind:     by_value
      - .address_space:  global
        .offset:         56
        .size:           8
        .value_kind:     global_buffer
      - .offset:         64
        .size:           8
        .value_kind:     by_value
      - .offset:         72
        .size:           4
        .value_kind:     by_value
      - .offset:         80
        .size:           8
        .value_kind:     by_value
      - .offset:         88
        .size:           8
        .value_kind:     by_value
      - .offset:         96
        .size:           8
        .value_kind:     by_value
      - .address_space:  global
        .offset:         104
        .size:           8
        .value_kind:     global_buffer
      - .offset:         112
        .size:           8
        .value_kind:     by_value
      - .offset:         120
        .size:           4
        .value_kind:     by_value
      - .offset:         128
        .size:           8
        .value_kind:     by_value
      - .offset:         136
        .size:           4
        .value_kind:     by_value
    .group_segment_fixed_size: 512
    .kernarg_segment_align: 8
    .kernarg_segment_size: 140
    .language:       OpenCL C
    .language_version:
      - 2
      - 0
    .max_flat_workgroup_size: 1024
    .name:           _ZL32rocblas_gemvt_warp_reduce_kernelILb0ELi1024EidddEviiT3_lPKT2_lT1_lS3_lS4_lS0_lPT4_lS4_li
    .private_segment_fixed_size: 0
    .sgpr_count:     38
    .sgpr_spill_count: 0
    .symbol:         _ZL32rocblas_gemvt_warp_reduce_kernelILb0ELi1024EidddEviiT3_lPKT2_lT1_lS3_lS4_lS0_lPT4_lS4_li.kd
    .uniform_work_group_size: 1
    .uses_dynamic_stack: false
    .vgpr_count:     14
    .vgpr_spill_count: 0
    .wavefront_size: 64
  - .agpr_count:     0
    .args:
      - .offset:         0
        .size:           4
        .value_kind:     by_value
      - .offset:         4
        .size:           4
        .value_kind:     by_value
      - .offset:         8
        .size:           8
        .value_kind:     by_value
      - .offset:         16
        .size:           8
        .value_kind:     by_value
      - .address_space:  global
        .offset:         24
        .size:           8
        .value_kind:     global_buffer
      - .offset:         32
        .size:           8
        .value_kind:     by_value
      - .offset:         40
        .size:           8
        .value_kind:     by_value
      - .offset:         48
        .size:           8
        .value_kind:     by_value
      - .address_space:  global
        .offset:         56
        .size:           8
        .value_kind:     global_buffer
      - .offset:         64
        .size:           8
        .value_kind:     by_value
      - .offset:         72
        .size:           8
        .value_kind:     by_value
      - .offset:         80
        .size:           8
        .value_kind:     by_value
      - .offset:         88
        .size:           8
        .value_kind:     by_value
      - .offset:         96
        .size:           8
        .value_kind:     by_value
      - .address_space:  global
        .offset:         104
        .size:           8
        .value_kind:     global_buffer
      - .offset:         112
        .size:           8
        .value_kind:     by_value
      - .offset:         120
        .size:           8
        .value_kind:     by_value
      - .offset:         128
        .size:           8
        .value_kind:     by_value
      - .offset:         136
        .size:           4
        .value_kind:     by_value
    .group_segment_fixed_size: 512
    .kernarg_segment_align: 8
    .kernarg_segment_size: 140
    .language:       OpenCL C
    .language_version:
      - 2
      - 0
    .max_flat_workgroup_size: 1024
    .name:           _ZL32rocblas_gemvt_warp_reduce_kernelILb0ELi1024EldddEviiT3_lPKT2_lT1_lS3_lS4_lS0_lPT4_lS4_li
    .private_segment_fixed_size: 0
    .sgpr_count:     37
    .sgpr_spill_count: 0
    .symbol:         _ZL32rocblas_gemvt_warp_reduce_kernelILb0ELi1024EldddEviiT3_lPKT2_lT1_lS3_lS4_lS0_lPT4_lS4_li.kd
    .uniform_work_group_size: 1
    .uses_dynamic_stack: false
    .vgpr_count:     14
    .vgpr_spill_count: 0
    .wavefront_size: 64
  - .agpr_count:     0
    .args:
      - .offset:         0
        .size:           4
        .value_kind:     by_value
      - .offset:         4
        .size:           4
        .value_kind:     by_value
      - .address_space:  global
        .offset:         8
        .size:           8
        .value_kind:     global_buffer
      - .offset:         16
        .size:           8
        .value_kind:     by_value
      - .address_space:  global
        .offset:         24
        .size:           8
        .value_kind:     global_buffer
      - .offset:         32
        .size:           8
        .value_kind:     by_value
      - .offset:         40
        .size:           4
        .value_kind:     by_value
      - .offset:         48
        .size:           8
        .value_kind:     by_value
      - .address_space:  global
        .offset:         56
        .size:           8
        .value_kind:     global_buffer
      - .offset:         64
        .size:           8
        .value_kind:     by_value
      - .offset:         72
        .size:           4
        .value_kind:     by_value
      - .offset:         80
        .size:           8
        .value_kind:     by_value
      - .address_space:  global
        .offset:         88
        .size:           8
        .value_kind:     global_buffer
      - .offset:         96
        .size:           8
        .value_kind:     by_value
      - .address_space:  global
        .offset:         104
        .size:           8
        .value_kind:     global_buffer
      - .offset:         112
        .size:           8
        .value_kind:     by_value
      - .offset:         120
        .size:           4
        .value_kind:     by_value
      - .offset:         128
        .size:           8
        .value_kind:     by_value
    .group_segment_fixed_size: 512
    .kernarg_segment_align: 8
    .kernarg_segment_size: 136
    .language:       OpenCL C
    .language_version:
      - 2
      - 0
    .max_flat_workgroup_size: 256
    .name:           _ZL22rocblas_gemvtsm_kernelILb1ELi256EdPKddEviiT2_lPKT1_lilS5_lilS2_lPT3_lil
    .private_segment_fixed_size: 0
    .sgpr_count:     38
    .sgpr_spill_count: 0
    .symbol:         _ZL22rocblas_gemvtsm_kernelILb1ELi256EdPKddEviiT2_lPKT1_lilS5_lilS2_lPT3_lil.kd
    .uniform_work_group_size: 1
    .uses_dynamic_stack: false
    .vgpr_count:     44
    .vgpr_spill_count: 0
    .wavefront_size: 64
  - .agpr_count:     0
    .args:
      - .offset:         0
        .size:           4
        .value_kind:     by_value
      - .offset:         4
        .size:           4
        .value_kind:     by_value
      - .offset:         8
        .size:           8
        .value_kind:     by_value
      - .offset:         16
        .size:           8
        .value_kind:     by_value
      - .address_space:  global
        .offset:         24
        .size:           8
        .value_kind:     global_buffer
      - .offset:         32
        .size:           8
        .value_kind:     by_value
      - .offset:         40
        .size:           4
        .value_kind:     by_value
      - .offset:         48
        .size:           8
        .value_kind:     by_value
      - .address_space:  global
        .offset:         56
        .size:           8
        .value_kind:     global_buffer
      - .offset:         64
        .size:           8
        .value_kind:     by_value
      - .offset:         72
        .size:           4
        .value_kind:     by_value
      - .offset:         80
        .size:           8
        .value_kind:     by_value
      - .offset:         88
        .size:           8
        .value_kind:     by_value
      - .offset:         96
        .size:           8
        .value_kind:     by_value
      - .address_space:  global
        .offset:         104
        .size:           8
        .value_kind:     global_buffer
      - .offset:         112
        .size:           8
        .value_kind:     by_value
      - .offset:         120
        .size:           4
        .value_kind:     by_value
      - .offset:         128
        .size:           8
        .value_kind:     by_value
    .group_segment_fixed_size: 512
    .kernarg_segment_align: 8
    .kernarg_segment_size: 136
    .language:       OpenCL C
    .language_version:
      - 2
      - 0
    .max_flat_workgroup_size: 256
    .name:           _ZL22rocblas_gemvtsm_kernelILb1ELi256EdddEviiT2_lPKT1_lilS3_lilS0_lPT3_lil
    .private_segment_fixed_size: 0
    .sgpr_count:     38
    .sgpr_spill_count: 0
    .symbol:         _ZL22rocblas_gemvtsm_kernelILb1ELi256EdddEviiT2_lPKT1_lilS3_lilS0_lPT3_lil.kd
    .uniform_work_group_size: 1
    .uses_dynamic_stack: false
    .vgpr_count:     44
    .vgpr_spill_count: 0
    .wavefront_size: 64
  - .agpr_count:     0
    .args:
      - .offset:         0
        .size:           4
        .value_kind:     by_value
      - .offset:         4
        .size:           4
        .value_kind:     by_value
      - .address_space:  global
        .offset:         8
        .size:           8
        .value_kind:     global_buffer
      - .offset:         16
        .size:           8
        .value_kind:     by_value
      - .address_space:  global
        .offset:         24
        .size:           8
        .value_kind:     global_buffer
      - .offset:         32
        .size:           8
        .value_kind:     by_value
      - .offset:         40
        .size:           4
        .value_kind:     by_value
      - .offset:         48
        .size:           8
        .value_kind:     by_value
      - .address_space:  global
        .offset:         56
        .size:           8
        .value_kind:     global_buffer
      - .offset:         64
        .size:           8
        .value_kind:     by_value
      - .offset:         72
        .size:           4
        .value_kind:     by_value
      - .offset:         80
        .size:           8
        .value_kind:     by_value
      - .address_space:  global
        .offset:         88
        .size:           8
        .value_kind:     global_buffer
      - .offset:         96
        .size:           4
        .value_kind:     by_value
      - .offset:         104
        .size:           4
        .value_kind:     hidden_block_count_x
      - .offset:         108
        .size:           4
        .value_kind:     hidden_block_count_y
      - .offset:         112
        .size:           4
        .value_kind:     hidden_block_count_z
      - .offset:         116
        .size:           2
        .value_kind:     hidden_group_size_x
      - .offset:         118
        .size:           2
        .value_kind:     hidden_group_size_y
      - .offset:         120
        .size:           2
        .value_kind:     hidden_group_size_z
      - .offset:         122
        .size:           2
        .value_kind:     hidden_remainder_x
      - .offset:         124
        .size:           2
        .value_kind:     hidden_remainder_y
      - .offset:         126
        .size:           2
        .value_kind:     hidden_remainder_z
      - .offset:         144
        .size:           8
        .value_kind:     hidden_global_offset_x
      - .offset:         152
        .size:           8
        .value_kind:     hidden_global_offset_y
      - .offset:         160
        .size:           8
        .value_kind:     hidden_global_offset_z
      - .offset:         168
        .size:           2
        .value_kind:     hidden_grid_dims
    .group_segment_fixed_size: 512
    .kernarg_segment_align: 8
    .kernarg_segment_size: 360
    .language:       OpenCL C
    .language_version:
      - 2
      - 0
    .max_flat_workgroup_size: 256
    .name:           _ZL23rocblas_gemvt_sn_kernelILb1ELi256ELi4EidPKddEviiT4_lPKT3_lilS5_lilPT5_i
    .private_segment_fixed_size: 0
    .sgpr_count:     70
    .sgpr_spill_count: 0
    .symbol:         _ZL23rocblas_gemvt_sn_kernelILb1ELi256ELi4EidPKddEviiT4_lPKT3_lilS5_lilPT5_i.kd
    .uniform_work_group_size: 1
    .uses_dynamic_stack: false
    .vgpr_count:     80
    .vgpr_spill_count: 0
    .wavefront_size: 64
  - .agpr_count:     0
    .args:
      - .offset:         0
        .size:           4
        .value_kind:     by_value
      - .offset:         4
        .size:           4
        .value_kind:     by_value
      - .address_space:  global
        .offset:         8
        .size:           8
        .value_kind:     global_buffer
      - .offset:         16
        .size:           8
        .value_kind:     by_value
      - .address_space:  global
        .offset:         24
        .size:           8
        .value_kind:     global_buffer
      - .offset:         32
        .size:           8
        .value_kind:     by_value
      - .offset:         40
        .size:           4
        .value_kind:     by_value
      - .offset:         48
        .size:           8
        .value_kind:     by_value
      - .address_space:  global
        .offset:         56
        .size:           8
        .value_kind:     global_buffer
      - .offset:         64
        .size:           8
        .value_kind:     by_value
      - .offset:         72
        .size:           4
        .value_kind:     by_value
      - .offset:         80
        .size:           8
        .value_kind:     by_value
      - .address_space:  global
        .offset:         88
        .size:           8
        .value_kind:     global_buffer
      - .offset:         96
        .size:           4
        .value_kind:     by_value
      - .offset:         104
        .size:           4
        .value_kind:     hidden_block_count_x
      - .offset:         108
        .size:           4
        .value_kind:     hidden_block_count_y
      - .offset:         112
        .size:           4
        .value_kind:     hidden_block_count_z
      - .offset:         116
        .size:           2
        .value_kind:     hidden_group_size_x
      - .offset:         118
        .size:           2
        .value_kind:     hidden_group_size_y
      - .offset:         120
        .size:           2
        .value_kind:     hidden_group_size_z
      - .offset:         122
        .size:           2
        .value_kind:     hidden_remainder_x
      - .offset:         124
        .size:           2
        .value_kind:     hidden_remainder_y
      - .offset:         126
        .size:           2
        .value_kind:     hidden_remainder_z
      - .offset:         144
        .size:           8
        .value_kind:     hidden_global_offset_x
      - .offset:         152
        .size:           8
        .value_kind:     hidden_global_offset_y
      - .offset:         160
        .size:           8
        .value_kind:     hidden_global_offset_z
      - .offset:         168
        .size:           2
        .value_kind:     hidden_grid_dims
    .group_segment_fixed_size: 512
    .kernarg_segment_align: 8
    .kernarg_segment_size: 360
    .language:       OpenCL C
    .language_version:
      - 2
      - 0
    .max_flat_workgroup_size: 256
    .name:           _ZL23rocblas_gemvt_sn_kernelILb1ELi256ELi4EldPKddEviiT4_lPKT3_lilS5_lilPT5_i
    .private_segment_fixed_size: 0
    .sgpr_count:     76
    .sgpr_spill_count: 0
    .symbol:         _ZL23rocblas_gemvt_sn_kernelILb1ELi256ELi4EldPKddEviiT4_lPKT3_lilS5_lilPT5_i.kd
    .uniform_work_group_size: 1
    .uses_dynamic_stack: false
    .vgpr_count:     82
    .vgpr_spill_count: 0
    .wavefront_size: 64
  - .agpr_count:     0
    .args:
      - .offset:         0
        .size:           4
        .value_kind:     by_value
      - .offset:         4
        .size:           4
        .value_kind:     by_value
      - .offset:         8
        .size:           8
        .value_kind:     by_value
      - .offset:         16
        .size:           8
        .value_kind:     by_value
      - .address_space:  global
        .offset:         24
        .size:           8
        .value_kind:     global_buffer
      - .offset:         32
        .size:           8
        .value_kind:     by_value
      - .offset:         40
        .size:           4
        .value_kind:     by_value
      - .offset:         48
        .size:           8
        .value_kind:     by_value
      - .address_space:  global
        .offset:         56
        .size:           8
        .value_kind:     global_buffer
      - .offset:         64
        .size:           8
        .value_kind:     by_value
      - .offset:         72
        .size:           4
        .value_kind:     by_value
      - .offset:         80
        .size:           8
        .value_kind:     by_value
      - .address_space:  global
        .offset:         88
        .size:           8
        .value_kind:     global_buffer
      - .offset:         96
        .size:           4
        .value_kind:     by_value
      - .offset:         104
        .size:           4
        .value_kind:     hidden_block_count_x
      - .offset:         108
        .size:           4
        .value_kind:     hidden_block_count_y
      - .offset:         112
        .size:           4
        .value_kind:     hidden_block_count_z
      - .offset:         116
        .size:           2
        .value_kind:     hidden_group_size_x
      - .offset:         118
        .size:           2
        .value_kind:     hidden_group_size_y
      - .offset:         120
        .size:           2
        .value_kind:     hidden_group_size_z
      - .offset:         122
        .size:           2
        .value_kind:     hidden_remainder_x
      - .offset:         124
        .size:           2
        .value_kind:     hidden_remainder_y
      - .offset:         126
        .size:           2
        .value_kind:     hidden_remainder_z
      - .offset:         144
        .size:           8
        .value_kind:     hidden_global_offset_x
      - .offset:         152
        .size:           8
        .value_kind:     hidden_global_offset_y
      - .offset:         160
        .size:           8
        .value_kind:     hidden_global_offset_z
      - .offset:         168
        .size:           2
        .value_kind:     hidden_grid_dims
    .group_segment_fixed_size: 512
    .kernarg_segment_align: 8
    .kernarg_segment_size: 360
    .language:       OpenCL C
    .language_version:
      - 2
      - 0
    .max_flat_workgroup_size: 256
    .name:           _ZL23rocblas_gemvt_sn_kernelILb1ELi256ELi4EidddEviiT4_lPKT3_lilS3_lilPT5_i
    .private_segment_fixed_size: 0
    .sgpr_count:     70
    .sgpr_spill_count: 0
    .symbol:         _ZL23rocblas_gemvt_sn_kernelILb1ELi256ELi4EidddEviiT4_lPKT3_lilS3_lilPT5_i.kd
    .uniform_work_group_size: 1
    .uses_dynamic_stack: false
    .vgpr_count:     80
    .vgpr_spill_count: 0
    .wavefront_size: 64
  - .agpr_count:     0
    .args:
      - .offset:         0
        .size:           4
        .value_kind:     by_value
      - .offset:         4
        .size:           4
        .value_kind:     by_value
      - .offset:         8
        .size:           8
        .value_kind:     by_value
      - .offset:         16
        .size:           8
        .value_kind:     by_value
      - .address_space:  global
        .offset:         24
        .size:           8
        .value_kind:     global_buffer
      - .offset:         32
        .size:           8
        .value_kind:     by_value
      - .offset:         40
        .size:           4
        .value_kind:     by_value
      - .offset:         48
        .size:           8
        .value_kind:     by_value
      - .address_space:  global
        .offset:         56
        .size:           8
        .value_kind:     global_buffer
      - .offset:         64
        .size:           8
        .value_kind:     by_value
      - .offset:         72
        .size:           4
        .value_kind:     by_value
      - .offset:         80
        .size:           8
        .value_kind:     by_value
      - .address_space:  global
        .offset:         88
        .size:           8
        .value_kind:     global_buffer
      - .offset:         96
        .size:           4
        .value_kind:     by_value
      - .offset:         104
        .size:           4
        .value_kind:     hidden_block_count_x
      - .offset:         108
        .size:           4
        .value_kind:     hidden_block_count_y
      - .offset:         112
        .size:           4
        .value_kind:     hidden_block_count_z
      - .offset:         116
        .size:           2
        .value_kind:     hidden_group_size_x
      - .offset:         118
        .size:           2
        .value_kind:     hidden_group_size_y
      - .offset:         120
        .size:           2
        .value_kind:     hidden_group_size_z
      - .offset:         122
        .size:           2
        .value_kind:     hidden_remainder_x
      - .offset:         124
        .size:           2
        .value_kind:     hidden_remainder_y
      - .offset:         126
        .size:           2
        .value_kind:     hidden_remainder_z
      - .offset:         144
        .size:           8
        .value_kind:     hidden_global_offset_x
      - .offset:         152
        .size:           8
        .value_kind:     hidden_global_offset_y
      - .offset:         160
        .size:           8
        .value_kind:     hidden_global_offset_z
      - .offset:         168
        .size:           2
        .value_kind:     hidden_grid_dims
    .group_segment_fixed_size: 512
    .kernarg_segment_align: 8
    .kernarg_segment_size: 360
    .language:       OpenCL C
    .language_version:
      - 2
      - 0
    .max_flat_workgroup_size: 256
    .name:           _ZL23rocblas_gemvt_sn_kernelILb1ELi256ELi4EldddEviiT4_lPKT3_lilS3_lilPT5_i
    .private_segment_fixed_size: 0
    .sgpr_count:     76
    .sgpr_spill_count: 0
    .symbol:         _ZL23rocblas_gemvt_sn_kernelILb1ELi256ELi4EldddEviiT4_lPKT3_lilS3_lilPT5_i.kd
    .uniform_work_group_size: 1
    .uses_dynamic_stack: false
    .vgpr_count:     82
    .vgpr_spill_count: 0
    .wavefront_size: 64
  - .agpr_count:     0
    .args:
      - .offset:         0
        .size:           4
        .value_kind:     by_value
      - .offset:         4
        .size:           4
        .value_kind:     by_value
      - .address_space:  global
        .offset:         8
        .size:           8
        .value_kind:     global_buffer
      - .offset:         16
        .size:           8
        .value_kind:     by_value
      - .address_space:  global
        .offset:         24
        .size:           8
        .value_kind:     global_buffer
      - .offset:         32
        .size:           8
        .value_kind:     by_value
      - .offset:         40
        .size:           4
        .value_kind:     by_value
      - .offset:         48
        .size:           8
        .value_kind:     by_value
      - .address_space:  global
        .offset:         56
        .size:           8
        .value_kind:     global_buffer
      - .offset:         64
        .size:           8
        .value_kind:     by_value
      - .offset:         72
        .size:           4
        .value_kind:     by_value
      - .offset:         80
        .size:           8
        .value_kind:     by_value
      - .address_space:  global
        .offset:         88
        .size:           8
        .value_kind:     global_buffer
      - .offset:         96
        .size:           8
        .value_kind:     by_value
      - .offset:         104
        .size:           4
        .value_kind:     by_value
      - .offset:         112
        .size:           8
        .value_kind:     by_value
      - .offset:         120
        .size:           4
        .value_kind:     by_value
      - .offset:         128
        .size:           4
        .value_kind:     hidden_block_count_x
      - .offset:         132
        .size:           4
        .value_kind:     hidden_block_count_y
      - .offset:         136
        .size:           4
        .value_kind:     hidden_block_count_z
      - .offset:         140
        .size:           2
        .value_kind:     hidden_group_size_x
      - .offset:         142
        .size:           2
        .value_kind:     hidden_group_size_y
      - .offset:         144
        .size:           2
        .value_kind:     hidden_group_size_z
      - .offset:         146
        .size:           2
        .value_kind:     hidden_remainder_x
      - .offset:         148
        .size:           2
        .value_kind:     hidden_remainder_y
      - .offset:         150
        .size:           2
        .value_kind:     hidden_remainder_z
      - .offset:         168
        .size:           8
        .value_kind:     hidden_global_offset_x
      - .offset:         176
        .size:           8
        .value_kind:     hidden_global_offset_y
      - .offset:         184
        .size:           8
        .value_kind:     hidden_global_offset_z
      - .offset:         192
        .size:           2
        .value_kind:     hidden_grid_dims
    .group_segment_fixed_size: 65536
    .kernarg_segment_align: 8
    .kernarg_segment_size: 384
    .language:       OpenCL C
    .language_version:
      - 2
      - 0
    .max_flat_workgroup_size: 512
    .name:           _ZL36rocblas_gemvt_double_buffered_kernelILb1ELi128ELi4ELi16EdPKddEviiT4_lPKT3_lilS5_lilPT5_lili
    .private_segment_fixed_size: 0
    .sgpr_count:     46
    .sgpr_spill_count: 0
    .symbol:         _ZL36rocblas_gemvt_double_buffered_kernelILb1ELi128ELi4ELi16EdPKddEviiT4_lPKT3_lilS5_lilPT5_lili.kd
    .uniform_work_group_size: 1
    .uses_dynamic_stack: false
    .vgpr_count:     176
    .vgpr_spill_count: 0
    .wavefront_size: 64
  - .agpr_count:     0
    .args:
      - .offset:         0
        .size:           4
        .value_kind:     by_value
      - .offset:         4
        .size:           4
        .value_kind:     by_value
      - .offset:         8
        .size:           8
        .value_kind:     by_value
      - .offset:         16
        .size:           8
        .value_kind:     by_value
      - .address_space:  global
        .offset:         24
        .size:           8
        .value_kind:     global_buffer
      - .offset:         32
        .size:           8
        .value_kind:     by_value
      - .offset:         40
        .size:           4
        .value_kind:     by_value
      - .offset:         48
        .size:           8
        .value_kind:     by_value
      - .address_space:  global
        .offset:         56
        .size:           8
        .value_kind:     global_buffer
      - .offset:         64
        .size:           8
        .value_kind:     by_value
      - .offset:         72
        .size:           4
        .value_kind:     by_value
      - .offset:         80
        .size:           8
        .value_kind:     by_value
      - .address_space:  global
        .offset:         88
        .size:           8
        .value_kind:     global_buffer
      - .offset:         96
        .size:           8
        .value_kind:     by_value
      - .offset:         104
        .size:           4
        .value_kind:     by_value
      - .offset:         112
        .size:           8
        .value_kind:     by_value
      - .offset:         120
        .size:           4
        .value_kind:     by_value
      - .offset:         128
        .size:           4
        .value_kind:     hidden_block_count_x
      - .offset:         132
        .size:           4
        .value_kind:     hidden_block_count_y
      - .offset:         136
        .size:           4
        .value_kind:     hidden_block_count_z
      - .offset:         140
        .size:           2
        .value_kind:     hidden_group_size_x
      - .offset:         142
        .size:           2
        .value_kind:     hidden_group_size_y
      - .offset:         144
        .size:           2
        .value_kind:     hidden_group_size_z
      - .offset:         146
        .size:           2
        .value_kind:     hidden_remainder_x
      - .offset:         148
        .size:           2
        .value_kind:     hidden_remainder_y
      - .offset:         150
        .size:           2
        .value_kind:     hidden_remainder_z
      - .offset:         168
        .size:           8
        .value_kind:     hidden_global_offset_x
      - .offset:         176
        .size:           8
        .value_kind:     hidden_global_offset_y
      - .offset:         184
        .size:           8
        .value_kind:     hidden_global_offset_z
      - .offset:         192
        .size:           2
        .value_kind:     hidden_grid_dims
    .group_segment_fixed_size: 65536
    .kernarg_segment_align: 8
    .kernarg_segment_size: 384
    .language:       OpenCL C
    .language_version:
      - 2
      - 0
    .max_flat_workgroup_size: 512
    .name:           _ZL36rocblas_gemvt_double_buffered_kernelILb1ELi128ELi4ELi16EdddEviiT4_lPKT3_lilS3_lilPT5_lili
    .private_segment_fixed_size: 0
    .sgpr_count:     46
    .sgpr_spill_count: 0
    .symbol:         _ZL36rocblas_gemvt_double_buffered_kernelILb1ELi128ELi4ELi16EdddEviiT4_lPKT3_lilS3_lilPT5_lili.kd
    .uniform_work_group_size: 1
    .uses_dynamic_stack: false
    .vgpr_count:     176
    .vgpr_spill_count: 0
    .wavefront_size: 64
  - .agpr_count:     0
    .args:
      - .offset:         0
        .size:           4
        .value_kind:     by_value
      - .offset:         4
        .size:           4
        .value_kind:     by_value
      - .address_space:  global
        .offset:         8
        .size:           8
        .value_kind:     global_buffer
      - .offset:         16
        .size:           8
        .value_kind:     by_value
      - .address_space:  global
        .offset:         24
        .size:           8
        .value_kind:     global_buffer
      - .offset:         32
        .size:           8
        .value_kind:     by_value
      - .offset:         40
        .size:           4
        .value_kind:     by_value
      - .offset:         48
        .size:           8
        .value_kind:     by_value
      - .address_space:  global
        .offset:         56
        .size:           8
        .value_kind:     global_buffer
      - .offset:         64
        .size:           8
        .value_kind:     by_value
      - .offset:         72
        .size:           4
        .value_kind:     by_value
      - .offset:         80
        .size:           8
        .value_kind:     by_value
      - .address_space:  global
        .offset:         88
        .size:           8
        .value_kind:     global_buffer
      - .offset:         96
        .size:           8
        .value_kind:     by_value
      - .address_space:  global
        .offset:         104
        .size:           8
        .value_kind:     global_buffer
      - .offset:         112
        .size:           8
        .value_kind:     by_value
      - .offset:         120
        .size:           4
        .value_kind:     by_value
      - .offset:         128
        .size:           8
        .value_kind:     by_value
      - .offset:         136
        .size:           4
        .value_kind:     by_value
    .group_segment_fixed_size: 2048
    .kernarg_segment_align: 8
    .kernarg_segment_size: 140
    .language:       OpenCL C
    .language_version:
      - 2
      - 0
    .max_flat_workgroup_size: 256
    .name:           _ZL20rocblas_gemvt_kernelILb1ELi256EdPKddEviiT2_lPKT1_lilS5_lilS2_lPT3_lili
    .private_segment_fixed_size: 0
    .sgpr_count:     34
    .sgpr_spill_count: 0
    .symbol:         _ZL20rocblas_gemvt_kernelILb1ELi256EdPKddEviiT2_lPKT1_lilS5_lilS2_lPT3_lili.kd
    .uniform_work_group_size: 1
    .uses_dynamic_stack: false
    .vgpr_count:     14
    .vgpr_spill_count: 0
    .wavefront_size: 64
  - .agpr_count:     0
    .args:
      - .offset:         0
        .size:           4
        .value_kind:     by_value
      - .offset:         4
        .size:           4
        .value_kind:     by_value
      - .offset:         8
        .size:           8
        .value_kind:     by_value
      - .offset:         16
        .size:           8
        .value_kind:     by_value
      - .address_space:  global
        .offset:         24
        .size:           8
        .value_kind:     global_buffer
      - .offset:         32
        .size:           8
        .value_kind:     by_value
      - .offset:         40
        .size:           4
        .value_kind:     by_value
      - .offset:         48
        .size:           8
        .value_kind:     by_value
      - .address_space:  global
        .offset:         56
        .size:           8
        .value_kind:     global_buffer
      - .offset:         64
        .size:           8
        .value_kind:     by_value
      - .offset:         72
        .size:           4
        .value_kind:     by_value
      - .offset:         80
        .size:           8
        .value_kind:     by_value
      - .offset:         88
        .size:           8
        .value_kind:     by_value
      - .offset:         96
        .size:           8
        .value_kind:     by_value
      - .address_space:  global
        .offset:         104
        .size:           8
        .value_kind:     global_buffer
      - .offset:         112
        .size:           8
        .value_kind:     by_value
      - .offset:         120
        .size:           4
        .value_kind:     by_value
      - .offset:         128
        .size:           8
        .value_kind:     by_value
      - .offset:         136
        .size:           4
        .value_kind:     by_value
    .group_segment_fixed_size: 2048
    .kernarg_segment_align: 8
    .kernarg_segment_size: 140
    .language:       OpenCL C
    .language_version:
      - 2
      - 0
    .max_flat_workgroup_size: 256
    .name:           _ZL20rocblas_gemvt_kernelILb1ELi256EdddEviiT2_lPKT1_lilS3_lilS0_lPT3_lili
    .private_segment_fixed_size: 0
    .sgpr_count:     38
    .sgpr_spill_count: 0
    .symbol:         _ZL20rocblas_gemvt_kernelILb1ELi256EdddEviiT2_lPKT1_lilS3_lilS0_lPT3_lili.kd
    .uniform_work_group_size: 1
    .uses_dynamic_stack: false
    .vgpr_count:     14
    .vgpr_spill_count: 0
    .wavefront_size: 64
  - .agpr_count:     0
    .args:
      - .offset:         0
        .size:           4
        .value_kind:     by_value
      - .offset:         4
        .size:           4
        .value_kind:     by_value
      - .address_space:  global
        .offset:         8
        .size:           8
        .value_kind:     global_buffer
      - .offset:         16
        .size:           8
        .value_kind:     by_value
      - .address_space:  global
        .offset:         24
        .size:           8
        .value_kind:     global_buffer
      - .offset:         32
        .size:           8
        .value_kind:     by_value
      - .offset:         40
        .size:           4
        .value_kind:     by_value
      - .offset:         48
        .size:           8
        .value_kind:     by_value
      - .address_space:  global
        .offset:         56
        .size:           8
        .value_kind:     global_buffer
      - .offset:         64
        .size:           8
        .value_kind:     by_value
      - .offset:         72
        .size:           4
        .value_kind:     by_value
      - .offset:         80
        .size:           8
        .value_kind:     by_value
      - .address_space:  global
        .offset:         88
        .size:           8
        .value_kind:     global_buffer
      - .offset:         96
        .size:           8
        .value_kind:     by_value
      - .address_space:  global
        .offset:         104
        .size:           8
        .value_kind:     global_buffer
      - .offset:         112
        .size:           8
        .value_kind:     by_value
      - .offset:         120
        .size:           4
        .value_kind:     by_value
      - .offset:         128
        .size:           8
        .value_kind:     by_value
      - .offset:         136
        .size:           4
        .value_kind:     by_value
    .group_segment_fixed_size: 512
    .kernarg_segment_align: 8
    .kernarg_segment_size: 140
    .language:       OpenCL C
    .language_version:
      - 2
      - 0
    .max_flat_workgroup_size: 1024
    .name:           _ZL32rocblas_gemvt_warp_reduce_kernelILb1ELi1024EidPKddEviiT3_lPKT2_lT1_lS5_lS6_lS2_lPT4_lS6_li
    .private_segment_fixed_size: 0
    .sgpr_count:     38
    .sgpr_spill_count: 0
    .symbol:         _ZL32rocblas_gemvt_warp_reduce_kernelILb1ELi1024EidPKddEviiT3_lPKT2_lT1_lS5_lS6_lS2_lPT4_lS6_li.kd
    .uniform_work_group_size: 1
    .uses_dynamic_stack: false
    .vgpr_count:     14
    .vgpr_spill_count: 0
    .wavefront_size: 64
  - .agpr_count:     0
    .args:
      - .offset:         0
        .size:           4
        .value_kind:     by_value
      - .offset:         4
        .size:           4
        .value_kind:     by_value
      - .address_space:  global
        .offset:         8
        .size:           8
        .value_kind:     global_buffer
      - .offset:         16
        .size:           8
        .value_kind:     by_value
      - .address_space:  global
        .offset:         24
        .size:           8
        .value_kind:     global_buffer
      - .offset:         32
        .size:           8
        .value_kind:     by_value
      - .offset:         40
        .size:           8
        .value_kind:     by_value
      - .offset:         48
        .size:           8
        .value_kind:     by_value
      - .address_space:  global
        .offset:         56
        .size:           8
        .value_kind:     global_buffer
      - .offset:         64
        .size:           8
        .value_kind:     by_value
      - .offset:         72
        .size:           8
        .value_kind:     by_value
      - .offset:         80
        .size:           8
        .value_kind:     by_value
      - .address_space:  global
        .offset:         88
        .size:           8
        .value_kind:     global_buffer
      - .offset:         96
        .size:           8
        .value_kind:     by_value
      - .address_space:  global
        .offset:         104
        .size:           8
        .value_kind:     global_buffer
      - .offset:         112
        .size:           8
        .value_kind:     by_value
      - .offset:         120
        .size:           8
        .value_kind:     by_value
      - .offset:         128
        .size:           8
        .value_kind:     by_value
      - .offset:         136
        .size:           4
        .value_kind:     by_value
    .group_segment_fixed_size: 512
    .kernarg_segment_align: 8
    .kernarg_segment_size: 140
    .language:       OpenCL C
    .language_version:
      - 2
      - 0
    .max_flat_workgroup_size: 1024
    .name:           _ZL32rocblas_gemvt_warp_reduce_kernelILb1ELi1024EldPKddEviiT3_lPKT2_lT1_lS5_lS6_lS2_lPT4_lS6_li
    .private_segment_fixed_size: 0
    .sgpr_count:     58
    .sgpr_spill_count: 0
    .symbol:         _ZL32rocblas_gemvt_warp_reduce_kernelILb1ELi1024EldPKddEviiT3_lPKT2_lT1_lS5_lS6_lS2_lPT4_lS6_li.kd
    .uniform_work_group_size: 1
    .uses_dynamic_stack: false
    .vgpr_count:     14
    .vgpr_spill_count: 0
    .wavefront_size: 64
  - .agpr_count:     0
    .args:
      - .offset:         0
        .size:           4
        .value_kind:     by_value
      - .offset:         4
        .size:           4
        .value_kind:     by_value
      - .offset:         8
        .size:           8
        .value_kind:     by_value
      - .offset:         16
        .size:           8
        .value_kind:     by_value
      - .address_space:  global
        .offset:         24
        .size:           8
        .value_kind:     global_buffer
      - .offset:         32
        .size:           8
        .value_kind:     by_value
      - .offset:         40
        .size:           4
        .value_kind:     by_value
      - .offset:         48
        .size:           8
        .value_kind:     by_value
      - .address_space:  global
        .offset:         56
        .size:           8
        .value_kind:     global_buffer
      - .offset:         64
        .size:           8
        .value_kind:     by_value
      - .offset:         72
        .size:           4
        .value_kind:     by_value
      - .offset:         80
        .size:           8
        .value_kind:     by_value
      - .offset:         88
        .size:           8
        .value_kind:     by_value
      - .offset:         96
        .size:           8
        .value_kind:     by_value
      - .address_space:  global
        .offset:         104
        .size:           8
        .value_kind:     global_buffer
      - .offset:         112
        .size:           8
        .value_kind:     by_value
      - .offset:         120
        .size:           4
        .value_kind:     by_value
      - .offset:         128
        .size:           8
        .value_kind:     by_value
      - .offset:         136
        .size:           4
        .value_kind:     by_value
    .group_segment_fixed_size: 512
    .kernarg_segment_align: 8
    .kernarg_segment_size: 140
    .language:       OpenCL C
    .language_version:
      - 2
      - 0
    .max_flat_workgroup_size: 1024
    .name:           _ZL32rocblas_gemvt_warp_reduce_kernelILb1ELi1024EidddEviiT3_lPKT2_lT1_lS3_lS4_lS0_lPT4_lS4_li
    .private_segment_fixed_size: 0
    .sgpr_count:     38
    .sgpr_spill_count: 0
    .symbol:         _ZL32rocblas_gemvt_warp_reduce_kernelILb1ELi1024EidddEviiT3_lPKT2_lT1_lS3_lS4_lS0_lPT4_lS4_li.kd
    .uniform_work_group_size: 1
    .uses_dynamic_stack: false
    .vgpr_count:     14
    .vgpr_spill_count: 0
    .wavefront_size: 64
  - .agpr_count:     0
    .args:
      - .offset:         0
        .size:           4
        .value_kind:     by_value
      - .offset:         4
        .size:           4
        .value_kind:     by_value
      - .offset:         8
        .size:           8
        .value_kind:     by_value
      - .offset:         16
        .size:           8
        .value_kind:     by_value
      - .address_space:  global
        .offset:         24
        .size:           8
        .value_kind:     global_buffer
      - .offset:         32
        .size:           8
        .value_kind:     by_value
      - .offset:         40
        .size:           8
        .value_kind:     by_value
      - .offset:         48
        .size:           8
        .value_kind:     by_value
      - .address_space:  global
        .offset:         56
        .size:           8
        .value_kind:     global_buffer
      - .offset:         64
        .size:           8
        .value_kind:     by_value
      - .offset:         72
        .size:           8
        .value_kind:     by_value
      - .offset:         80
        .size:           8
        .value_kind:     by_value
      - .offset:         88
        .size:           8
        .value_kind:     by_value
      - .offset:         96
        .size:           8
        .value_kind:     by_value
      - .address_space:  global
        .offset:         104
        .size:           8
        .value_kind:     global_buffer
      - .offset:         112
        .size:           8
        .value_kind:     by_value
      - .offset:         120
        .size:           8
        .value_kind:     by_value
      - .offset:         128
        .size:           8
        .value_kind:     by_value
      - .offset:         136
        .size:           4
        .value_kind:     by_value
    .group_segment_fixed_size: 512
    .kernarg_segment_align: 8
    .kernarg_segment_size: 140
    .language:       OpenCL C
    .language_version:
      - 2
      - 0
    .max_flat_workgroup_size: 1024
    .name:           _ZL32rocblas_gemvt_warp_reduce_kernelILb1ELi1024EldddEviiT3_lPKT2_lT1_lS3_lS4_lS0_lPT4_lS4_li
    .private_segment_fixed_size: 0
    .sgpr_count:     37
    .sgpr_spill_count: 0
    .symbol:         _ZL32rocblas_gemvt_warp_reduce_kernelILb1ELi1024EldddEviiT3_lPKT2_lT1_lS3_lS4_lS0_lPT4_lS4_li.kd
    .uniform_work_group_size: 1
    .uses_dynamic_stack: false
    .vgpr_count:     14
    .vgpr_spill_count: 0
    .wavefront_size: 64
  - .agpr_count:     0
    .args:
      - .offset:         0
        .size:           4
        .value_kind:     by_value
      - .offset:         4
        .size:           4
        .value_kind:     by_value
      - .address_space:  global
        .offset:         8
        .size:           8
        .value_kind:     global_buffer
      - .offset:         16
        .size:           8
        .value_kind:     by_value
      - .address_space:  global
        .offset:         24
        .size:           8
        .value_kind:     global_buffer
      - .offset:         32
        .size:           8
        .value_kind:     by_value
      - .offset:         40
        .size:           4
        .value_kind:     by_value
      - .offset:         48
        .size:           8
        .value_kind:     by_value
      - .address_space:  global
        .offset:         56
        .size:           8
        .value_kind:     global_buffer
      - .offset:         64
        .size:           8
        .value_kind:     by_value
      - .offset:         72
        .size:           4
        .value_kind:     by_value
      - .offset:         80
        .size:           8
        .value_kind:     by_value
      - .address_space:  global
        .offset:         88
        .size:           8
        .value_kind:     global_buffer
      - .offset:         96
        .size:           8
        .value_kind:     by_value
      - .address_space:  global
        .offset:         104
        .size:           8
        .value_kind:     global_buffer
      - .offset:         112
        .size:           8
        .value_kind:     by_value
      - .offset:         120
        .size:           4
        .value_kind:     by_value
      - .offset:         128
        .size:           8
        .value_kind:     by_value
      - .offset:         136
        .size:           4
        .value_kind:     by_value
      - .offset:         144
        .size:           4
        .value_kind:     hidden_block_count_x
      - .offset:         148
        .size:           4
        .value_kind:     hidden_block_count_y
      - .offset:         152
        .size:           4
        .value_kind:     hidden_block_count_z
      - .offset:         156
        .size:           2
        .value_kind:     hidden_group_size_x
      - .offset:         158
        .size:           2
        .value_kind:     hidden_group_size_y
      - .offset:         160
        .size:           2
        .value_kind:     hidden_group_size_z
      - .offset:         162
        .size:           2
        .value_kind:     hidden_remainder_x
      - .offset:         164
        .size:           2
        .value_kind:     hidden_remainder_y
      - .offset:         166
        .size:           2
        .value_kind:     hidden_remainder_z
      - .offset:         184
        .size:           8
        .value_kind:     hidden_global_offset_x
      - .offset:         192
        .size:           8
        .value_kind:     hidden_global_offset_y
      - .offset:         200
        .size:           8
        .value_kind:     hidden_global_offset_z
      - .offset:         208
        .size:           2
        .value_kind:     hidden_grid_dims
    .group_segment_fixed_size: 6144
    .kernarg_segment_align: 8
    .kernarg_segment_size: 400
    .language:       OpenCL C
    .language_version:
      - 2
      - 0
    .max_flat_workgroup_size: 768
    .name:           _ZL34rocblas_gemvn_sm_mn_batched_kernelILi32ELi24E19rocblas_complex_numIfEPKS1_S1_EviiT2_lPKT1_lilS7_lilS4_lPT3_lili
    .private_segment_fixed_size: 0
    .sgpr_count:     76
    .sgpr_spill_count: 0
    .symbol:         _ZL34rocblas_gemvn_sm_mn_batched_kernelILi32ELi24E19rocblas_complex_numIfEPKS1_S1_EviiT2_lPKT1_lilS7_lilS4_lPT3_lili.kd
    .uniform_work_group_size: 1
    .uses_dynamic_stack: false
    .vgpr_count:     78
    .vgpr_spill_count: 0
    .wavefront_size: 64
  - .agpr_count:     0
    .args:
      - .offset:         0
        .size:           4
        .value_kind:     by_value
      - .offset:         4
        .size:           4
        .value_kind:     by_value
      - .offset:         8
        .size:           8
        .value_kind:     by_value
      - .offset:         16
        .size:           8
        .value_kind:     by_value
      - .address_space:  global
        .offset:         24
        .size:           8
        .value_kind:     global_buffer
      - .offset:         32
        .size:           8
        .value_kind:     by_value
      - .offset:         40
        .size:           4
        .value_kind:     by_value
      - .offset:         48
        .size:           8
        .value_kind:     by_value
      - .address_space:  global
        .offset:         56
        .size:           8
        .value_kind:     global_buffer
      - .offset:         64
        .size:           8
        .value_kind:     by_value
      - .offset:         72
        .size:           4
        .value_kind:     by_value
      - .offset:         80
        .size:           8
        .value_kind:     by_value
      - .offset:         88
        .size:           8
        .value_kind:     by_value
      - .offset:         96
        .size:           8
        .value_kind:     by_value
      - .address_space:  global
        .offset:         104
        .size:           8
        .value_kind:     global_buffer
      - .offset:         112
        .size:           8
        .value_kind:     by_value
      - .offset:         120
        .size:           4
        .value_kind:     by_value
      - .offset:         128
        .size:           8
        .value_kind:     by_value
      - .offset:         136
        .size:           4
        .value_kind:     by_value
      - .offset:         144
        .size:           4
        .value_kind:     hidden_block_count_x
      - .offset:         148
        .size:           4
        .value_kind:     hidden_block_count_y
      - .offset:         152
        .size:           4
        .value_kind:     hidden_block_count_z
      - .offset:         156
        .size:           2
        .value_kind:     hidden_group_size_x
      - .offset:         158
        .size:           2
        .value_kind:     hidden_group_size_y
      - .offset:         160
        .size:           2
        .value_kind:     hidden_group_size_z
      - .offset:         162
        .size:           2
        .value_kind:     hidden_remainder_x
      - .offset:         164
        .size:           2
        .value_kind:     hidden_remainder_y
      - .offset:         166
        .size:           2
        .value_kind:     hidden_remainder_z
      - .offset:         184
        .size:           8
        .value_kind:     hidden_global_offset_x
      - .offset:         192
        .size:           8
        .value_kind:     hidden_global_offset_y
      - .offset:         200
        .size:           8
        .value_kind:     hidden_global_offset_z
      - .offset:         208
        .size:           2
        .value_kind:     hidden_grid_dims
    .group_segment_fixed_size: 6144
    .kernarg_segment_align: 8
    .kernarg_segment_size: 400
    .language:       OpenCL C
    .language_version:
      - 2
      - 0
    .max_flat_workgroup_size: 768
    .name:           _ZL34rocblas_gemvn_sm_mn_batched_kernelILi32ELi24E19rocblas_complex_numIfES1_S1_EviiT2_lPKT1_lilS5_lilS2_lPT3_lili
    .private_segment_fixed_size: 0
    .sgpr_count:     76
    .sgpr_spill_count: 0
    .symbol:         _ZL34rocblas_gemvn_sm_mn_batched_kernelILi32ELi24E19rocblas_complex_numIfES1_S1_EviiT2_lPKT1_lilS5_lilS2_lPT3_lili.kd
    .uniform_work_group_size: 1
    .uses_dynamic_stack: false
    .vgpr_count:     78
    .vgpr_spill_count: 0
    .wavefront_size: 64
  - .agpr_count:     0
    .args:
      - .offset:         0
        .size:           4
        .value_kind:     by_value
      - .offset:         4
        .size:           4
        .value_kind:     by_value
      - .address_space:  global
        .offset:         8
        .size:           8
        .value_kind:     global_buffer
      - .offset:         16
        .size:           8
        .value_kind:     by_value
      - .address_space:  global
        .offset:         24
        .size:           8
        .value_kind:     global_buffer
      - .offset:         32
        .size:           8
        .value_kind:     by_value
      - .offset:         40
        .size:           4
        .value_kind:     by_value
      - .offset:         48
        .size:           8
        .value_kind:     by_value
      - .address_space:  global
        .offset:         56
        .size:           8
        .value_kind:     global_buffer
      - .offset:         64
        .size:           8
        .value_kind:     by_value
      - .offset:         72
        .size:           4
        .value_kind:     by_value
      - .offset:         80
        .size:           8
        .value_kind:     by_value
      - .address_space:  global
        .offset:         88
        .size:           8
        .value_kind:     global_buffer
      - .offset:         96
        .size:           8
        .value_kind:     by_value
      - .address_space:  global
        .offset:         104
        .size:           8
        .value_kind:     global_buffer
      - .offset:         112
        .size:           8
        .value_kind:     by_value
      - .offset:         120
        .size:           4
        .value_kind:     by_value
      - .offset:         128
        .size:           8
        .value_kind:     by_value
      - .offset:         136
        .size:           4
        .value_kind:     by_value
      - .offset:         144
        .size:           4
        .value_kind:     hidden_block_count_x
      - .offset:         148
        .size:           4
        .value_kind:     hidden_block_count_y
      - .offset:         152
        .size:           4
        .value_kind:     hidden_block_count_z
      - .offset:         156
        .size:           2
        .value_kind:     hidden_group_size_x
      - .offset:         158
        .size:           2
        .value_kind:     hidden_group_size_y
      - .offset:         160
        .size:           2
        .value_kind:     hidden_group_size_z
      - .offset:         162
        .size:           2
        .value_kind:     hidden_remainder_x
      - .offset:         164
        .size:           2
        .value_kind:     hidden_remainder_y
      - .offset:         166
        .size:           2
        .value_kind:     hidden_remainder_z
      - .offset:         184
        .size:           8
        .value_kind:     hidden_global_offset_x
      - .offset:         192
        .size:           8
        .value_kind:     hidden_global_offset_y
      - .offset:         200
        .size:           8
        .value_kind:     hidden_global_offset_z
      - .offset:         208
        .size:           2
        .value_kind:     hidden_grid_dims
    .group_segment_fixed_size: 8192
    .kernarg_segment_align: 8
    .kernarg_segment_size: 400
    .language:       OpenCL C
    .language_version:
      - 2
      - 0
    .max_flat_workgroup_size: 256
    .name:           _ZL20rocblas_gemvn_kernelILi64ELi4Ei19rocblas_complex_numIfEPKS1_S1_EviiT3_lPKT2_lT1_lS7_lS8_lS4_lPT4_lS8_li
    .private_segment_fixed_size: 0
    .sgpr_count:     46
    .sgpr_spill_count: 0
    .symbol:         _ZL20rocblas_gemvn_kernelILi64ELi4Ei19rocblas_complex_numIfEPKS1_S1_EviiT3_lPKT2_lT1_lS7_lS8_lS4_lPT4_lS8_li.kd
    .uniform_work_group_size: 1
    .uses_dynamic_stack: false
    .vgpr_count:     70
    .vgpr_spill_count: 0
    .wavefront_size: 64
  - .agpr_count:     0
    .args:
      - .offset:         0
        .size:           4
        .value_kind:     by_value
      - .offset:         4
        .size:           4
        .value_kind:     by_value
      - .address_space:  global
        .offset:         8
        .size:           8
        .value_kind:     global_buffer
      - .offset:         16
        .size:           8
        .value_kind:     by_value
      - .address_space:  global
        .offset:         24
        .size:           8
        .value_kind:     global_buffer
      - .offset:         32
        .size:           8
        .value_kind:     by_value
      - .offset:         40
        .size:           8
        .value_kind:     by_value
      - .offset:         48
        .size:           8
        .value_kind:     by_value
      - .address_space:  global
        .offset:         56
        .size:           8
        .value_kind:     global_buffer
      - .offset:         64
        .size:           8
        .value_kind:     by_value
      - .offset:         72
        .size:           8
        .value_kind:     by_value
      - .offset:         80
        .size:           8
        .value_kind:     by_value
      - .address_space:  global
        .offset:         88
        .size:           8
        .value_kind:     global_buffer
      - .offset:         96
        .size:           8
        .value_kind:     by_value
      - .address_space:  global
        .offset:         104
        .size:           8
        .value_kind:     global_buffer
      - .offset:         112
        .size:           8
        .value_kind:     by_value
      - .offset:         120
        .size:           8
        .value_kind:     by_value
      - .offset:         128
        .size:           8
        .value_kind:     by_value
      - .offset:         136
        .size:           4
        .value_kind:     by_value
      - .offset:         144
        .size:           4
        .value_kind:     hidden_block_count_x
      - .offset:         148
        .size:           4
        .value_kind:     hidden_block_count_y
      - .offset:         152
        .size:           4
        .value_kind:     hidden_block_count_z
      - .offset:         156
        .size:           2
        .value_kind:     hidden_group_size_x
      - .offset:         158
        .size:           2
        .value_kind:     hidden_group_size_y
      - .offset:         160
        .size:           2
        .value_kind:     hidden_group_size_z
      - .offset:         162
        .size:           2
        .value_kind:     hidden_remainder_x
      - .offset:         164
        .size:           2
        .value_kind:     hidden_remainder_y
      - .offset:         166
        .size:           2
        .value_kind:     hidden_remainder_z
      - .offset:         184
        .size:           8
        .value_kind:     hidden_global_offset_x
      - .offset:         192
        .size:           8
        .value_kind:     hidden_global_offset_y
      - .offset:         200
        .size:           8
        .value_kind:     hidden_global_offset_z
      - .offset:         208
        .size:           2
        .value_kind:     hidden_grid_dims
    .group_segment_fixed_size: 8192
    .kernarg_segment_align: 8
    .kernarg_segment_size: 400
    .language:       OpenCL C
    .language_version:
      - 2
      - 0
    .max_flat_workgroup_size: 256
    .name:           _ZL20rocblas_gemvn_kernelILi64ELi4El19rocblas_complex_numIfEPKS1_S1_EviiT3_lPKT2_lT1_lS7_lS8_lS4_lPT4_lS8_li
    .private_segment_fixed_size: 0
    .sgpr_count:     59
    .sgpr_spill_count: 0
    .symbol:         _ZL20rocblas_gemvn_kernelILi64ELi4El19rocblas_complex_numIfEPKS1_S1_EviiT3_lPKT2_lT1_lS7_lS8_lS4_lPT4_lS8_li.kd
    .uniform_work_group_size: 1
    .uses_dynamic_stack: false
    .vgpr_count:     69
    .vgpr_spill_count: 0
    .wavefront_size: 64
  - .agpr_count:     0
    .args:
      - .offset:         0
        .size:           4
        .value_kind:     by_value
      - .offset:         4
        .size:           4
        .value_kind:     by_value
      - .offset:         8
        .size:           8
        .value_kind:     by_value
      - .offset:         16
        .size:           8
        .value_kind:     by_value
      - .address_space:  global
        .offset:         24
        .size:           8
        .value_kind:     global_buffer
      - .offset:         32
        .size:           8
        .value_kind:     by_value
      - .offset:         40
        .size:           4
        .value_kind:     by_value
      - .offset:         48
        .size:           8
        .value_kind:     by_value
      - .address_space:  global
        .offset:         56
        .size:           8
        .value_kind:     global_buffer
      - .offset:         64
        .size:           8
        .value_kind:     by_value
      - .offset:         72
        .size:           4
        .value_kind:     by_value
      - .offset:         80
        .size:           8
        .value_kind:     by_value
      - .offset:         88
        .size:           8
        .value_kind:     by_value
      - .offset:         96
        .size:           8
        .value_kind:     by_value
      - .address_space:  global
        .offset:         104
        .size:           8
        .value_kind:     global_buffer
      - .offset:         112
        .size:           8
        .value_kind:     by_value
      - .offset:         120
        .size:           4
        .value_kind:     by_value
      - .offset:         128
        .size:           8
        .value_kind:     by_value
      - .offset:         136
        .size:           4
        .value_kind:     by_value
      - .offset:         144
        .size:           4
        .value_kind:     hidden_block_count_x
      - .offset:         148
        .size:           4
        .value_kind:     hidden_block_count_y
      - .offset:         152
        .size:           4
        .value_kind:     hidden_block_count_z
      - .offset:         156
        .size:           2
        .value_kind:     hidden_group_size_x
      - .offset:         158
        .size:           2
        .value_kind:     hidden_group_size_y
      - .offset:         160
        .size:           2
        .value_kind:     hidden_group_size_z
      - .offset:         162
        .size:           2
        .value_kind:     hidden_remainder_x
      - .offset:         164
        .size:           2
        .value_kind:     hidden_remainder_y
      - .offset:         166
        .size:           2
        .value_kind:     hidden_remainder_z
      - .offset:         184
        .size:           8
        .value_kind:     hidden_global_offset_x
      - .offset:         192
        .size:           8
        .value_kind:     hidden_global_offset_y
      - .offset:         200
        .size:           8
        .value_kind:     hidden_global_offset_z
      - .offset:         208
        .size:           2
        .value_kind:     hidden_grid_dims
    .group_segment_fixed_size: 8192
    .kernarg_segment_align: 8
    .kernarg_segment_size: 400
    .language:       OpenCL C
    .language_version:
      - 2
      - 0
    .max_flat_workgroup_size: 256
    .name:           _ZL20rocblas_gemvn_kernelILi64ELi4Ei19rocblas_complex_numIfES1_S1_EviiT3_lPKT2_lT1_lS5_lS6_lS2_lPT4_lS6_li
    .private_segment_fixed_size: 0
    .sgpr_count:     46
    .sgpr_spill_count: 0
    .symbol:         _ZL20rocblas_gemvn_kernelILi64ELi4Ei19rocblas_complex_numIfES1_S1_EviiT3_lPKT2_lT1_lS5_lS6_lS2_lPT4_lS6_li.kd
    .uniform_work_group_size: 1
    .uses_dynamic_stack: false
    .vgpr_count:     70
    .vgpr_spill_count: 0
    .wavefront_size: 64
  - .agpr_count:     0
    .args:
      - .offset:         0
        .size:           4
        .value_kind:     by_value
      - .offset:         4
        .size:           4
        .value_kind:     by_value
      - .offset:         8
        .size:           8
        .value_kind:     by_value
      - .offset:         16
        .size:           8
        .value_kind:     by_value
      - .address_space:  global
        .offset:         24
        .size:           8
        .value_kind:     global_buffer
      - .offset:         32
        .size:           8
        .value_kind:     by_value
      - .offset:         40
        .size:           8
        .value_kind:     by_value
      - .offset:         48
        .size:           8
        .value_kind:     by_value
      - .address_space:  global
        .offset:         56
        .size:           8
        .value_kind:     global_buffer
      - .offset:         64
        .size:           8
        .value_kind:     by_value
      - .offset:         72
        .size:           8
        .value_kind:     by_value
      - .offset:         80
        .size:           8
        .value_kind:     by_value
      - .offset:         88
        .size:           8
        .value_kind:     by_value
      - .offset:         96
        .size:           8
        .value_kind:     by_value
      - .address_space:  global
        .offset:         104
        .size:           8
        .value_kind:     global_buffer
      - .offset:         112
        .size:           8
        .value_kind:     by_value
      - .offset:         120
        .size:           8
        .value_kind:     by_value
      - .offset:         128
        .size:           8
        .value_kind:     by_value
      - .offset:         136
        .size:           4
        .value_kind:     by_value
      - .offset:         144
        .size:           4
        .value_kind:     hidden_block_count_x
      - .offset:         148
        .size:           4
        .value_kind:     hidden_block_count_y
      - .offset:         152
        .size:           4
        .value_kind:     hidden_block_count_z
      - .offset:         156
        .size:           2
        .value_kind:     hidden_group_size_x
      - .offset:         158
        .size:           2
        .value_kind:     hidden_group_size_y
      - .offset:         160
        .size:           2
        .value_kind:     hidden_group_size_z
      - .offset:         162
        .size:           2
        .value_kind:     hidden_remainder_x
      - .offset:         164
        .size:           2
        .value_kind:     hidden_remainder_y
      - .offset:         166
        .size:           2
        .value_kind:     hidden_remainder_z
      - .offset:         184
        .size:           8
        .value_kind:     hidden_global_offset_x
      - .offset:         192
        .size:           8
        .value_kind:     hidden_global_offset_y
      - .offset:         200
        .size:           8
        .value_kind:     hidden_global_offset_z
      - .offset:         208
        .size:           2
        .value_kind:     hidden_grid_dims
    .group_segment_fixed_size: 8192
    .kernarg_segment_align: 8
    .kernarg_segment_size: 400
    .language:       OpenCL C
    .language_version:
      - 2
      - 0
    .max_flat_workgroup_size: 256
    .name:           _ZL20rocblas_gemvn_kernelILi64ELi4El19rocblas_complex_numIfES1_S1_EviiT3_lPKT2_lT1_lS5_lS6_lS2_lPT4_lS6_li
    .private_segment_fixed_size: 0
    .sgpr_count:     59
    .sgpr_spill_count: 0
    .symbol:         _ZL20rocblas_gemvn_kernelILi64ELi4El19rocblas_complex_numIfES1_S1_EviiT3_lPKT2_lT1_lS5_lS6_lS2_lPT4_lS6_li.kd
    .uniform_work_group_size: 1
    .uses_dynamic_stack: false
    .vgpr_count:     69
    .vgpr_spill_count: 0
    .wavefront_size: 64
  - .agpr_count:     0
    .args:
      - .offset:         0
        .size:           4
        .value_kind:     by_value
      - .offset:         4
        .size:           4
        .value_kind:     by_value
      - .address_space:  global
        .offset:         8
        .size:           8
        .value_kind:     global_buffer
      - .offset:         16
        .size:           8
        .value_kind:     by_value
      - .address_space:  global
        .offset:         24
        .size:           8
        .value_kind:     global_buffer
      - .offset:         32
        .size:           8
        .value_kind:     by_value
      - .offset:         40
        .size:           4
        .value_kind:     by_value
      - .offset:         48
        .size:           8
        .value_kind:     by_value
      - .address_space:  global
        .offset:         56
        .size:           8
        .value_kind:     global_buffer
      - .offset:         64
        .size:           8
        .value_kind:     by_value
      - .offset:         72
        .size:           4
        .value_kind:     by_value
      - .offset:         80
        .size:           8
        .value_kind:     by_value
      - .address_space:  global
        .offset:         88
        .size:           8
        .value_kind:     global_buffer
      - .offset:         96
        .size:           8
        .value_kind:     by_value
      - .address_space:  global
        .offset:         104
        .size:           8
        .value_kind:     global_buffer
      - .offset:         112
        .size:           8
        .value_kind:     by_value
      - .offset:         120
        .size:           4
        .value_kind:     by_value
      - .offset:         128
        .size:           8
        .value_kind:     by_value
      - .offset:         136
        .size:           4
        .value_kind:     by_value
      - .offset:         144
        .size:           4
        .value_kind:     hidden_block_count_x
      - .offset:         148
        .size:           4
        .value_kind:     hidden_block_count_y
      - .offset:         152
        .size:           4
        .value_kind:     hidden_block_count_z
      - .offset:         156
        .size:           2
        .value_kind:     hidden_group_size_x
      - .offset:         158
        .size:           2
        .value_kind:     hidden_group_size_y
      - .offset:         160
        .size:           2
        .value_kind:     hidden_group_size_z
      - .offset:         162
        .size:           2
        .value_kind:     hidden_remainder_x
      - .offset:         164
        .size:           2
        .value_kind:     hidden_remainder_y
      - .offset:         166
        .size:           2
        .value_kind:     hidden_remainder_z
      - .offset:         184
        .size:           8
        .value_kind:     hidden_global_offset_x
      - .offset:         192
        .size:           8
        .value_kind:     hidden_global_offset_y
      - .offset:         200
        .size:           8
        .value_kind:     hidden_global_offset_z
      - .offset:         208
        .size:           2
        .value_kind:     hidden_grid_dims
    .group_segment_fixed_size: 16384
    .kernarg_segment_align: 8
    .kernarg_segment_size: 400
    .language:       OpenCL C
    .language_version:
      - 2
      - 0
    .max_flat_workgroup_size: 512
    .name:           _ZL20rocblas_gemvn_kernelILi32ELi16Ei19rocblas_complex_numIfEPKS1_S1_EviiT3_lPKT2_lT1_lS7_lS8_lS4_lPT4_lS8_li
    .private_segment_fixed_size: 0
    .sgpr_count:     46
    .sgpr_spill_count: 0
    .symbol:         _ZL20rocblas_gemvn_kernelILi32ELi16Ei19rocblas_complex_numIfEPKS1_S1_EviiT3_lPKT2_lT1_lS7_lS8_lS4_lPT4_lS8_li.kd
    .uniform_work_group_size: 1
    .uses_dynamic_stack: false
    .vgpr_count:     70
    .vgpr_spill_count: 0
    .wavefront_size: 64
  - .agpr_count:     0
    .args:
      - .offset:         0
        .size:           4
        .value_kind:     by_value
      - .offset:         4
        .size:           4
        .value_kind:     by_value
      - .address_space:  global
        .offset:         8
        .size:           8
        .value_kind:     global_buffer
      - .offset:         16
        .size:           8
        .value_kind:     by_value
      - .address_space:  global
        .offset:         24
        .size:           8
        .value_kind:     global_buffer
      - .offset:         32
        .size:           8
        .value_kind:     by_value
      - .offset:         40
        .size:           8
        .value_kind:     by_value
      - .offset:         48
        .size:           8
        .value_kind:     by_value
      - .address_space:  global
        .offset:         56
        .size:           8
        .value_kind:     global_buffer
      - .offset:         64
        .size:           8
        .value_kind:     by_value
      - .offset:         72
        .size:           8
        .value_kind:     by_value
      - .offset:         80
        .size:           8
        .value_kind:     by_value
      - .address_space:  global
        .offset:         88
        .size:           8
        .value_kind:     global_buffer
      - .offset:         96
        .size:           8
        .value_kind:     by_value
      - .address_space:  global
        .offset:         104
        .size:           8
        .value_kind:     global_buffer
      - .offset:         112
        .size:           8
        .value_kind:     by_value
      - .offset:         120
        .size:           8
        .value_kind:     by_value
      - .offset:         128
        .size:           8
        .value_kind:     by_value
      - .offset:         136
        .size:           4
        .value_kind:     by_value
      - .offset:         144
        .size:           4
        .value_kind:     hidden_block_count_x
      - .offset:         148
        .size:           4
        .value_kind:     hidden_block_count_y
      - .offset:         152
        .size:           4
        .value_kind:     hidden_block_count_z
      - .offset:         156
        .size:           2
        .value_kind:     hidden_group_size_x
      - .offset:         158
        .size:           2
        .value_kind:     hidden_group_size_y
      - .offset:         160
        .size:           2
        .value_kind:     hidden_group_size_z
      - .offset:         162
        .size:           2
        .value_kind:     hidden_remainder_x
      - .offset:         164
        .size:           2
        .value_kind:     hidden_remainder_y
      - .offset:         166
        .size:           2
        .value_kind:     hidden_remainder_z
      - .offset:         184
        .size:           8
        .value_kind:     hidden_global_offset_x
      - .offset:         192
        .size:           8
        .value_kind:     hidden_global_offset_y
      - .offset:         200
        .size:           8
        .value_kind:     hidden_global_offset_z
      - .offset:         208
        .size:           2
        .value_kind:     hidden_grid_dims
    .group_segment_fixed_size: 16384
    .kernarg_segment_align: 8
    .kernarg_segment_size: 400
    .language:       OpenCL C
    .language_version:
      - 2
      - 0
    .max_flat_workgroup_size: 512
    .name:           _ZL20rocblas_gemvn_kernelILi32ELi16El19rocblas_complex_numIfEPKS1_S1_EviiT3_lPKT2_lT1_lS7_lS8_lS4_lPT4_lS8_li
    .private_segment_fixed_size: 0
    .sgpr_count:     59
    .sgpr_spill_count: 0
    .symbol:         _ZL20rocblas_gemvn_kernelILi32ELi16El19rocblas_complex_numIfEPKS1_S1_EviiT3_lPKT2_lT1_lS7_lS8_lS4_lPT4_lS8_li.kd
    .uniform_work_group_size: 1
    .uses_dynamic_stack: false
    .vgpr_count:     69
    .vgpr_spill_count: 0
    .wavefront_size: 64
  - .agpr_count:     0
    .args:
      - .offset:         0
        .size:           4
        .value_kind:     by_value
      - .offset:         4
        .size:           4
        .value_kind:     by_value
      - .offset:         8
        .size:           8
        .value_kind:     by_value
      - .offset:         16
        .size:           8
        .value_kind:     by_value
      - .address_space:  global
        .offset:         24
        .size:           8
        .value_kind:     global_buffer
      - .offset:         32
        .size:           8
        .value_kind:     by_value
      - .offset:         40
        .size:           4
        .value_kind:     by_value
      - .offset:         48
        .size:           8
        .value_kind:     by_value
      - .address_space:  global
        .offset:         56
        .size:           8
        .value_kind:     global_buffer
      - .offset:         64
        .size:           8
        .value_kind:     by_value
      - .offset:         72
        .size:           4
        .value_kind:     by_value
      - .offset:         80
        .size:           8
        .value_kind:     by_value
      - .offset:         88
        .size:           8
        .value_kind:     by_value
      - .offset:         96
        .size:           8
        .value_kind:     by_value
      - .address_space:  global
        .offset:         104
        .size:           8
        .value_kind:     global_buffer
      - .offset:         112
        .size:           8
        .value_kind:     by_value
      - .offset:         120
        .size:           4
        .value_kind:     by_value
      - .offset:         128
        .size:           8
        .value_kind:     by_value
      - .offset:         136
        .size:           4
        .value_kind:     by_value
      - .offset:         144
        .size:           4
        .value_kind:     hidden_block_count_x
      - .offset:         148
        .size:           4
        .value_kind:     hidden_block_count_y
      - .offset:         152
        .size:           4
        .value_kind:     hidden_block_count_z
      - .offset:         156
        .size:           2
        .value_kind:     hidden_group_size_x
      - .offset:         158
        .size:           2
        .value_kind:     hidden_group_size_y
      - .offset:         160
        .size:           2
        .value_kind:     hidden_group_size_z
      - .offset:         162
        .size:           2
        .value_kind:     hidden_remainder_x
      - .offset:         164
        .size:           2
        .value_kind:     hidden_remainder_y
      - .offset:         166
        .size:           2
        .value_kind:     hidden_remainder_z
      - .offset:         184
        .size:           8
        .value_kind:     hidden_global_offset_x
      - .offset:         192
        .size:           8
        .value_kind:     hidden_global_offset_y
      - .offset:         200
        .size:           8
        .value_kind:     hidden_global_offset_z
      - .offset:         208
        .size:           2
        .value_kind:     hidden_grid_dims
    .group_segment_fixed_size: 16384
    .kernarg_segment_align: 8
    .kernarg_segment_size: 400
    .language:       OpenCL C
    .language_version:
      - 2
      - 0
    .max_flat_workgroup_size: 512
    .name:           _ZL20rocblas_gemvn_kernelILi32ELi16Ei19rocblas_complex_numIfES1_S1_EviiT3_lPKT2_lT1_lS5_lS6_lS2_lPT4_lS6_li
    .private_segment_fixed_size: 0
    .sgpr_count:     46
    .sgpr_spill_count: 0
    .symbol:         _ZL20rocblas_gemvn_kernelILi32ELi16Ei19rocblas_complex_numIfES1_S1_EviiT3_lPKT2_lT1_lS5_lS6_lS2_lPT4_lS6_li.kd
    .uniform_work_group_size: 1
    .uses_dynamic_stack: false
    .vgpr_count:     70
    .vgpr_spill_count: 0
    .wavefront_size: 64
  - .agpr_count:     0
    .args:
      - .offset:         0
        .size:           4
        .value_kind:     by_value
      - .offset:         4
        .size:           4
        .value_kind:     by_value
      - .offset:         8
        .size:           8
        .value_kind:     by_value
      - .offset:         16
        .size:           8
        .value_kind:     by_value
      - .address_space:  global
        .offset:         24
        .size:           8
        .value_kind:     global_buffer
      - .offset:         32
        .size:           8
        .value_kind:     by_value
      - .offset:         40
        .size:           8
        .value_kind:     by_value
      - .offset:         48
        .size:           8
        .value_kind:     by_value
      - .address_space:  global
        .offset:         56
        .size:           8
        .value_kind:     global_buffer
      - .offset:         64
        .size:           8
        .value_kind:     by_value
      - .offset:         72
        .size:           8
        .value_kind:     by_value
      - .offset:         80
        .size:           8
        .value_kind:     by_value
      - .offset:         88
        .size:           8
        .value_kind:     by_value
      - .offset:         96
        .size:           8
        .value_kind:     by_value
      - .address_space:  global
        .offset:         104
        .size:           8
        .value_kind:     global_buffer
      - .offset:         112
        .size:           8
        .value_kind:     by_value
      - .offset:         120
        .size:           8
        .value_kind:     by_value
      - .offset:         128
        .size:           8
        .value_kind:     by_value
      - .offset:         136
        .size:           4
        .value_kind:     by_value
      - .offset:         144
        .size:           4
        .value_kind:     hidden_block_count_x
      - .offset:         148
        .size:           4
        .value_kind:     hidden_block_count_y
      - .offset:         152
        .size:           4
        .value_kind:     hidden_block_count_z
      - .offset:         156
        .size:           2
        .value_kind:     hidden_group_size_x
      - .offset:         158
        .size:           2
        .value_kind:     hidden_group_size_y
      - .offset:         160
        .size:           2
        .value_kind:     hidden_group_size_z
      - .offset:         162
        .size:           2
        .value_kind:     hidden_remainder_x
      - .offset:         164
        .size:           2
        .value_kind:     hidden_remainder_y
      - .offset:         166
        .size:           2
        .value_kind:     hidden_remainder_z
      - .offset:         184
        .size:           8
        .value_kind:     hidden_global_offset_x
      - .offset:         192
        .size:           8
        .value_kind:     hidden_global_offset_y
      - .offset:         200
        .size:           8
        .value_kind:     hidden_global_offset_z
      - .offset:         208
        .size:           2
        .value_kind:     hidden_grid_dims
    .group_segment_fixed_size: 16384
    .kernarg_segment_align: 8
    .kernarg_segment_size: 400
    .language:       OpenCL C
    .language_version:
      - 2
      - 0
    .max_flat_workgroup_size: 512
    .name:           _ZL20rocblas_gemvn_kernelILi32ELi16El19rocblas_complex_numIfES1_S1_EviiT3_lPKT2_lT1_lS5_lS6_lS2_lPT4_lS6_li
    .private_segment_fixed_size: 0
    .sgpr_count:     59
    .sgpr_spill_count: 0
    .symbol:         _ZL20rocblas_gemvn_kernelILi32ELi16El19rocblas_complex_numIfES1_S1_EviiT3_lPKT2_lT1_lS5_lS6_lS2_lPT4_lS6_li.kd
    .uniform_work_group_size: 1
    .uses_dynamic_stack: false
    .vgpr_count:     69
    .vgpr_spill_count: 0
    .wavefront_size: 64
  - .agpr_count:     0
    .args:
      - .offset:         0
        .size:           4
        .value_kind:     by_value
      - .offset:         4
        .size:           4
        .value_kind:     by_value
      - .address_space:  global
        .offset:         8
        .size:           8
        .value_kind:     global_buffer
      - .offset:         16
        .size:           8
        .value_kind:     by_value
      - .address_space:  global
        .offset:         24
        .size:           8
        .value_kind:     global_buffer
      - .offset:         32
        .size:           8
        .value_kind:     by_value
      - .offset:         40
        .size:           4
        .value_kind:     by_value
      - .offset:         48
        .size:           8
        .value_kind:     by_value
      - .address_space:  global
        .offset:         56
        .size:           8
        .value_kind:     global_buffer
      - .offset:         64
        .size:           8
        .value_kind:     by_value
      - .offset:         72
        .size:           4
        .value_kind:     by_value
      - .offset:         80
        .size:           8
        .value_kind:     by_value
      - .address_space:  global
        .offset:         88
        .size:           8
        .value_kind:     global_buffer
      - .offset:         96
        .size:           8
        .value_kind:     by_value
      - .address_space:  global
        .offset:         104
        .size:           8
        .value_kind:     global_buffer
      - .offset:         112
        .size:           8
        .value_kind:     by_value
      - .offset:         120
        .size:           4
        .value_kind:     by_value
      - .offset:         128
        .size:           8
        .value_kind:     by_value
      - .offset:         136
        .size:           4
        .value_kind:     by_value
      - .offset:         144
        .size:           4
        .value_kind:     hidden_block_count_x
      - .offset:         148
        .size:           4
        .value_kind:     hidden_block_count_y
      - .offset:         152
        .size:           4
        .value_kind:     hidden_block_count_z
      - .offset:         156
        .size:           2
        .value_kind:     hidden_group_size_x
      - .offset:         158
        .size:           2
        .value_kind:     hidden_group_size_y
      - .offset:         160
        .size:           2
        .value_kind:     hidden_group_size_z
      - .offset:         162
        .size:           2
        .value_kind:     hidden_remainder_x
      - .offset:         164
        .size:           2
        .value_kind:     hidden_remainder_y
      - .offset:         166
        .size:           2
        .value_kind:     hidden_remainder_z
      - .offset:         184
        .size:           8
        .value_kind:     hidden_global_offset_x
      - .offset:         192
        .size:           8
        .value_kind:     hidden_global_offset_y
      - .offset:         200
        .size:           8
        .value_kind:     hidden_global_offset_z
      - .offset:         208
        .size:           2
        .value_kind:     hidden_grid_dims
    .group_segment_fixed_size: 32768
    .kernarg_segment_align: 8
    .kernarg_segment_size: 400
    .language:       OpenCL C
    .language_version:
      - 2
      - 0
    .max_flat_workgroup_size: 1024
    .name:           _ZL20rocblas_gemvn_kernelILi64ELi16Ei19rocblas_complex_numIfEPKS1_S1_EviiT3_lPKT2_lT1_lS7_lS8_lS4_lPT4_lS8_li
    .private_segment_fixed_size: 0
    .sgpr_count:     46
    .sgpr_spill_count: 0
    .symbol:         _ZL20rocblas_gemvn_kernelILi64ELi16Ei19rocblas_complex_numIfEPKS1_S1_EviiT3_lPKT2_lT1_lS7_lS8_lS4_lPT4_lS8_li.kd
    .uniform_work_group_size: 1
    .uses_dynamic_stack: false
    .vgpr_count:     65
    .vgpr_spill_count: 0
    .wavefront_size: 64
  - .agpr_count:     0
    .args:
      - .offset:         0
        .size:           4
        .value_kind:     by_value
      - .offset:         4
        .size:           4
        .value_kind:     by_value
      - .address_space:  global
        .offset:         8
        .size:           8
        .value_kind:     global_buffer
      - .offset:         16
        .size:           8
        .value_kind:     by_value
      - .address_space:  global
        .offset:         24
        .size:           8
        .value_kind:     global_buffer
      - .offset:         32
        .size:           8
        .value_kind:     by_value
      - .offset:         40
        .size:           8
        .value_kind:     by_value
      - .offset:         48
        .size:           8
        .value_kind:     by_value
      - .address_space:  global
        .offset:         56
        .size:           8
        .value_kind:     global_buffer
      - .offset:         64
        .size:           8
        .value_kind:     by_value
      - .offset:         72
        .size:           8
        .value_kind:     by_value
      - .offset:         80
        .size:           8
        .value_kind:     by_value
      - .address_space:  global
        .offset:         88
        .size:           8
        .value_kind:     global_buffer
      - .offset:         96
        .size:           8
        .value_kind:     by_value
      - .address_space:  global
        .offset:         104
        .size:           8
        .value_kind:     global_buffer
      - .offset:         112
        .size:           8
        .value_kind:     by_value
      - .offset:         120
        .size:           8
        .value_kind:     by_value
      - .offset:         128
        .size:           8
        .value_kind:     by_value
      - .offset:         136
        .size:           4
        .value_kind:     by_value
      - .offset:         144
        .size:           4
        .value_kind:     hidden_block_count_x
      - .offset:         148
        .size:           4
        .value_kind:     hidden_block_count_y
      - .offset:         152
        .size:           4
        .value_kind:     hidden_block_count_z
      - .offset:         156
        .size:           2
        .value_kind:     hidden_group_size_x
      - .offset:         158
        .size:           2
        .value_kind:     hidden_group_size_y
      - .offset:         160
        .size:           2
        .value_kind:     hidden_group_size_z
      - .offset:         162
        .size:           2
        .value_kind:     hidden_remainder_x
      - .offset:         164
        .size:           2
        .value_kind:     hidden_remainder_y
      - .offset:         166
        .size:           2
        .value_kind:     hidden_remainder_z
      - .offset:         184
        .size:           8
        .value_kind:     hidden_global_offset_x
      - .offset:         192
        .size:           8
        .value_kind:     hidden_global_offset_y
      - .offset:         200
        .size:           8
        .value_kind:     hidden_global_offset_z
      - .offset:         208
        .size:           2
        .value_kind:     hidden_grid_dims
    .group_segment_fixed_size: 32768
    .kernarg_segment_align: 8
    .kernarg_segment_size: 400
    .language:       OpenCL C
    .language_version:
      - 2
      - 0
    .max_flat_workgroup_size: 1024
    .name:           _ZL20rocblas_gemvn_kernelILi64ELi16El19rocblas_complex_numIfEPKS1_S1_EviiT3_lPKT2_lT1_lS7_lS8_lS4_lPT4_lS8_li
    .private_segment_fixed_size: 0
    .sgpr_count:     59
    .sgpr_spill_count: 0
    .symbol:         _ZL20rocblas_gemvn_kernelILi64ELi16El19rocblas_complex_numIfEPKS1_S1_EviiT3_lPKT2_lT1_lS7_lS8_lS4_lPT4_lS8_li.kd
    .uniform_work_group_size: 1
    .uses_dynamic_stack: false
    .vgpr_count:     69
    .vgpr_spill_count: 0
    .wavefront_size: 64
  - .agpr_count:     0
    .args:
      - .offset:         0
        .size:           4
        .value_kind:     by_value
      - .offset:         4
        .size:           4
        .value_kind:     by_value
      - .offset:         8
        .size:           8
        .value_kind:     by_value
      - .offset:         16
        .size:           8
        .value_kind:     by_value
      - .address_space:  global
        .offset:         24
        .size:           8
        .value_kind:     global_buffer
      - .offset:         32
        .size:           8
        .value_kind:     by_value
      - .offset:         40
        .size:           4
        .value_kind:     by_value
      - .offset:         48
        .size:           8
        .value_kind:     by_value
      - .address_space:  global
        .offset:         56
        .size:           8
        .value_kind:     global_buffer
      - .offset:         64
        .size:           8
        .value_kind:     by_value
      - .offset:         72
        .size:           4
        .value_kind:     by_value
      - .offset:         80
        .size:           8
        .value_kind:     by_value
      - .offset:         88
        .size:           8
        .value_kind:     by_value
      - .offset:         96
        .size:           8
        .value_kind:     by_value
      - .address_space:  global
        .offset:         104
        .size:           8
        .value_kind:     global_buffer
      - .offset:         112
        .size:           8
        .value_kind:     by_value
      - .offset:         120
        .size:           4
        .value_kind:     by_value
      - .offset:         128
        .size:           8
        .value_kind:     by_value
      - .offset:         136
        .size:           4
        .value_kind:     by_value
      - .offset:         144
        .size:           4
        .value_kind:     hidden_block_count_x
      - .offset:         148
        .size:           4
        .value_kind:     hidden_block_count_y
      - .offset:         152
        .size:           4
        .value_kind:     hidden_block_count_z
      - .offset:         156
        .size:           2
        .value_kind:     hidden_group_size_x
      - .offset:         158
        .size:           2
        .value_kind:     hidden_group_size_y
      - .offset:         160
        .size:           2
        .value_kind:     hidden_group_size_z
      - .offset:         162
        .size:           2
        .value_kind:     hidden_remainder_x
      - .offset:         164
        .size:           2
        .value_kind:     hidden_remainder_y
      - .offset:         166
        .size:           2
        .value_kind:     hidden_remainder_z
      - .offset:         184
        .size:           8
        .value_kind:     hidden_global_offset_x
      - .offset:         192
        .size:           8
        .value_kind:     hidden_global_offset_y
      - .offset:         200
        .size:           8
        .value_kind:     hidden_global_offset_z
      - .offset:         208
        .size:           2
        .value_kind:     hidden_grid_dims
    .group_segment_fixed_size: 32768
    .kernarg_segment_align: 8
    .kernarg_segment_size: 400
    .language:       OpenCL C
    .language_version:
      - 2
      - 0
    .max_flat_workgroup_size: 1024
    .name:           _ZL20rocblas_gemvn_kernelILi64ELi16Ei19rocblas_complex_numIfES1_S1_EviiT3_lPKT2_lT1_lS5_lS6_lS2_lPT4_lS6_li
    .private_segment_fixed_size: 0
    .sgpr_count:     46
    .sgpr_spill_count: 0
    .symbol:         _ZL20rocblas_gemvn_kernelILi64ELi16Ei19rocblas_complex_numIfES1_S1_EviiT3_lPKT2_lT1_lS5_lS6_lS2_lPT4_lS6_li.kd
    .uniform_work_group_size: 1
    .uses_dynamic_stack: false
    .vgpr_count:     65
    .vgpr_spill_count: 0
    .wavefront_size: 64
  - .agpr_count:     0
    .args:
      - .offset:         0
        .size:           4
        .value_kind:     by_value
      - .offset:         4
        .size:           4
        .value_kind:     by_value
      - .offset:         8
        .size:           8
        .value_kind:     by_value
      - .offset:         16
        .size:           8
        .value_kind:     by_value
      - .address_space:  global
        .offset:         24
        .size:           8
        .value_kind:     global_buffer
      - .offset:         32
        .size:           8
        .value_kind:     by_value
      - .offset:         40
        .size:           8
        .value_kind:     by_value
      - .offset:         48
        .size:           8
        .value_kind:     by_value
      - .address_space:  global
        .offset:         56
        .size:           8
        .value_kind:     global_buffer
      - .offset:         64
        .size:           8
        .value_kind:     by_value
      - .offset:         72
        .size:           8
        .value_kind:     by_value
      - .offset:         80
        .size:           8
        .value_kind:     by_value
      - .offset:         88
        .size:           8
        .value_kind:     by_value
      - .offset:         96
        .size:           8
        .value_kind:     by_value
      - .address_space:  global
        .offset:         104
        .size:           8
        .value_kind:     global_buffer
      - .offset:         112
        .size:           8
        .value_kind:     by_value
      - .offset:         120
        .size:           8
        .value_kind:     by_value
      - .offset:         128
        .size:           8
        .value_kind:     by_value
      - .offset:         136
        .size:           4
        .value_kind:     by_value
      - .offset:         144
        .size:           4
        .value_kind:     hidden_block_count_x
      - .offset:         148
        .size:           4
        .value_kind:     hidden_block_count_y
      - .offset:         152
        .size:           4
        .value_kind:     hidden_block_count_z
      - .offset:         156
        .size:           2
        .value_kind:     hidden_group_size_x
      - .offset:         158
        .size:           2
        .value_kind:     hidden_group_size_y
      - .offset:         160
        .size:           2
        .value_kind:     hidden_group_size_z
      - .offset:         162
        .size:           2
        .value_kind:     hidden_remainder_x
      - .offset:         164
        .size:           2
        .value_kind:     hidden_remainder_y
      - .offset:         166
        .size:           2
        .value_kind:     hidden_remainder_z
      - .offset:         184
        .size:           8
        .value_kind:     hidden_global_offset_x
      - .offset:         192
        .size:           8
        .value_kind:     hidden_global_offset_y
      - .offset:         200
        .size:           8
        .value_kind:     hidden_global_offset_z
      - .offset:         208
        .size:           2
        .value_kind:     hidden_grid_dims
    .group_segment_fixed_size: 32768
    .kernarg_segment_align: 8
    .kernarg_segment_size: 400
    .language:       OpenCL C
    .language_version:
      - 2
      - 0
    .max_flat_workgroup_size: 1024
    .name:           _ZL20rocblas_gemvn_kernelILi64ELi16El19rocblas_complex_numIfES1_S1_EviiT3_lPKT2_lT1_lS5_lS6_lS2_lPT4_lS6_li
    .private_segment_fixed_size: 0
    .sgpr_count:     59
    .sgpr_spill_count: 0
    .symbol:         _ZL20rocblas_gemvn_kernelILi64ELi16El19rocblas_complex_numIfES1_S1_EviiT3_lPKT2_lT1_lS5_lS6_lS2_lPT4_lS6_li.kd
    .uniform_work_group_size: 1
    .uses_dynamic_stack: false
    .vgpr_count:     69
    .vgpr_spill_count: 0
    .wavefront_size: 64
  - .agpr_count:     0
    .args:
      - .offset:         0
        .size:           4
        .value_kind:     by_value
      - .offset:         4
        .size:           4
        .value_kind:     by_value
      - .address_space:  global
        .offset:         8
        .size:           8
        .value_kind:     global_buffer
      - .offset:         16
        .size:           8
        .value_kind:     by_value
      - .address_space:  global
        .offset:         24
        .size:           8
        .value_kind:     global_buffer
      - .offset:         32
        .size:           8
        .value_kind:     by_value
      - .offset:         40
        .size:           4
        .value_kind:     by_value
      - .offset:         48
        .size:           8
        .value_kind:     by_value
      - .address_space:  global
        .offset:         56
        .size:           8
        .value_kind:     global_buffer
      - .offset:         64
        .size:           8
        .value_kind:     by_value
      - .offset:         72
        .size:           4
        .value_kind:     by_value
      - .offset:         80
        .size:           8
        .value_kind:     by_value
      - .address_space:  global
        .offset:         88
        .size:           8
        .value_kind:     global_buffer
      - .offset:         96
        .size:           8
        .value_kind:     by_value
      - .address_space:  global
        .offset:         104
        .size:           8
        .value_kind:     global_buffer
      - .offset:         112
        .size:           8
        .value_kind:     by_value
      - .offset:         120
        .size:           4
        .value_kind:     by_value
      - .offset:         128
        .size:           8
        .value_kind:     by_value
    .group_segment_fixed_size: 512
    .kernarg_segment_align: 8
    .kernarg_segment_size: 136
    .language:       OpenCL C
    .language_version:
      - 2
      - 0
    .max_flat_workgroup_size: 256
    .name:           _ZL22rocblas_gemvtsm_kernelILb0ELi256E19rocblas_complex_numIfEPKS1_S1_EviiT2_lPKT1_lilS7_lilS4_lPT3_lil
    .private_segment_fixed_size: 0
    .sgpr_count:     38
    .sgpr_spill_count: 0
    .symbol:         _ZL22rocblas_gemvtsm_kernelILb0ELi256E19rocblas_complex_numIfEPKS1_S1_EviiT2_lPKT1_lilS7_lilS4_lPT3_lil.kd
    .uniform_work_group_size: 1
    .uses_dynamic_stack: false
    .vgpr_count:     51
    .vgpr_spill_count: 0
    .wavefront_size: 64
  - .agpr_count:     0
    .args:
      - .offset:         0
        .size:           4
        .value_kind:     by_value
      - .offset:         4
        .size:           4
        .value_kind:     by_value
      - .offset:         8
        .size:           8
        .value_kind:     by_value
      - .offset:         16
        .size:           8
        .value_kind:     by_value
      - .address_space:  global
        .offset:         24
        .size:           8
        .value_kind:     global_buffer
      - .offset:         32
        .size:           8
        .value_kind:     by_value
      - .offset:         40
        .size:           4
        .value_kind:     by_value
      - .offset:         48
        .size:           8
        .value_kind:     by_value
      - .address_space:  global
        .offset:         56
        .size:           8
        .value_kind:     global_buffer
      - .offset:         64
        .size:           8
        .value_kind:     by_value
      - .offset:         72
        .size:           4
        .value_kind:     by_value
      - .offset:         80
        .size:           8
        .value_kind:     by_value
      - .offset:         88
        .size:           8
        .value_kind:     by_value
      - .offset:         96
        .size:           8
        .value_kind:     by_value
      - .address_space:  global
        .offset:         104
        .size:           8
        .value_kind:     global_buffer
      - .offset:         112
        .size:           8
        .value_kind:     by_value
      - .offset:         120
        .size:           4
        .value_kind:     by_value
      - .offset:         128
        .size:           8
        .value_kind:     by_value
    .group_segment_fixed_size: 512
    .kernarg_segment_align: 8
    .kernarg_segment_size: 136
    .language:       OpenCL C
    .language_version:
      - 2
      - 0
    .max_flat_workgroup_size: 256
    .name:           _ZL22rocblas_gemvtsm_kernelILb0ELi256E19rocblas_complex_numIfES1_S1_EviiT2_lPKT1_lilS5_lilS2_lPT3_lil
    .private_segment_fixed_size: 0
    .sgpr_count:     36
    .sgpr_spill_count: 0
    .symbol:         _ZL22rocblas_gemvtsm_kernelILb0ELi256E19rocblas_complex_numIfES1_S1_EviiT2_lPKT1_lilS5_lilS2_lPT3_lil.kd
    .uniform_work_group_size: 1
    .uses_dynamic_stack: false
    .vgpr_count:     51
    .vgpr_spill_count: 0
    .wavefront_size: 64
  - .agpr_count:     0
    .args:
      - .offset:         0
        .size:           4
        .value_kind:     by_value
      - .offset:         4
        .size:           4
        .value_kind:     by_value
      - .address_space:  global
        .offset:         8
        .size:           8
        .value_kind:     global_buffer
      - .offset:         16
        .size:           8
        .value_kind:     by_value
      - .address_space:  global
        .offset:         24
        .size:           8
        .value_kind:     global_buffer
      - .offset:         32
        .size:           8
        .value_kind:     by_value
      - .offset:         40
        .size:           4
        .value_kind:     by_value
      - .offset:         48
        .size:           8
        .value_kind:     by_value
      - .address_space:  global
        .offset:         56
        .size:           8
        .value_kind:     global_buffer
      - .offset:         64
        .size:           8
        .value_kind:     by_value
      - .offset:         72
        .size:           4
        .value_kind:     by_value
      - .offset:         80
        .size:           8
        .value_kind:     by_value
      - .address_space:  global
        .offset:         88
        .size:           8
        .value_kind:     global_buffer
      - .offset:         96
        .size:           4
        .value_kind:     by_value
      - .offset:         104
        .size:           4
        .value_kind:     hidden_block_count_x
      - .offset:         108
        .size:           4
        .value_kind:     hidden_block_count_y
      - .offset:         112
        .size:           4
        .value_kind:     hidden_block_count_z
      - .offset:         116
        .size:           2
        .value_kind:     hidden_group_size_x
      - .offset:         118
        .size:           2
        .value_kind:     hidden_group_size_y
      - .offset:         120
        .size:           2
        .value_kind:     hidden_group_size_z
      - .offset:         122
        .size:           2
        .value_kind:     hidden_remainder_x
      - .offset:         124
        .size:           2
        .value_kind:     hidden_remainder_y
      - .offset:         126
        .size:           2
        .value_kind:     hidden_remainder_z
      - .offset:         144
        .size:           8
        .value_kind:     hidden_global_offset_x
      - .offset:         152
        .size:           8
        .value_kind:     hidden_global_offset_y
      - .offset:         160
        .size:           8
        .value_kind:     hidden_global_offset_z
      - .offset:         168
        .size:           2
        .value_kind:     hidden_grid_dims
    .group_segment_fixed_size: 512
    .kernarg_segment_align: 8
    .kernarg_segment_size: 360
    .language:       OpenCL C
    .language_version:
      - 2
      - 0
    .max_flat_workgroup_size: 256
    .name:           _ZL23rocblas_gemvt_sn_kernelILb0ELi256ELi4Ei19rocblas_complex_numIfEPKS1_S1_EviiT4_lPKT3_lilS7_lilPT5_i
    .private_segment_fixed_size: 48
    .sgpr_count:     61
    .sgpr_spill_count: 0
    .symbol:         _ZL23rocblas_gemvt_sn_kernelILb0ELi256ELi4Ei19rocblas_complex_numIfEPKS1_S1_EviiT4_lPKT3_lilS7_lilPT5_i.kd
    .uniform_work_group_size: 1
    .uses_dynamic_stack: false
    .vgpr_count:     84
    .vgpr_spill_count: 0
    .wavefront_size: 64
  - .agpr_count:     0
    .args:
      - .offset:         0
        .size:           4
        .value_kind:     by_value
      - .offset:         4
        .size:           4
        .value_kind:     by_value
      - .address_space:  global
        .offset:         8
        .size:           8
        .value_kind:     global_buffer
      - .offset:         16
        .size:           8
        .value_kind:     by_value
      - .address_space:  global
        .offset:         24
        .size:           8
        .value_kind:     global_buffer
      - .offset:         32
        .size:           8
        .value_kind:     by_value
      - .offset:         40
        .size:           4
        .value_kind:     by_value
      - .offset:         48
        .size:           8
        .value_kind:     by_value
      - .address_space:  global
        .offset:         56
        .size:           8
        .value_kind:     global_buffer
      - .offset:         64
        .size:           8
        .value_kind:     by_value
      - .offset:         72
        .size:           4
        .value_kind:     by_value
      - .offset:         80
        .size:           8
        .value_kind:     by_value
      - .address_space:  global
        .offset:         88
        .size:           8
        .value_kind:     global_buffer
      - .offset:         96
        .size:           4
        .value_kind:     by_value
      - .offset:         104
        .size:           4
        .value_kind:     hidden_block_count_x
      - .offset:         108
        .size:           4
        .value_kind:     hidden_block_count_y
      - .offset:         112
        .size:           4
        .value_kind:     hidden_block_count_z
      - .offset:         116
        .size:           2
        .value_kind:     hidden_group_size_x
      - .offset:         118
        .size:           2
        .value_kind:     hidden_group_size_y
      - .offset:         120
        .size:           2
        .value_kind:     hidden_group_size_z
      - .offset:         122
        .size:           2
        .value_kind:     hidden_remainder_x
      - .offset:         124
        .size:           2
        .value_kind:     hidden_remainder_y
      - .offset:         126
        .size:           2
        .value_kind:     hidden_remainder_z
      - .offset:         144
        .size:           8
        .value_kind:     hidden_global_offset_x
      - .offset:         152
        .size:           8
        .value_kind:     hidden_global_offset_y
      - .offset:         160
        .size:           8
        .value_kind:     hidden_global_offset_z
      - .offset:         168
        .size:           2
        .value_kind:     hidden_grid_dims
    .group_segment_fixed_size: 512
    .kernarg_segment_align: 8
    .kernarg_segment_size: 360
    .language:       OpenCL C
    .language_version:
      - 2
      - 0
    .max_flat_workgroup_size: 256
    .name:           _ZL23rocblas_gemvt_sn_kernelILb0ELi256ELi4El19rocblas_complex_numIfEPKS1_S1_EviiT4_lPKT3_lilS7_lilPT5_i
    .private_segment_fixed_size: 48
    .sgpr_count:     69
    .sgpr_spill_count: 0
    .symbol:         _ZL23rocblas_gemvt_sn_kernelILb0ELi256ELi4El19rocblas_complex_numIfEPKS1_S1_EviiT4_lPKT3_lilS7_lilPT5_i.kd
    .uniform_work_group_size: 1
    .uses_dynamic_stack: false
    .vgpr_count:     88
    .vgpr_spill_count: 0
    .wavefront_size: 64
  - .agpr_count:     0
    .args:
      - .offset:         0
        .size:           4
        .value_kind:     by_value
      - .address_space:  global
        .offset:         8
        .size:           8
        .value_kind:     global_buffer
      - .offset:         16
        .size:           8
        .value_kind:     by_value
      - .address_space:  global
        .offset:         24
        .size:           8
        .value_kind:     global_buffer
      - .offset:         32
        .size:           8
        .value_kind:     by_value
      - .offset:         40
        .size:           4
        .value_kind:     by_value
      - .offset:         48
        .size:           8
        .value_kind:     by_value
      - .actual_access:  read_only
        .address_space:  global
        .offset:         56
        .size:           8
        .value_kind:     global_buffer
      - .offset:         64
        .size:           4
        .value_kind:     by_value
      - .offset:         72
        .size:           4
        .value_kind:     hidden_block_count_x
      - .offset:         76
        .size:           4
        .value_kind:     hidden_block_count_y
      - .offset:         80
        .size:           4
        .value_kind:     hidden_block_count_z
      - .offset:         84
        .size:           2
        .value_kind:     hidden_group_size_x
      - .offset:         86
        .size:           2
        .value_kind:     hidden_group_size_y
      - .offset:         88
        .size:           2
        .value_kind:     hidden_group_size_z
      - .offset:         90
        .size:           2
        .value_kind:     hidden_remainder_x
      - .offset:         92
        .size:           2
        .value_kind:     hidden_remainder_y
      - .offset:         94
        .size:           2
        .value_kind:     hidden_remainder_z
      - .offset:         112
        .size:           8
        .value_kind:     hidden_global_offset_x
      - .offset:         120
        .size:           8
        .value_kind:     hidden_global_offset_y
      - .offset:         128
        .size:           8
        .value_kind:     hidden_global_offset_z
      - .offset:         136
        .size:           2
        .value_kind:     hidden_grid_dims
    .group_segment_fixed_size: 512
    .kernarg_segment_align: 8
    .kernarg_segment_size: 328
    .language:       OpenCL C
    .language_version:
      - 2
      - 0
    .max_flat_workgroup_size: 256
    .name:           _ZL23rocblas_gemvt_sn_reduceILi256ELi8E19rocblas_complex_numIfEPKS1_S1_EviT2_lPT3_lilPT1_i
    .private_segment_fixed_size: 0
    .sgpr_count:     29
    .sgpr_spill_count: 0
    .symbol:         _ZL23rocblas_gemvt_sn_reduceILi256ELi8E19rocblas_complex_numIfEPKS1_S1_EviT2_lPT3_lilPT1_i.kd
    .uniform_work_group_size: 1
    .uses_dynamic_stack: false
    .vgpr_count:     22
    .vgpr_spill_count: 0
    .wavefront_size: 64
  - .agpr_count:     0
    .args:
      - .offset:         0
        .size:           4
        .value_kind:     by_value
      - .offset:         4
        .size:           4
        .value_kind:     by_value
      - .offset:         8
        .size:           8
        .value_kind:     by_value
      - .offset:         16
        .size:           8
        .value_kind:     by_value
      - .address_space:  global
        .offset:         24
        .size:           8
        .value_kind:     global_buffer
      - .offset:         32
        .size:           8
        .value_kind:     by_value
      - .offset:         40
        .size:           4
        .value_kind:     by_value
      - .offset:         48
        .size:           8
        .value_kind:     by_value
      - .address_space:  global
        .offset:         56
        .size:           8
        .value_kind:     global_buffer
      - .offset:         64
        .size:           8
        .value_kind:     by_value
      - .offset:         72
        .size:           4
        .value_kind:     by_value
      - .offset:         80
        .size:           8
        .value_kind:     by_value
      - .address_space:  global
        .offset:         88
        .size:           8
        .value_kind:     global_buffer
      - .offset:         96
        .size:           4
        .value_kind:     by_value
      - .offset:         104
        .size:           4
        .value_kind:     hidden_block_count_x
      - .offset:         108
        .size:           4
        .value_kind:     hidden_block_count_y
      - .offset:         112
        .size:           4
        .value_kind:     hidden_block_count_z
      - .offset:         116
        .size:           2
        .value_kind:     hidden_group_size_x
      - .offset:         118
        .size:           2
        .value_kind:     hidden_group_size_y
      - .offset:         120
        .size:           2
        .value_kind:     hidden_group_size_z
      - .offset:         122
        .size:           2
        .value_kind:     hidden_remainder_x
      - .offset:         124
        .size:           2
        .value_kind:     hidden_remainder_y
      - .offset:         126
        .size:           2
        .value_kind:     hidden_remainder_z
      - .offset:         144
        .size:           8
        .value_kind:     hidden_global_offset_x
      - .offset:         152
        .size:           8
        .value_kind:     hidden_global_offset_y
      - .offset:         160
        .size:           8
        .value_kind:     hidden_global_offset_z
      - .offset:         168
        .size:           2
        .value_kind:     hidden_grid_dims
    .group_segment_fixed_size: 512
    .kernarg_segment_align: 8
    .kernarg_segment_size: 360
    .language:       OpenCL C
    .language_version:
      - 2
      - 0
    .max_flat_workgroup_size: 256
    .name:           _ZL23rocblas_gemvt_sn_kernelILb0ELi256ELi4Ei19rocblas_complex_numIfES1_S1_EviiT4_lPKT3_lilS5_lilPT5_i
    .private_segment_fixed_size: 48
    .sgpr_count:     61
    .sgpr_spill_count: 0
    .symbol:         _ZL23rocblas_gemvt_sn_kernelILb0ELi256ELi4Ei19rocblas_complex_numIfES1_S1_EviiT4_lPKT3_lilS5_lilPT5_i.kd
    .uniform_work_group_size: 1
    .uses_dynamic_stack: false
    .vgpr_count:     84
    .vgpr_spill_count: 0
    .wavefront_size: 64
  - .agpr_count:     0
    .args:
      - .offset:         0
        .size:           4
        .value_kind:     by_value
      - .offset:         4
        .size:           4
        .value_kind:     by_value
      - .offset:         8
        .size:           8
        .value_kind:     by_value
      - .offset:         16
        .size:           8
        .value_kind:     by_value
      - .address_space:  global
        .offset:         24
        .size:           8
        .value_kind:     global_buffer
      - .offset:         32
        .size:           8
        .value_kind:     by_value
      - .offset:         40
        .size:           4
        .value_kind:     by_value
      - .offset:         48
        .size:           8
        .value_kind:     by_value
      - .address_space:  global
        .offset:         56
        .size:           8
        .value_kind:     global_buffer
      - .offset:         64
        .size:           8
        .value_kind:     by_value
      - .offset:         72
        .size:           4
        .value_kind:     by_value
      - .offset:         80
        .size:           8
        .value_kind:     by_value
      - .address_space:  global
        .offset:         88
        .size:           8
        .value_kind:     global_buffer
      - .offset:         96
        .size:           4
        .value_kind:     by_value
      - .offset:         104
        .size:           4
        .value_kind:     hidden_block_count_x
      - .offset:         108
        .size:           4
        .value_kind:     hidden_block_count_y
      - .offset:         112
        .size:           4
        .value_kind:     hidden_block_count_z
      - .offset:         116
        .size:           2
        .value_kind:     hidden_group_size_x
      - .offset:         118
        .size:           2
        .value_kind:     hidden_group_size_y
      - .offset:         120
        .size:           2
        .value_kind:     hidden_group_size_z
      - .offset:         122
        .size:           2
        .value_kind:     hidden_remainder_x
      - .offset:         124
        .size:           2
        .value_kind:     hidden_remainder_y
      - .offset:         126
        .size:           2
        .value_kind:     hidden_remainder_z
      - .offset:         144
        .size:           8
        .value_kind:     hidden_global_offset_x
      - .offset:         152
        .size:           8
        .value_kind:     hidden_global_offset_y
      - .offset:         160
        .size:           8
        .value_kind:     hidden_global_offset_z
      - .offset:         168
        .size:           2
        .value_kind:     hidden_grid_dims
    .group_segment_fixed_size: 512
    .kernarg_segment_align: 8
    .kernarg_segment_size: 360
    .language:       OpenCL C
    .language_version:
      - 2
      - 0
    .max_flat_workgroup_size: 256
    .name:           _ZL23rocblas_gemvt_sn_kernelILb0ELi256ELi4El19rocblas_complex_numIfES1_S1_EviiT4_lPKT3_lilS5_lilPT5_i
    .private_segment_fixed_size: 48
    .sgpr_count:     69
    .sgpr_spill_count: 0
    .symbol:         _ZL23rocblas_gemvt_sn_kernelILb0ELi256ELi4El19rocblas_complex_numIfES1_S1_EviiT4_lPKT3_lilS5_lilPT5_i.kd
    .uniform_work_group_size: 1
    .uses_dynamic_stack: false
    .vgpr_count:     88
    .vgpr_spill_count: 0
    .wavefront_size: 64
  - .agpr_count:     0
    .args:
      - .offset:         0
        .size:           4
        .value_kind:     by_value
      - .offset:         4
        .size:           8
        .value_kind:     by_value
      - .offset:         16
        .size:           8
        .value_kind:     by_value
      - .address_space:  global
        .offset:         24
        .size:           8
        .value_kind:     global_buffer
      - .offset:         32
        .size:           8
        .value_kind:     by_value
      - .offset:         40
        .size:           4
        .value_kind:     by_value
      - .offset:         48
        .size:           8
        .value_kind:     by_value
      - .actual_access:  read_only
        .address_space:  global
        .offset:         56
        .size:           8
        .value_kind:     global_buffer
      - .offset:         64
        .size:           4
        .value_kind:     by_value
      - .offset:         72
        .size:           4
        .value_kind:     hidden_block_count_x
      - .offset:         76
        .size:           4
        .value_kind:     hidden_block_count_y
      - .offset:         80
        .size:           4
        .value_kind:     hidden_block_count_z
      - .offset:         84
        .size:           2
        .value_kind:     hidden_group_size_x
      - .offset:         86
        .size:           2
        .value_kind:     hidden_group_size_y
      - .offset:         88
        .size:           2
        .value_kind:     hidden_group_size_z
      - .offset:         90
        .size:           2
        .value_kind:     hidden_remainder_x
      - .offset:         92
        .size:           2
        .value_kind:     hidden_remainder_y
      - .offset:         94
        .size:           2
        .value_kind:     hidden_remainder_z
      - .offset:         112
        .size:           8
        .value_kind:     hidden_global_offset_x
      - .offset:         120
        .size:           8
        .value_kind:     hidden_global_offset_y
      - .offset:         128
        .size:           8
        .value_kind:     hidden_global_offset_z
      - .offset:         136
        .size:           2
        .value_kind:     hidden_grid_dims
    .group_segment_fixed_size: 512
    .kernarg_segment_align: 8
    .kernarg_segment_size: 328
    .language:       OpenCL C
    .language_version:
      - 2
      - 0
    .max_flat_workgroup_size: 256
    .name:           _ZL23rocblas_gemvt_sn_reduceILi256ELi8E19rocblas_complex_numIfES1_S1_EviT2_lPT3_lilPT1_i
    .private_segment_fixed_size: 0
    .sgpr_count:     26
    .sgpr_spill_count: 0
    .symbol:         _ZL23rocblas_gemvt_sn_reduceILi256ELi8E19rocblas_complex_numIfES1_S1_EviT2_lPT3_lilPT1_i.kd
    .uniform_work_group_size: 1
    .uses_dynamic_stack: false
    .vgpr_count:     22
    .vgpr_spill_count: 0
    .wavefront_size: 64
  - .agpr_count:     0
    .args:
      - .offset:         0
        .size:           4
        .value_kind:     by_value
      - .offset:         4
        .size:           4
        .value_kind:     by_value
      - .address_space:  global
        .offset:         8
        .size:           8
        .value_kind:     global_buffer
      - .offset:         16
        .size:           8
        .value_kind:     by_value
      - .address_space:  global
        .offset:         24
        .size:           8
        .value_kind:     global_buffer
      - .offset:         32
        .size:           8
        .value_kind:     by_value
      - .offset:         40
        .size:           4
        .value_kind:     by_value
      - .offset:         48
        .size:           8
        .value_kind:     by_value
      - .address_space:  global
        .offset:         56
        .size:           8
        .value_kind:     global_buffer
      - .offset:         64
        .size:           8
        .value_kind:     by_value
      - .offset:         72
        .size:           4
        .value_kind:     by_value
      - .offset:         80
        .size:           8
        .value_kind:     by_value
      - .address_space:  global
        .offset:         88
        .size:           8
        .value_kind:     global_buffer
      - .offset:         96
        .size:           8
        .value_kind:     by_value
      - .address_space:  global
        .offset:         104
        .size:           8
        .value_kind:     global_buffer
      - .offset:         112
        .size:           8
        .value_kind:     by_value
      - .offset:         120
        .size:           4
        .value_kind:     by_value
      - .offset:         128
        .size:           8
        .value_kind:     by_value
      - .offset:         136
        .size:           4
        .value_kind:     by_value
    .group_segment_fixed_size: 512
    .kernarg_segment_align: 8
    .kernarg_segment_size: 140
    .language:       OpenCL C
    .language_version:
      - 2
      - 0
    .max_flat_workgroup_size: 256
    .name:           _ZL32rocblas_gemvt_warp_reduce_kernelILb0ELi256Ei19rocblas_complex_numIfEPKS1_S1_EviiT3_lPKT2_lT1_lS7_lS8_lS4_lPT4_lS8_li
    .private_segment_fixed_size: 0
    .sgpr_count:     34
    .sgpr_spill_count: 0
    .symbol:         _ZL32rocblas_gemvt_warp_reduce_kernelILb0ELi256Ei19rocblas_complex_numIfEPKS1_S1_EviiT3_lPKT2_lT1_lS7_lS8_lS4_lPT4_lS8_li.kd
    .uniform_work_group_size: 1
    .uses_dynamic_stack: false
    .vgpr_count:     16
    .vgpr_spill_count: 0
    .wavefront_size: 64
  - .agpr_count:     0
    .args:
      - .offset:         0
        .size:           4
        .value_kind:     by_value
      - .offset:         4
        .size:           4
        .value_kind:     by_value
      - .address_space:  global
        .offset:         8
        .size:           8
        .value_kind:     global_buffer
      - .offset:         16
        .size:           8
        .value_kind:     by_value
      - .address_space:  global
        .offset:         24
        .size:           8
        .value_kind:     global_buffer
      - .offset:         32
        .size:           8
        .value_kind:     by_value
      - .offset:         40
        .size:           8
        .value_kind:     by_value
      - .offset:         48
        .size:           8
        .value_kind:     by_value
      - .address_space:  global
        .offset:         56
        .size:           8
        .value_kind:     global_buffer
      - .offset:         64
        .size:           8
        .value_kind:     by_value
      - .offset:         72
        .size:           8
        .value_kind:     by_value
      - .offset:         80
        .size:           8
        .value_kind:     by_value
      - .address_space:  global
        .offset:         88
        .size:           8
        .value_kind:     global_buffer
      - .offset:         96
        .size:           8
        .value_kind:     by_value
      - .address_space:  global
        .offset:         104
        .size:           8
        .value_kind:     global_buffer
      - .offset:         112
        .size:           8
        .value_kind:     by_value
      - .offset:         120
        .size:           8
        .value_kind:     by_value
      - .offset:         128
        .size:           8
        .value_kind:     by_value
      - .offset:         136
        .size:           4
        .value_kind:     by_value
    .group_segment_fixed_size: 512
    .kernarg_segment_align: 8
    .kernarg_segment_size: 140
    .language:       OpenCL C
    .language_version:
      - 2
      - 0
    .max_flat_workgroup_size: 256
    .name:           _ZL32rocblas_gemvt_warp_reduce_kernelILb0ELi256El19rocblas_complex_numIfEPKS1_S1_EviiT3_lPKT2_lT1_lS7_lS8_lS4_lPT4_lS8_li
    .private_segment_fixed_size: 0
    .sgpr_count:     58
    .sgpr_spill_count: 0
    .symbol:         _ZL32rocblas_gemvt_warp_reduce_kernelILb0ELi256El19rocblas_complex_numIfEPKS1_S1_EviiT3_lPKT2_lT1_lS7_lS8_lS4_lPT4_lS8_li.kd
    .uniform_work_group_size: 1
    .uses_dynamic_stack: false
    .vgpr_count:     16
    .vgpr_spill_count: 0
    .wavefront_size: 64
  - .agpr_count:     0
    .args:
      - .offset:         0
        .size:           4
        .value_kind:     by_value
      - .offset:         4
        .size:           4
        .value_kind:     by_value
      - .offset:         8
        .size:           8
        .value_kind:     by_value
      - .offset:         16
        .size:           8
        .value_kind:     by_value
      - .address_space:  global
        .offset:         24
        .size:           8
        .value_kind:     global_buffer
      - .offset:         32
        .size:           8
        .value_kind:     by_value
      - .offset:         40
        .size:           4
        .value_kind:     by_value
      - .offset:         48
        .size:           8
        .value_kind:     by_value
      - .address_space:  global
        .offset:         56
        .size:           8
        .value_kind:     global_buffer
      - .offset:         64
        .size:           8
        .value_kind:     by_value
      - .offset:         72
        .size:           4
        .value_kind:     by_value
      - .offset:         80
        .size:           8
        .value_kind:     by_value
      - .offset:         88
        .size:           8
        .value_kind:     by_value
      - .offset:         96
        .size:           8
        .value_kind:     by_value
      - .address_space:  global
        .offset:         104
        .size:           8
        .value_kind:     global_buffer
      - .offset:         112
        .size:           8
        .value_kind:     by_value
      - .offset:         120
        .size:           4
        .value_kind:     by_value
      - .offset:         128
        .size:           8
        .value_kind:     by_value
      - .offset:         136
        .size:           4
        .value_kind:     by_value
    .group_segment_fixed_size: 512
    .kernarg_segment_align: 8
    .kernarg_segment_size: 140
    .language:       OpenCL C
    .language_version:
      - 2
      - 0
    .max_flat_workgroup_size: 256
    .name:           _ZL32rocblas_gemvt_warp_reduce_kernelILb0ELi256Ei19rocblas_complex_numIfES1_S1_EviiT3_lPKT2_lT1_lS5_lS6_lS2_lPT4_lS6_li
    .private_segment_fixed_size: 0
    .sgpr_count:     32
    .sgpr_spill_count: 0
    .symbol:         _ZL32rocblas_gemvt_warp_reduce_kernelILb0ELi256Ei19rocblas_complex_numIfES1_S1_EviiT3_lPKT2_lT1_lS5_lS6_lS2_lPT4_lS6_li.kd
    .uniform_work_group_size: 1
    .uses_dynamic_stack: false
    .vgpr_count:     16
    .vgpr_spill_count: 0
    .wavefront_size: 64
  - .agpr_count:     0
    .args:
      - .offset:         0
        .size:           4
        .value_kind:     by_value
      - .offset:         4
        .size:           4
        .value_kind:     by_value
      - .offset:         8
        .size:           8
        .value_kind:     by_value
      - .offset:         16
        .size:           8
        .value_kind:     by_value
      - .address_space:  global
        .offset:         24
        .size:           8
        .value_kind:     global_buffer
      - .offset:         32
        .size:           8
        .value_kind:     by_value
      - .offset:         40
        .size:           8
        .value_kind:     by_value
      - .offset:         48
        .size:           8
        .value_kind:     by_value
      - .address_space:  global
        .offset:         56
        .size:           8
        .value_kind:     global_buffer
      - .offset:         64
        .size:           8
        .value_kind:     by_value
      - .offset:         72
        .size:           8
        .value_kind:     by_value
      - .offset:         80
        .size:           8
        .value_kind:     by_value
      - .offset:         88
        .size:           8
        .value_kind:     by_value
      - .offset:         96
        .size:           8
        .value_kind:     by_value
      - .address_space:  global
        .offset:         104
        .size:           8
        .value_kind:     global_buffer
      - .offset:         112
        .size:           8
        .value_kind:     by_value
      - .offset:         120
        .size:           8
        .value_kind:     by_value
      - .offset:         128
        .size:           8
        .value_kind:     by_value
      - .offset:         136
        .size:           4
        .value_kind:     by_value
    .group_segment_fixed_size: 512
    .kernarg_segment_align: 8
    .kernarg_segment_size: 140
    .language:       OpenCL C
    .language_version:
      - 2
      - 0
    .max_flat_workgroup_size: 256
    .name:           _ZL32rocblas_gemvt_warp_reduce_kernelILb0ELi256El19rocblas_complex_numIfES1_S1_EviiT3_lPKT2_lT1_lS5_lS6_lS2_lPT4_lS6_li
    .private_segment_fixed_size: 0
    .sgpr_count:     35
    .sgpr_spill_count: 0
    .symbol:         _ZL32rocblas_gemvt_warp_reduce_kernelILb0ELi256El19rocblas_complex_numIfES1_S1_EviiT3_lPKT2_lT1_lS5_lS6_lS2_lPT4_lS6_li.kd
    .uniform_work_group_size: 1
    .uses_dynamic_stack: false
    .vgpr_count:     16
    .vgpr_spill_count: 0
    .wavefront_size: 64
  - .agpr_count:     0
    .args:
      - .offset:         0
        .size:           4
        .value_kind:     by_value
      - .offset:         4
        .size:           4
        .value_kind:     by_value
      - .address_space:  global
        .offset:         8
        .size:           8
        .value_kind:     global_buffer
      - .offset:         16
        .size:           8
        .value_kind:     by_value
      - .address_space:  global
        .offset:         24
        .size:           8
        .value_kind:     global_buffer
      - .offset:         32
        .size:           8
        .value_kind:     by_value
      - .offset:         40
        .size:           4
        .value_kind:     by_value
      - .offset:         48
        .size:           8
        .value_kind:     by_value
      - .address_space:  global
        .offset:         56
        .size:           8
        .value_kind:     global_buffer
      - .offset:         64
        .size:           8
        .value_kind:     by_value
      - .offset:         72
        .size:           4
        .value_kind:     by_value
      - .offset:         80
        .size:           8
        .value_kind:     by_value
      - .address_space:  global
        .offset:         88
        .size:           8
        .value_kind:     global_buffer
      - .offset:         96
        .size:           8
        .value_kind:     by_value
      - .address_space:  global
        .offset:         104
        .size:           8
        .value_kind:     global_buffer
      - .offset:         112
        .size:           8
        .value_kind:     by_value
      - .offset:         120
        .size:           4
        .value_kind:     by_value
      - .offset:         128
        .size:           8
        .value_kind:     by_value
      - .offset:         136
        .size:           4
        .value_kind:     by_value
    .group_segment_fixed_size: 2048
    .kernarg_segment_align: 8
    .kernarg_segment_size: 140
    .language:       OpenCL C
    .language_version:
      - 2
      - 0
    .max_flat_workgroup_size: 256
    .name:           _ZL20rocblas_gemvt_kernelILb0ELi256E19rocblas_complex_numIfEPKS1_S1_EviiT2_lPKT1_lilS7_lilS4_lPT3_lili
    .private_segment_fixed_size: 0
    .sgpr_count:     32
    .sgpr_spill_count: 0
    .symbol:         _ZL20rocblas_gemvt_kernelILb0ELi256E19rocblas_complex_numIfEPKS1_S1_EviiT2_lPKT1_lilS7_lilS4_lPT3_lili.kd
    .uniform_work_group_size: 1
    .uses_dynamic_stack: false
    .vgpr_count:     18
    .vgpr_spill_count: 0
    .wavefront_size: 64
  - .agpr_count:     0
    .args:
      - .offset:         0
        .size:           4
        .value_kind:     by_value
      - .offset:         4
        .size:           4
        .value_kind:     by_value
      - .offset:         8
        .size:           8
        .value_kind:     by_value
      - .offset:         16
        .size:           8
        .value_kind:     by_value
      - .address_space:  global
        .offset:         24
        .size:           8
        .value_kind:     global_buffer
      - .offset:         32
        .size:           8
        .value_kind:     by_value
      - .offset:         40
        .size:           4
        .value_kind:     by_value
      - .offset:         48
        .size:           8
        .value_kind:     by_value
      - .address_space:  global
        .offset:         56
        .size:           8
        .value_kind:     global_buffer
      - .offset:         64
        .size:           8
        .value_kind:     by_value
      - .offset:         72
        .size:           4
        .value_kind:     by_value
      - .offset:         80
        .size:           8
        .value_kind:     by_value
      - .offset:         88
        .size:           8
        .value_kind:     by_value
      - .offset:         96
        .size:           8
        .value_kind:     by_value
      - .address_space:  global
        .offset:         104
        .size:           8
        .value_kind:     global_buffer
      - .offset:         112
        .size:           8
        .value_kind:     by_value
      - .offset:         120
        .size:           4
        .value_kind:     by_value
      - .offset:         128
        .size:           8
        .value_kind:     by_value
      - .offset:         136
        .size:           4
        .value_kind:     by_value
    .group_segment_fixed_size: 2048
    .kernarg_segment_align: 8
    .kernarg_segment_size: 140
    .language:       OpenCL C
    .language_version:
      - 2
      - 0
    .max_flat_workgroup_size: 256
    .name:           _ZL20rocblas_gemvt_kernelILb0ELi256E19rocblas_complex_numIfES1_S1_EviiT2_lPKT1_lilS5_lilS2_lPT3_lili
    .private_segment_fixed_size: 0
    .sgpr_count:     32
    .sgpr_spill_count: 0
    .symbol:         _ZL20rocblas_gemvt_kernelILb0ELi256E19rocblas_complex_numIfES1_S1_EviiT2_lPKT1_lilS5_lilS2_lPT3_lili.kd
    .uniform_work_group_size: 1
    .uses_dynamic_stack: false
    .vgpr_count:     18
    .vgpr_spill_count: 0
    .wavefront_size: 64
  - .agpr_count:     0
    .args:
      - .offset:         0
        .size:           4
        .value_kind:     by_value
      - .offset:         4
        .size:           4
        .value_kind:     by_value
      - .address_space:  global
        .offset:         8
        .size:           8
        .value_kind:     global_buffer
      - .offset:         16
        .size:           8
        .value_kind:     by_value
      - .address_space:  global
        .offset:         24
        .size:           8
        .value_kind:     global_buffer
      - .offset:         32
        .size:           8
        .value_kind:     by_value
      - .offset:         40
        .size:           4
        .value_kind:     by_value
      - .offset:         48
        .size:           8
        .value_kind:     by_value
      - .address_space:  global
        .offset:         56
        .size:           8
        .value_kind:     global_buffer
      - .offset:         64
        .size:           8
        .value_kind:     by_value
      - .offset:         72
        .size:           4
        .value_kind:     by_value
      - .offset:         80
        .size:           8
        .value_kind:     by_value
      - .address_space:  global
        .offset:         88
        .size:           8
        .value_kind:     global_buffer
      - .offset:         96
        .size:           8
        .value_kind:     by_value
      - .address_space:  global
        .offset:         104
        .size:           8
        .value_kind:     global_buffer
      - .offset:         112
        .size:           8
        .value_kind:     by_value
      - .offset:         120
        .size:           4
        .value_kind:     by_value
      - .offset:         128
        .size:           8
        .value_kind:     by_value
      - .offset:         136
        .size:           4
        .value_kind:     by_value
    .group_segment_fixed_size: 512
    .kernarg_segment_align: 8
    .kernarg_segment_size: 140
    .language:       OpenCL C
    .language_version:
      - 2
      - 0
    .max_flat_workgroup_size: 1024
    .name:           _ZL32rocblas_gemvt_warp_reduce_kernelILb0ELi1024Ei19rocblas_complex_numIfEPKS1_S1_EviiT3_lPKT2_lT1_lS7_lS8_lS4_lPT4_lS8_li
    .private_segment_fixed_size: 0
    .sgpr_count:     34
    .sgpr_spill_count: 0
    .symbol:         _ZL32rocblas_gemvt_warp_reduce_kernelILb0ELi1024Ei19rocblas_complex_numIfEPKS1_S1_EviiT3_lPKT2_lT1_lS7_lS8_lS4_lPT4_lS8_li.kd
    .uniform_work_group_size: 1
    .uses_dynamic_stack: false
    .vgpr_count:     16
    .vgpr_spill_count: 0
    .wavefront_size: 64
  - .agpr_count:     0
    .args:
      - .offset:         0
        .size:           4
        .value_kind:     by_value
      - .offset:         4
        .size:           4
        .value_kind:     by_value
      - .address_space:  global
        .offset:         8
        .size:           8
        .value_kind:     global_buffer
      - .offset:         16
        .size:           8
        .value_kind:     by_value
      - .address_space:  global
        .offset:         24
        .size:           8
        .value_kind:     global_buffer
      - .offset:         32
        .size:           8
        .value_kind:     by_value
      - .offset:         40
        .size:           8
        .value_kind:     by_value
      - .offset:         48
        .size:           8
        .value_kind:     by_value
      - .address_space:  global
        .offset:         56
        .size:           8
        .value_kind:     global_buffer
      - .offset:         64
        .size:           8
        .value_kind:     by_value
      - .offset:         72
        .size:           8
        .value_kind:     by_value
      - .offset:         80
        .size:           8
        .value_kind:     by_value
      - .address_space:  global
        .offset:         88
        .size:           8
        .value_kind:     global_buffer
      - .offset:         96
        .size:           8
        .value_kind:     by_value
      - .address_space:  global
        .offset:         104
        .size:           8
        .value_kind:     global_buffer
      - .offset:         112
        .size:           8
        .value_kind:     by_value
      - .offset:         120
        .size:           8
        .value_kind:     by_value
      - .offset:         128
        .size:           8
        .value_kind:     by_value
      - .offset:         136
        .size:           4
        .value_kind:     by_value
    .group_segment_fixed_size: 512
    .kernarg_segment_align: 8
    .kernarg_segment_size: 140
    .language:       OpenCL C
    .language_version:
      - 2
      - 0
    .max_flat_workgroup_size: 1024
    .name:           _ZL32rocblas_gemvt_warp_reduce_kernelILb0ELi1024El19rocblas_complex_numIfEPKS1_S1_EviiT3_lPKT2_lT1_lS7_lS8_lS4_lPT4_lS8_li
    .private_segment_fixed_size: 0
    .sgpr_count:     58
    .sgpr_spill_count: 0
    .symbol:         _ZL32rocblas_gemvt_warp_reduce_kernelILb0ELi1024El19rocblas_complex_numIfEPKS1_S1_EviiT3_lPKT2_lT1_lS7_lS8_lS4_lPT4_lS8_li.kd
    .uniform_work_group_size: 1
    .uses_dynamic_stack: false
    .vgpr_count:     16
    .vgpr_spill_count: 0
    .wavefront_size: 64
  - .agpr_count:     0
    .args:
      - .offset:         0
        .size:           4
        .value_kind:     by_value
      - .offset:         4
        .size:           4
        .value_kind:     by_value
      - .offset:         8
        .size:           8
        .value_kind:     by_value
      - .offset:         16
        .size:           8
        .value_kind:     by_value
      - .address_space:  global
        .offset:         24
        .size:           8
        .value_kind:     global_buffer
      - .offset:         32
        .size:           8
        .value_kind:     by_value
      - .offset:         40
        .size:           4
        .value_kind:     by_value
      - .offset:         48
        .size:           8
        .value_kind:     by_value
      - .address_space:  global
        .offset:         56
        .size:           8
        .value_kind:     global_buffer
      - .offset:         64
        .size:           8
        .value_kind:     by_value
      - .offset:         72
        .size:           4
        .value_kind:     by_value
      - .offset:         80
        .size:           8
        .value_kind:     by_value
      - .offset:         88
        .size:           8
        .value_kind:     by_value
      - .offset:         96
        .size:           8
        .value_kind:     by_value
      - .address_space:  global
        .offset:         104
        .size:           8
        .value_kind:     global_buffer
      - .offset:         112
        .size:           8
        .value_kind:     by_value
      - .offset:         120
        .size:           4
        .value_kind:     by_value
      - .offset:         128
        .size:           8
        .value_kind:     by_value
      - .offset:         136
        .size:           4
        .value_kind:     by_value
    .group_segment_fixed_size: 512
    .kernarg_segment_align: 8
    .kernarg_segment_size: 140
    .language:       OpenCL C
    .language_version:
      - 2
      - 0
    .max_flat_workgroup_size: 1024
    .name:           _ZL32rocblas_gemvt_warp_reduce_kernelILb0ELi1024Ei19rocblas_complex_numIfES1_S1_EviiT3_lPKT2_lT1_lS5_lS6_lS2_lPT4_lS6_li
    .private_segment_fixed_size: 0
    .sgpr_count:     32
    .sgpr_spill_count: 0
    .symbol:         _ZL32rocblas_gemvt_warp_reduce_kernelILb0ELi1024Ei19rocblas_complex_numIfES1_S1_EviiT3_lPKT2_lT1_lS5_lS6_lS2_lPT4_lS6_li.kd
    .uniform_work_group_size: 1
    .uses_dynamic_stack: false
    .vgpr_count:     16
    .vgpr_spill_count: 0
    .wavefront_size: 64
  - .agpr_count:     0
    .args:
      - .offset:         0
        .size:           4
        .value_kind:     by_value
      - .offset:         4
        .size:           4
        .value_kind:     by_value
      - .offset:         8
        .size:           8
        .value_kind:     by_value
      - .offset:         16
        .size:           8
        .value_kind:     by_value
      - .address_space:  global
        .offset:         24
        .size:           8
        .value_kind:     global_buffer
      - .offset:         32
        .size:           8
        .value_kind:     by_value
      - .offset:         40
        .size:           8
        .value_kind:     by_value
      - .offset:         48
        .size:           8
        .value_kind:     by_value
      - .address_space:  global
        .offset:         56
        .size:           8
        .value_kind:     global_buffer
      - .offset:         64
        .size:           8
        .value_kind:     by_value
      - .offset:         72
        .size:           8
        .value_kind:     by_value
      - .offset:         80
        .size:           8
        .value_kind:     by_value
      - .offset:         88
        .size:           8
        .value_kind:     by_value
      - .offset:         96
        .size:           8
        .value_kind:     by_value
      - .address_space:  global
        .offset:         104
        .size:           8
        .value_kind:     global_buffer
      - .offset:         112
        .size:           8
        .value_kind:     by_value
      - .offset:         120
        .size:           8
        .value_kind:     by_value
      - .offset:         128
        .size:           8
        .value_kind:     by_value
      - .offset:         136
        .size:           4
        .value_kind:     by_value
    .group_segment_fixed_size: 512
    .kernarg_segment_align: 8
    .kernarg_segment_size: 140
    .language:       OpenCL C
    .language_version:
      - 2
      - 0
    .max_flat_workgroup_size: 1024
    .name:           _ZL32rocblas_gemvt_warp_reduce_kernelILb0ELi1024El19rocblas_complex_numIfES1_S1_EviiT3_lPKT2_lT1_lS5_lS6_lS2_lPT4_lS6_li
    .private_segment_fixed_size: 0
    .sgpr_count:     35
    .sgpr_spill_count: 0
    .symbol:         _ZL32rocblas_gemvt_warp_reduce_kernelILb0ELi1024El19rocblas_complex_numIfES1_S1_EviiT3_lPKT2_lT1_lS5_lS6_lS2_lPT4_lS6_li.kd
    .uniform_work_group_size: 1
    .uses_dynamic_stack: false
    .vgpr_count:     16
    .vgpr_spill_count: 0
    .wavefront_size: 64
  - .agpr_count:     0
    .args:
      - .offset:         0
        .size:           4
        .value_kind:     by_value
      - .offset:         4
        .size:           4
        .value_kind:     by_value
      - .address_space:  global
        .offset:         8
        .size:           8
        .value_kind:     global_buffer
      - .offset:         16
        .size:           8
        .value_kind:     by_value
      - .address_space:  global
        .offset:         24
        .size:           8
        .value_kind:     global_buffer
      - .offset:         32
        .size:           8
        .value_kind:     by_value
      - .offset:         40
        .size:           4
        .value_kind:     by_value
      - .offset:         48
        .size:           8
        .value_kind:     by_value
      - .address_space:  global
        .offset:         56
        .size:           8
        .value_kind:     global_buffer
      - .offset:         64
        .size:           8
        .value_kind:     by_value
      - .offset:         72
        .size:           4
        .value_kind:     by_value
      - .offset:         80
        .size:           8
        .value_kind:     by_value
      - .address_space:  global
        .offset:         88
        .size:           8
        .value_kind:     global_buffer
      - .offset:         96
        .size:           8
        .value_kind:     by_value
      - .address_space:  global
        .offset:         104
        .size:           8
        .value_kind:     global_buffer
      - .offset:         112
        .size:           8
        .value_kind:     by_value
      - .offset:         120
        .size:           4
        .value_kind:     by_value
      - .offset:         128
        .size:           8
        .value_kind:     by_value
    .group_segment_fixed_size: 512
    .kernarg_segment_align: 8
    .kernarg_segment_size: 136
    .language:       OpenCL C
    .language_version:
      - 2
      - 0
    .max_flat_workgroup_size: 256
    .name:           _ZL22rocblas_gemvtsm_kernelILb1ELi256E19rocblas_complex_numIfEPKS1_S1_EviiT2_lPKT1_lilS7_lilS4_lPT3_lil
    .private_segment_fixed_size: 0
    .sgpr_count:     38
    .sgpr_spill_count: 0
    .symbol:         _ZL22rocblas_gemvtsm_kernelILb1ELi256E19rocblas_complex_numIfEPKS1_S1_EviiT2_lPKT1_lilS7_lilS4_lPT3_lil.kd
    .uniform_work_group_size: 1
    .uses_dynamic_stack: false
    .vgpr_count:     51
    .vgpr_spill_count: 0
    .wavefront_size: 64
  - .agpr_count:     0
    .args:
      - .offset:         0
        .size:           4
        .value_kind:     by_value
      - .offset:         4
        .size:           4
        .value_kind:     by_value
      - .offset:         8
        .size:           8
        .value_kind:     by_value
      - .offset:         16
        .size:           8
        .value_kind:     by_value
      - .address_space:  global
        .offset:         24
        .size:           8
        .value_kind:     global_buffer
      - .offset:         32
        .size:           8
        .value_kind:     by_value
      - .offset:         40
        .size:           4
        .value_kind:     by_value
      - .offset:         48
        .size:           8
        .value_kind:     by_value
      - .address_space:  global
        .offset:         56
        .size:           8
        .value_kind:     global_buffer
      - .offset:         64
        .size:           8
        .value_kind:     by_value
      - .offset:         72
        .size:           4
        .value_kind:     by_value
      - .offset:         80
        .size:           8
        .value_kind:     by_value
      - .offset:         88
        .size:           8
        .value_kind:     by_value
      - .offset:         96
        .size:           8
        .value_kind:     by_value
      - .address_space:  global
        .offset:         104
        .size:           8
        .value_kind:     global_buffer
      - .offset:         112
        .size:           8
        .value_kind:     by_value
      - .offset:         120
        .size:           4
        .value_kind:     by_value
      - .offset:         128
        .size:           8
        .value_kind:     by_value
    .group_segment_fixed_size: 512
    .kernarg_segment_align: 8
    .kernarg_segment_size: 136
    .language:       OpenCL C
    .language_version:
      - 2
      - 0
    .max_flat_workgroup_size: 256
    .name:           _ZL22rocblas_gemvtsm_kernelILb1ELi256E19rocblas_complex_numIfES1_S1_EviiT2_lPKT1_lilS5_lilS2_lPT3_lil
    .private_segment_fixed_size: 0
    .sgpr_count:     36
    .sgpr_spill_count: 0
    .symbol:         _ZL22rocblas_gemvtsm_kernelILb1ELi256E19rocblas_complex_numIfES1_S1_EviiT2_lPKT1_lilS5_lilS2_lPT3_lil.kd
    .uniform_work_group_size: 1
    .uses_dynamic_stack: false
    .vgpr_count:     51
    .vgpr_spill_count: 0
    .wavefront_size: 64
  - .agpr_count:     0
    .args:
      - .offset:         0
        .size:           4
        .value_kind:     by_value
      - .offset:         4
        .size:           4
        .value_kind:     by_value
      - .address_space:  global
        .offset:         8
        .size:           8
        .value_kind:     global_buffer
      - .offset:         16
        .size:           8
        .value_kind:     by_value
      - .address_space:  global
        .offset:         24
        .size:           8
        .value_kind:     global_buffer
      - .offset:         32
        .size:           8
        .value_kind:     by_value
      - .offset:         40
        .size:           4
        .value_kind:     by_value
      - .offset:         48
        .size:           8
        .value_kind:     by_value
      - .address_space:  global
        .offset:         56
        .size:           8
        .value_kind:     global_buffer
      - .offset:         64
        .size:           8
        .value_kind:     by_value
      - .offset:         72
        .size:           4
        .value_kind:     by_value
      - .offset:         80
        .size:           8
        .value_kind:     by_value
      - .address_space:  global
        .offset:         88
        .size:           8
        .value_kind:     global_buffer
      - .offset:         96
        .size:           4
        .value_kind:     by_value
      - .offset:         104
        .size:           4
        .value_kind:     hidden_block_count_x
      - .offset:         108
        .size:           4
        .value_kind:     hidden_block_count_y
      - .offset:         112
        .size:           4
        .value_kind:     hidden_block_count_z
      - .offset:         116
        .size:           2
        .value_kind:     hidden_group_size_x
      - .offset:         118
        .size:           2
        .value_kind:     hidden_group_size_y
      - .offset:         120
        .size:           2
        .value_kind:     hidden_group_size_z
      - .offset:         122
        .size:           2
        .value_kind:     hidden_remainder_x
      - .offset:         124
        .size:           2
        .value_kind:     hidden_remainder_y
      - .offset:         126
        .size:           2
        .value_kind:     hidden_remainder_z
      - .offset:         144
        .size:           8
        .value_kind:     hidden_global_offset_x
      - .offset:         152
        .size:           8
        .value_kind:     hidden_global_offset_y
      - .offset:         160
        .size:           8
        .value_kind:     hidden_global_offset_z
      - .offset:         168
        .size:           2
        .value_kind:     hidden_grid_dims
    .group_segment_fixed_size: 512
    .kernarg_segment_align: 8
    .kernarg_segment_size: 360
    .language:       OpenCL C
    .language_version:
      - 2
      - 0
    .max_flat_workgroup_size: 256
    .name:           _ZL23rocblas_gemvt_sn_kernelILb1ELi256ELi4Ei19rocblas_complex_numIfEPKS1_S1_EviiT4_lPKT3_lilS7_lilPT5_i
    .private_segment_fixed_size: 48
    .sgpr_count:     61
    .sgpr_spill_count: 0
    .symbol:         _ZL23rocblas_gemvt_sn_kernelILb1ELi256ELi4Ei19rocblas_complex_numIfEPKS1_S1_EviiT4_lPKT3_lilS7_lilPT5_i.kd
    .uniform_work_group_size: 1
    .uses_dynamic_stack: false
    .vgpr_count:     86
    .vgpr_spill_count: 0
    .wavefront_size: 64
  - .agpr_count:     0
    .args:
      - .offset:         0
        .size:           4
        .value_kind:     by_value
      - .offset:         4
        .size:           4
        .value_kind:     by_value
      - .address_space:  global
        .offset:         8
        .size:           8
        .value_kind:     global_buffer
      - .offset:         16
        .size:           8
        .value_kind:     by_value
      - .address_space:  global
        .offset:         24
        .size:           8
        .value_kind:     global_buffer
      - .offset:         32
        .size:           8
        .value_kind:     by_value
      - .offset:         40
        .size:           4
        .value_kind:     by_value
      - .offset:         48
        .size:           8
        .value_kind:     by_value
      - .address_space:  global
        .offset:         56
        .size:           8
        .value_kind:     global_buffer
      - .offset:         64
        .size:           8
        .value_kind:     by_value
      - .offset:         72
        .size:           4
        .value_kind:     by_value
      - .offset:         80
        .size:           8
        .value_kind:     by_value
      - .address_space:  global
        .offset:         88
        .size:           8
        .value_kind:     global_buffer
      - .offset:         96
        .size:           4
        .value_kind:     by_value
      - .offset:         104
        .size:           4
        .value_kind:     hidden_block_count_x
      - .offset:         108
        .size:           4
        .value_kind:     hidden_block_count_y
      - .offset:         112
        .size:           4
        .value_kind:     hidden_block_count_z
      - .offset:         116
        .size:           2
        .value_kind:     hidden_group_size_x
      - .offset:         118
        .size:           2
        .value_kind:     hidden_group_size_y
      - .offset:         120
        .size:           2
        .value_kind:     hidden_group_size_z
      - .offset:         122
        .size:           2
        .value_kind:     hidden_remainder_x
      - .offset:         124
        .size:           2
        .value_kind:     hidden_remainder_y
      - .offset:         126
        .size:           2
        .value_kind:     hidden_remainder_z
      - .offset:         144
        .size:           8
        .value_kind:     hidden_global_offset_x
      - .offset:         152
        .size:           8
        .value_kind:     hidden_global_offset_y
      - .offset:         160
        .size:           8
        .value_kind:     hidden_global_offset_z
      - .offset:         168
        .size:           2
        .value_kind:     hidden_grid_dims
    .group_segment_fixed_size: 512
    .kernarg_segment_align: 8
    .kernarg_segment_size: 360
    .language:       OpenCL C
    .language_version:
      - 2
      - 0
    .max_flat_workgroup_size: 256
    .name:           _ZL23rocblas_gemvt_sn_kernelILb1ELi256ELi4El19rocblas_complex_numIfEPKS1_S1_EviiT4_lPKT3_lilS7_lilPT5_i
    .private_segment_fixed_size: 48
    .sgpr_count:     65
    .sgpr_spill_count: 0
    .symbol:         _ZL23rocblas_gemvt_sn_kernelILb1ELi256ELi4El19rocblas_complex_numIfEPKS1_S1_EviiT4_lPKT3_lilS7_lilPT5_i.kd
    .uniform_work_group_size: 1
    .uses_dynamic_stack: false
    .vgpr_count:     96
    .vgpr_spill_count: 0
    .wavefront_size: 64
  - .agpr_count:     0
    .args:
      - .offset:         0
        .size:           4
        .value_kind:     by_value
      - .offset:         4
        .size:           4
        .value_kind:     by_value
      - .offset:         8
        .size:           8
        .value_kind:     by_value
      - .offset:         16
        .size:           8
        .value_kind:     by_value
      - .address_space:  global
        .offset:         24
        .size:           8
        .value_kind:     global_buffer
      - .offset:         32
        .size:           8
        .value_kind:     by_value
      - .offset:         40
        .size:           4
        .value_kind:     by_value
      - .offset:         48
        .size:           8
        .value_kind:     by_value
      - .address_space:  global
        .offset:         56
        .size:           8
        .value_kind:     global_buffer
      - .offset:         64
        .size:           8
        .value_kind:     by_value
      - .offset:         72
        .size:           4
        .value_kind:     by_value
      - .offset:         80
        .size:           8
        .value_kind:     by_value
      - .address_space:  global
        .offset:         88
        .size:           8
        .value_kind:     global_buffer
      - .offset:         96
        .size:           4
        .value_kind:     by_value
      - .offset:         104
        .size:           4
        .value_kind:     hidden_block_count_x
      - .offset:         108
        .size:           4
        .value_kind:     hidden_block_count_y
      - .offset:         112
        .size:           4
        .value_kind:     hidden_block_count_z
      - .offset:         116
        .size:           2
        .value_kind:     hidden_group_size_x
      - .offset:         118
        .size:           2
        .value_kind:     hidden_group_size_y
      - .offset:         120
        .size:           2
        .value_kind:     hidden_group_size_z
      - .offset:         122
        .size:           2
        .value_kind:     hidden_remainder_x
      - .offset:         124
        .size:           2
        .value_kind:     hidden_remainder_y
      - .offset:         126
        .size:           2
        .value_kind:     hidden_remainder_z
      - .offset:         144
        .size:           8
        .value_kind:     hidden_global_offset_x
      - .offset:         152
        .size:           8
        .value_kind:     hidden_global_offset_y
      - .offset:         160
        .size:           8
        .value_kind:     hidden_global_offset_z
      - .offset:         168
        .size:           2
        .value_kind:     hidden_grid_dims
    .group_segment_fixed_size: 512
    .kernarg_segment_align: 8
    .kernarg_segment_size: 360
    .language:       OpenCL C
    .language_version:
      - 2
      - 0
    .max_flat_workgroup_size: 256
    .name:           _ZL23rocblas_gemvt_sn_kernelILb1ELi256ELi4Ei19rocblas_complex_numIfES1_S1_EviiT4_lPKT3_lilS5_lilPT5_i
    .private_segment_fixed_size: 48
    .sgpr_count:     61
    .sgpr_spill_count: 0
    .symbol:         _ZL23rocblas_gemvt_sn_kernelILb1ELi256ELi4Ei19rocblas_complex_numIfES1_S1_EviiT4_lPKT3_lilS5_lilPT5_i.kd
    .uniform_work_group_size: 1
    .uses_dynamic_stack: false
    .vgpr_count:     86
    .vgpr_spill_count: 0
    .wavefront_size: 64
  - .agpr_count:     0
    .args:
      - .offset:         0
        .size:           4
        .value_kind:     by_value
      - .offset:         4
        .size:           4
        .value_kind:     by_value
      - .offset:         8
        .size:           8
        .value_kind:     by_value
      - .offset:         16
        .size:           8
        .value_kind:     by_value
      - .address_space:  global
        .offset:         24
        .size:           8
        .value_kind:     global_buffer
      - .offset:         32
        .size:           8
        .value_kind:     by_value
      - .offset:         40
        .size:           4
        .value_kind:     by_value
      - .offset:         48
        .size:           8
        .value_kind:     by_value
      - .address_space:  global
        .offset:         56
        .size:           8
        .value_kind:     global_buffer
      - .offset:         64
        .size:           8
        .value_kind:     by_value
      - .offset:         72
        .size:           4
        .value_kind:     by_value
      - .offset:         80
        .size:           8
        .value_kind:     by_value
      - .address_space:  global
        .offset:         88
        .size:           8
        .value_kind:     global_buffer
      - .offset:         96
        .size:           4
        .value_kind:     by_value
      - .offset:         104
        .size:           4
        .value_kind:     hidden_block_count_x
      - .offset:         108
        .size:           4
        .value_kind:     hidden_block_count_y
      - .offset:         112
        .size:           4
        .value_kind:     hidden_block_count_z
      - .offset:         116
        .size:           2
        .value_kind:     hidden_group_size_x
      - .offset:         118
        .size:           2
        .value_kind:     hidden_group_size_y
      - .offset:         120
        .size:           2
        .value_kind:     hidden_group_size_z
      - .offset:         122
        .size:           2
        .value_kind:     hidden_remainder_x
      - .offset:         124
        .size:           2
        .value_kind:     hidden_remainder_y
      - .offset:         126
        .size:           2
        .value_kind:     hidden_remainder_z
      - .offset:         144
        .size:           8
        .value_kind:     hidden_global_offset_x
      - .offset:         152
        .size:           8
        .value_kind:     hidden_global_offset_y
      - .offset:         160
        .size:           8
        .value_kind:     hidden_global_offset_z
      - .offset:         168
        .size:           2
        .value_kind:     hidden_grid_dims
    .group_segment_fixed_size: 512
    .kernarg_segment_align: 8
    .kernarg_segment_size: 360
    .language:       OpenCL C
    .language_version:
      - 2
      - 0
    .max_flat_workgroup_size: 256
    .name:           _ZL23rocblas_gemvt_sn_kernelILb1ELi256ELi4El19rocblas_complex_numIfES1_S1_EviiT4_lPKT3_lilS5_lilPT5_i
    .private_segment_fixed_size: 48
    .sgpr_count:     65
    .sgpr_spill_count: 0
    .symbol:         _ZL23rocblas_gemvt_sn_kernelILb1ELi256ELi4El19rocblas_complex_numIfES1_S1_EviiT4_lPKT3_lilS5_lilPT5_i.kd
    .uniform_work_group_size: 1
    .uses_dynamic_stack: false
    .vgpr_count:     96
    .vgpr_spill_count: 0
    .wavefront_size: 64
  - .agpr_count:     0
    .args:
      - .offset:         0
        .size:           4
        .value_kind:     by_value
      - .offset:         4
        .size:           4
        .value_kind:     by_value
      - .address_space:  global
        .offset:         8
        .size:           8
        .value_kind:     global_buffer
      - .offset:         16
        .size:           8
        .value_kind:     by_value
      - .address_space:  global
        .offset:         24
        .size:           8
        .value_kind:     global_buffer
      - .offset:         32
        .size:           8
        .value_kind:     by_value
      - .offset:         40
        .size:           4
        .value_kind:     by_value
      - .offset:         48
        .size:           8
        .value_kind:     by_value
      - .address_space:  global
        .offset:         56
        .size:           8
        .value_kind:     global_buffer
      - .offset:         64
        .size:           8
        .value_kind:     by_value
      - .offset:         72
        .size:           4
        .value_kind:     by_value
      - .offset:         80
        .size:           8
        .value_kind:     by_value
      - .address_space:  global
        .offset:         88
        .size:           8
        .value_kind:     global_buffer
      - .offset:         96
        .size:           8
        .value_kind:     by_value
      - .address_space:  global
        .offset:         104
        .size:           8
        .value_kind:     global_buffer
      - .offset:         112
        .size:           8
        .value_kind:     by_value
      - .offset:         120
        .size:           4
        .value_kind:     by_value
      - .offset:         128
        .size:           8
        .value_kind:     by_value
      - .offset:         136
        .size:           4
        .value_kind:     by_value
    .group_segment_fixed_size: 2048
    .kernarg_segment_align: 8
    .kernarg_segment_size: 140
    .language:       OpenCL C
    .language_version:
      - 2
      - 0
    .max_flat_workgroup_size: 256
    .name:           _ZL20rocblas_gemvt_kernelILb1ELi256E19rocblas_complex_numIfEPKS1_S1_EviiT2_lPKT1_lilS7_lilS4_lPT3_lili
    .private_segment_fixed_size: 0
    .sgpr_count:     44
    .sgpr_spill_count: 0
    .symbol:         _ZL20rocblas_gemvt_kernelILb1ELi256E19rocblas_complex_numIfEPKS1_S1_EviiT2_lPKT1_lilS7_lilS4_lPT3_lili.kd
    .uniform_work_group_size: 1
    .uses_dynamic_stack: false
    .vgpr_count:     18
    .vgpr_spill_count: 0
    .wavefront_size: 64
  - .agpr_count:     0
    .args:
      - .offset:         0
        .size:           4
        .value_kind:     by_value
      - .offset:         4
        .size:           4
        .value_kind:     by_value
      - .offset:         8
        .size:           8
        .value_kind:     by_value
      - .offset:         16
        .size:           8
        .value_kind:     by_value
      - .address_space:  global
        .offset:         24
        .size:           8
        .value_kind:     global_buffer
      - .offset:         32
        .size:           8
        .value_kind:     by_value
      - .offset:         40
        .size:           4
        .value_kind:     by_value
      - .offset:         48
        .size:           8
        .value_kind:     by_value
      - .address_space:  global
        .offset:         56
        .size:           8
        .value_kind:     global_buffer
      - .offset:         64
        .size:           8
        .value_kind:     by_value
      - .offset:         72
        .size:           4
        .value_kind:     by_value
      - .offset:         80
        .size:           8
        .value_kind:     by_value
      - .offset:         88
        .size:           8
        .value_kind:     by_value
      - .offset:         96
        .size:           8
        .value_kind:     by_value
      - .address_space:  global
        .offset:         104
        .size:           8
        .value_kind:     global_buffer
      - .offset:         112
        .size:           8
        .value_kind:     by_value
      - .offset:         120
        .size:           4
        .value_kind:     by_value
      - .offset:         128
        .size:           8
        .value_kind:     by_value
      - .offset:         136
        .size:           4
        .value_kind:     by_value
    .group_segment_fixed_size: 2048
    .kernarg_segment_align: 8
    .kernarg_segment_size: 140
    .language:       OpenCL C
    .language_version:
      - 2
      - 0
    .max_flat_workgroup_size: 256
    .name:           _ZL20rocblas_gemvt_kernelILb1ELi256E19rocblas_complex_numIfES1_S1_EviiT2_lPKT1_lilS5_lilS2_lPT3_lili
    .private_segment_fixed_size: 0
    .sgpr_count:     44
    .sgpr_spill_count: 0
    .symbol:         _ZL20rocblas_gemvt_kernelILb1ELi256E19rocblas_complex_numIfES1_S1_EviiT2_lPKT1_lilS5_lilS2_lPT3_lili.kd
    .uniform_work_group_size: 1
    .uses_dynamic_stack: false
    .vgpr_count:     18
    .vgpr_spill_count: 0
    .wavefront_size: 64
  - .agpr_count:     0
    .args:
      - .offset:         0
        .size:           4
        .value_kind:     by_value
      - .offset:         4
        .size:           4
        .value_kind:     by_value
      - .address_space:  global
        .offset:         8
        .size:           8
        .value_kind:     global_buffer
      - .offset:         16
        .size:           8
        .value_kind:     by_value
      - .address_space:  global
        .offset:         24
        .size:           8
        .value_kind:     global_buffer
      - .offset:         32
        .size:           8
        .value_kind:     by_value
      - .offset:         40
        .size:           4
        .value_kind:     by_value
      - .offset:         48
        .size:           8
        .value_kind:     by_value
      - .address_space:  global
        .offset:         56
        .size:           8
        .value_kind:     global_buffer
      - .offset:         64
        .size:           8
        .value_kind:     by_value
      - .offset:         72
        .size:           4
        .value_kind:     by_value
      - .offset:         80
        .size:           8
        .value_kind:     by_value
      - .address_space:  global
        .offset:         88
        .size:           8
        .value_kind:     global_buffer
      - .offset:         96
        .size:           8
        .value_kind:     by_value
      - .address_space:  global
        .offset:         104
        .size:           8
        .value_kind:     global_buffer
      - .offset:         112
        .size:           8
        .value_kind:     by_value
      - .offset:         120
        .size:           4
        .value_kind:     by_value
      - .offset:         128
        .size:           8
        .value_kind:     by_value
      - .offset:         136
        .size:           4
        .value_kind:     by_value
    .group_segment_fixed_size: 512
    .kernarg_segment_align: 8
    .kernarg_segment_size: 140
    .language:       OpenCL C
    .language_version:
      - 2
      - 0
    .max_flat_workgroup_size: 1024
    .name:           _ZL32rocblas_gemvt_warp_reduce_kernelILb1ELi1024Ei19rocblas_complex_numIfEPKS1_S1_EviiT3_lPKT2_lT1_lS7_lS8_lS4_lPT4_lS8_li
    .private_segment_fixed_size: 0
    .sgpr_count:     34
    .sgpr_spill_count: 0
    .symbol:         _ZL32rocblas_gemvt_warp_reduce_kernelILb1ELi1024Ei19rocblas_complex_numIfEPKS1_S1_EviiT3_lPKT2_lT1_lS7_lS8_lS4_lPT4_lS8_li.kd
    .uniform_work_group_size: 1
    .uses_dynamic_stack: false
    .vgpr_count:     18
    .vgpr_spill_count: 0
    .wavefront_size: 64
  - .agpr_count:     0
    .args:
      - .offset:         0
        .size:           4
        .value_kind:     by_value
      - .offset:         4
        .size:           4
        .value_kind:     by_value
      - .address_space:  global
        .offset:         8
        .size:           8
        .value_kind:     global_buffer
      - .offset:         16
        .size:           8
        .value_kind:     by_value
      - .address_space:  global
        .offset:         24
        .size:           8
        .value_kind:     global_buffer
      - .offset:         32
        .size:           8
        .value_kind:     by_value
      - .offset:         40
        .size:           8
        .value_kind:     by_value
      - .offset:         48
        .size:           8
        .value_kind:     by_value
      - .address_space:  global
        .offset:         56
        .size:           8
        .value_kind:     global_buffer
      - .offset:         64
        .size:           8
        .value_kind:     by_value
      - .offset:         72
        .size:           8
        .value_kind:     by_value
      - .offset:         80
        .size:           8
        .value_kind:     by_value
      - .address_space:  global
        .offset:         88
        .size:           8
        .value_kind:     global_buffer
      - .offset:         96
        .size:           8
        .value_kind:     by_value
      - .address_space:  global
        .offset:         104
        .size:           8
        .value_kind:     global_buffer
      - .offset:         112
        .size:           8
        .value_kind:     by_value
      - .offset:         120
        .size:           8
        .value_kind:     by_value
      - .offset:         128
        .size:           8
        .value_kind:     by_value
      - .offset:         136
        .size:           4
        .value_kind:     by_value
    .group_segment_fixed_size: 512
    .kernarg_segment_align: 8
    .kernarg_segment_size: 140
    .language:       OpenCL C
    .language_version:
      - 2
      - 0
    .max_flat_workgroup_size: 1024
    .name:           _ZL32rocblas_gemvt_warp_reduce_kernelILb1ELi1024El19rocblas_complex_numIfEPKS1_S1_EviiT3_lPKT2_lT1_lS7_lS8_lS4_lPT4_lS8_li
    .private_segment_fixed_size: 0
    .sgpr_count:     58
    .sgpr_spill_count: 0
    .symbol:         _ZL32rocblas_gemvt_warp_reduce_kernelILb1ELi1024El19rocblas_complex_numIfEPKS1_S1_EviiT3_lPKT2_lT1_lS7_lS8_lS4_lPT4_lS8_li.kd
    .uniform_work_group_size: 1
    .uses_dynamic_stack: false
    .vgpr_count:     18
    .vgpr_spill_count: 0
    .wavefront_size: 64
  - .agpr_count:     0
    .args:
      - .offset:         0
        .size:           4
        .value_kind:     by_value
      - .offset:         4
        .size:           4
        .value_kind:     by_value
      - .offset:         8
        .size:           8
        .value_kind:     by_value
      - .offset:         16
        .size:           8
        .value_kind:     by_value
      - .address_space:  global
        .offset:         24
        .size:           8
        .value_kind:     global_buffer
      - .offset:         32
        .size:           8
        .value_kind:     by_value
      - .offset:         40
        .size:           4
        .value_kind:     by_value
      - .offset:         48
        .size:           8
        .value_kind:     by_value
      - .address_space:  global
        .offset:         56
        .size:           8
        .value_kind:     global_buffer
      - .offset:         64
        .size:           8
        .value_kind:     by_value
      - .offset:         72
        .size:           4
        .value_kind:     by_value
      - .offset:         80
        .size:           8
        .value_kind:     by_value
      - .offset:         88
        .size:           8
        .value_kind:     by_value
      - .offset:         96
        .size:           8
        .value_kind:     by_value
      - .address_space:  global
        .offset:         104
        .size:           8
        .value_kind:     global_buffer
      - .offset:         112
        .size:           8
        .value_kind:     by_value
      - .offset:         120
        .size:           4
        .value_kind:     by_value
      - .offset:         128
        .size:           8
        .value_kind:     by_value
      - .offset:         136
        .size:           4
        .value_kind:     by_value
    .group_segment_fixed_size: 512
    .kernarg_segment_align: 8
    .kernarg_segment_size: 140
    .language:       OpenCL C
    .language_version:
      - 2
      - 0
    .max_flat_workgroup_size: 1024
    .name:           _ZL32rocblas_gemvt_warp_reduce_kernelILb1ELi1024Ei19rocblas_complex_numIfES1_S1_EviiT3_lPKT2_lT1_lS5_lS6_lS2_lPT4_lS6_li
    .private_segment_fixed_size: 0
    .sgpr_count:     32
    .sgpr_spill_count: 0
    .symbol:         _ZL32rocblas_gemvt_warp_reduce_kernelILb1ELi1024Ei19rocblas_complex_numIfES1_S1_EviiT3_lPKT2_lT1_lS5_lS6_lS2_lPT4_lS6_li.kd
    .uniform_work_group_size: 1
    .uses_dynamic_stack: false
    .vgpr_count:     18
    .vgpr_spill_count: 0
    .wavefront_size: 64
  - .agpr_count:     0
    .args:
      - .offset:         0
        .size:           4
        .value_kind:     by_value
      - .offset:         4
        .size:           4
        .value_kind:     by_value
      - .offset:         8
        .size:           8
        .value_kind:     by_value
      - .offset:         16
        .size:           8
        .value_kind:     by_value
      - .address_space:  global
        .offset:         24
        .size:           8
        .value_kind:     global_buffer
      - .offset:         32
        .size:           8
        .value_kind:     by_value
      - .offset:         40
        .size:           8
        .value_kind:     by_value
      - .offset:         48
        .size:           8
        .value_kind:     by_value
      - .address_space:  global
        .offset:         56
        .size:           8
        .value_kind:     global_buffer
      - .offset:         64
        .size:           8
        .value_kind:     by_value
      - .offset:         72
        .size:           8
        .value_kind:     by_value
      - .offset:         80
        .size:           8
        .value_kind:     by_value
      - .offset:         88
        .size:           8
        .value_kind:     by_value
      - .offset:         96
        .size:           8
        .value_kind:     by_value
      - .address_space:  global
        .offset:         104
        .size:           8
        .value_kind:     global_buffer
      - .offset:         112
        .size:           8
        .value_kind:     by_value
      - .offset:         120
        .size:           8
        .value_kind:     by_value
      - .offset:         128
        .size:           8
        .value_kind:     by_value
      - .offset:         136
        .size:           4
        .value_kind:     by_value
    .group_segment_fixed_size: 512
    .kernarg_segment_align: 8
    .kernarg_segment_size: 140
    .language:       OpenCL C
    .language_version:
      - 2
      - 0
    .max_flat_workgroup_size: 1024
    .name:           _ZL32rocblas_gemvt_warp_reduce_kernelILb1ELi1024El19rocblas_complex_numIfES1_S1_EviiT3_lPKT2_lT1_lS5_lS6_lS2_lPT4_lS6_li
    .private_segment_fixed_size: 0
    .sgpr_count:     35
    .sgpr_spill_count: 0
    .symbol:         _ZL32rocblas_gemvt_warp_reduce_kernelILb1ELi1024El19rocblas_complex_numIfES1_S1_EviiT3_lPKT2_lT1_lS5_lS6_lS2_lPT4_lS6_li.kd
    .uniform_work_group_size: 1
    .uses_dynamic_stack: false
    .vgpr_count:     18
    .vgpr_spill_count: 0
    .wavefront_size: 64
  - .agpr_count:     0
    .args:
      - .offset:         0
        .size:           4
        .value_kind:     by_value
      - .offset:         4
        .size:           4
        .value_kind:     by_value
      - .address_space:  global
        .offset:         8
        .size:           8
        .value_kind:     global_buffer
      - .offset:         16
        .size:           8
        .value_kind:     by_value
      - .address_space:  global
        .offset:         24
        .size:           8
        .value_kind:     global_buffer
      - .offset:         32
        .size:           8
        .value_kind:     by_value
      - .offset:         40
        .size:           4
        .value_kind:     by_value
      - .offset:         48
        .size:           8
        .value_kind:     by_value
      - .address_space:  global
        .offset:         56
        .size:           8
        .value_kind:     global_buffer
      - .offset:         64
        .size:           8
        .value_kind:     by_value
      - .offset:         72
        .size:           4
        .value_kind:     by_value
      - .offset:         80
        .size:           8
        .value_kind:     by_value
      - .address_space:  global
        .offset:         88
        .size:           8
        .value_kind:     global_buffer
      - .offset:         96
        .size:           8
        .value_kind:     by_value
      - .address_space:  global
        .offset:         104
        .size:           8
        .value_kind:     global_buffer
      - .offset:         112
        .size:           8
        .value_kind:     by_value
      - .offset:         120
        .size:           4
        .value_kind:     by_value
      - .offset:         128
        .size:           8
        .value_kind:     by_value
      - .offset:         136
        .size:           4
        .value_kind:     by_value
      - .offset:         144
        .size:           4
        .value_kind:     hidden_block_count_x
      - .offset:         148
        .size:           4
        .value_kind:     hidden_block_count_y
      - .offset:         152
        .size:           4
        .value_kind:     hidden_block_count_z
      - .offset:         156
        .size:           2
        .value_kind:     hidden_group_size_x
      - .offset:         158
        .size:           2
        .value_kind:     hidden_group_size_y
      - .offset:         160
        .size:           2
        .value_kind:     hidden_group_size_z
      - .offset:         162
        .size:           2
        .value_kind:     hidden_remainder_x
      - .offset:         164
        .size:           2
        .value_kind:     hidden_remainder_y
      - .offset:         166
        .size:           2
        .value_kind:     hidden_remainder_z
      - .offset:         184
        .size:           8
        .value_kind:     hidden_global_offset_x
      - .offset:         192
        .size:           8
        .value_kind:     hidden_global_offset_y
      - .offset:         200
        .size:           8
        .value_kind:     hidden_global_offset_z
      - .offset:         208
        .size:           2
        .value_kind:     hidden_grid_dims
    .group_segment_fixed_size: 12288
    .kernarg_segment_align: 8
    .kernarg_segment_size: 400
    .language:       OpenCL C
    .language_version:
      - 2
      - 0
    .max_flat_workgroup_size: 768
    .name:           _ZL34rocblas_gemvn_sm_mn_batched_kernelILi32ELi24E19rocblas_complex_numIdEPKS1_S1_EviiT2_lPKT1_lilS7_lilS4_lPT3_lili
    .private_segment_fixed_size: 0
    .sgpr_count:     76
    .sgpr_spill_count: 0
    .symbol:         _ZL34rocblas_gemvn_sm_mn_batched_kernelILi32ELi24E19rocblas_complex_numIdEPKS1_S1_EviiT2_lPKT1_lilS7_lilS4_lPT3_lili.kd
    .uniform_work_group_size: 1
    .uses_dynamic_stack: false
    .vgpr_count:     146
    .vgpr_spill_count: 0
    .wavefront_size: 64
  - .agpr_count:     0
    .args:
      - .offset:         0
        .size:           4
        .value_kind:     by_value
      - .offset:         4
        .size:           4
        .value_kind:     by_value
      - .offset:         8
        .size:           16
        .value_kind:     by_value
      - .offset:         24
        .size:           8
        .value_kind:     by_value
      - .address_space:  global
        .offset:         32
        .size:           8
        .value_kind:     global_buffer
      - .offset:         40
        .size:           8
        .value_kind:     by_value
      - .offset:         48
        .size:           4
        .value_kind:     by_value
      - .offset:         56
        .size:           8
        .value_kind:     by_value
      - .address_space:  global
        .offset:         64
        .size:           8
        .value_kind:     global_buffer
      - .offset:         72
        .size:           8
        .value_kind:     by_value
      - .offset:         80
        .size:           4
        .value_kind:     by_value
      - .offset:         88
        .size:           8
        .value_kind:     by_value
      - .offset:         96
        .size:           16
        .value_kind:     by_value
      - .offset:         112
        .size:           8
        .value_kind:     by_value
      - .address_space:  global
        .offset:         120
        .size:           8
        .value_kind:     global_buffer
      - .offset:         128
        .size:           8
        .value_kind:     by_value
      - .offset:         136
        .size:           4
        .value_kind:     by_value
      - .offset:         144
        .size:           8
        .value_kind:     by_value
      - .offset:         152
        .size:           4
        .value_kind:     by_value
      - .offset:         160
        .size:           4
        .value_kind:     hidden_block_count_x
      - .offset:         164
        .size:           4
        .value_kind:     hidden_block_count_y
      - .offset:         168
        .size:           4
        .value_kind:     hidden_block_count_z
      - .offset:         172
        .size:           2
        .value_kind:     hidden_group_size_x
      - .offset:         174
        .size:           2
        .value_kind:     hidden_group_size_y
      - .offset:         176
        .size:           2
        .value_kind:     hidden_group_size_z
      - .offset:         178
        .size:           2
        .value_kind:     hidden_remainder_x
      - .offset:         180
        .size:           2
        .value_kind:     hidden_remainder_y
      - .offset:         182
        .size:           2
        .value_kind:     hidden_remainder_z
      - .offset:         200
        .size:           8
        .value_kind:     hidden_global_offset_x
      - .offset:         208
        .size:           8
        .value_kind:     hidden_global_offset_y
      - .offset:         216
        .size:           8
        .value_kind:     hidden_global_offset_z
      - .offset:         224
        .size:           2
        .value_kind:     hidden_grid_dims
    .group_segment_fixed_size: 12288
    .kernarg_segment_align: 8
    .kernarg_segment_size: 416
    .language:       OpenCL C
    .language_version:
      - 2
      - 0
    .max_flat_workgroup_size: 768
    .name:           _ZL34rocblas_gemvn_sm_mn_batched_kernelILi32ELi24E19rocblas_complex_numIdES1_S1_EviiT2_lPKT1_lilS5_lilS2_lPT3_lili
    .private_segment_fixed_size: 0
    .sgpr_count:     76
    .sgpr_spill_count: 0
    .symbol:         _ZL34rocblas_gemvn_sm_mn_batched_kernelILi32ELi24E19rocblas_complex_numIdES1_S1_EviiT2_lPKT1_lilS5_lilS2_lPT3_lili.kd
    .uniform_work_group_size: 1
    .uses_dynamic_stack: false
    .vgpr_count:     146
    .vgpr_spill_count: 0
    .wavefront_size: 64
  - .agpr_count:     0
    .args:
      - .offset:         0
        .size:           4
        .value_kind:     by_value
      - .offset:         4
        .size:           4
        .value_kind:     by_value
      - .address_space:  global
        .offset:         8
        .size:           8
        .value_kind:     global_buffer
      - .offset:         16
        .size:           8
        .value_kind:     by_value
      - .address_space:  global
        .offset:         24
        .size:           8
        .value_kind:     global_buffer
      - .offset:         32
        .size:           8
        .value_kind:     by_value
      - .offset:         40
        .size:           4
        .value_kind:     by_value
      - .offset:         48
        .size:           8
        .value_kind:     by_value
      - .address_space:  global
        .offset:         56
        .size:           8
        .value_kind:     global_buffer
      - .offset:         64
        .size:           8
        .value_kind:     by_value
      - .offset:         72
        .size:           4
        .value_kind:     by_value
      - .offset:         80
        .size:           8
        .value_kind:     by_value
      - .address_space:  global
        .offset:         88
        .size:           8
        .value_kind:     global_buffer
      - .offset:         96
        .size:           8
        .value_kind:     by_value
      - .address_space:  global
        .offset:         104
        .size:           8
        .value_kind:     global_buffer
      - .offset:         112
        .size:           8
        .value_kind:     by_value
      - .offset:         120
        .size:           4
        .value_kind:     by_value
      - .offset:         128
        .size:           8
        .value_kind:     by_value
      - .offset:         136
        .size:           4
        .value_kind:     by_value
      - .offset:         144
        .size:           4
        .value_kind:     hidden_block_count_x
      - .offset:         148
        .size:           4
        .value_kind:     hidden_block_count_y
      - .offset:         152
        .size:           4
        .value_kind:     hidden_block_count_z
      - .offset:         156
        .size:           2
        .value_kind:     hidden_group_size_x
      - .offset:         158
        .size:           2
        .value_kind:     hidden_group_size_y
      - .offset:         160
        .size:           2
        .value_kind:     hidden_group_size_z
      - .offset:         162
        .size:           2
        .value_kind:     hidden_remainder_x
      - .offset:         164
        .size:           2
        .value_kind:     hidden_remainder_y
      - .offset:         166
        .size:           2
        .value_kind:     hidden_remainder_z
      - .offset:         184
        .size:           8
        .value_kind:     hidden_global_offset_x
      - .offset:         192
        .size:           8
        .value_kind:     hidden_global_offset_y
      - .offset:         200
        .size:           8
        .value_kind:     hidden_global_offset_z
      - .offset:         208
        .size:           2
        .value_kind:     hidden_grid_dims
    .group_segment_fixed_size: 4096
    .kernarg_segment_align: 8
    .kernarg_segment_size: 400
    .language:       OpenCL C
    .language_version:
      - 2
      - 0
    .max_flat_workgroup_size: 256
    .name:           _ZL20rocblas_gemvn_kernelILi64ELi4Ei19rocblas_complex_numIdEPKS1_S1_EviiT3_lPKT2_lT1_lS7_lS8_lS4_lPT4_lS8_li
    .private_segment_fixed_size: 0
    .sgpr_count:     46
    .sgpr_spill_count: 0
    .symbol:         _ZL20rocblas_gemvn_kernelILi64ELi4Ei19rocblas_complex_numIdEPKS1_S1_EviiT3_lPKT2_lT1_lS7_lS8_lS4_lPT4_lS8_li.kd
    .uniform_work_group_size: 1
    .uses_dynamic_stack: false
    .vgpr_count:     24
    .vgpr_spill_count: 0
    .wavefront_size: 64
  - .agpr_count:     0
    .args:
      - .offset:         0
        .size:           4
        .value_kind:     by_value
      - .offset:         4
        .size:           4
        .value_kind:     by_value
      - .address_space:  global
        .offset:         8
        .size:           8
        .value_kind:     global_buffer
      - .offset:         16
        .size:           8
        .value_kind:     by_value
      - .address_space:  global
        .offset:         24
        .size:           8
        .value_kind:     global_buffer
      - .offset:         32
        .size:           8
        .value_kind:     by_value
      - .offset:         40
        .size:           8
        .value_kind:     by_value
      - .offset:         48
        .size:           8
        .value_kind:     by_value
      - .address_space:  global
        .offset:         56
        .size:           8
        .value_kind:     global_buffer
      - .offset:         64
        .size:           8
        .value_kind:     by_value
      - .offset:         72
        .size:           8
        .value_kind:     by_value
      - .offset:         80
        .size:           8
        .value_kind:     by_value
      - .address_space:  global
        .offset:         88
        .size:           8
        .value_kind:     global_buffer
      - .offset:         96
        .size:           8
        .value_kind:     by_value
      - .address_space:  global
        .offset:         104
        .size:           8
        .value_kind:     global_buffer
      - .offset:         112
        .size:           8
        .value_kind:     by_value
      - .offset:         120
        .size:           8
        .value_kind:     by_value
      - .offset:         128
        .size:           8
        .value_kind:     by_value
      - .offset:         136
        .size:           4
        .value_kind:     by_value
      - .offset:         144
        .size:           4
        .value_kind:     hidden_block_count_x
      - .offset:         148
        .size:           4
        .value_kind:     hidden_block_count_y
      - .offset:         152
        .size:           4
        .value_kind:     hidden_block_count_z
      - .offset:         156
        .size:           2
        .value_kind:     hidden_group_size_x
      - .offset:         158
        .size:           2
        .value_kind:     hidden_group_size_y
      - .offset:         160
        .size:           2
        .value_kind:     hidden_group_size_z
      - .offset:         162
        .size:           2
        .value_kind:     hidden_remainder_x
      - .offset:         164
        .size:           2
        .value_kind:     hidden_remainder_y
      - .offset:         166
        .size:           2
        .value_kind:     hidden_remainder_z
      - .offset:         184
        .size:           8
        .value_kind:     hidden_global_offset_x
      - .offset:         192
        .size:           8
        .value_kind:     hidden_global_offset_y
      - .offset:         200
        .size:           8
        .value_kind:     hidden_global_offset_z
      - .offset:         208
        .size:           2
        .value_kind:     hidden_grid_dims
    .group_segment_fixed_size: 4096
    .kernarg_segment_align: 8
    .kernarg_segment_size: 400
    .language:       OpenCL C
    .language_version:
      - 2
      - 0
    .max_flat_workgroup_size: 256
    .name:           _ZL20rocblas_gemvn_kernelILi64ELi4El19rocblas_complex_numIdEPKS1_S1_EviiT3_lPKT2_lT1_lS7_lS8_lS4_lPT4_lS8_li
    .private_segment_fixed_size: 0
    .sgpr_count:     58
    .sgpr_spill_count: 0
    .symbol:         _ZL20rocblas_gemvn_kernelILi64ELi4El19rocblas_complex_numIdEPKS1_S1_EviiT3_lPKT2_lT1_lS7_lS8_lS4_lPT4_lS8_li.kd
    .uniform_work_group_size: 1
    .uses_dynamic_stack: false
    .vgpr_count:     22
    .vgpr_spill_count: 0
    .wavefront_size: 64
  - .agpr_count:     0
    .args:
      - .offset:         0
        .size:           4
        .value_kind:     by_value
      - .offset:         4
        .size:           4
        .value_kind:     by_value
      - .offset:         8
        .size:           16
        .value_kind:     by_value
      - .offset:         24
        .size:           8
        .value_kind:     by_value
      - .address_space:  global
        .offset:         32
        .size:           8
        .value_kind:     global_buffer
      - .offset:         40
        .size:           8
        .value_kind:     by_value
      - .offset:         48
        .size:           4
        .value_kind:     by_value
      - .offset:         56
        .size:           8
        .value_kind:     by_value
      - .address_space:  global
        .offset:         64
        .size:           8
        .value_kind:     global_buffer
      - .offset:         72
        .size:           8
        .value_kind:     by_value
      - .offset:         80
        .size:           4
        .value_kind:     by_value
      - .offset:         88
        .size:           8
        .value_kind:     by_value
      - .offset:         96
        .size:           16
        .value_kind:     by_value
      - .offset:         112
        .size:           8
        .value_kind:     by_value
      - .address_space:  global
        .offset:         120
        .size:           8
        .value_kind:     global_buffer
      - .offset:         128
        .size:           8
        .value_kind:     by_value
      - .offset:         136
        .size:           4
        .value_kind:     by_value
      - .offset:         144
        .size:           8
        .value_kind:     by_value
      - .offset:         152
        .size:           4
        .value_kind:     by_value
      - .offset:         160
        .size:           4
        .value_kind:     hidden_block_count_x
      - .offset:         164
        .size:           4
        .value_kind:     hidden_block_count_y
      - .offset:         168
        .size:           4
        .value_kind:     hidden_block_count_z
      - .offset:         172
        .size:           2
        .value_kind:     hidden_group_size_x
      - .offset:         174
        .size:           2
        .value_kind:     hidden_group_size_y
      - .offset:         176
        .size:           2
        .value_kind:     hidden_group_size_z
      - .offset:         178
        .size:           2
        .value_kind:     hidden_remainder_x
      - .offset:         180
        .size:           2
        .value_kind:     hidden_remainder_y
      - .offset:         182
        .size:           2
        .value_kind:     hidden_remainder_z
      - .offset:         200
        .size:           8
        .value_kind:     hidden_global_offset_x
      - .offset:         208
        .size:           8
        .value_kind:     hidden_global_offset_y
      - .offset:         216
        .size:           8
        .value_kind:     hidden_global_offset_z
      - .offset:         224
        .size:           2
        .value_kind:     hidden_grid_dims
    .group_segment_fixed_size: 4096
    .kernarg_segment_align: 8
    .kernarg_segment_size: 416
    .language:       OpenCL C
    .language_version:
      - 2
      - 0
    .max_flat_workgroup_size: 256
    .name:           _ZL20rocblas_gemvn_kernelILi64ELi4Ei19rocblas_complex_numIdES1_S1_EviiT3_lPKT2_lT1_lS5_lS6_lS2_lPT4_lS6_li
    .private_segment_fixed_size: 0
    .sgpr_count:     46
    .sgpr_spill_count: 0
    .symbol:         _ZL20rocblas_gemvn_kernelILi64ELi4Ei19rocblas_complex_numIdES1_S1_EviiT3_lPKT2_lT1_lS5_lS6_lS2_lPT4_lS6_li.kd
    .uniform_work_group_size: 1
    .uses_dynamic_stack: false
    .vgpr_count:     24
    .vgpr_spill_count: 0
    .wavefront_size: 64
  - .agpr_count:     0
    .args:
      - .offset:         0
        .size:           4
        .value_kind:     by_value
      - .offset:         4
        .size:           4
        .value_kind:     by_value
      - .offset:         8
        .size:           16
        .value_kind:     by_value
      - .offset:         24
        .size:           8
        .value_kind:     by_value
      - .address_space:  global
        .offset:         32
        .size:           8
        .value_kind:     global_buffer
      - .offset:         40
        .size:           8
        .value_kind:     by_value
      - .offset:         48
        .size:           8
        .value_kind:     by_value
      - .offset:         56
        .size:           8
        .value_kind:     by_value
      - .address_space:  global
        .offset:         64
        .size:           8
        .value_kind:     global_buffer
      - .offset:         72
        .size:           8
        .value_kind:     by_value
      - .offset:         80
        .size:           8
        .value_kind:     by_value
      - .offset:         88
        .size:           8
        .value_kind:     by_value
      - .offset:         96
        .size:           16
        .value_kind:     by_value
      - .offset:         112
        .size:           8
        .value_kind:     by_value
      - .address_space:  global
        .offset:         120
        .size:           8
        .value_kind:     global_buffer
      - .offset:         128
        .size:           8
        .value_kind:     by_value
      - .offset:         136
        .size:           8
        .value_kind:     by_value
      - .offset:         144
        .size:           8
        .value_kind:     by_value
      - .offset:         152
        .size:           4
        .value_kind:     by_value
      - .offset:         160
        .size:           4
        .value_kind:     hidden_block_count_x
      - .offset:         164
        .size:           4
        .value_kind:     hidden_block_count_y
      - .offset:         168
        .size:           4
        .value_kind:     hidden_block_count_z
      - .offset:         172
        .size:           2
        .value_kind:     hidden_group_size_x
      - .offset:         174
        .size:           2
        .value_kind:     hidden_group_size_y
      - .offset:         176
        .size:           2
        .value_kind:     hidden_group_size_z
      - .offset:         178
        .size:           2
        .value_kind:     hidden_remainder_x
      - .offset:         180
        .size:           2
        .value_kind:     hidden_remainder_y
      - .offset:         182
        .size:           2
        .value_kind:     hidden_remainder_z
      - .offset:         200
        .size:           8
        .value_kind:     hidden_global_offset_x
      - .offset:         208
        .size:           8
        .value_kind:     hidden_global_offset_y
      - .offset:         216
        .size:           8
        .value_kind:     hidden_global_offset_z
      - .offset:         224
        .size:           2
        .value_kind:     hidden_grid_dims
    .group_segment_fixed_size: 4096
    .kernarg_segment_align: 8
    .kernarg_segment_size: 416
    .language:       OpenCL C
    .language_version:
      - 2
      - 0
    .max_flat_workgroup_size: 256
    .name:           _ZL20rocblas_gemvn_kernelILi64ELi4El19rocblas_complex_numIdES1_S1_EviiT3_lPKT2_lT1_lS5_lS6_lS2_lPT4_lS6_li
    .private_segment_fixed_size: 0
    .sgpr_count:     51
    .sgpr_spill_count: 0
    .symbol:         _ZL20rocblas_gemvn_kernelILi64ELi4El19rocblas_complex_numIdES1_S1_EviiT3_lPKT2_lT1_lS5_lS6_lS2_lPT4_lS6_li.kd
    .uniform_work_group_size: 1
    .uses_dynamic_stack: false
    .vgpr_count:     22
    .vgpr_spill_count: 0
    .wavefront_size: 64
  - .agpr_count:     0
    .args:
      - .offset:         0
        .size:           4
        .value_kind:     by_value
      - .offset:         4
        .size:           4
        .value_kind:     by_value
      - .address_space:  global
        .offset:         8
        .size:           8
        .value_kind:     global_buffer
      - .offset:         16
        .size:           8
        .value_kind:     by_value
      - .address_space:  global
        .offset:         24
        .size:           8
        .value_kind:     global_buffer
      - .offset:         32
        .size:           8
        .value_kind:     by_value
      - .offset:         40
        .size:           4
        .value_kind:     by_value
      - .offset:         48
        .size:           8
        .value_kind:     by_value
      - .address_space:  global
        .offset:         56
        .size:           8
        .value_kind:     global_buffer
      - .offset:         64
        .size:           8
        .value_kind:     by_value
      - .offset:         72
        .size:           4
        .value_kind:     by_value
      - .offset:         80
        .size:           8
        .value_kind:     by_value
      - .address_space:  global
        .offset:         88
        .size:           8
        .value_kind:     global_buffer
      - .offset:         96
        .size:           8
        .value_kind:     by_value
      - .address_space:  global
        .offset:         104
        .size:           8
        .value_kind:     global_buffer
      - .offset:         112
        .size:           8
        .value_kind:     by_value
      - .offset:         120
        .size:           4
        .value_kind:     by_value
      - .offset:         128
        .size:           8
        .value_kind:     by_value
      - .offset:         136
        .size:           4
        .value_kind:     by_value
      - .offset:         144
        .size:           4
        .value_kind:     hidden_block_count_x
      - .offset:         148
        .size:           4
        .value_kind:     hidden_block_count_y
      - .offset:         152
        .size:           4
        .value_kind:     hidden_block_count_z
      - .offset:         156
        .size:           2
        .value_kind:     hidden_group_size_x
      - .offset:         158
        .size:           2
        .value_kind:     hidden_group_size_y
      - .offset:         160
        .size:           2
        .value_kind:     hidden_group_size_z
      - .offset:         162
        .size:           2
        .value_kind:     hidden_remainder_x
      - .offset:         164
        .size:           2
        .value_kind:     hidden_remainder_y
      - .offset:         166
        .size:           2
        .value_kind:     hidden_remainder_z
      - .offset:         184
        .size:           8
        .value_kind:     hidden_global_offset_x
      - .offset:         192
        .size:           8
        .value_kind:     hidden_global_offset_y
      - .offset:         200
        .size:           8
        .value_kind:     hidden_global_offset_z
      - .offset:         208
        .size:           2
        .value_kind:     hidden_grid_dims
    .group_segment_fixed_size: 8192
    .kernarg_segment_align: 8
    .kernarg_segment_size: 400
    .language:       OpenCL C
    .language_version:
      - 2
      - 0
    .max_flat_workgroup_size: 512
    .name:           _ZL20rocblas_gemvn_kernelILi32ELi16Ei19rocblas_complex_numIdEPKS1_S1_EviiT3_lPKT2_lT1_lS7_lS8_lS4_lPT4_lS8_li
    .private_segment_fixed_size: 0
    .sgpr_count:     46
    .sgpr_spill_count: 0
    .symbol:         _ZL20rocblas_gemvn_kernelILi32ELi16Ei19rocblas_complex_numIdEPKS1_S1_EviiT3_lPKT2_lT1_lS7_lS8_lS4_lPT4_lS8_li.kd
    .uniform_work_group_size: 1
    .uses_dynamic_stack: false
    .vgpr_count:     24
    .vgpr_spill_count: 0
    .wavefront_size: 64
  - .agpr_count:     0
    .args:
      - .offset:         0
        .size:           4
        .value_kind:     by_value
      - .offset:         4
        .size:           4
        .value_kind:     by_value
      - .address_space:  global
        .offset:         8
        .size:           8
        .value_kind:     global_buffer
      - .offset:         16
        .size:           8
        .value_kind:     by_value
      - .address_space:  global
        .offset:         24
        .size:           8
        .value_kind:     global_buffer
      - .offset:         32
        .size:           8
        .value_kind:     by_value
      - .offset:         40
        .size:           8
        .value_kind:     by_value
      - .offset:         48
        .size:           8
        .value_kind:     by_value
      - .address_space:  global
        .offset:         56
        .size:           8
        .value_kind:     global_buffer
      - .offset:         64
        .size:           8
        .value_kind:     by_value
      - .offset:         72
        .size:           8
        .value_kind:     by_value
      - .offset:         80
        .size:           8
        .value_kind:     by_value
      - .address_space:  global
        .offset:         88
        .size:           8
        .value_kind:     global_buffer
      - .offset:         96
        .size:           8
        .value_kind:     by_value
      - .address_space:  global
        .offset:         104
        .size:           8
        .value_kind:     global_buffer
      - .offset:         112
        .size:           8
        .value_kind:     by_value
      - .offset:         120
        .size:           8
        .value_kind:     by_value
      - .offset:         128
        .size:           8
        .value_kind:     by_value
      - .offset:         136
        .size:           4
        .value_kind:     by_value
      - .offset:         144
        .size:           4
        .value_kind:     hidden_block_count_x
      - .offset:         148
        .size:           4
        .value_kind:     hidden_block_count_y
      - .offset:         152
        .size:           4
        .value_kind:     hidden_block_count_z
      - .offset:         156
        .size:           2
        .value_kind:     hidden_group_size_x
      - .offset:         158
        .size:           2
        .value_kind:     hidden_group_size_y
      - .offset:         160
        .size:           2
        .value_kind:     hidden_group_size_z
      - .offset:         162
        .size:           2
        .value_kind:     hidden_remainder_x
      - .offset:         164
        .size:           2
        .value_kind:     hidden_remainder_y
      - .offset:         166
        .size:           2
        .value_kind:     hidden_remainder_z
      - .offset:         184
        .size:           8
        .value_kind:     hidden_global_offset_x
      - .offset:         192
        .size:           8
        .value_kind:     hidden_global_offset_y
      - .offset:         200
        .size:           8
        .value_kind:     hidden_global_offset_z
      - .offset:         208
        .size:           2
        .value_kind:     hidden_grid_dims
    .group_segment_fixed_size: 8192
    .kernarg_segment_align: 8
    .kernarg_segment_size: 400
    .language:       OpenCL C
    .language_version:
      - 2
      - 0
    .max_flat_workgroup_size: 512
    .name:           _ZL20rocblas_gemvn_kernelILi32ELi16El19rocblas_complex_numIdEPKS1_S1_EviiT3_lPKT2_lT1_lS7_lS8_lS4_lPT4_lS8_li
    .private_segment_fixed_size: 0
    .sgpr_count:     58
    .sgpr_spill_count: 0
    .symbol:         _ZL20rocblas_gemvn_kernelILi32ELi16El19rocblas_complex_numIdEPKS1_S1_EviiT3_lPKT2_lT1_lS7_lS8_lS4_lPT4_lS8_li.kd
    .uniform_work_group_size: 1
    .uses_dynamic_stack: false
    .vgpr_count:     22
    .vgpr_spill_count: 0
    .wavefront_size: 64
  - .agpr_count:     0
    .args:
      - .offset:         0
        .size:           4
        .value_kind:     by_value
      - .offset:         4
        .size:           4
        .value_kind:     by_value
      - .offset:         8
        .size:           16
        .value_kind:     by_value
      - .offset:         24
        .size:           8
        .value_kind:     by_value
      - .address_space:  global
        .offset:         32
        .size:           8
        .value_kind:     global_buffer
      - .offset:         40
        .size:           8
        .value_kind:     by_value
      - .offset:         48
        .size:           4
        .value_kind:     by_value
      - .offset:         56
        .size:           8
        .value_kind:     by_value
      - .address_space:  global
        .offset:         64
        .size:           8
        .value_kind:     global_buffer
      - .offset:         72
        .size:           8
        .value_kind:     by_value
      - .offset:         80
        .size:           4
        .value_kind:     by_value
      - .offset:         88
        .size:           8
        .value_kind:     by_value
      - .offset:         96
        .size:           16
        .value_kind:     by_value
      - .offset:         112
        .size:           8
        .value_kind:     by_value
      - .address_space:  global
        .offset:         120
        .size:           8
        .value_kind:     global_buffer
      - .offset:         128
        .size:           8
        .value_kind:     by_value
      - .offset:         136
        .size:           4
        .value_kind:     by_value
      - .offset:         144
        .size:           8
        .value_kind:     by_value
      - .offset:         152
        .size:           4
        .value_kind:     by_value
      - .offset:         160
        .size:           4
        .value_kind:     hidden_block_count_x
      - .offset:         164
        .size:           4
        .value_kind:     hidden_block_count_y
      - .offset:         168
        .size:           4
        .value_kind:     hidden_block_count_z
      - .offset:         172
        .size:           2
        .value_kind:     hidden_group_size_x
      - .offset:         174
        .size:           2
        .value_kind:     hidden_group_size_y
      - .offset:         176
        .size:           2
        .value_kind:     hidden_group_size_z
      - .offset:         178
        .size:           2
        .value_kind:     hidden_remainder_x
      - .offset:         180
        .size:           2
        .value_kind:     hidden_remainder_y
      - .offset:         182
        .size:           2
        .value_kind:     hidden_remainder_z
      - .offset:         200
        .size:           8
        .value_kind:     hidden_global_offset_x
      - .offset:         208
        .size:           8
        .value_kind:     hidden_global_offset_y
      - .offset:         216
        .size:           8
        .value_kind:     hidden_global_offset_z
      - .offset:         224
        .size:           2
        .value_kind:     hidden_grid_dims
    .group_segment_fixed_size: 8192
    .kernarg_segment_align: 8
    .kernarg_segment_size: 416
    .language:       OpenCL C
    .language_version:
      - 2
      - 0
    .max_flat_workgroup_size: 512
    .name:           _ZL20rocblas_gemvn_kernelILi32ELi16Ei19rocblas_complex_numIdES1_S1_EviiT3_lPKT2_lT1_lS5_lS6_lS2_lPT4_lS6_li
    .private_segment_fixed_size: 0
    .sgpr_count:     46
    .sgpr_spill_count: 0
    .symbol:         _ZL20rocblas_gemvn_kernelILi32ELi16Ei19rocblas_complex_numIdES1_S1_EviiT3_lPKT2_lT1_lS5_lS6_lS2_lPT4_lS6_li.kd
    .uniform_work_group_size: 1
    .uses_dynamic_stack: false
    .vgpr_count:     24
    .vgpr_spill_count: 0
    .wavefront_size: 64
  - .agpr_count:     0
    .args:
      - .offset:         0
        .size:           4
        .value_kind:     by_value
      - .offset:         4
        .size:           4
        .value_kind:     by_value
      - .offset:         8
        .size:           16
        .value_kind:     by_value
      - .offset:         24
        .size:           8
        .value_kind:     by_value
      - .address_space:  global
        .offset:         32
        .size:           8
        .value_kind:     global_buffer
      - .offset:         40
        .size:           8
        .value_kind:     by_value
      - .offset:         48
        .size:           8
        .value_kind:     by_value
      - .offset:         56
        .size:           8
        .value_kind:     by_value
      - .address_space:  global
        .offset:         64
        .size:           8
        .value_kind:     global_buffer
      - .offset:         72
        .size:           8
        .value_kind:     by_value
      - .offset:         80
        .size:           8
        .value_kind:     by_value
      - .offset:         88
        .size:           8
        .value_kind:     by_value
      - .offset:         96
        .size:           16
        .value_kind:     by_value
      - .offset:         112
        .size:           8
        .value_kind:     by_value
      - .address_space:  global
        .offset:         120
        .size:           8
        .value_kind:     global_buffer
      - .offset:         128
        .size:           8
        .value_kind:     by_value
      - .offset:         136
        .size:           8
        .value_kind:     by_value
      - .offset:         144
        .size:           8
        .value_kind:     by_value
      - .offset:         152
        .size:           4
        .value_kind:     by_value
      - .offset:         160
        .size:           4
        .value_kind:     hidden_block_count_x
      - .offset:         164
        .size:           4
        .value_kind:     hidden_block_count_y
      - .offset:         168
        .size:           4
        .value_kind:     hidden_block_count_z
      - .offset:         172
        .size:           2
        .value_kind:     hidden_group_size_x
      - .offset:         174
        .size:           2
        .value_kind:     hidden_group_size_y
      - .offset:         176
        .size:           2
        .value_kind:     hidden_group_size_z
      - .offset:         178
        .size:           2
        .value_kind:     hidden_remainder_x
      - .offset:         180
        .size:           2
        .value_kind:     hidden_remainder_y
      - .offset:         182
        .size:           2
        .value_kind:     hidden_remainder_z
      - .offset:         200
        .size:           8
        .value_kind:     hidden_global_offset_x
      - .offset:         208
        .size:           8
        .value_kind:     hidden_global_offset_y
      - .offset:         216
        .size:           8
        .value_kind:     hidden_global_offset_z
      - .offset:         224
        .size:           2
        .value_kind:     hidden_grid_dims
    .group_segment_fixed_size: 8192
    .kernarg_segment_align: 8
    .kernarg_segment_size: 416
    .language:       OpenCL C
    .language_version:
      - 2
      - 0
    .max_flat_workgroup_size: 512
    .name:           _ZL20rocblas_gemvn_kernelILi32ELi16El19rocblas_complex_numIdES1_S1_EviiT3_lPKT2_lT1_lS5_lS6_lS2_lPT4_lS6_li
    .private_segment_fixed_size: 0
    .sgpr_count:     51
    .sgpr_spill_count: 0
    .symbol:         _ZL20rocblas_gemvn_kernelILi32ELi16El19rocblas_complex_numIdES1_S1_EviiT3_lPKT2_lT1_lS5_lS6_lS2_lPT4_lS6_li.kd
    .uniform_work_group_size: 1
    .uses_dynamic_stack: false
    .vgpr_count:     22
    .vgpr_spill_count: 0
    .wavefront_size: 64
  - .agpr_count:     0
    .args:
      - .offset:         0
        .size:           4
        .value_kind:     by_value
      - .offset:         4
        .size:           4
        .value_kind:     by_value
      - .address_space:  global
        .offset:         8
        .size:           8
        .value_kind:     global_buffer
      - .offset:         16
        .size:           8
        .value_kind:     by_value
      - .address_space:  global
        .offset:         24
        .size:           8
        .value_kind:     global_buffer
      - .offset:         32
        .size:           8
        .value_kind:     by_value
      - .offset:         40
        .size:           4
        .value_kind:     by_value
      - .offset:         48
        .size:           8
        .value_kind:     by_value
      - .address_space:  global
        .offset:         56
        .size:           8
        .value_kind:     global_buffer
      - .offset:         64
        .size:           8
        .value_kind:     by_value
      - .offset:         72
        .size:           4
        .value_kind:     by_value
      - .offset:         80
        .size:           8
        .value_kind:     by_value
      - .address_space:  global
        .offset:         88
        .size:           8
        .value_kind:     global_buffer
      - .offset:         96
        .size:           8
        .value_kind:     by_value
      - .address_space:  global
        .offset:         104
        .size:           8
        .value_kind:     global_buffer
      - .offset:         112
        .size:           8
        .value_kind:     by_value
      - .offset:         120
        .size:           4
        .value_kind:     by_value
      - .offset:         128
        .size:           8
        .value_kind:     by_value
      - .offset:         136
        .size:           4
        .value_kind:     by_value
      - .offset:         144
        .size:           4
        .value_kind:     hidden_block_count_x
      - .offset:         148
        .size:           4
        .value_kind:     hidden_block_count_y
      - .offset:         152
        .size:           4
        .value_kind:     hidden_block_count_z
      - .offset:         156
        .size:           2
        .value_kind:     hidden_group_size_x
      - .offset:         158
        .size:           2
        .value_kind:     hidden_group_size_y
      - .offset:         160
        .size:           2
        .value_kind:     hidden_group_size_z
      - .offset:         162
        .size:           2
        .value_kind:     hidden_remainder_x
      - .offset:         164
        .size:           2
        .value_kind:     hidden_remainder_y
      - .offset:         166
        .size:           2
        .value_kind:     hidden_remainder_z
      - .offset:         184
        .size:           8
        .value_kind:     hidden_global_offset_x
      - .offset:         192
        .size:           8
        .value_kind:     hidden_global_offset_y
      - .offset:         200
        .size:           8
        .value_kind:     hidden_global_offset_z
      - .offset:         208
        .size:           2
        .value_kind:     hidden_grid_dims
    .group_segment_fixed_size: 16384
    .kernarg_segment_align: 8
    .kernarg_segment_size: 400
    .language:       OpenCL C
    .language_version:
      - 2
      - 0
    .max_flat_workgroup_size: 1024
    .name:           _ZL20rocblas_gemvn_kernelILi64ELi16Ei19rocblas_complex_numIdEPKS1_S1_EviiT3_lPKT2_lT1_lS7_lS8_lS4_lPT4_lS8_li
    .private_segment_fixed_size: 0
    .sgpr_count:     46
    .sgpr_spill_count: 0
    .symbol:         _ZL20rocblas_gemvn_kernelILi64ELi16Ei19rocblas_complex_numIdEPKS1_S1_EviiT3_lPKT2_lT1_lS7_lS8_lS4_lPT4_lS8_li.kd
    .uniform_work_group_size: 1
    .uses_dynamic_stack: false
    .vgpr_count:     24
    .vgpr_spill_count: 0
    .wavefront_size: 64
  - .agpr_count:     0
    .args:
      - .offset:         0
        .size:           4
        .value_kind:     by_value
      - .offset:         4
        .size:           4
        .value_kind:     by_value
      - .address_space:  global
        .offset:         8
        .size:           8
        .value_kind:     global_buffer
      - .offset:         16
        .size:           8
        .value_kind:     by_value
      - .address_space:  global
        .offset:         24
        .size:           8
        .value_kind:     global_buffer
      - .offset:         32
        .size:           8
        .value_kind:     by_value
      - .offset:         40
        .size:           8
        .value_kind:     by_value
      - .offset:         48
        .size:           8
        .value_kind:     by_value
      - .address_space:  global
        .offset:         56
        .size:           8
        .value_kind:     global_buffer
      - .offset:         64
        .size:           8
        .value_kind:     by_value
      - .offset:         72
        .size:           8
        .value_kind:     by_value
      - .offset:         80
        .size:           8
        .value_kind:     by_value
      - .address_space:  global
        .offset:         88
        .size:           8
        .value_kind:     global_buffer
      - .offset:         96
        .size:           8
        .value_kind:     by_value
      - .address_space:  global
        .offset:         104
        .size:           8
        .value_kind:     global_buffer
      - .offset:         112
        .size:           8
        .value_kind:     by_value
      - .offset:         120
        .size:           8
        .value_kind:     by_value
      - .offset:         128
        .size:           8
        .value_kind:     by_value
      - .offset:         136
        .size:           4
        .value_kind:     by_value
      - .offset:         144
        .size:           4
        .value_kind:     hidden_block_count_x
      - .offset:         148
        .size:           4
        .value_kind:     hidden_block_count_y
      - .offset:         152
        .size:           4
        .value_kind:     hidden_block_count_z
      - .offset:         156
        .size:           2
        .value_kind:     hidden_group_size_x
      - .offset:         158
        .size:           2
        .value_kind:     hidden_group_size_y
      - .offset:         160
        .size:           2
        .value_kind:     hidden_group_size_z
      - .offset:         162
        .size:           2
        .value_kind:     hidden_remainder_x
      - .offset:         164
        .size:           2
        .value_kind:     hidden_remainder_y
      - .offset:         166
        .size:           2
        .value_kind:     hidden_remainder_z
      - .offset:         184
        .size:           8
        .value_kind:     hidden_global_offset_x
      - .offset:         192
        .size:           8
        .value_kind:     hidden_global_offset_y
      - .offset:         200
        .size:           8
        .value_kind:     hidden_global_offset_z
      - .offset:         208
        .size:           2
        .value_kind:     hidden_grid_dims
    .group_segment_fixed_size: 16384
    .kernarg_segment_align: 8
    .kernarg_segment_size: 400
    .language:       OpenCL C
    .language_version:
      - 2
      - 0
    .max_flat_workgroup_size: 1024
    .name:           _ZL20rocblas_gemvn_kernelILi64ELi16El19rocblas_complex_numIdEPKS1_S1_EviiT3_lPKT2_lT1_lS7_lS8_lS4_lPT4_lS8_li
    .private_segment_fixed_size: 0
    .sgpr_count:     58
    .sgpr_spill_count: 0
    .symbol:         _ZL20rocblas_gemvn_kernelILi64ELi16El19rocblas_complex_numIdEPKS1_S1_EviiT3_lPKT2_lT1_lS7_lS8_lS4_lPT4_lS8_li.kd
    .uniform_work_group_size: 1
    .uses_dynamic_stack: false
    .vgpr_count:     22
    .vgpr_spill_count: 0
    .wavefront_size: 64
  - .agpr_count:     0
    .args:
      - .offset:         0
        .size:           4
        .value_kind:     by_value
      - .offset:         4
        .size:           4
        .value_kind:     by_value
      - .offset:         8
        .size:           16
        .value_kind:     by_value
      - .offset:         24
        .size:           8
        .value_kind:     by_value
      - .address_space:  global
        .offset:         32
        .size:           8
        .value_kind:     global_buffer
      - .offset:         40
        .size:           8
        .value_kind:     by_value
      - .offset:         48
        .size:           4
        .value_kind:     by_value
      - .offset:         56
        .size:           8
        .value_kind:     by_value
      - .address_space:  global
        .offset:         64
        .size:           8
        .value_kind:     global_buffer
      - .offset:         72
        .size:           8
        .value_kind:     by_value
      - .offset:         80
        .size:           4
        .value_kind:     by_value
      - .offset:         88
        .size:           8
        .value_kind:     by_value
      - .offset:         96
        .size:           16
        .value_kind:     by_value
      - .offset:         112
        .size:           8
        .value_kind:     by_value
      - .address_space:  global
        .offset:         120
        .size:           8
        .value_kind:     global_buffer
      - .offset:         128
        .size:           8
        .value_kind:     by_value
      - .offset:         136
        .size:           4
        .value_kind:     by_value
      - .offset:         144
        .size:           8
        .value_kind:     by_value
      - .offset:         152
        .size:           4
        .value_kind:     by_value
      - .offset:         160
        .size:           4
        .value_kind:     hidden_block_count_x
      - .offset:         164
        .size:           4
        .value_kind:     hidden_block_count_y
      - .offset:         168
        .size:           4
        .value_kind:     hidden_block_count_z
      - .offset:         172
        .size:           2
        .value_kind:     hidden_group_size_x
      - .offset:         174
        .size:           2
        .value_kind:     hidden_group_size_y
      - .offset:         176
        .size:           2
        .value_kind:     hidden_group_size_z
      - .offset:         178
        .size:           2
        .value_kind:     hidden_remainder_x
      - .offset:         180
        .size:           2
        .value_kind:     hidden_remainder_y
      - .offset:         182
        .size:           2
        .value_kind:     hidden_remainder_z
      - .offset:         200
        .size:           8
        .value_kind:     hidden_global_offset_x
      - .offset:         208
        .size:           8
        .value_kind:     hidden_global_offset_y
      - .offset:         216
        .size:           8
        .value_kind:     hidden_global_offset_z
      - .offset:         224
        .size:           2
        .value_kind:     hidden_grid_dims
    .group_segment_fixed_size: 16384
    .kernarg_segment_align: 8
    .kernarg_segment_size: 416
    .language:       OpenCL C
    .language_version:
      - 2
      - 0
    .max_flat_workgroup_size: 1024
    .name:           _ZL20rocblas_gemvn_kernelILi64ELi16Ei19rocblas_complex_numIdES1_S1_EviiT3_lPKT2_lT1_lS5_lS6_lS2_lPT4_lS6_li
    .private_segment_fixed_size: 0
    .sgpr_count:     46
    .sgpr_spill_count: 0
    .symbol:         _ZL20rocblas_gemvn_kernelILi64ELi16Ei19rocblas_complex_numIdES1_S1_EviiT3_lPKT2_lT1_lS5_lS6_lS2_lPT4_lS6_li.kd
    .uniform_work_group_size: 1
    .uses_dynamic_stack: false
    .vgpr_count:     24
    .vgpr_spill_count: 0
    .wavefront_size: 64
  - .agpr_count:     0
    .args:
      - .offset:         0
        .size:           4
        .value_kind:     by_value
      - .offset:         4
        .size:           4
        .value_kind:     by_value
      - .offset:         8
        .size:           16
        .value_kind:     by_value
      - .offset:         24
        .size:           8
        .value_kind:     by_value
      - .address_space:  global
        .offset:         32
        .size:           8
        .value_kind:     global_buffer
      - .offset:         40
        .size:           8
        .value_kind:     by_value
      - .offset:         48
        .size:           8
        .value_kind:     by_value
      - .offset:         56
        .size:           8
        .value_kind:     by_value
      - .address_space:  global
        .offset:         64
        .size:           8
        .value_kind:     global_buffer
      - .offset:         72
        .size:           8
        .value_kind:     by_value
      - .offset:         80
        .size:           8
        .value_kind:     by_value
      - .offset:         88
        .size:           8
        .value_kind:     by_value
      - .offset:         96
        .size:           16
        .value_kind:     by_value
      - .offset:         112
        .size:           8
        .value_kind:     by_value
      - .address_space:  global
        .offset:         120
        .size:           8
        .value_kind:     global_buffer
      - .offset:         128
        .size:           8
        .value_kind:     by_value
      - .offset:         136
        .size:           8
        .value_kind:     by_value
      - .offset:         144
        .size:           8
        .value_kind:     by_value
      - .offset:         152
        .size:           4
        .value_kind:     by_value
      - .offset:         160
        .size:           4
        .value_kind:     hidden_block_count_x
      - .offset:         164
        .size:           4
        .value_kind:     hidden_block_count_y
      - .offset:         168
        .size:           4
        .value_kind:     hidden_block_count_z
      - .offset:         172
        .size:           2
        .value_kind:     hidden_group_size_x
      - .offset:         174
        .size:           2
        .value_kind:     hidden_group_size_y
      - .offset:         176
        .size:           2
        .value_kind:     hidden_group_size_z
      - .offset:         178
        .size:           2
        .value_kind:     hidden_remainder_x
      - .offset:         180
        .size:           2
        .value_kind:     hidden_remainder_y
      - .offset:         182
        .size:           2
        .value_kind:     hidden_remainder_z
      - .offset:         200
        .size:           8
        .value_kind:     hidden_global_offset_x
      - .offset:         208
        .size:           8
        .value_kind:     hidden_global_offset_y
      - .offset:         216
        .size:           8
        .value_kind:     hidden_global_offset_z
      - .offset:         224
        .size:           2
        .value_kind:     hidden_grid_dims
    .group_segment_fixed_size: 16384
    .kernarg_segment_align: 8
    .kernarg_segment_size: 416
    .language:       OpenCL C
    .language_version:
      - 2
      - 0
    .max_flat_workgroup_size: 1024
    .name:           _ZL20rocblas_gemvn_kernelILi64ELi16El19rocblas_complex_numIdES1_S1_EviiT3_lPKT2_lT1_lS5_lS6_lS2_lPT4_lS6_li
    .private_segment_fixed_size: 0
    .sgpr_count:     51
    .sgpr_spill_count: 0
    .symbol:         _ZL20rocblas_gemvn_kernelILi64ELi16El19rocblas_complex_numIdES1_S1_EviiT3_lPKT2_lT1_lS5_lS6_lS2_lPT4_lS6_li.kd
    .uniform_work_group_size: 1
    .uses_dynamic_stack: false
    .vgpr_count:     22
    .vgpr_spill_count: 0
    .wavefront_size: 64
  - .agpr_count:     0
    .args:
      - .offset:         0
        .size:           4
        .value_kind:     by_value
      - .offset:         4
        .size:           4
        .value_kind:     by_value
      - .address_space:  global
        .offset:         8
        .size:           8
        .value_kind:     global_buffer
      - .offset:         16
        .size:           8
        .value_kind:     by_value
      - .address_space:  global
        .offset:         24
        .size:           8
        .value_kind:     global_buffer
      - .offset:         32
        .size:           8
        .value_kind:     by_value
      - .offset:         40
        .size:           4
        .value_kind:     by_value
      - .offset:         48
        .size:           8
        .value_kind:     by_value
      - .address_space:  global
        .offset:         56
        .size:           8
        .value_kind:     global_buffer
      - .offset:         64
        .size:           8
        .value_kind:     by_value
      - .offset:         72
        .size:           4
        .value_kind:     by_value
      - .offset:         80
        .size:           8
        .value_kind:     by_value
      - .address_space:  global
        .offset:         88
        .size:           8
        .value_kind:     global_buffer
      - .offset:         96
        .size:           8
        .value_kind:     by_value
      - .address_space:  global
        .offset:         104
        .size:           8
        .value_kind:     global_buffer
      - .offset:         112
        .size:           8
        .value_kind:     by_value
      - .offset:         120
        .size:           4
        .value_kind:     by_value
      - .offset:         128
        .size:           8
        .value_kind:     by_value
    .group_segment_fixed_size: 1024
    .kernarg_segment_align: 8
    .kernarg_segment_size: 136
    .language:       OpenCL C
    .language_version:
      - 2
      - 0
    .max_flat_workgroup_size: 256
    .name:           _ZL22rocblas_gemvtsm_kernelILb0ELi256E19rocblas_complex_numIdEPKS1_S1_EviiT2_lPKT1_lilS7_lilS4_lPT3_lil
    .private_segment_fixed_size: 0
    .sgpr_count:     44
    .sgpr_spill_count: 0
    .symbol:         _ZL22rocblas_gemvtsm_kernelILb0ELi256E19rocblas_complex_numIdEPKS1_S1_EviiT2_lPKT1_lilS7_lilS4_lPT3_lil.kd
    .uniform_work_group_size: 1
    .uses_dynamic_stack: false
    .vgpr_count:     58
    .vgpr_spill_count: 0
    .wavefront_size: 64
  - .agpr_count:     0
    .args:
      - .offset:         0
        .size:           4
        .value_kind:     by_value
      - .offset:         4
        .size:           4
        .value_kind:     by_value
      - .offset:         8
        .size:           16
        .value_kind:     by_value
      - .offset:         24
        .size:           8
        .value_kind:     by_value
      - .address_space:  global
        .offset:         32
        .size:           8
        .value_kind:     global_buffer
      - .offset:         40
        .size:           8
        .value_kind:     by_value
      - .offset:         48
        .size:           4
        .value_kind:     by_value
      - .offset:         56
        .size:           8
        .value_kind:     by_value
      - .address_space:  global
        .offset:         64
        .size:           8
        .value_kind:     global_buffer
      - .offset:         72
        .size:           8
        .value_kind:     by_value
      - .offset:         80
        .size:           4
        .value_kind:     by_value
      - .offset:         88
        .size:           8
        .value_kind:     by_value
      - .offset:         96
        .size:           16
        .value_kind:     by_value
      - .offset:         112
        .size:           8
        .value_kind:     by_value
      - .address_space:  global
        .offset:         120
        .size:           8
        .value_kind:     global_buffer
      - .offset:         128
        .size:           8
        .value_kind:     by_value
      - .offset:         136
        .size:           4
        .value_kind:     by_value
      - .offset:         144
        .size:           8
        .value_kind:     by_value
    .group_segment_fixed_size: 1024
    .kernarg_segment_align: 8
    .kernarg_segment_size: 152
    .language:       OpenCL C
    .language_version:
      - 2
      - 0
    .max_flat_workgroup_size: 256
    .name:           _ZL22rocblas_gemvtsm_kernelILb0ELi256E19rocblas_complex_numIdES1_S1_EviiT2_lPKT1_lilS5_lilS2_lPT3_lil
    .private_segment_fixed_size: 0
    .sgpr_count:     42
    .sgpr_spill_count: 0
    .symbol:         _ZL22rocblas_gemvtsm_kernelILb0ELi256E19rocblas_complex_numIdES1_S1_EviiT2_lPKT1_lilS5_lilS2_lPT3_lil.kd
    .uniform_work_group_size: 1
    .uses_dynamic_stack: false
    .vgpr_count:     58
    .vgpr_spill_count: 0
    .wavefront_size: 64
  - .agpr_count:     0
    .args:
      - .offset:         0
        .size:           4
        .value_kind:     by_value
      - .offset:         4
        .size:           4
        .value_kind:     by_value
      - .address_space:  global
        .offset:         8
        .size:           8
        .value_kind:     global_buffer
      - .offset:         16
        .size:           8
        .value_kind:     by_value
      - .address_space:  global
        .offset:         24
        .size:           8
        .value_kind:     global_buffer
      - .offset:         32
        .size:           8
        .value_kind:     by_value
      - .offset:         40
        .size:           4
        .value_kind:     by_value
      - .offset:         48
        .size:           8
        .value_kind:     by_value
      - .address_space:  global
        .offset:         56
        .size:           8
        .value_kind:     global_buffer
      - .offset:         64
        .size:           8
        .value_kind:     by_value
      - .offset:         72
        .size:           4
        .value_kind:     by_value
      - .offset:         80
        .size:           8
        .value_kind:     by_value
      - .address_space:  global
        .offset:         88
        .size:           8
        .value_kind:     global_buffer
      - .offset:         96
        .size:           4
        .value_kind:     by_value
      - .offset:         104
        .size:           4
        .value_kind:     hidden_block_count_x
      - .offset:         108
        .size:           4
        .value_kind:     hidden_block_count_y
      - .offset:         112
        .size:           4
        .value_kind:     hidden_block_count_z
      - .offset:         116
        .size:           2
        .value_kind:     hidden_group_size_x
      - .offset:         118
        .size:           2
        .value_kind:     hidden_group_size_y
      - .offset:         120
        .size:           2
        .value_kind:     hidden_group_size_z
      - .offset:         122
        .size:           2
        .value_kind:     hidden_remainder_x
      - .offset:         124
        .size:           2
        .value_kind:     hidden_remainder_y
      - .offset:         126
        .size:           2
        .value_kind:     hidden_remainder_z
      - .offset:         144
        .size:           8
        .value_kind:     hidden_global_offset_x
      - .offset:         152
        .size:           8
        .value_kind:     hidden_global_offset_y
      - .offset:         160
        .size:           8
        .value_kind:     hidden_global_offset_z
      - .offset:         168
        .size:           2
        .value_kind:     hidden_grid_dims
    .group_segment_fixed_size: 1024
    .kernarg_segment_align: 8
    .kernarg_segment_size: 360
    .language:       OpenCL C
    .language_version:
      - 2
      - 0
    .max_flat_workgroup_size: 256
    .name:           _ZL23rocblas_gemvt_sn_kernelILb0ELi256ELi4Ei19rocblas_complex_numIdEPKS1_S1_EviiT4_lPKT3_lilS7_lilPT5_i
    .private_segment_fixed_size: 80
    .sgpr_count:     62
    .sgpr_spill_count: 0
    .symbol:         _ZL23rocblas_gemvt_sn_kernelILb0ELi256ELi4Ei19rocblas_complex_numIdEPKS1_S1_EviiT4_lPKT3_lilS7_lilPT5_i.kd
    .uniform_work_group_size: 1
    .uses_dynamic_stack: false
    .vgpr_count:     120
    .vgpr_spill_count: 0
    .wavefront_size: 64
  - .agpr_count:     0
    .args:
      - .offset:         0
        .size:           4
        .value_kind:     by_value
      - .offset:         4
        .size:           4
        .value_kind:     by_value
      - .address_space:  global
        .offset:         8
        .size:           8
        .value_kind:     global_buffer
      - .offset:         16
        .size:           8
        .value_kind:     by_value
      - .address_space:  global
        .offset:         24
        .size:           8
        .value_kind:     global_buffer
      - .offset:         32
        .size:           8
        .value_kind:     by_value
      - .offset:         40
        .size:           4
        .value_kind:     by_value
      - .offset:         48
        .size:           8
        .value_kind:     by_value
      - .address_space:  global
        .offset:         56
        .size:           8
        .value_kind:     global_buffer
      - .offset:         64
        .size:           8
        .value_kind:     by_value
      - .offset:         72
        .size:           4
        .value_kind:     by_value
      - .offset:         80
        .size:           8
        .value_kind:     by_value
      - .address_space:  global
        .offset:         88
        .size:           8
        .value_kind:     global_buffer
      - .offset:         96
        .size:           4
        .value_kind:     by_value
      - .offset:         104
        .size:           4
        .value_kind:     hidden_block_count_x
      - .offset:         108
        .size:           4
        .value_kind:     hidden_block_count_y
      - .offset:         112
        .size:           4
        .value_kind:     hidden_block_count_z
      - .offset:         116
        .size:           2
        .value_kind:     hidden_group_size_x
      - .offset:         118
        .size:           2
        .value_kind:     hidden_group_size_y
      - .offset:         120
        .size:           2
        .value_kind:     hidden_group_size_z
      - .offset:         122
        .size:           2
        .value_kind:     hidden_remainder_x
      - .offset:         124
        .size:           2
        .value_kind:     hidden_remainder_y
      - .offset:         126
        .size:           2
        .value_kind:     hidden_remainder_z
      - .offset:         144
        .size:           8
        .value_kind:     hidden_global_offset_x
      - .offset:         152
        .size:           8
        .value_kind:     hidden_global_offset_y
      - .offset:         160
        .size:           8
        .value_kind:     hidden_global_offset_z
      - .offset:         168
        .size:           2
        .value_kind:     hidden_grid_dims
    .group_segment_fixed_size: 1024
    .kernarg_segment_align: 8
    .kernarg_segment_size: 360
    .language:       OpenCL C
    .language_version:
      - 2
      - 0
    .max_flat_workgroup_size: 256
    .name:           _ZL23rocblas_gemvt_sn_kernelILb0ELi256ELi4El19rocblas_complex_numIdEPKS1_S1_EviiT4_lPKT3_lilS7_lilPT5_i
    .private_segment_fixed_size: 80
    .sgpr_count:     72
    .sgpr_spill_count: 0
    .symbol:         _ZL23rocblas_gemvt_sn_kernelILb0ELi256ELi4El19rocblas_complex_numIdEPKS1_S1_EviiT4_lPKT3_lilS7_lilPT5_i.kd
    .uniform_work_group_size: 1
    .uses_dynamic_stack: false
    .vgpr_count:     122
    .vgpr_spill_count: 0
    .wavefront_size: 64
  - .agpr_count:     0
    .args:
      - .offset:         0
        .size:           4
        .value_kind:     by_value
      - .address_space:  global
        .offset:         8
        .size:           8
        .value_kind:     global_buffer
      - .offset:         16
        .size:           8
        .value_kind:     by_value
      - .address_space:  global
        .offset:         24
        .size:           8
        .value_kind:     global_buffer
      - .offset:         32
        .size:           8
        .value_kind:     by_value
      - .offset:         40
        .size:           4
        .value_kind:     by_value
      - .offset:         48
        .size:           8
        .value_kind:     by_value
      - .actual_access:  read_only
        .address_space:  global
        .offset:         56
        .size:           8
        .value_kind:     global_buffer
      - .offset:         64
        .size:           4
        .value_kind:     by_value
      - .offset:         72
        .size:           4
        .value_kind:     hidden_block_count_x
      - .offset:         76
        .size:           4
        .value_kind:     hidden_block_count_y
      - .offset:         80
        .size:           4
        .value_kind:     hidden_block_count_z
      - .offset:         84
        .size:           2
        .value_kind:     hidden_group_size_x
      - .offset:         86
        .size:           2
        .value_kind:     hidden_group_size_y
      - .offset:         88
        .size:           2
        .value_kind:     hidden_group_size_z
      - .offset:         90
        .size:           2
        .value_kind:     hidden_remainder_x
      - .offset:         92
        .size:           2
        .value_kind:     hidden_remainder_y
      - .offset:         94
        .size:           2
        .value_kind:     hidden_remainder_z
      - .offset:         112
        .size:           8
        .value_kind:     hidden_global_offset_x
      - .offset:         120
        .size:           8
        .value_kind:     hidden_global_offset_y
      - .offset:         128
        .size:           8
        .value_kind:     hidden_global_offset_z
      - .offset:         136
        .size:           2
        .value_kind:     hidden_grid_dims
    .group_segment_fixed_size: 1024
    .kernarg_segment_align: 8
    .kernarg_segment_size: 328
    .language:       OpenCL C
    .language_version:
      - 2
      - 0
    .max_flat_workgroup_size: 256
    .name:           _ZL23rocblas_gemvt_sn_reduceILi256ELi8E19rocblas_complex_numIdEPKS1_S1_EviT2_lPT3_lilPT1_i
    .private_segment_fixed_size: 0
    .sgpr_count:     31
    .sgpr_spill_count: 0
    .symbol:         _ZL23rocblas_gemvt_sn_reduceILi256ELi8E19rocblas_complex_numIdEPKS1_S1_EviT2_lPT3_lilPT1_i.kd
    .uniform_work_group_size: 1
    .uses_dynamic_stack: false
    .vgpr_count:     40
    .vgpr_spill_count: 0
    .wavefront_size: 64
  - .agpr_count:     0
    .args:
      - .offset:         0
        .size:           4
        .value_kind:     by_value
      - .offset:         4
        .size:           4
        .value_kind:     by_value
      - .offset:         8
        .size:           16
        .value_kind:     by_value
      - .offset:         24
        .size:           8
        .value_kind:     by_value
      - .address_space:  global
        .offset:         32
        .size:           8
        .value_kind:     global_buffer
      - .offset:         40
        .size:           8
        .value_kind:     by_value
      - .offset:         48
        .size:           4
        .value_kind:     by_value
      - .offset:         56
        .size:           8
        .value_kind:     by_value
      - .address_space:  global
        .offset:         64
        .size:           8
        .value_kind:     global_buffer
      - .offset:         72
        .size:           8
        .value_kind:     by_value
      - .offset:         80
        .size:           4
        .value_kind:     by_value
      - .offset:         88
        .size:           8
        .value_kind:     by_value
      - .address_space:  global
        .offset:         96
        .size:           8
        .value_kind:     global_buffer
      - .offset:         104
        .size:           4
        .value_kind:     by_value
      - .offset:         112
        .size:           4
        .value_kind:     hidden_block_count_x
      - .offset:         116
        .size:           4
        .value_kind:     hidden_block_count_y
      - .offset:         120
        .size:           4
        .value_kind:     hidden_block_count_z
      - .offset:         124
        .size:           2
        .value_kind:     hidden_group_size_x
      - .offset:         126
        .size:           2
        .value_kind:     hidden_group_size_y
      - .offset:         128
        .size:           2
        .value_kind:     hidden_group_size_z
      - .offset:         130
        .size:           2
        .value_kind:     hidden_remainder_x
      - .offset:         132
        .size:           2
        .value_kind:     hidden_remainder_y
      - .offset:         134
        .size:           2
        .value_kind:     hidden_remainder_z
      - .offset:         152
        .size:           8
        .value_kind:     hidden_global_offset_x
      - .offset:         160
        .size:           8
        .value_kind:     hidden_global_offset_y
      - .offset:         168
        .size:           8
        .value_kind:     hidden_global_offset_z
      - .offset:         176
        .size:           2
        .value_kind:     hidden_grid_dims
    .group_segment_fixed_size: 1024
    .kernarg_segment_align: 8
    .kernarg_segment_size: 368
    .language:       OpenCL C
    .language_version:
      - 2
      - 0
    .max_flat_workgroup_size: 256
    .name:           _ZL23rocblas_gemvt_sn_kernelILb0ELi256ELi4Ei19rocblas_complex_numIdES1_S1_EviiT4_lPKT3_lilS5_lilPT5_i
    .private_segment_fixed_size: 80
    .sgpr_count:     62
    .sgpr_spill_count: 0
    .symbol:         _ZL23rocblas_gemvt_sn_kernelILb0ELi256ELi4Ei19rocblas_complex_numIdES1_S1_EviiT4_lPKT3_lilS5_lilPT5_i.kd
    .uniform_work_group_size: 1
    .uses_dynamic_stack: false
    .vgpr_count:     120
    .vgpr_spill_count: 0
    .wavefront_size: 64
  - .agpr_count:     0
    .args:
      - .offset:         0
        .size:           4
        .value_kind:     by_value
      - .offset:         4
        .size:           4
        .value_kind:     by_value
      - .offset:         8
        .size:           16
        .value_kind:     by_value
      - .offset:         24
        .size:           8
        .value_kind:     by_value
      - .address_space:  global
        .offset:         32
        .size:           8
        .value_kind:     global_buffer
      - .offset:         40
        .size:           8
        .value_kind:     by_value
      - .offset:         48
        .size:           4
        .value_kind:     by_value
      - .offset:         56
        .size:           8
        .value_kind:     by_value
      - .address_space:  global
        .offset:         64
        .size:           8
        .value_kind:     global_buffer
      - .offset:         72
        .size:           8
        .value_kind:     by_value
      - .offset:         80
        .size:           4
        .value_kind:     by_value
      - .offset:         88
        .size:           8
        .value_kind:     by_value
      - .address_space:  global
        .offset:         96
        .size:           8
        .value_kind:     global_buffer
      - .offset:         104
        .size:           4
        .value_kind:     by_value
      - .offset:         112
        .size:           4
        .value_kind:     hidden_block_count_x
      - .offset:         116
        .size:           4
        .value_kind:     hidden_block_count_y
      - .offset:         120
        .size:           4
        .value_kind:     hidden_block_count_z
      - .offset:         124
        .size:           2
        .value_kind:     hidden_group_size_x
      - .offset:         126
        .size:           2
        .value_kind:     hidden_group_size_y
      - .offset:         128
        .size:           2
        .value_kind:     hidden_group_size_z
      - .offset:         130
        .size:           2
        .value_kind:     hidden_remainder_x
      - .offset:         132
        .size:           2
        .value_kind:     hidden_remainder_y
      - .offset:         134
        .size:           2
        .value_kind:     hidden_remainder_z
      - .offset:         152
        .size:           8
        .value_kind:     hidden_global_offset_x
      - .offset:         160
        .size:           8
        .value_kind:     hidden_global_offset_y
      - .offset:         168
        .size:           8
        .value_kind:     hidden_global_offset_z
      - .offset:         176
        .size:           2
        .value_kind:     hidden_grid_dims
    .group_segment_fixed_size: 1024
    .kernarg_segment_align: 8
    .kernarg_segment_size: 368
    .language:       OpenCL C
    .language_version:
      - 2
      - 0
    .max_flat_workgroup_size: 256
    .name:           _ZL23rocblas_gemvt_sn_kernelILb0ELi256ELi4El19rocblas_complex_numIdES1_S1_EviiT4_lPKT3_lilS5_lilPT5_i
    .private_segment_fixed_size: 80
    .sgpr_count:     72
    .sgpr_spill_count: 0
    .symbol:         _ZL23rocblas_gemvt_sn_kernelILb0ELi256ELi4El19rocblas_complex_numIdES1_S1_EviiT4_lPKT3_lilS5_lilPT5_i.kd
    .uniform_work_group_size: 1
    .uses_dynamic_stack: false
    .vgpr_count:     122
    .vgpr_spill_count: 0
    .wavefront_size: 64
  - .agpr_count:     0
    .args:
      - .offset:         0
        .size:           4
        .value_kind:     by_value
      - .offset:         8
        .size:           16
        .value_kind:     by_value
      - .offset:         24
        .size:           8
        .value_kind:     by_value
      - .address_space:  global
        .offset:         32
        .size:           8
        .value_kind:     global_buffer
      - .offset:         40
        .size:           8
        .value_kind:     by_value
      - .offset:         48
        .size:           4
        .value_kind:     by_value
      - .offset:         56
        .size:           8
        .value_kind:     by_value
      - .actual_access:  read_only
        .address_space:  global
        .offset:         64
        .size:           8
        .value_kind:     global_buffer
      - .offset:         72
        .size:           4
        .value_kind:     by_value
      - .offset:         80
        .size:           4
        .value_kind:     hidden_block_count_x
      - .offset:         84
        .size:           4
        .value_kind:     hidden_block_count_y
      - .offset:         88
        .size:           4
        .value_kind:     hidden_block_count_z
      - .offset:         92
        .size:           2
        .value_kind:     hidden_group_size_x
      - .offset:         94
        .size:           2
        .value_kind:     hidden_group_size_y
      - .offset:         96
        .size:           2
        .value_kind:     hidden_group_size_z
      - .offset:         98
        .size:           2
        .value_kind:     hidden_remainder_x
      - .offset:         100
        .size:           2
        .value_kind:     hidden_remainder_y
      - .offset:         102
        .size:           2
        .value_kind:     hidden_remainder_z
      - .offset:         120
        .size:           8
        .value_kind:     hidden_global_offset_x
      - .offset:         128
        .size:           8
        .value_kind:     hidden_global_offset_y
      - .offset:         136
        .size:           8
        .value_kind:     hidden_global_offset_z
      - .offset:         144
        .size:           2
        .value_kind:     hidden_grid_dims
    .group_segment_fixed_size: 1024
    .kernarg_segment_align: 8
    .kernarg_segment_size: 336
    .language:       OpenCL C
    .language_version:
      - 2
      - 0
    .max_flat_workgroup_size: 256
    .name:           _ZL23rocblas_gemvt_sn_reduceILi256ELi8E19rocblas_complex_numIdES1_S1_EviT2_lPT3_lilPT1_i
    .private_segment_fixed_size: 0
    .sgpr_count:     23
    .sgpr_spill_count: 0
    .symbol:         _ZL23rocblas_gemvt_sn_reduceILi256ELi8E19rocblas_complex_numIdES1_S1_EviT2_lPT3_lilPT1_i.kd
    .uniform_work_group_size: 1
    .uses_dynamic_stack: false
    .vgpr_count:     40
    .vgpr_spill_count: 0
    .wavefront_size: 64
  - .agpr_count:     0
    .args:
      - .offset:         0
        .size:           4
        .value_kind:     by_value
      - .offset:         4
        .size:           4
        .value_kind:     by_value
      - .address_space:  global
        .offset:         8
        .size:           8
        .value_kind:     global_buffer
      - .offset:         16
        .size:           8
        .value_kind:     by_value
      - .address_space:  global
        .offset:         24
        .size:           8
        .value_kind:     global_buffer
      - .offset:         32
        .size:           8
        .value_kind:     by_value
      - .offset:         40
        .size:           4
        .value_kind:     by_value
      - .offset:         48
        .size:           8
        .value_kind:     by_value
      - .address_space:  global
        .offset:         56
        .size:           8
        .value_kind:     global_buffer
      - .offset:         64
        .size:           8
        .value_kind:     by_value
      - .offset:         72
        .size:           4
        .value_kind:     by_value
      - .offset:         80
        .size:           8
        .value_kind:     by_value
      - .address_space:  global
        .offset:         88
        .size:           8
        .value_kind:     global_buffer
      - .offset:         96
        .size:           8
        .value_kind:     by_value
      - .address_space:  global
        .offset:         104
        .size:           8
        .value_kind:     global_buffer
      - .offset:         112
        .size:           8
        .value_kind:     by_value
      - .offset:         120
        .size:           4
        .value_kind:     by_value
      - .offset:         128
        .size:           8
        .value_kind:     by_value
      - .offset:         136
        .size:           4
        .value_kind:     by_value
    .group_segment_fixed_size: 1024
    .kernarg_segment_align: 8
    .kernarg_segment_size: 140
    .language:       OpenCL C
    .language_version:
      - 2
      - 0
    .max_flat_workgroup_size: 256
    .name:           _ZL32rocblas_gemvt_warp_reduce_kernelILb0ELi256Ei19rocblas_complex_numIdEPKS1_S1_EviiT3_lPKT2_lT1_lS7_lS8_lS4_lPT4_lS8_li
    .private_segment_fixed_size: 0
    .sgpr_count:     41
    .sgpr_spill_count: 0
    .symbol:         _ZL32rocblas_gemvt_warp_reduce_kernelILb0ELi256Ei19rocblas_complex_numIdEPKS1_S1_EviiT3_lPKT2_lT1_lS7_lS8_lS4_lPT4_lS8_li.kd
    .uniform_work_group_size: 1
    .uses_dynamic_stack: false
    .vgpr_count:     22
    .vgpr_spill_count: 0
    .wavefront_size: 64
  - .agpr_count:     0
    .args:
      - .offset:         0
        .size:           4
        .value_kind:     by_value
      - .offset:         4
        .size:           4
        .value_kind:     by_value
      - .address_space:  global
        .offset:         8
        .size:           8
        .value_kind:     global_buffer
      - .offset:         16
        .size:           8
        .value_kind:     by_value
      - .address_space:  global
        .offset:         24
        .size:           8
        .value_kind:     global_buffer
      - .offset:         32
        .size:           8
        .value_kind:     by_value
      - .offset:         40
        .size:           8
        .value_kind:     by_value
      - .offset:         48
        .size:           8
        .value_kind:     by_value
      - .address_space:  global
        .offset:         56
        .size:           8
        .value_kind:     global_buffer
      - .offset:         64
        .size:           8
        .value_kind:     by_value
      - .offset:         72
        .size:           8
        .value_kind:     by_value
      - .offset:         80
        .size:           8
        .value_kind:     by_value
      - .address_space:  global
        .offset:         88
        .size:           8
        .value_kind:     global_buffer
      - .offset:         96
        .size:           8
        .value_kind:     by_value
      - .address_space:  global
        .offset:         104
        .size:           8
        .value_kind:     global_buffer
      - .offset:         112
        .size:           8
        .value_kind:     by_value
      - .offset:         120
        .size:           8
        .value_kind:     by_value
      - .offset:         128
        .size:           8
        .value_kind:     by_value
      - .offset:         136
        .size:           4
        .value_kind:     by_value
    .group_segment_fixed_size: 1024
    .kernarg_segment_align: 8
    .kernarg_segment_size: 140
    .language:       OpenCL C
    .language_version:
      - 2
      - 0
    .max_flat_workgroup_size: 256
    .name:           _ZL32rocblas_gemvt_warp_reduce_kernelILb0ELi256El19rocblas_complex_numIdEPKS1_S1_EviiT3_lPKT2_lT1_lS7_lS8_lS4_lPT4_lS8_li
    .private_segment_fixed_size: 0
    .sgpr_count:     58
    .sgpr_spill_count: 0
    .symbol:         _ZL32rocblas_gemvt_warp_reduce_kernelILb0ELi256El19rocblas_complex_numIdEPKS1_S1_EviiT3_lPKT2_lT1_lS7_lS8_lS4_lPT4_lS8_li.kd
    .uniform_work_group_size: 1
    .uses_dynamic_stack: false
    .vgpr_count:     22
    .vgpr_spill_count: 0
    .wavefront_size: 64
  - .agpr_count:     0
    .args:
      - .offset:         0
        .size:           4
        .value_kind:     by_value
      - .offset:         4
        .size:           4
        .value_kind:     by_value
      - .offset:         8
        .size:           16
        .value_kind:     by_value
      - .offset:         24
        .size:           8
        .value_kind:     by_value
      - .address_space:  global
        .offset:         32
        .size:           8
        .value_kind:     global_buffer
      - .offset:         40
        .size:           8
        .value_kind:     by_value
      - .offset:         48
        .size:           4
        .value_kind:     by_value
      - .offset:         56
        .size:           8
        .value_kind:     by_value
      - .address_space:  global
        .offset:         64
        .size:           8
        .value_kind:     global_buffer
      - .offset:         72
        .size:           8
        .value_kind:     by_value
      - .offset:         80
        .size:           4
        .value_kind:     by_value
      - .offset:         88
        .size:           8
        .value_kind:     by_value
      - .offset:         96
        .size:           16
        .value_kind:     by_value
      - .offset:         112
        .size:           8
        .value_kind:     by_value
      - .address_space:  global
        .offset:         120
        .size:           8
        .value_kind:     global_buffer
      - .offset:         128
        .size:           8
        .value_kind:     by_value
      - .offset:         136
        .size:           4
        .value_kind:     by_value
      - .offset:         144
        .size:           8
        .value_kind:     by_value
      - .offset:         152
        .size:           4
        .value_kind:     by_value
    .group_segment_fixed_size: 1024
    .kernarg_segment_align: 8
    .kernarg_segment_size: 156
    .language:       OpenCL C
    .language_version:
      - 2
      - 0
    .max_flat_workgroup_size: 256
    .name:           _ZL32rocblas_gemvt_warp_reduce_kernelILb0ELi256Ei19rocblas_complex_numIdES1_S1_EviiT3_lPKT2_lT1_lS5_lS6_lS2_lPT4_lS6_li
    .private_segment_fixed_size: 0
    .sgpr_count:     41
    .sgpr_spill_count: 0
    .symbol:         _ZL32rocblas_gemvt_warp_reduce_kernelILb0ELi256Ei19rocblas_complex_numIdES1_S1_EviiT3_lPKT2_lT1_lS5_lS6_lS2_lPT4_lS6_li.kd
    .uniform_work_group_size: 1
    .uses_dynamic_stack: false
    .vgpr_count:     22
    .vgpr_spill_count: 0
    .wavefront_size: 64
  - .agpr_count:     0
    .args:
      - .offset:         0
        .size:           4
        .value_kind:     by_value
      - .offset:         4
        .size:           4
        .value_kind:     by_value
      - .offset:         8
        .size:           16
        .value_kind:     by_value
      - .offset:         24
        .size:           8
        .value_kind:     by_value
      - .address_space:  global
        .offset:         32
        .size:           8
        .value_kind:     global_buffer
      - .offset:         40
        .size:           8
        .value_kind:     by_value
      - .offset:         48
        .size:           8
        .value_kind:     by_value
      - .offset:         56
        .size:           8
        .value_kind:     by_value
      - .address_space:  global
        .offset:         64
        .size:           8
        .value_kind:     global_buffer
      - .offset:         72
        .size:           8
        .value_kind:     by_value
      - .offset:         80
        .size:           8
        .value_kind:     by_value
      - .offset:         88
        .size:           8
        .value_kind:     by_value
      - .offset:         96
        .size:           16
        .value_kind:     by_value
      - .offset:         112
        .size:           8
        .value_kind:     by_value
      - .address_space:  global
        .offset:         120
        .size:           8
        .value_kind:     global_buffer
      - .offset:         128
        .size:           8
        .value_kind:     by_value
      - .offset:         136
        .size:           8
        .value_kind:     by_value
      - .offset:         144
        .size:           8
        .value_kind:     by_value
      - .offset:         152
        .size:           4
        .value_kind:     by_value
    .group_segment_fixed_size: 1024
    .kernarg_segment_align: 8
    .kernarg_segment_size: 156
    .language:       OpenCL C
    .language_version:
      - 2
      - 0
    .max_flat_workgroup_size: 256
    .name:           _ZL32rocblas_gemvt_warp_reduce_kernelILb0ELi256El19rocblas_complex_numIdES1_S1_EviiT3_lPKT2_lT1_lS5_lS6_lS2_lPT4_lS6_li
    .private_segment_fixed_size: 0
    .sgpr_count:     50
    .sgpr_spill_count: 0
    .symbol:         _ZL32rocblas_gemvt_warp_reduce_kernelILb0ELi256El19rocblas_complex_numIdES1_S1_EviiT3_lPKT2_lT1_lS5_lS6_lS2_lPT4_lS6_li.kd
    .uniform_work_group_size: 1
    .uses_dynamic_stack: false
    .vgpr_count:     22
    .vgpr_spill_count: 0
    .wavefront_size: 64
  - .agpr_count:     0
    .args:
      - .offset:         0
        .size:           4
        .value_kind:     by_value
      - .offset:         4
        .size:           4
        .value_kind:     by_value
      - .address_space:  global
        .offset:         8
        .size:           8
        .value_kind:     global_buffer
      - .offset:         16
        .size:           8
        .value_kind:     by_value
      - .address_space:  global
        .offset:         24
        .size:           8
        .value_kind:     global_buffer
      - .offset:         32
        .size:           8
        .value_kind:     by_value
      - .offset:         40
        .size:           4
        .value_kind:     by_value
      - .offset:         48
        .size:           8
        .value_kind:     by_value
      - .address_space:  global
        .offset:         56
        .size:           8
        .value_kind:     global_buffer
      - .offset:         64
        .size:           8
        .value_kind:     by_value
      - .offset:         72
        .size:           4
        .value_kind:     by_value
      - .offset:         80
        .size:           8
        .value_kind:     by_value
      - .address_space:  global
        .offset:         88
        .size:           8
        .value_kind:     global_buffer
      - .offset:         96
        .size:           8
        .value_kind:     by_value
      - .address_space:  global
        .offset:         104
        .size:           8
        .value_kind:     global_buffer
      - .offset:         112
        .size:           8
        .value_kind:     by_value
      - .offset:         120
        .size:           4
        .value_kind:     by_value
      - .offset:         128
        .size:           8
        .value_kind:     by_value
      - .offset:         136
        .size:           4
        .value_kind:     by_value
    .group_segment_fixed_size: 4096
    .kernarg_segment_align: 8
    .kernarg_segment_size: 140
    .language:       OpenCL C
    .language_version:
      - 2
      - 0
    .max_flat_workgroup_size: 256
    .name:           _ZL20rocblas_gemvt_kernelILb0ELi256E19rocblas_complex_numIdEPKS1_S1_EviiT2_lPKT1_lilS7_lilS4_lPT3_lili
    .private_segment_fixed_size: 0
    .sgpr_count:     45
    .sgpr_spill_count: 0
    .symbol:         _ZL20rocblas_gemvt_kernelILb0ELi256E19rocblas_complex_numIdEPKS1_S1_EviiT2_lPKT1_lilS7_lilS4_lPT3_lili.kd
    .uniform_work_group_size: 1
    .uses_dynamic_stack: false
    .vgpr_count:     22
    .vgpr_spill_count: 0
    .wavefront_size: 64
  - .agpr_count:     0
    .args:
      - .offset:         0
        .size:           4
        .value_kind:     by_value
      - .offset:         4
        .size:           4
        .value_kind:     by_value
      - .offset:         8
        .size:           16
        .value_kind:     by_value
      - .offset:         24
        .size:           8
        .value_kind:     by_value
      - .address_space:  global
        .offset:         32
        .size:           8
        .value_kind:     global_buffer
      - .offset:         40
        .size:           8
        .value_kind:     by_value
      - .offset:         48
        .size:           4
        .value_kind:     by_value
      - .offset:         56
        .size:           8
        .value_kind:     by_value
      - .address_space:  global
        .offset:         64
        .size:           8
        .value_kind:     global_buffer
      - .offset:         72
        .size:           8
        .value_kind:     by_value
      - .offset:         80
        .size:           4
        .value_kind:     by_value
      - .offset:         88
        .size:           8
        .value_kind:     by_value
      - .offset:         96
        .size:           16
        .value_kind:     by_value
      - .offset:         112
        .size:           8
        .value_kind:     by_value
      - .address_space:  global
        .offset:         120
        .size:           8
        .value_kind:     global_buffer
      - .offset:         128
        .size:           8
        .value_kind:     by_value
      - .offset:         136
        .size:           4
        .value_kind:     by_value
      - .offset:         144
        .size:           8
        .value_kind:     by_value
      - .offset:         152
        .size:           4
        .value_kind:     by_value
    .group_segment_fixed_size: 4096
    .kernarg_segment_align: 8
    .kernarg_segment_size: 156
    .language:       OpenCL C
    .language_version:
      - 2
      - 0
    .max_flat_workgroup_size: 256
    .name:           _ZL20rocblas_gemvt_kernelILb0ELi256E19rocblas_complex_numIdES1_S1_EviiT2_lPKT1_lilS5_lilS2_lPT3_lili
    .private_segment_fixed_size: 0
    .sgpr_count:     45
    .sgpr_spill_count: 0
    .symbol:         _ZL20rocblas_gemvt_kernelILb0ELi256E19rocblas_complex_numIdES1_S1_EviiT2_lPKT1_lilS5_lilS2_lPT3_lili.kd
    .uniform_work_group_size: 1
    .uses_dynamic_stack: false
    .vgpr_count:     22
    .vgpr_spill_count: 0
    .wavefront_size: 64
  - .agpr_count:     0
    .args:
      - .offset:         0
        .size:           4
        .value_kind:     by_value
      - .offset:         4
        .size:           4
        .value_kind:     by_value
      - .address_space:  global
        .offset:         8
        .size:           8
        .value_kind:     global_buffer
      - .offset:         16
        .size:           8
        .value_kind:     by_value
      - .address_space:  global
        .offset:         24
        .size:           8
        .value_kind:     global_buffer
      - .offset:         32
        .size:           8
        .value_kind:     by_value
      - .offset:         40
        .size:           4
        .value_kind:     by_value
      - .offset:         48
        .size:           8
        .value_kind:     by_value
      - .address_space:  global
        .offset:         56
        .size:           8
        .value_kind:     global_buffer
      - .offset:         64
        .size:           8
        .value_kind:     by_value
      - .offset:         72
        .size:           4
        .value_kind:     by_value
      - .offset:         80
        .size:           8
        .value_kind:     by_value
      - .address_space:  global
        .offset:         88
        .size:           8
        .value_kind:     global_buffer
      - .offset:         96
        .size:           8
        .value_kind:     by_value
      - .address_space:  global
        .offset:         104
        .size:           8
        .value_kind:     global_buffer
      - .offset:         112
        .size:           8
        .value_kind:     by_value
      - .offset:         120
        .size:           4
        .value_kind:     by_value
      - .offset:         128
        .size:           8
        .value_kind:     by_value
      - .offset:         136
        .size:           4
        .value_kind:     by_value
    .group_segment_fixed_size: 1024
    .kernarg_segment_align: 8
    .kernarg_segment_size: 140
    .language:       OpenCL C
    .language_version:
      - 2
      - 0
    .max_flat_workgroup_size: 1024
    .name:           _ZL32rocblas_gemvt_warp_reduce_kernelILb0ELi1024Ei19rocblas_complex_numIdEPKS1_S1_EviiT3_lPKT2_lT1_lS7_lS8_lS4_lPT4_lS8_li
    .private_segment_fixed_size: 0
    .sgpr_count:     41
    .sgpr_spill_count: 0
    .symbol:         _ZL32rocblas_gemvt_warp_reduce_kernelILb0ELi1024Ei19rocblas_complex_numIdEPKS1_S1_EviiT3_lPKT2_lT1_lS7_lS8_lS4_lPT4_lS8_li.kd
    .uniform_work_group_size: 1
    .uses_dynamic_stack: false
    .vgpr_count:     22
    .vgpr_spill_count: 0
    .wavefront_size: 64
  - .agpr_count:     0
    .args:
      - .offset:         0
        .size:           4
        .value_kind:     by_value
      - .offset:         4
        .size:           4
        .value_kind:     by_value
      - .address_space:  global
        .offset:         8
        .size:           8
        .value_kind:     global_buffer
      - .offset:         16
        .size:           8
        .value_kind:     by_value
      - .address_space:  global
        .offset:         24
        .size:           8
        .value_kind:     global_buffer
      - .offset:         32
        .size:           8
        .value_kind:     by_value
      - .offset:         40
        .size:           8
        .value_kind:     by_value
      - .offset:         48
        .size:           8
        .value_kind:     by_value
      - .address_space:  global
        .offset:         56
        .size:           8
        .value_kind:     global_buffer
      - .offset:         64
        .size:           8
        .value_kind:     by_value
      - .offset:         72
        .size:           8
        .value_kind:     by_value
      - .offset:         80
        .size:           8
        .value_kind:     by_value
      - .address_space:  global
        .offset:         88
        .size:           8
        .value_kind:     global_buffer
      - .offset:         96
        .size:           8
        .value_kind:     by_value
      - .address_space:  global
        .offset:         104
        .size:           8
        .value_kind:     global_buffer
      - .offset:         112
        .size:           8
        .value_kind:     by_value
      - .offset:         120
        .size:           8
        .value_kind:     by_value
      - .offset:         128
        .size:           8
        .value_kind:     by_value
      - .offset:         136
        .size:           4
        .value_kind:     by_value
    .group_segment_fixed_size: 1024
    .kernarg_segment_align: 8
    .kernarg_segment_size: 140
    .language:       OpenCL C
    .language_version:
      - 2
      - 0
    .max_flat_workgroup_size: 1024
    .name:           _ZL32rocblas_gemvt_warp_reduce_kernelILb0ELi1024El19rocblas_complex_numIdEPKS1_S1_EviiT3_lPKT2_lT1_lS7_lS8_lS4_lPT4_lS8_li
    .private_segment_fixed_size: 0
    .sgpr_count:     58
    .sgpr_spill_count: 0
    .symbol:         _ZL32rocblas_gemvt_warp_reduce_kernelILb0ELi1024El19rocblas_complex_numIdEPKS1_S1_EviiT3_lPKT2_lT1_lS7_lS8_lS4_lPT4_lS8_li.kd
    .uniform_work_group_size: 1
    .uses_dynamic_stack: false
    .vgpr_count:     22
    .vgpr_spill_count: 0
    .wavefront_size: 64
  - .agpr_count:     0
    .args:
      - .offset:         0
        .size:           4
        .value_kind:     by_value
      - .offset:         4
        .size:           4
        .value_kind:     by_value
      - .offset:         8
        .size:           16
        .value_kind:     by_value
      - .offset:         24
        .size:           8
        .value_kind:     by_value
      - .address_space:  global
        .offset:         32
        .size:           8
        .value_kind:     global_buffer
      - .offset:         40
        .size:           8
        .value_kind:     by_value
      - .offset:         48
        .size:           4
        .value_kind:     by_value
      - .offset:         56
        .size:           8
        .value_kind:     by_value
      - .address_space:  global
        .offset:         64
        .size:           8
        .value_kind:     global_buffer
      - .offset:         72
        .size:           8
        .value_kind:     by_value
      - .offset:         80
        .size:           4
        .value_kind:     by_value
      - .offset:         88
        .size:           8
        .value_kind:     by_value
      - .offset:         96
        .size:           16
        .value_kind:     by_value
      - .offset:         112
        .size:           8
        .value_kind:     by_value
      - .address_space:  global
        .offset:         120
        .size:           8
        .value_kind:     global_buffer
      - .offset:         128
        .size:           8
        .value_kind:     by_value
      - .offset:         136
        .size:           4
        .value_kind:     by_value
      - .offset:         144
        .size:           8
        .value_kind:     by_value
      - .offset:         152
        .size:           4
        .value_kind:     by_value
    .group_segment_fixed_size: 1024
    .kernarg_segment_align: 8
    .kernarg_segment_size: 156
    .language:       OpenCL C
    .language_version:
      - 2
      - 0
    .max_flat_workgroup_size: 1024
    .name:           _ZL32rocblas_gemvt_warp_reduce_kernelILb0ELi1024Ei19rocblas_complex_numIdES1_S1_EviiT3_lPKT2_lT1_lS5_lS6_lS2_lPT4_lS6_li
    .private_segment_fixed_size: 0
    .sgpr_count:     41
    .sgpr_spill_count: 0
    .symbol:         _ZL32rocblas_gemvt_warp_reduce_kernelILb0ELi1024Ei19rocblas_complex_numIdES1_S1_EviiT3_lPKT2_lT1_lS5_lS6_lS2_lPT4_lS6_li.kd
    .uniform_work_group_size: 1
    .uses_dynamic_stack: false
    .vgpr_count:     22
    .vgpr_spill_count: 0
    .wavefront_size: 64
  - .agpr_count:     0
    .args:
      - .offset:         0
        .size:           4
        .value_kind:     by_value
      - .offset:         4
        .size:           4
        .value_kind:     by_value
      - .offset:         8
        .size:           16
        .value_kind:     by_value
      - .offset:         24
        .size:           8
        .value_kind:     by_value
      - .address_space:  global
        .offset:         32
        .size:           8
        .value_kind:     global_buffer
      - .offset:         40
        .size:           8
        .value_kind:     by_value
      - .offset:         48
        .size:           8
        .value_kind:     by_value
      - .offset:         56
        .size:           8
        .value_kind:     by_value
      - .address_space:  global
        .offset:         64
        .size:           8
        .value_kind:     global_buffer
      - .offset:         72
        .size:           8
        .value_kind:     by_value
      - .offset:         80
        .size:           8
        .value_kind:     by_value
      - .offset:         88
        .size:           8
        .value_kind:     by_value
      - .offset:         96
        .size:           16
        .value_kind:     by_value
      - .offset:         112
        .size:           8
        .value_kind:     by_value
      - .address_space:  global
        .offset:         120
        .size:           8
        .value_kind:     global_buffer
      - .offset:         128
        .size:           8
        .value_kind:     by_value
      - .offset:         136
        .size:           8
        .value_kind:     by_value
      - .offset:         144
        .size:           8
        .value_kind:     by_value
      - .offset:         152
        .size:           4
        .value_kind:     by_value
    .group_segment_fixed_size: 1024
    .kernarg_segment_align: 8
    .kernarg_segment_size: 156
    .language:       OpenCL C
    .language_version:
      - 2
      - 0
    .max_flat_workgroup_size: 1024
    .name:           _ZL32rocblas_gemvt_warp_reduce_kernelILb0ELi1024El19rocblas_complex_numIdES1_S1_EviiT3_lPKT2_lT1_lS5_lS6_lS2_lPT4_lS6_li
    .private_segment_fixed_size: 0
    .sgpr_count:     50
    .sgpr_spill_count: 0
    .symbol:         _ZL32rocblas_gemvt_warp_reduce_kernelILb0ELi1024El19rocblas_complex_numIdES1_S1_EviiT3_lPKT2_lT1_lS5_lS6_lS2_lPT4_lS6_li.kd
    .uniform_work_group_size: 1
    .uses_dynamic_stack: false
    .vgpr_count:     22
    .vgpr_spill_count: 0
    .wavefront_size: 64
  - .agpr_count:     0
    .args:
      - .offset:         0
        .size:           4
        .value_kind:     by_value
      - .offset:         4
        .size:           4
        .value_kind:     by_value
      - .address_space:  global
        .offset:         8
        .size:           8
        .value_kind:     global_buffer
      - .offset:         16
        .size:           8
        .value_kind:     by_value
      - .address_space:  global
        .offset:         24
        .size:           8
        .value_kind:     global_buffer
      - .offset:         32
        .size:           8
        .value_kind:     by_value
      - .offset:         40
        .size:           4
        .value_kind:     by_value
      - .offset:         48
        .size:           8
        .value_kind:     by_value
      - .address_space:  global
        .offset:         56
        .size:           8
        .value_kind:     global_buffer
      - .offset:         64
        .size:           8
        .value_kind:     by_value
      - .offset:         72
        .size:           4
        .value_kind:     by_value
      - .offset:         80
        .size:           8
        .value_kind:     by_value
      - .address_space:  global
        .offset:         88
        .size:           8
        .value_kind:     global_buffer
      - .offset:         96
        .size:           8
        .value_kind:     by_value
      - .address_space:  global
        .offset:         104
        .size:           8
        .value_kind:     global_buffer
      - .offset:         112
        .size:           8
        .value_kind:     by_value
      - .offset:         120
        .size:           4
        .value_kind:     by_value
      - .offset:         128
        .size:           8
        .value_kind:     by_value
    .group_segment_fixed_size: 1024
    .kernarg_segment_align: 8
    .kernarg_segment_size: 136
    .language:       OpenCL C
    .language_version:
      - 2
      - 0
    .max_flat_workgroup_size: 256
    .name:           _ZL22rocblas_gemvtsm_kernelILb1ELi256E19rocblas_complex_numIdEPKS1_S1_EviiT2_lPKT1_lilS7_lilS4_lPT3_lil
    .private_segment_fixed_size: 0
    .sgpr_count:     44
    .sgpr_spill_count: 0
    .symbol:         _ZL22rocblas_gemvtsm_kernelILb1ELi256E19rocblas_complex_numIdEPKS1_S1_EviiT2_lPKT1_lilS7_lilS4_lPT3_lil.kd
    .uniform_work_group_size: 1
    .uses_dynamic_stack: false
    .vgpr_count:     58
    .vgpr_spill_count: 0
    .wavefront_size: 64
  - .agpr_count:     0
    .args:
      - .offset:         0
        .size:           4
        .value_kind:     by_value
      - .offset:         4
        .size:           4
        .value_kind:     by_value
      - .offset:         8
        .size:           16
        .value_kind:     by_value
      - .offset:         24
        .size:           8
        .value_kind:     by_value
      - .address_space:  global
        .offset:         32
        .size:           8
        .value_kind:     global_buffer
      - .offset:         40
        .size:           8
        .value_kind:     by_value
      - .offset:         48
        .size:           4
        .value_kind:     by_value
      - .offset:         56
        .size:           8
        .value_kind:     by_value
      - .address_space:  global
        .offset:         64
        .size:           8
        .value_kind:     global_buffer
      - .offset:         72
        .size:           8
        .value_kind:     by_value
      - .offset:         80
        .size:           4
        .value_kind:     by_value
      - .offset:         88
        .size:           8
        .value_kind:     by_value
      - .offset:         96
        .size:           16
        .value_kind:     by_value
      - .offset:         112
        .size:           8
        .value_kind:     by_value
      - .address_space:  global
        .offset:         120
        .size:           8
        .value_kind:     global_buffer
      - .offset:         128
        .size:           8
        .value_kind:     by_value
      - .offset:         136
        .size:           4
        .value_kind:     by_value
      - .offset:         144
        .size:           8
        .value_kind:     by_value
    .group_segment_fixed_size: 1024
    .kernarg_segment_align: 8
    .kernarg_segment_size: 152
    .language:       OpenCL C
    .language_version:
      - 2
      - 0
    .max_flat_workgroup_size: 256
    .name:           _ZL22rocblas_gemvtsm_kernelILb1ELi256E19rocblas_complex_numIdES1_S1_EviiT2_lPKT1_lilS5_lilS2_lPT3_lil
    .private_segment_fixed_size: 0
    .sgpr_count:     42
    .sgpr_spill_count: 0
    .symbol:         _ZL22rocblas_gemvtsm_kernelILb1ELi256E19rocblas_complex_numIdES1_S1_EviiT2_lPKT1_lilS5_lilS2_lPT3_lil.kd
    .uniform_work_group_size: 1
    .uses_dynamic_stack: false
    .vgpr_count:     58
    .vgpr_spill_count: 0
    .wavefront_size: 64
  - .agpr_count:     0
    .args:
      - .offset:         0
        .size:           4
        .value_kind:     by_value
      - .offset:         4
        .size:           4
        .value_kind:     by_value
      - .address_space:  global
        .offset:         8
        .size:           8
        .value_kind:     global_buffer
      - .offset:         16
        .size:           8
        .value_kind:     by_value
      - .address_space:  global
        .offset:         24
        .size:           8
        .value_kind:     global_buffer
      - .offset:         32
        .size:           8
        .value_kind:     by_value
      - .offset:         40
        .size:           4
        .value_kind:     by_value
      - .offset:         48
        .size:           8
        .value_kind:     by_value
      - .address_space:  global
        .offset:         56
        .size:           8
        .value_kind:     global_buffer
      - .offset:         64
        .size:           8
        .value_kind:     by_value
      - .offset:         72
        .size:           4
        .value_kind:     by_value
      - .offset:         80
        .size:           8
        .value_kind:     by_value
      - .address_space:  global
        .offset:         88
        .size:           8
        .value_kind:     global_buffer
      - .offset:         96
        .size:           4
        .value_kind:     by_value
      - .offset:         104
        .size:           4
        .value_kind:     hidden_block_count_x
      - .offset:         108
        .size:           4
        .value_kind:     hidden_block_count_y
      - .offset:         112
        .size:           4
        .value_kind:     hidden_block_count_z
      - .offset:         116
        .size:           2
        .value_kind:     hidden_group_size_x
      - .offset:         118
        .size:           2
        .value_kind:     hidden_group_size_y
      - .offset:         120
        .size:           2
        .value_kind:     hidden_group_size_z
      - .offset:         122
        .size:           2
        .value_kind:     hidden_remainder_x
      - .offset:         124
        .size:           2
        .value_kind:     hidden_remainder_y
      - .offset:         126
        .size:           2
        .value_kind:     hidden_remainder_z
      - .offset:         144
        .size:           8
        .value_kind:     hidden_global_offset_x
      - .offset:         152
        .size:           8
        .value_kind:     hidden_global_offset_y
      - .offset:         160
        .size:           8
        .value_kind:     hidden_global_offset_z
      - .offset:         168
        .size:           2
        .value_kind:     hidden_grid_dims
    .group_segment_fixed_size: 1024
    .kernarg_segment_align: 8
    .kernarg_segment_size: 360
    .language:       OpenCL C
    .language_version:
      - 2
      - 0
    .max_flat_workgroup_size: 256
    .name:           _ZL23rocblas_gemvt_sn_kernelILb1ELi256ELi4Ei19rocblas_complex_numIdEPKS1_S1_EviiT4_lPKT3_lilS7_lilPT5_i
    .private_segment_fixed_size: 80
    .sgpr_count:     62
    .sgpr_spill_count: 0
    .symbol:         _ZL23rocblas_gemvt_sn_kernelILb1ELi256ELi4Ei19rocblas_complex_numIdEPKS1_S1_EviiT4_lPKT3_lilS7_lilPT5_i.kd
    .uniform_work_group_size: 1
    .uses_dynamic_stack: false
    .vgpr_count:     120
    .vgpr_spill_count: 0
    .wavefront_size: 64
  - .agpr_count:     0
    .args:
      - .offset:         0
        .size:           4
        .value_kind:     by_value
      - .offset:         4
        .size:           4
        .value_kind:     by_value
      - .address_space:  global
        .offset:         8
        .size:           8
        .value_kind:     global_buffer
      - .offset:         16
        .size:           8
        .value_kind:     by_value
      - .address_space:  global
        .offset:         24
        .size:           8
        .value_kind:     global_buffer
      - .offset:         32
        .size:           8
        .value_kind:     by_value
      - .offset:         40
        .size:           4
        .value_kind:     by_value
      - .offset:         48
        .size:           8
        .value_kind:     by_value
      - .address_space:  global
        .offset:         56
        .size:           8
        .value_kind:     global_buffer
      - .offset:         64
        .size:           8
        .value_kind:     by_value
      - .offset:         72
        .size:           4
        .value_kind:     by_value
      - .offset:         80
        .size:           8
        .value_kind:     by_value
      - .address_space:  global
        .offset:         88
        .size:           8
        .value_kind:     global_buffer
      - .offset:         96
        .size:           4
        .value_kind:     by_value
      - .offset:         104
        .size:           4
        .value_kind:     hidden_block_count_x
      - .offset:         108
        .size:           4
        .value_kind:     hidden_block_count_y
      - .offset:         112
        .size:           4
        .value_kind:     hidden_block_count_z
      - .offset:         116
        .size:           2
        .value_kind:     hidden_group_size_x
      - .offset:         118
        .size:           2
        .value_kind:     hidden_group_size_y
      - .offset:         120
        .size:           2
        .value_kind:     hidden_group_size_z
      - .offset:         122
        .size:           2
        .value_kind:     hidden_remainder_x
      - .offset:         124
        .size:           2
        .value_kind:     hidden_remainder_y
      - .offset:         126
        .size:           2
        .value_kind:     hidden_remainder_z
      - .offset:         144
        .size:           8
        .value_kind:     hidden_global_offset_x
      - .offset:         152
        .size:           8
        .value_kind:     hidden_global_offset_y
      - .offset:         160
        .size:           8
        .value_kind:     hidden_global_offset_z
      - .offset:         168
        .size:           2
        .value_kind:     hidden_grid_dims
    .group_segment_fixed_size: 1024
    .kernarg_segment_align: 8
    .kernarg_segment_size: 360
    .language:       OpenCL C
    .language_version:
      - 2
      - 0
    .max_flat_workgroup_size: 256
    .name:           _ZL23rocblas_gemvt_sn_kernelILb1ELi256ELi4El19rocblas_complex_numIdEPKS1_S1_EviiT4_lPKT3_lilS7_lilPT5_i
    .private_segment_fixed_size: 80
    .sgpr_count:     72
    .sgpr_spill_count: 0
    .symbol:         _ZL23rocblas_gemvt_sn_kernelILb1ELi256ELi4El19rocblas_complex_numIdEPKS1_S1_EviiT4_lPKT3_lilS7_lilPT5_i.kd
    .uniform_work_group_size: 1
    .uses_dynamic_stack: false
    .vgpr_count:     122
    .vgpr_spill_count: 0
    .wavefront_size: 64
  - .agpr_count:     0
    .args:
      - .offset:         0
        .size:           4
        .value_kind:     by_value
      - .offset:         4
        .size:           4
        .value_kind:     by_value
      - .offset:         8
        .size:           16
        .value_kind:     by_value
      - .offset:         24
        .size:           8
        .value_kind:     by_value
      - .address_space:  global
        .offset:         32
        .size:           8
        .value_kind:     global_buffer
      - .offset:         40
        .size:           8
        .value_kind:     by_value
      - .offset:         48
        .size:           4
        .value_kind:     by_value
      - .offset:         56
        .size:           8
        .value_kind:     by_value
      - .address_space:  global
        .offset:         64
        .size:           8
        .value_kind:     global_buffer
      - .offset:         72
        .size:           8
        .value_kind:     by_value
      - .offset:         80
        .size:           4
        .value_kind:     by_value
      - .offset:         88
        .size:           8
        .value_kind:     by_value
      - .address_space:  global
        .offset:         96
        .size:           8
        .value_kind:     global_buffer
      - .offset:         104
        .size:           4
        .value_kind:     by_value
      - .offset:         112
        .size:           4
        .value_kind:     hidden_block_count_x
      - .offset:         116
        .size:           4
        .value_kind:     hidden_block_count_y
      - .offset:         120
        .size:           4
        .value_kind:     hidden_block_count_z
      - .offset:         124
        .size:           2
        .value_kind:     hidden_group_size_x
      - .offset:         126
        .size:           2
        .value_kind:     hidden_group_size_y
      - .offset:         128
        .size:           2
        .value_kind:     hidden_group_size_z
      - .offset:         130
        .size:           2
        .value_kind:     hidden_remainder_x
      - .offset:         132
        .size:           2
        .value_kind:     hidden_remainder_y
      - .offset:         134
        .size:           2
        .value_kind:     hidden_remainder_z
      - .offset:         152
        .size:           8
        .value_kind:     hidden_global_offset_x
      - .offset:         160
        .size:           8
        .value_kind:     hidden_global_offset_y
      - .offset:         168
        .size:           8
        .value_kind:     hidden_global_offset_z
      - .offset:         176
        .size:           2
        .value_kind:     hidden_grid_dims
    .group_segment_fixed_size: 1024
    .kernarg_segment_align: 8
    .kernarg_segment_size: 368
    .language:       OpenCL C
    .language_version:
      - 2
      - 0
    .max_flat_workgroup_size: 256
    .name:           _ZL23rocblas_gemvt_sn_kernelILb1ELi256ELi4Ei19rocblas_complex_numIdES1_S1_EviiT4_lPKT3_lilS5_lilPT5_i
    .private_segment_fixed_size: 80
    .sgpr_count:     62
    .sgpr_spill_count: 0
    .symbol:         _ZL23rocblas_gemvt_sn_kernelILb1ELi256ELi4Ei19rocblas_complex_numIdES1_S1_EviiT4_lPKT3_lilS5_lilPT5_i.kd
    .uniform_work_group_size: 1
    .uses_dynamic_stack: false
    .vgpr_count:     120
    .vgpr_spill_count: 0
    .wavefront_size: 64
  - .agpr_count:     0
    .args:
      - .offset:         0
        .size:           4
        .value_kind:     by_value
      - .offset:         4
        .size:           4
        .value_kind:     by_value
      - .offset:         8
        .size:           16
        .value_kind:     by_value
      - .offset:         24
        .size:           8
        .value_kind:     by_value
      - .address_space:  global
        .offset:         32
        .size:           8
        .value_kind:     global_buffer
      - .offset:         40
        .size:           8
        .value_kind:     by_value
      - .offset:         48
        .size:           4
        .value_kind:     by_value
      - .offset:         56
        .size:           8
        .value_kind:     by_value
      - .address_space:  global
        .offset:         64
        .size:           8
        .value_kind:     global_buffer
      - .offset:         72
        .size:           8
        .value_kind:     by_value
      - .offset:         80
        .size:           4
        .value_kind:     by_value
      - .offset:         88
        .size:           8
        .value_kind:     by_value
      - .address_space:  global
        .offset:         96
        .size:           8
        .value_kind:     global_buffer
      - .offset:         104
        .size:           4
        .value_kind:     by_value
      - .offset:         112
        .size:           4
        .value_kind:     hidden_block_count_x
      - .offset:         116
        .size:           4
        .value_kind:     hidden_block_count_y
      - .offset:         120
        .size:           4
        .value_kind:     hidden_block_count_z
      - .offset:         124
        .size:           2
        .value_kind:     hidden_group_size_x
      - .offset:         126
        .size:           2
        .value_kind:     hidden_group_size_y
      - .offset:         128
        .size:           2
        .value_kind:     hidden_group_size_z
      - .offset:         130
        .size:           2
        .value_kind:     hidden_remainder_x
      - .offset:         132
        .size:           2
        .value_kind:     hidden_remainder_y
      - .offset:         134
        .size:           2
        .value_kind:     hidden_remainder_z
      - .offset:         152
        .size:           8
        .value_kind:     hidden_global_offset_x
      - .offset:         160
        .size:           8
        .value_kind:     hidden_global_offset_y
      - .offset:         168
        .size:           8
        .value_kind:     hidden_global_offset_z
      - .offset:         176
        .size:           2
        .value_kind:     hidden_grid_dims
    .group_segment_fixed_size: 1024
    .kernarg_segment_align: 8
    .kernarg_segment_size: 368
    .language:       OpenCL C
    .language_version:
      - 2
      - 0
    .max_flat_workgroup_size: 256
    .name:           _ZL23rocblas_gemvt_sn_kernelILb1ELi256ELi4El19rocblas_complex_numIdES1_S1_EviiT4_lPKT3_lilS5_lilPT5_i
    .private_segment_fixed_size: 80
    .sgpr_count:     72
    .sgpr_spill_count: 0
    .symbol:         _ZL23rocblas_gemvt_sn_kernelILb1ELi256ELi4El19rocblas_complex_numIdES1_S1_EviiT4_lPKT3_lilS5_lilPT5_i.kd
    .uniform_work_group_size: 1
    .uses_dynamic_stack: false
    .vgpr_count:     122
    .vgpr_spill_count: 0
    .wavefront_size: 64
  - .agpr_count:     0
    .args:
      - .offset:         0
        .size:           4
        .value_kind:     by_value
      - .offset:         4
        .size:           4
        .value_kind:     by_value
      - .address_space:  global
        .offset:         8
        .size:           8
        .value_kind:     global_buffer
      - .offset:         16
        .size:           8
        .value_kind:     by_value
      - .address_space:  global
        .offset:         24
        .size:           8
        .value_kind:     global_buffer
      - .offset:         32
        .size:           8
        .value_kind:     by_value
      - .offset:         40
        .size:           4
        .value_kind:     by_value
      - .offset:         48
        .size:           8
        .value_kind:     by_value
      - .address_space:  global
        .offset:         56
        .size:           8
        .value_kind:     global_buffer
      - .offset:         64
        .size:           8
        .value_kind:     by_value
      - .offset:         72
        .size:           4
        .value_kind:     by_value
      - .offset:         80
        .size:           8
        .value_kind:     by_value
      - .address_space:  global
        .offset:         88
        .size:           8
        .value_kind:     global_buffer
      - .offset:         96
        .size:           8
        .value_kind:     by_value
      - .address_space:  global
        .offset:         104
        .size:           8
        .value_kind:     global_buffer
      - .offset:         112
        .size:           8
        .value_kind:     by_value
      - .offset:         120
        .size:           4
        .value_kind:     by_value
      - .offset:         128
        .size:           8
        .value_kind:     by_value
      - .offset:         136
        .size:           4
        .value_kind:     by_value
    .group_segment_fixed_size: 4096
    .kernarg_segment_align: 8
    .kernarg_segment_size: 140
    .language:       OpenCL C
    .language_version:
      - 2
      - 0
    .max_flat_workgroup_size: 256
    .name:           _ZL20rocblas_gemvt_kernelILb1ELi256E19rocblas_complex_numIdEPKS1_S1_EviiT2_lPKT1_lilS7_lilS4_lPT3_lili
    .private_segment_fixed_size: 0
    .sgpr_count:     45
    .sgpr_spill_count: 0
    .symbol:         _ZL20rocblas_gemvt_kernelILb1ELi256E19rocblas_complex_numIdEPKS1_S1_EviiT2_lPKT1_lilS7_lilS4_lPT3_lili.kd
    .uniform_work_group_size: 1
    .uses_dynamic_stack: false
    .vgpr_count:     22
    .vgpr_spill_count: 0
    .wavefront_size: 64
  - .agpr_count:     0
    .args:
      - .offset:         0
        .size:           4
        .value_kind:     by_value
      - .offset:         4
        .size:           4
        .value_kind:     by_value
      - .offset:         8
        .size:           16
        .value_kind:     by_value
      - .offset:         24
        .size:           8
        .value_kind:     by_value
      - .address_space:  global
        .offset:         32
        .size:           8
        .value_kind:     global_buffer
      - .offset:         40
        .size:           8
        .value_kind:     by_value
      - .offset:         48
        .size:           4
        .value_kind:     by_value
      - .offset:         56
        .size:           8
        .value_kind:     by_value
      - .address_space:  global
        .offset:         64
        .size:           8
        .value_kind:     global_buffer
      - .offset:         72
        .size:           8
        .value_kind:     by_value
      - .offset:         80
        .size:           4
        .value_kind:     by_value
      - .offset:         88
        .size:           8
        .value_kind:     by_value
      - .offset:         96
        .size:           16
        .value_kind:     by_value
      - .offset:         112
        .size:           8
        .value_kind:     by_value
      - .address_space:  global
        .offset:         120
        .size:           8
        .value_kind:     global_buffer
      - .offset:         128
        .size:           8
        .value_kind:     by_value
      - .offset:         136
        .size:           4
        .value_kind:     by_value
      - .offset:         144
        .size:           8
        .value_kind:     by_value
      - .offset:         152
        .size:           4
        .value_kind:     by_value
    .group_segment_fixed_size: 4096
    .kernarg_segment_align: 8
    .kernarg_segment_size: 156
    .language:       OpenCL C
    .language_version:
      - 2
      - 0
    .max_flat_workgroup_size: 256
    .name:           _ZL20rocblas_gemvt_kernelILb1ELi256E19rocblas_complex_numIdES1_S1_EviiT2_lPKT1_lilS5_lilS2_lPT3_lili
    .private_segment_fixed_size: 0
    .sgpr_count:     45
    .sgpr_spill_count: 0
    .symbol:         _ZL20rocblas_gemvt_kernelILb1ELi256E19rocblas_complex_numIdES1_S1_EviiT2_lPKT1_lilS5_lilS2_lPT3_lili.kd
    .uniform_work_group_size: 1
    .uses_dynamic_stack: false
    .vgpr_count:     22
    .vgpr_spill_count: 0
    .wavefront_size: 64
  - .agpr_count:     0
    .args:
      - .offset:         0
        .size:           4
        .value_kind:     by_value
      - .offset:         4
        .size:           4
        .value_kind:     by_value
      - .address_space:  global
        .offset:         8
        .size:           8
        .value_kind:     global_buffer
      - .offset:         16
        .size:           8
        .value_kind:     by_value
      - .address_space:  global
        .offset:         24
        .size:           8
        .value_kind:     global_buffer
      - .offset:         32
        .size:           8
        .value_kind:     by_value
      - .offset:         40
        .size:           4
        .value_kind:     by_value
      - .offset:         48
        .size:           8
        .value_kind:     by_value
      - .address_space:  global
        .offset:         56
        .size:           8
        .value_kind:     global_buffer
      - .offset:         64
        .size:           8
        .value_kind:     by_value
      - .offset:         72
        .size:           4
        .value_kind:     by_value
      - .offset:         80
        .size:           8
        .value_kind:     by_value
      - .address_space:  global
        .offset:         88
        .size:           8
        .value_kind:     global_buffer
      - .offset:         96
        .size:           8
        .value_kind:     by_value
      - .address_space:  global
        .offset:         104
        .size:           8
        .value_kind:     global_buffer
      - .offset:         112
        .size:           8
        .value_kind:     by_value
      - .offset:         120
        .size:           4
        .value_kind:     by_value
      - .offset:         128
        .size:           8
        .value_kind:     by_value
      - .offset:         136
        .size:           4
        .value_kind:     by_value
    .group_segment_fixed_size: 1024
    .kernarg_segment_align: 8
    .kernarg_segment_size: 140
    .language:       OpenCL C
    .language_version:
      - 2
      - 0
    .max_flat_workgroup_size: 1024
    .name:           _ZL32rocblas_gemvt_warp_reduce_kernelILb1ELi1024Ei19rocblas_complex_numIdEPKS1_S1_EviiT3_lPKT2_lT1_lS7_lS8_lS4_lPT4_lS8_li
    .private_segment_fixed_size: 0
    .sgpr_count:     41
    .sgpr_spill_count: 0
    .symbol:         _ZL32rocblas_gemvt_warp_reduce_kernelILb1ELi1024Ei19rocblas_complex_numIdEPKS1_S1_EviiT3_lPKT2_lT1_lS7_lS8_lS4_lPT4_lS8_li.kd
    .uniform_work_group_size: 1
    .uses_dynamic_stack: false
    .vgpr_count:     22
    .vgpr_spill_count: 0
    .wavefront_size: 64
  - .agpr_count:     0
    .args:
      - .offset:         0
        .size:           4
        .value_kind:     by_value
      - .offset:         4
        .size:           4
        .value_kind:     by_value
      - .address_space:  global
        .offset:         8
        .size:           8
        .value_kind:     global_buffer
      - .offset:         16
        .size:           8
        .value_kind:     by_value
      - .address_space:  global
        .offset:         24
        .size:           8
        .value_kind:     global_buffer
      - .offset:         32
        .size:           8
        .value_kind:     by_value
      - .offset:         40
        .size:           8
        .value_kind:     by_value
      - .offset:         48
        .size:           8
        .value_kind:     by_value
      - .address_space:  global
        .offset:         56
        .size:           8
        .value_kind:     global_buffer
      - .offset:         64
        .size:           8
        .value_kind:     by_value
      - .offset:         72
        .size:           8
        .value_kind:     by_value
      - .offset:         80
        .size:           8
        .value_kind:     by_value
      - .address_space:  global
        .offset:         88
        .size:           8
        .value_kind:     global_buffer
      - .offset:         96
        .size:           8
        .value_kind:     by_value
      - .address_space:  global
        .offset:         104
        .size:           8
        .value_kind:     global_buffer
      - .offset:         112
        .size:           8
        .value_kind:     by_value
      - .offset:         120
        .size:           8
        .value_kind:     by_value
      - .offset:         128
        .size:           8
        .value_kind:     by_value
      - .offset:         136
        .size:           4
        .value_kind:     by_value
    .group_segment_fixed_size: 1024
    .kernarg_segment_align: 8
    .kernarg_segment_size: 140
    .language:       OpenCL C
    .language_version:
      - 2
      - 0
    .max_flat_workgroup_size: 1024
    .name:           _ZL32rocblas_gemvt_warp_reduce_kernelILb1ELi1024El19rocblas_complex_numIdEPKS1_S1_EviiT3_lPKT2_lT1_lS7_lS8_lS4_lPT4_lS8_li
    .private_segment_fixed_size: 0
    .sgpr_count:     58
    .sgpr_spill_count: 0
    .symbol:         _ZL32rocblas_gemvt_warp_reduce_kernelILb1ELi1024El19rocblas_complex_numIdEPKS1_S1_EviiT3_lPKT2_lT1_lS7_lS8_lS4_lPT4_lS8_li.kd
    .uniform_work_group_size: 1
    .uses_dynamic_stack: false
    .vgpr_count:     22
    .vgpr_spill_count: 0
    .wavefront_size: 64
  - .agpr_count:     0
    .args:
      - .offset:         0
        .size:           4
        .value_kind:     by_value
      - .offset:         4
        .size:           4
        .value_kind:     by_value
      - .offset:         8
        .size:           16
        .value_kind:     by_value
      - .offset:         24
        .size:           8
        .value_kind:     by_value
      - .address_space:  global
        .offset:         32
        .size:           8
        .value_kind:     global_buffer
      - .offset:         40
        .size:           8
        .value_kind:     by_value
      - .offset:         48
        .size:           4
        .value_kind:     by_value
      - .offset:         56
        .size:           8
        .value_kind:     by_value
      - .address_space:  global
        .offset:         64
        .size:           8
        .value_kind:     global_buffer
      - .offset:         72
        .size:           8
        .value_kind:     by_value
      - .offset:         80
        .size:           4
        .value_kind:     by_value
      - .offset:         88
        .size:           8
        .value_kind:     by_value
      - .offset:         96
        .size:           16
        .value_kind:     by_value
      - .offset:         112
        .size:           8
        .value_kind:     by_value
      - .address_space:  global
        .offset:         120
        .size:           8
        .value_kind:     global_buffer
      - .offset:         128
        .size:           8
        .value_kind:     by_value
      - .offset:         136
        .size:           4
        .value_kind:     by_value
      - .offset:         144
        .size:           8
        .value_kind:     by_value
      - .offset:         152
        .size:           4
        .value_kind:     by_value
    .group_segment_fixed_size: 1024
    .kernarg_segment_align: 8
    .kernarg_segment_size: 156
    .language:       OpenCL C
    .language_version:
      - 2
      - 0
    .max_flat_workgroup_size: 1024
    .name:           _ZL32rocblas_gemvt_warp_reduce_kernelILb1ELi1024Ei19rocblas_complex_numIdES1_S1_EviiT3_lPKT2_lT1_lS5_lS6_lS2_lPT4_lS6_li
    .private_segment_fixed_size: 0
    .sgpr_count:     41
    .sgpr_spill_count: 0
    .symbol:         _ZL32rocblas_gemvt_warp_reduce_kernelILb1ELi1024Ei19rocblas_complex_numIdES1_S1_EviiT3_lPKT2_lT1_lS5_lS6_lS2_lPT4_lS6_li.kd
    .uniform_work_group_size: 1
    .uses_dynamic_stack: false
    .vgpr_count:     22
    .vgpr_spill_count: 0
    .wavefront_size: 64
  - .agpr_count:     0
    .args:
      - .offset:         0
        .size:           4
        .value_kind:     by_value
      - .offset:         4
        .size:           4
        .value_kind:     by_value
      - .offset:         8
        .size:           16
        .value_kind:     by_value
      - .offset:         24
        .size:           8
        .value_kind:     by_value
      - .address_space:  global
        .offset:         32
        .size:           8
        .value_kind:     global_buffer
      - .offset:         40
        .size:           8
        .value_kind:     by_value
      - .offset:         48
        .size:           8
        .value_kind:     by_value
      - .offset:         56
        .size:           8
        .value_kind:     by_value
      - .address_space:  global
        .offset:         64
        .size:           8
        .value_kind:     global_buffer
      - .offset:         72
        .size:           8
        .value_kind:     by_value
      - .offset:         80
        .size:           8
        .value_kind:     by_value
      - .offset:         88
        .size:           8
        .value_kind:     by_value
      - .offset:         96
        .size:           16
        .value_kind:     by_value
      - .offset:         112
        .size:           8
        .value_kind:     by_value
      - .address_space:  global
        .offset:         120
        .size:           8
        .value_kind:     global_buffer
      - .offset:         128
        .size:           8
        .value_kind:     by_value
      - .offset:         136
        .size:           8
        .value_kind:     by_value
      - .offset:         144
        .size:           8
        .value_kind:     by_value
      - .offset:         152
        .size:           4
        .value_kind:     by_value
    .group_segment_fixed_size: 1024
    .kernarg_segment_align: 8
    .kernarg_segment_size: 156
    .language:       OpenCL C
    .language_version:
      - 2
      - 0
    .max_flat_workgroup_size: 1024
    .name:           _ZL32rocblas_gemvt_warp_reduce_kernelILb1ELi1024El19rocblas_complex_numIdES1_S1_EviiT3_lPKT2_lT1_lS5_lS6_lS2_lPT4_lS6_li
    .private_segment_fixed_size: 0
    .sgpr_count:     50
    .sgpr_spill_count: 0
    .symbol:         _ZL32rocblas_gemvt_warp_reduce_kernelILb1ELi1024El19rocblas_complex_numIdES1_S1_EviiT3_lPKT2_lT1_lS5_lS6_lS2_lPT4_lS6_li.kd
    .uniform_work_group_size: 1
    .uses_dynamic_stack: false
    .vgpr_count:     22
    .vgpr_spill_count: 0
    .wavefront_size: 64
  - .agpr_count:     0
    .args:
      - .offset:         0
        .size:           4
        .value_kind:     by_value
      - .offset:         4
        .size:           4
        .value_kind:     by_value
      - .address_space:  global
        .offset:         8
        .size:           8
        .value_kind:     global_buffer
      - .offset:         16
        .size:           8
        .value_kind:     by_value
      - .address_space:  global
        .offset:         24
        .size:           8
        .value_kind:     global_buffer
      - .offset:         32
        .size:           8
        .value_kind:     by_value
      - .offset:         40
        .size:           4
        .value_kind:     by_value
      - .offset:         48
        .size:           8
        .value_kind:     by_value
      - .address_space:  global
        .offset:         56
        .size:           8
        .value_kind:     global_buffer
      - .offset:         64
        .size:           8
        .value_kind:     by_value
      - .offset:         72
        .size:           4
        .value_kind:     by_value
      - .offset:         80
        .size:           8
        .value_kind:     by_value
      - .address_space:  global
        .offset:         88
        .size:           8
        .value_kind:     global_buffer
      - .offset:         96
        .size:           8
        .value_kind:     by_value
      - .address_space:  global
        .offset:         104
        .size:           8
        .value_kind:     global_buffer
      - .offset:         112
        .size:           8
        .value_kind:     by_value
      - .offset:         120
        .size:           4
        .value_kind:     by_value
      - .offset:         128
        .size:           8
        .value_kind:     by_value
      - .offset:         136
        .size:           4
        .value_kind:     by_value
      - .offset:         144
        .size:           4
        .value_kind:     hidden_block_count_x
      - .offset:         148
        .size:           4
        .value_kind:     hidden_block_count_y
      - .offset:         152
        .size:           4
        .value_kind:     hidden_block_count_z
      - .offset:         156
        .size:           2
        .value_kind:     hidden_group_size_x
      - .offset:         158
        .size:           2
        .value_kind:     hidden_group_size_y
      - .offset:         160
        .size:           2
        .value_kind:     hidden_group_size_z
      - .offset:         162
        .size:           2
        .value_kind:     hidden_remainder_x
      - .offset:         164
        .size:           2
        .value_kind:     hidden_remainder_y
      - .offset:         166
        .size:           2
        .value_kind:     hidden_remainder_z
      - .offset:         184
        .size:           8
        .value_kind:     hidden_global_offset_x
      - .offset:         192
        .size:           8
        .value_kind:     hidden_global_offset_y
      - .offset:         200
        .size:           8
        .value_kind:     hidden_global_offset_z
      - .offset:         208
        .size:           2
        .value_kind:     hidden_grid_dims
    .group_segment_fixed_size: 3072
    .kernarg_segment_align: 8
    .kernarg_segment_size: 400
    .language:       OpenCL C
    .language_version:
      - 2
      - 0
    .max_flat_workgroup_size: 768
    .name:           _ZL34rocblas_gemvn_sm_mn_batched_kernelILi32ELi24EPKfS1_KPfEviiT2_lPKT1_lilS7_lilS4_lPT3_lili
    .private_segment_fixed_size: 0
    .sgpr_count:     76
    .sgpr_spill_count: 0
    .symbol:         _ZL34rocblas_gemvn_sm_mn_batched_kernelILi32ELi24EPKfS1_KPfEviiT2_lPKT1_lilS7_lilS4_lPT3_lili.kd
    .uniform_work_group_size: 1
    .uses_dynamic_stack: false
    .vgpr_count:     42
    .vgpr_spill_count: 0
    .wavefront_size: 64
  - .agpr_count:     0
    .args:
      - .offset:         0
        .size:           4
        .value_kind:     by_value
      - .offset:         4
        .size:           4
        .value_kind:     by_value
      - .offset:         8
        .size:           4
        .value_kind:     by_value
      - .offset:         16
        .size:           8
        .value_kind:     by_value
      - .address_space:  global
        .offset:         24
        .size:           8
        .value_kind:     global_buffer
      - .offset:         32
        .size:           8
        .value_kind:     by_value
      - .offset:         40
        .size:           4
        .value_kind:     by_value
      - .offset:         48
        .size:           8
        .value_kind:     by_value
      - .address_space:  global
        .offset:         56
        .size:           8
        .value_kind:     global_buffer
      - .offset:         64
        .size:           8
        .value_kind:     by_value
      - .offset:         72
        .size:           4
        .value_kind:     by_value
      - .offset:         80
        .size:           8
        .value_kind:     by_value
      - .offset:         88
        .size:           4
        .value_kind:     by_value
      - .offset:         96
        .size:           8
        .value_kind:     by_value
      - .address_space:  global
        .offset:         104
        .size:           8
        .value_kind:     global_buffer
      - .offset:         112
        .size:           8
        .value_kind:     by_value
      - .offset:         120
        .size:           4
        .value_kind:     by_value
      - .offset:         128
        .size:           8
        .value_kind:     by_value
      - .offset:         136
        .size:           4
        .value_kind:     by_value
      - .offset:         144
        .size:           4
        .value_kind:     hidden_block_count_x
      - .offset:         148
        .size:           4
        .value_kind:     hidden_block_count_y
      - .offset:         152
        .size:           4
        .value_kind:     hidden_block_count_z
      - .offset:         156
        .size:           2
        .value_kind:     hidden_group_size_x
      - .offset:         158
        .size:           2
        .value_kind:     hidden_group_size_y
      - .offset:         160
        .size:           2
        .value_kind:     hidden_group_size_z
      - .offset:         162
        .size:           2
        .value_kind:     hidden_remainder_x
      - .offset:         164
        .size:           2
        .value_kind:     hidden_remainder_y
      - .offset:         166
        .size:           2
        .value_kind:     hidden_remainder_z
      - .offset:         184
        .size:           8
        .value_kind:     hidden_global_offset_x
      - .offset:         192
        .size:           8
        .value_kind:     hidden_global_offset_y
      - .offset:         200
        .size:           8
        .value_kind:     hidden_global_offset_z
      - .offset:         208
        .size:           2
        .value_kind:     hidden_grid_dims
    .group_segment_fixed_size: 3072
    .kernarg_segment_align: 8
    .kernarg_segment_size: 400
    .language:       OpenCL C
    .language_version:
      - 2
      - 0
    .max_flat_workgroup_size: 768
    .name:           _ZL34rocblas_gemvn_sm_mn_batched_kernelILi32ELi24EPKffKPfEviiT2_lPKT1_lilS7_lilS4_lPT3_lili
    .private_segment_fixed_size: 0
    .sgpr_count:     76
    .sgpr_spill_count: 0
    .symbol:         _ZL34rocblas_gemvn_sm_mn_batched_kernelILi32ELi24EPKffKPfEviiT2_lPKT1_lilS7_lilS4_lPT3_lili.kd
    .uniform_work_group_size: 1
    .uses_dynamic_stack: false
    .vgpr_count:     42
    .vgpr_spill_count: 0
    .wavefront_size: 64
  - .agpr_count:     0
    .args:
      - .offset:         0
        .size:           4
        .value_kind:     by_value
      - .offset:         4
        .size:           4
        .value_kind:     by_value
      - .address_space:  global
        .offset:         8
        .size:           8
        .value_kind:     global_buffer
      - .offset:         16
        .size:           8
        .value_kind:     by_value
      - .address_space:  global
        .offset:         24
        .size:           8
        .value_kind:     global_buffer
      - .offset:         32
        .size:           8
        .value_kind:     by_value
      - .offset:         40
        .size:           4
        .value_kind:     by_value
      - .offset:         48
        .size:           8
        .value_kind:     by_value
      - .address_space:  global
        .offset:         56
        .size:           8
        .value_kind:     global_buffer
      - .offset:         64
        .size:           8
        .value_kind:     by_value
      - .offset:         72
        .size:           4
        .value_kind:     by_value
      - .offset:         80
        .size:           8
        .value_kind:     by_value
      - .address_space:  global
        .offset:         88
        .size:           8
        .value_kind:     global_buffer
      - .offset:         96
        .size:           8
        .value_kind:     by_value
      - .address_space:  global
        .offset:         104
        .size:           8
        .value_kind:     global_buffer
      - .offset:         112
        .size:           8
        .value_kind:     by_value
      - .offset:         120
        .size:           4
        .value_kind:     by_value
      - .offset:         128
        .size:           8
        .value_kind:     by_value
      - .offset:         136
        .size:           4
        .value_kind:     by_value
      - .offset:         144
        .size:           4
        .value_kind:     hidden_block_count_x
      - .offset:         148
        .size:           4
        .value_kind:     hidden_block_count_y
      - .offset:         152
        .size:           4
        .value_kind:     hidden_block_count_z
      - .offset:         156
        .size:           2
        .value_kind:     hidden_group_size_x
      - .offset:         158
        .size:           2
        .value_kind:     hidden_group_size_y
      - .offset:         160
        .size:           2
        .value_kind:     hidden_group_size_z
      - .offset:         162
        .size:           2
        .value_kind:     hidden_remainder_x
      - .offset:         164
        .size:           2
        .value_kind:     hidden_remainder_y
      - .offset:         166
        .size:           2
        .value_kind:     hidden_remainder_z
      - .offset:         184
        .size:           8
        .value_kind:     hidden_global_offset_x
      - .offset:         192
        .size:           8
        .value_kind:     hidden_global_offset_y
      - .offset:         200
        .size:           8
        .value_kind:     hidden_global_offset_z
      - .offset:         208
        .size:           2
        .value_kind:     hidden_grid_dims
    .group_segment_fixed_size: 4096
    .kernarg_segment_align: 8
    .kernarg_segment_size: 400
    .language:       OpenCL C
    .language_version:
      - 2
      - 0
    .max_flat_workgroup_size: 256
    .name:           _ZL20rocblas_gemvn_kernelILi64ELi4EiPKfS1_KPfEviiT3_lPKT2_lT1_lS7_lS8_lS4_lPT4_lS8_li
    .private_segment_fixed_size: 0
    .sgpr_count:     45
    .sgpr_spill_count: 0
    .symbol:         _ZL20rocblas_gemvn_kernelILi64ELi4EiPKfS1_KPfEviiT3_lPKT2_lT1_lS7_lS8_lS4_lPT4_lS8_li.kd
    .uniform_work_group_size: 1
    .uses_dynamic_stack: false
    .vgpr_count:     45
    .vgpr_spill_count: 0
    .wavefront_size: 64
  - .agpr_count:     0
    .args:
      - .offset:         0
        .size:           4
        .value_kind:     by_value
      - .offset:         4
        .size:           4
        .value_kind:     by_value
      - .address_space:  global
        .offset:         8
        .size:           8
        .value_kind:     global_buffer
      - .offset:         16
        .size:           8
        .value_kind:     by_value
      - .address_space:  global
        .offset:         24
        .size:           8
        .value_kind:     global_buffer
      - .offset:         32
        .size:           8
        .value_kind:     by_value
      - .offset:         40
        .size:           8
        .value_kind:     by_value
      - .offset:         48
        .size:           8
        .value_kind:     by_value
      - .address_space:  global
        .offset:         56
        .size:           8
        .value_kind:     global_buffer
      - .offset:         64
        .size:           8
        .value_kind:     by_value
      - .offset:         72
        .size:           8
        .value_kind:     by_value
      - .offset:         80
        .size:           8
        .value_kind:     by_value
      - .address_space:  global
        .offset:         88
        .size:           8
        .value_kind:     global_buffer
      - .offset:         96
        .size:           8
        .value_kind:     by_value
      - .address_space:  global
        .offset:         104
        .size:           8
        .value_kind:     global_buffer
      - .offset:         112
        .size:           8
        .value_kind:     by_value
      - .offset:         120
        .size:           8
        .value_kind:     by_value
      - .offset:         128
        .size:           8
        .value_kind:     by_value
      - .offset:         136
        .size:           4
        .value_kind:     by_value
      - .offset:         144
        .size:           4
        .value_kind:     hidden_block_count_x
      - .offset:         148
        .size:           4
        .value_kind:     hidden_block_count_y
      - .offset:         152
        .size:           4
        .value_kind:     hidden_block_count_z
      - .offset:         156
        .size:           2
        .value_kind:     hidden_group_size_x
      - .offset:         158
        .size:           2
        .value_kind:     hidden_group_size_y
      - .offset:         160
        .size:           2
        .value_kind:     hidden_group_size_z
      - .offset:         162
        .size:           2
        .value_kind:     hidden_remainder_x
      - .offset:         164
        .size:           2
        .value_kind:     hidden_remainder_y
      - .offset:         166
        .size:           2
        .value_kind:     hidden_remainder_z
      - .offset:         184
        .size:           8
        .value_kind:     hidden_global_offset_x
      - .offset:         192
        .size:           8
        .value_kind:     hidden_global_offset_y
      - .offset:         200
        .size:           8
        .value_kind:     hidden_global_offset_z
      - .offset:         208
        .size:           2
        .value_kind:     hidden_grid_dims
    .group_segment_fixed_size: 4096
    .kernarg_segment_align: 8
    .kernarg_segment_size: 400
    .language:       OpenCL C
    .language_version:
      - 2
      - 0
    .max_flat_workgroup_size: 256
    .name:           _ZL20rocblas_gemvn_kernelILi64ELi4ElPKfS1_KPfEviiT3_lPKT2_lT1_lS7_lS8_lS4_lPT4_lS8_li
    .private_segment_fixed_size: 0
    .sgpr_count:     51
    .sgpr_spill_count: 0
    .symbol:         _ZL20rocblas_gemvn_kernelILi64ELi4ElPKfS1_KPfEviiT3_lPKT2_lT1_lS7_lS8_lS4_lPT4_lS8_li.kd
    .uniform_work_group_size: 1
    .uses_dynamic_stack: false
    .vgpr_count:     55
    .vgpr_spill_count: 0
    .wavefront_size: 64
  - .agpr_count:     0
    .args:
      - .offset:         0
        .size:           4
        .value_kind:     by_value
      - .offset:         4
        .size:           4
        .value_kind:     by_value
      - .offset:         8
        .size:           4
        .value_kind:     by_value
      - .offset:         16
        .size:           8
        .value_kind:     by_value
      - .address_space:  global
        .offset:         24
        .size:           8
        .value_kind:     global_buffer
      - .offset:         32
        .size:           8
        .value_kind:     by_value
      - .offset:         40
        .size:           4
        .value_kind:     by_value
      - .offset:         48
        .size:           8
        .value_kind:     by_value
      - .address_space:  global
        .offset:         56
        .size:           8
        .value_kind:     global_buffer
      - .offset:         64
        .size:           8
        .value_kind:     by_value
      - .offset:         72
        .size:           4
        .value_kind:     by_value
      - .offset:         80
        .size:           8
        .value_kind:     by_value
      - .offset:         88
        .size:           4
        .value_kind:     by_value
      - .offset:         96
        .size:           8
        .value_kind:     by_value
      - .address_space:  global
        .offset:         104
        .size:           8
        .value_kind:     global_buffer
      - .offset:         112
        .size:           8
        .value_kind:     by_value
      - .offset:         120
        .size:           4
        .value_kind:     by_value
      - .offset:         128
        .size:           8
        .value_kind:     by_value
      - .offset:         136
        .size:           4
        .value_kind:     by_value
      - .offset:         144
        .size:           4
        .value_kind:     hidden_block_count_x
      - .offset:         148
        .size:           4
        .value_kind:     hidden_block_count_y
      - .offset:         152
        .size:           4
        .value_kind:     hidden_block_count_z
      - .offset:         156
        .size:           2
        .value_kind:     hidden_group_size_x
      - .offset:         158
        .size:           2
        .value_kind:     hidden_group_size_y
      - .offset:         160
        .size:           2
        .value_kind:     hidden_group_size_z
      - .offset:         162
        .size:           2
        .value_kind:     hidden_remainder_x
      - .offset:         164
        .size:           2
        .value_kind:     hidden_remainder_y
      - .offset:         166
        .size:           2
        .value_kind:     hidden_remainder_z
      - .offset:         184
        .size:           8
        .value_kind:     hidden_global_offset_x
      - .offset:         192
        .size:           8
        .value_kind:     hidden_global_offset_y
      - .offset:         200
        .size:           8
        .value_kind:     hidden_global_offset_z
      - .offset:         208
        .size:           2
        .value_kind:     hidden_grid_dims
    .group_segment_fixed_size: 4096
    .kernarg_segment_align: 8
    .kernarg_segment_size: 400
    .language:       OpenCL C
    .language_version:
      - 2
      - 0
    .max_flat_workgroup_size: 256
    .name:           _ZL20rocblas_gemvn_kernelILi64ELi4EiPKffKPfEviiT3_lPKT2_lT1_lS7_lS8_lS4_lPT4_lS8_li
    .private_segment_fixed_size: 0
    .sgpr_count:     45
    .sgpr_spill_count: 0
    .symbol:         _ZL20rocblas_gemvn_kernelILi64ELi4EiPKffKPfEviiT3_lPKT2_lT1_lS7_lS8_lS4_lPT4_lS8_li.kd
    .uniform_work_group_size: 1
    .uses_dynamic_stack: false
    .vgpr_count:     45
    .vgpr_spill_count: 0
    .wavefront_size: 64
  - .agpr_count:     0
    .args:
      - .offset:         0
        .size:           4
        .value_kind:     by_value
      - .offset:         4
        .size:           4
        .value_kind:     by_value
      - .offset:         8
        .size:           4
        .value_kind:     by_value
      - .offset:         16
        .size:           8
        .value_kind:     by_value
      - .address_space:  global
        .offset:         24
        .size:           8
        .value_kind:     global_buffer
      - .offset:         32
        .size:           8
        .value_kind:     by_value
      - .offset:         40
        .size:           8
        .value_kind:     by_value
      - .offset:         48
        .size:           8
        .value_kind:     by_value
      - .address_space:  global
        .offset:         56
        .size:           8
        .value_kind:     global_buffer
      - .offset:         64
        .size:           8
        .value_kind:     by_value
      - .offset:         72
        .size:           8
        .value_kind:     by_value
      - .offset:         80
        .size:           8
        .value_kind:     by_value
      - .offset:         88
        .size:           4
        .value_kind:     by_value
      - .offset:         96
        .size:           8
        .value_kind:     by_value
      - .address_space:  global
        .offset:         104
        .size:           8
        .value_kind:     global_buffer
      - .offset:         112
        .size:           8
        .value_kind:     by_value
      - .offset:         120
        .size:           8
        .value_kind:     by_value
      - .offset:         128
        .size:           8
        .value_kind:     by_value
      - .offset:         136
        .size:           4
        .value_kind:     by_value
      - .offset:         144
        .size:           4
        .value_kind:     hidden_block_count_x
      - .offset:         148
        .size:           4
        .value_kind:     hidden_block_count_y
      - .offset:         152
        .size:           4
        .value_kind:     hidden_block_count_z
      - .offset:         156
        .size:           2
        .value_kind:     hidden_group_size_x
      - .offset:         158
        .size:           2
        .value_kind:     hidden_group_size_y
      - .offset:         160
        .size:           2
        .value_kind:     hidden_group_size_z
      - .offset:         162
        .size:           2
        .value_kind:     hidden_remainder_x
      - .offset:         164
        .size:           2
        .value_kind:     hidden_remainder_y
      - .offset:         166
        .size:           2
        .value_kind:     hidden_remainder_z
      - .offset:         184
        .size:           8
        .value_kind:     hidden_global_offset_x
      - .offset:         192
        .size:           8
        .value_kind:     hidden_global_offset_y
      - .offset:         200
        .size:           8
        .value_kind:     hidden_global_offset_z
      - .offset:         208
        .size:           2
        .value_kind:     hidden_grid_dims
    .group_segment_fixed_size: 4096
    .kernarg_segment_align: 8
    .kernarg_segment_size: 400
    .language:       OpenCL C
    .language_version:
      - 2
      - 0
    .max_flat_workgroup_size: 256
    .name:           _ZL20rocblas_gemvn_kernelILi64ELi4ElPKffKPfEviiT3_lPKT2_lT1_lS7_lS8_lS4_lPT4_lS8_li
    .private_segment_fixed_size: 0
    .sgpr_count:     51
    .sgpr_spill_count: 0
    .symbol:         _ZL20rocblas_gemvn_kernelILi64ELi4ElPKffKPfEviiT3_lPKT2_lT1_lS7_lS8_lS4_lPT4_lS8_li.kd
    .uniform_work_group_size: 1
    .uses_dynamic_stack: false
    .vgpr_count:     55
    .vgpr_spill_count: 0
    .wavefront_size: 64
  - .agpr_count:     0
    .args:
      - .offset:         0
        .size:           4
        .value_kind:     by_value
      - .address_space:  global
        .offset:         8
        .size:           8
        .value_kind:     global_buffer
      - .offset:         16
        .size:           8
        .value_kind:     by_value
      - .address_space:  global
        .offset:         24
        .size:           8
        .value_kind:     global_buffer
      - .offset:         32
        .size:           8
        .value_kind:     by_value
      - .offset:         40
        .size:           4
        .value_kind:     by_value
      - .offset:         48
        .size:           8
        .value_kind:     by_value
      - .offset:         56
        .size:           4
        .value_kind:     by_value
      - .offset:         64
        .size:           4
        .value_kind:     hidden_block_count_x
      - .offset:         68
        .size:           4
        .value_kind:     hidden_block_count_y
      - .offset:         72
        .size:           4
        .value_kind:     hidden_block_count_z
      - .offset:         76
        .size:           2
        .value_kind:     hidden_group_size_x
      - .offset:         78
        .size:           2
        .value_kind:     hidden_group_size_y
      - .offset:         80
        .size:           2
        .value_kind:     hidden_group_size_z
      - .offset:         82
        .size:           2
        .value_kind:     hidden_remainder_x
      - .offset:         84
        .size:           2
        .value_kind:     hidden_remainder_y
      - .offset:         86
        .size:           2
        .value_kind:     hidden_remainder_z
      - .offset:         104
        .size:           8
        .value_kind:     hidden_global_offset_x
      - .offset:         112
        .size:           8
        .value_kind:     hidden_global_offset_y
      - .offset:         120
        .size:           8
        .value_kind:     hidden_global_offset_z
      - .offset:         128
        .size:           2
        .value_kind:     hidden_grid_dims
    .group_segment_fixed_size: 0
    .kernarg_segment_align: 8
    .kernarg_segment_size: 320
    .language:       OpenCL C
    .language_version:
      - 2
      - 0
    .max_flat_workgroup_size: 256
    .name:           _ZL24rocblas_gemv_scal_kernelILi256EPKfPKPfEviT0_lT1_lili
    .private_segment_fixed_size: 0
    .sgpr_count:     20
    .sgpr_spill_count: 0
    .symbol:         _ZL24rocblas_gemv_scal_kernelILi256EPKfPKPfEviT0_lT1_lili.kd
    .uniform_work_group_size: 1
    .uses_dynamic_stack: false
    .vgpr_count:     6
    .vgpr_spill_count: 0
    .wavefront_size: 64
  - .agpr_count:     0
    .args:
      - .offset:         0
        .size:           4
        .value_kind:     by_value
      - .offset:         4
        .size:           4
        .value_kind:     by_value
      - .offset:         8
        .size:           8
        .value_kind:     by_value
      - .address_space:  global
        .offset:         16
        .size:           8
        .value_kind:     global_buffer
      - .offset:         24
        .size:           8
        .value_kind:     by_value
      - .offset:         32
        .size:           4
        .value_kind:     by_value
      - .offset:         40
        .size:           8
        .value_kind:     by_value
      - .offset:         48
        .size:           4
        .value_kind:     by_value
      - .offset:         56
        .size:           4
        .value_kind:     hidden_block_count_x
      - .offset:         60
        .size:           4
        .value_kind:     hidden_block_count_y
      - .offset:         64
        .size:           4
        .value_kind:     hidden_block_count_z
      - .offset:         68
        .size:           2
        .value_kind:     hidden_group_size_x
      - .offset:         70
        .size:           2
        .value_kind:     hidden_group_size_y
      - .offset:         72
        .size:           2
        .value_kind:     hidden_group_size_z
      - .offset:         74
        .size:           2
        .value_kind:     hidden_remainder_x
      - .offset:         76
        .size:           2
        .value_kind:     hidden_remainder_y
      - .offset:         78
        .size:           2
        .value_kind:     hidden_remainder_z
      - .offset:         96
        .size:           8
        .value_kind:     hidden_global_offset_x
      - .offset:         104
        .size:           8
        .value_kind:     hidden_global_offset_y
      - .offset:         112
        .size:           8
        .value_kind:     hidden_global_offset_z
      - .offset:         120
        .size:           2
        .value_kind:     hidden_grid_dims
    .group_segment_fixed_size: 0
    .kernarg_segment_align: 8
    .kernarg_segment_size: 312
    .language:       OpenCL C
    .language_version:
      - 2
      - 0
    .max_flat_workgroup_size: 256
    .name:           _ZL24rocblas_gemv_scal_kernelILi256EfPKPfEviT0_lT1_lili
    .private_segment_fixed_size: 0
    .sgpr_count:     18
    .sgpr_spill_count: 0
    .symbol:         _ZL24rocblas_gemv_scal_kernelILi256EfPKPfEviT0_lT1_lili.kd
    .uniform_work_group_size: 1
    .uses_dynamic_stack: false
    .vgpr_count:     6
    .vgpr_spill_count: 0
    .wavefront_size: 64
  - .agpr_count:     0
    .args:
      - .offset:         0
        .size:           4
        .value_kind:     by_value
      - .offset:         4
        .size:           4
        .value_kind:     by_value
      - .address_space:  global
        .offset:         8
        .size:           8
        .value_kind:     global_buffer
      - .offset:         16
        .size:           8
        .value_kind:     by_value
      - .address_space:  global
        .offset:         24
        .size:           8
        .value_kind:     global_buffer
      - .offset:         32
        .size:           8
        .value_kind:     by_value
      - .offset:         40
        .size:           4
        .value_kind:     by_value
      - .offset:         48
        .size:           8
        .value_kind:     by_value
      - .address_space:  global
        .offset:         56
        .size:           8
        .value_kind:     global_buffer
      - .offset:         64
        .size:           8
        .value_kind:     by_value
      - .offset:         72
        .size:           4
        .value_kind:     by_value
      - .offset:         80
        .size:           8
        .value_kind:     by_value
      - .address_space:  global
        .offset:         88
        .size:           8
        .value_kind:     global_buffer
      - .offset:         96
        .size:           8
        .value_kind:     by_value
      - .offset:         104
        .size:           4
        .value_kind:     by_value
      - .offset:         112
        .size:           8
        .value_kind:     by_value
      - .offset:         120
        .size:           4
        .value_kind:     by_value
      - .offset:         128
        .size:           4
        .value_kind:     hidden_block_count_x
      - .offset:         132
        .size:           4
        .value_kind:     hidden_block_count_y
      - .offset:         136
        .size:           4
        .value_kind:     hidden_block_count_z
      - .offset:         140
        .size:           2
        .value_kind:     hidden_group_size_x
      - .offset:         142
        .size:           2
        .value_kind:     hidden_group_size_y
      - .offset:         144
        .size:           2
        .value_kind:     hidden_group_size_z
      - .offset:         146
        .size:           2
        .value_kind:     hidden_remainder_x
      - .offset:         148
        .size:           2
        .value_kind:     hidden_remainder_y
      - .offset:         150
        .size:           2
        .value_kind:     hidden_remainder_z
      - .offset:         168
        .size:           8
        .value_kind:     hidden_global_offset_x
      - .offset:         176
        .size:           8
        .value_kind:     hidden_global_offset_y
      - .offset:         184
        .size:           8
        .value_kind:     hidden_global_offset_z
      - .offset:         192
        .size:           2
        .value_kind:     hidden_grid_dims
    .group_segment_fixed_size: 8192
    .kernarg_segment_align: 8
    .kernarg_segment_size: 384
    .language:       OpenCL C
    .language_version:
      - 2
      - 0
    .max_flat_workgroup_size: 1024
    .name:           _ZL36rocblas_gemvn_double_buffered_kernelILi128ELi8ELi8EPKfS1_KPfEviiT3_lPKT2_lilS7_lilPT4_lili
    .private_segment_fixed_size: 0
    .sgpr_count:     42
    .sgpr_spill_count: 0
    .symbol:         _ZL36rocblas_gemvn_double_buffered_kernelILi128ELi8ELi8EPKfS1_KPfEviiT3_lPKT2_lilS7_lilPT4_lili.kd
    .uniform_work_group_size: 1
    .uses_dynamic_stack: false
    .vgpr_count:     68
    .vgpr_spill_count: 0
    .wavefront_size: 64
  - .agpr_count:     0
    .args:
      - .offset:         0
        .size:           4
        .value_kind:     by_value
      - .offset:         4
        .size:           4
        .value_kind:     by_value
      - .offset:         8
        .size:           4
        .value_kind:     by_value
      - .offset:         16
        .size:           8
        .value_kind:     by_value
      - .address_space:  global
        .offset:         24
        .size:           8
        .value_kind:     global_buffer
      - .offset:         32
        .size:           8
        .value_kind:     by_value
      - .offset:         40
        .size:           4
        .value_kind:     by_value
      - .offset:         48
        .size:           8
        .value_kind:     by_value
      - .address_space:  global
        .offset:         56
        .size:           8
        .value_kind:     global_buffer
      - .offset:         64
        .size:           8
        .value_kind:     by_value
      - .offset:         72
        .size:           4
        .value_kind:     by_value
      - .offset:         80
        .size:           8
        .value_kind:     by_value
      - .address_space:  global
        .offset:         88
        .size:           8
        .value_kind:     global_buffer
      - .offset:         96
        .size:           8
        .value_kind:     by_value
      - .offset:         104
        .size:           4
        .value_kind:     by_value
      - .offset:         112
        .size:           8
        .value_kind:     by_value
      - .offset:         120
        .size:           4
        .value_kind:     by_value
      - .offset:         128
        .size:           4
        .value_kind:     hidden_block_count_x
      - .offset:         132
        .size:           4
        .value_kind:     hidden_block_count_y
      - .offset:         136
        .size:           4
        .value_kind:     hidden_block_count_z
      - .offset:         140
        .size:           2
        .value_kind:     hidden_group_size_x
      - .offset:         142
        .size:           2
        .value_kind:     hidden_group_size_y
      - .offset:         144
        .size:           2
        .value_kind:     hidden_group_size_z
      - .offset:         146
        .size:           2
        .value_kind:     hidden_remainder_x
      - .offset:         148
        .size:           2
        .value_kind:     hidden_remainder_y
      - .offset:         150
        .size:           2
        .value_kind:     hidden_remainder_z
      - .offset:         168
        .size:           8
        .value_kind:     hidden_global_offset_x
      - .offset:         176
        .size:           8
        .value_kind:     hidden_global_offset_y
      - .offset:         184
        .size:           8
        .value_kind:     hidden_global_offset_z
      - .offset:         192
        .size:           2
        .value_kind:     hidden_grid_dims
    .group_segment_fixed_size: 8192
    .kernarg_segment_align: 8
    .kernarg_segment_size: 384
    .language:       OpenCL C
    .language_version:
      - 2
      - 0
    .max_flat_workgroup_size: 1024
    .name:           _ZL36rocblas_gemvn_double_buffered_kernelILi128ELi8ELi8EPKffKPfEviiT3_lPKT2_lilS7_lilPT4_lili
    .private_segment_fixed_size: 0
    .sgpr_count:     42
    .sgpr_spill_count: 0
    .symbol:         _ZL36rocblas_gemvn_double_buffered_kernelILi128ELi8ELi8EPKffKPfEviiT3_lPKT2_lilS7_lilPT4_lili.kd
    .uniform_work_group_size: 1
    .uses_dynamic_stack: false
    .vgpr_count:     68
    .vgpr_spill_count: 0
    .wavefront_size: 64
  - .agpr_count:     0
    .args:
      - .offset:         0
        .size:           4
        .value_kind:     by_value
      - .offset:         4
        .size:           4
        .value_kind:     by_value
      - .address_space:  global
        .offset:         8
        .size:           8
        .value_kind:     global_buffer
      - .offset:         16
        .size:           8
        .value_kind:     by_value
      - .address_space:  global
        .offset:         24
        .size:           8
        .value_kind:     global_buffer
      - .offset:         32
        .size:           8
        .value_kind:     by_value
      - .offset:         40
        .size:           4
        .value_kind:     by_value
      - .offset:         48
        .size:           8
        .value_kind:     by_value
      - .address_space:  global
        .offset:         56
        .size:           8
        .value_kind:     global_buffer
      - .offset:         64
        .size:           8
        .value_kind:     by_value
      - .offset:         72
        .size:           4
        .value_kind:     by_value
      - .offset:         80
        .size:           8
        .value_kind:     by_value
      - .address_space:  global
        .offset:         88
        .size:           8
        .value_kind:     global_buffer
      - .offset:         96
        .size:           8
        .value_kind:     by_value
      - .address_space:  global
        .offset:         104
        .size:           8
        .value_kind:     global_buffer
      - .offset:         112
        .size:           8
        .value_kind:     by_value
      - .offset:         120
        .size:           4
        .value_kind:     by_value
      - .offset:         128
        .size:           8
        .value_kind:     by_value
      - .offset:         136
        .size:           4
        .value_kind:     by_value
      - .offset:         144
        .size:           4
        .value_kind:     hidden_block_count_x
      - .offset:         148
        .size:           4
        .value_kind:     hidden_block_count_y
      - .offset:         152
        .size:           4
        .value_kind:     hidden_block_count_z
      - .offset:         156
        .size:           2
        .value_kind:     hidden_group_size_x
      - .offset:         158
        .size:           2
        .value_kind:     hidden_group_size_y
      - .offset:         160
        .size:           2
        .value_kind:     hidden_group_size_z
      - .offset:         162
        .size:           2
        .value_kind:     hidden_remainder_x
      - .offset:         164
        .size:           2
        .value_kind:     hidden_remainder_y
      - .offset:         166
        .size:           2
        .value_kind:     hidden_remainder_z
      - .offset:         184
        .size:           8
        .value_kind:     hidden_global_offset_x
      - .offset:         192
        .size:           8
        .value_kind:     hidden_global_offset_y
      - .offset:         200
        .size:           8
        .value_kind:     hidden_global_offset_z
      - .offset:         208
        .size:           2
        .value_kind:     hidden_grid_dims
    .group_segment_fixed_size: 8192
    .kernarg_segment_align: 8
    .kernarg_segment_size: 400
    .language:       OpenCL C
    .language_version:
      - 2
      - 0
    .max_flat_workgroup_size: 512
    .name:           _ZL20rocblas_gemvn_kernelILi32ELi16EiPKfS1_KPfEviiT3_lPKT2_lT1_lS7_lS8_lS4_lPT4_lS8_li
    .private_segment_fixed_size: 0
    .sgpr_count:     45
    .sgpr_spill_count: 0
    .symbol:         _ZL20rocblas_gemvn_kernelILi32ELi16EiPKfS1_KPfEviiT3_lPKT2_lT1_lS7_lS8_lS4_lPT4_lS8_li.kd
    .uniform_work_group_size: 1
    .uses_dynamic_stack: false
    .vgpr_count:     45
    .vgpr_spill_count: 0
    .wavefront_size: 64
  - .agpr_count:     0
    .args:
      - .offset:         0
        .size:           4
        .value_kind:     by_value
      - .offset:         4
        .size:           4
        .value_kind:     by_value
      - .address_space:  global
        .offset:         8
        .size:           8
        .value_kind:     global_buffer
      - .offset:         16
        .size:           8
        .value_kind:     by_value
      - .address_space:  global
        .offset:         24
        .size:           8
        .value_kind:     global_buffer
      - .offset:         32
        .size:           8
        .value_kind:     by_value
      - .offset:         40
        .size:           8
        .value_kind:     by_value
      - .offset:         48
        .size:           8
        .value_kind:     by_value
      - .address_space:  global
        .offset:         56
        .size:           8
        .value_kind:     global_buffer
      - .offset:         64
        .size:           8
        .value_kind:     by_value
      - .offset:         72
        .size:           8
        .value_kind:     by_value
      - .offset:         80
        .size:           8
        .value_kind:     by_value
      - .address_space:  global
        .offset:         88
        .size:           8
        .value_kind:     global_buffer
      - .offset:         96
        .size:           8
        .value_kind:     by_value
      - .address_space:  global
        .offset:         104
        .size:           8
        .value_kind:     global_buffer
      - .offset:         112
        .size:           8
        .value_kind:     by_value
      - .offset:         120
        .size:           8
        .value_kind:     by_value
      - .offset:         128
        .size:           8
        .value_kind:     by_value
      - .offset:         136
        .size:           4
        .value_kind:     by_value
      - .offset:         144
        .size:           4
        .value_kind:     hidden_block_count_x
      - .offset:         148
        .size:           4
        .value_kind:     hidden_block_count_y
      - .offset:         152
        .size:           4
        .value_kind:     hidden_block_count_z
      - .offset:         156
        .size:           2
        .value_kind:     hidden_group_size_x
      - .offset:         158
        .size:           2
        .value_kind:     hidden_group_size_y
      - .offset:         160
        .size:           2
        .value_kind:     hidden_group_size_z
      - .offset:         162
        .size:           2
        .value_kind:     hidden_remainder_x
      - .offset:         164
        .size:           2
        .value_kind:     hidden_remainder_y
      - .offset:         166
        .size:           2
        .value_kind:     hidden_remainder_z
      - .offset:         184
        .size:           8
        .value_kind:     hidden_global_offset_x
      - .offset:         192
        .size:           8
        .value_kind:     hidden_global_offset_y
      - .offset:         200
        .size:           8
        .value_kind:     hidden_global_offset_z
      - .offset:         208
        .size:           2
        .value_kind:     hidden_grid_dims
    .group_segment_fixed_size: 8192
    .kernarg_segment_align: 8
    .kernarg_segment_size: 400
    .language:       OpenCL C
    .language_version:
      - 2
      - 0
    .max_flat_workgroup_size: 512
    .name:           _ZL20rocblas_gemvn_kernelILi32ELi16ElPKfS1_KPfEviiT3_lPKT2_lT1_lS7_lS8_lS4_lPT4_lS8_li
    .private_segment_fixed_size: 0
    .sgpr_count:     51
    .sgpr_spill_count: 0
    .symbol:         _ZL20rocblas_gemvn_kernelILi32ELi16ElPKfS1_KPfEviiT3_lPKT2_lT1_lS7_lS8_lS4_lPT4_lS8_li.kd
    .uniform_work_group_size: 1
    .uses_dynamic_stack: false
    .vgpr_count:     55
    .vgpr_spill_count: 0
    .wavefront_size: 64
  - .agpr_count:     0
    .args:
      - .offset:         0
        .size:           4
        .value_kind:     by_value
      - .offset:         4
        .size:           4
        .value_kind:     by_value
      - .offset:         8
        .size:           4
        .value_kind:     by_value
      - .offset:         16
        .size:           8
        .value_kind:     by_value
      - .address_space:  global
        .offset:         24
        .size:           8
        .value_kind:     global_buffer
      - .offset:         32
        .size:           8
        .value_kind:     by_value
      - .offset:         40
        .size:           4
        .value_kind:     by_value
      - .offset:         48
        .size:           8
        .value_kind:     by_value
      - .address_space:  global
        .offset:         56
        .size:           8
        .value_kind:     global_buffer
      - .offset:         64
        .size:           8
        .value_kind:     by_value
      - .offset:         72
        .size:           4
        .value_kind:     by_value
      - .offset:         80
        .size:           8
        .value_kind:     by_value
      - .offset:         88
        .size:           4
        .value_kind:     by_value
      - .offset:         96
        .size:           8
        .value_kind:     by_value
      - .address_space:  global
        .offset:         104
        .size:           8
        .value_kind:     global_buffer
      - .offset:         112
        .size:           8
        .value_kind:     by_value
      - .offset:         120
        .size:           4
        .value_kind:     by_value
      - .offset:         128
        .size:           8
        .value_kind:     by_value
      - .offset:         136
        .size:           4
        .value_kind:     by_value
      - .offset:         144
        .size:           4
        .value_kind:     hidden_block_count_x
      - .offset:         148
        .size:           4
        .value_kind:     hidden_block_count_y
      - .offset:         152
        .size:           4
        .value_kind:     hidden_block_count_z
      - .offset:         156
        .size:           2
        .value_kind:     hidden_group_size_x
      - .offset:         158
        .size:           2
        .value_kind:     hidden_group_size_y
      - .offset:         160
        .size:           2
        .value_kind:     hidden_group_size_z
      - .offset:         162
        .size:           2
        .value_kind:     hidden_remainder_x
      - .offset:         164
        .size:           2
        .value_kind:     hidden_remainder_y
      - .offset:         166
        .size:           2
        .value_kind:     hidden_remainder_z
      - .offset:         184
        .size:           8
        .value_kind:     hidden_global_offset_x
      - .offset:         192
        .size:           8
        .value_kind:     hidden_global_offset_y
      - .offset:         200
        .size:           8
        .value_kind:     hidden_global_offset_z
      - .offset:         208
        .size:           2
        .value_kind:     hidden_grid_dims
    .group_segment_fixed_size: 8192
    .kernarg_segment_align: 8
    .kernarg_segment_size: 400
    .language:       OpenCL C
    .language_version:
      - 2
      - 0
    .max_flat_workgroup_size: 512
    .name:           _ZL20rocblas_gemvn_kernelILi32ELi16EiPKffKPfEviiT3_lPKT2_lT1_lS7_lS8_lS4_lPT4_lS8_li
    .private_segment_fixed_size: 0
    .sgpr_count:     45
    .sgpr_spill_count: 0
    .symbol:         _ZL20rocblas_gemvn_kernelILi32ELi16EiPKffKPfEviiT3_lPKT2_lT1_lS7_lS8_lS4_lPT4_lS8_li.kd
    .uniform_work_group_size: 1
    .uses_dynamic_stack: false
    .vgpr_count:     45
    .vgpr_spill_count: 0
    .wavefront_size: 64
  - .agpr_count:     0
    .args:
      - .offset:         0
        .size:           4
        .value_kind:     by_value
      - .offset:         4
        .size:           4
        .value_kind:     by_value
      - .offset:         8
        .size:           4
        .value_kind:     by_value
      - .offset:         16
        .size:           8
        .value_kind:     by_value
      - .address_space:  global
        .offset:         24
        .size:           8
        .value_kind:     global_buffer
      - .offset:         32
        .size:           8
        .value_kind:     by_value
      - .offset:         40
        .size:           8
        .value_kind:     by_value
      - .offset:         48
        .size:           8
        .value_kind:     by_value
      - .address_space:  global
        .offset:         56
        .size:           8
        .value_kind:     global_buffer
      - .offset:         64
        .size:           8
        .value_kind:     by_value
      - .offset:         72
        .size:           8
        .value_kind:     by_value
      - .offset:         80
        .size:           8
        .value_kind:     by_value
      - .offset:         88
        .size:           4
        .value_kind:     by_value
      - .offset:         96
        .size:           8
        .value_kind:     by_value
      - .address_space:  global
        .offset:         104
        .size:           8
        .value_kind:     global_buffer
      - .offset:         112
        .size:           8
        .value_kind:     by_value
      - .offset:         120
        .size:           8
        .value_kind:     by_value
      - .offset:         128
        .size:           8
        .value_kind:     by_value
      - .offset:         136
        .size:           4
        .value_kind:     by_value
      - .offset:         144
        .size:           4
        .value_kind:     hidden_block_count_x
      - .offset:         148
        .size:           4
        .value_kind:     hidden_block_count_y
      - .offset:         152
        .size:           4
        .value_kind:     hidden_block_count_z
      - .offset:         156
        .size:           2
        .value_kind:     hidden_group_size_x
      - .offset:         158
        .size:           2
        .value_kind:     hidden_group_size_y
      - .offset:         160
        .size:           2
        .value_kind:     hidden_group_size_z
      - .offset:         162
        .size:           2
        .value_kind:     hidden_remainder_x
      - .offset:         164
        .size:           2
        .value_kind:     hidden_remainder_y
      - .offset:         166
        .size:           2
        .value_kind:     hidden_remainder_z
      - .offset:         184
        .size:           8
        .value_kind:     hidden_global_offset_x
      - .offset:         192
        .size:           8
        .value_kind:     hidden_global_offset_y
      - .offset:         200
        .size:           8
        .value_kind:     hidden_global_offset_z
      - .offset:         208
        .size:           2
        .value_kind:     hidden_grid_dims
    .group_segment_fixed_size: 8192
    .kernarg_segment_align: 8
    .kernarg_segment_size: 400
    .language:       OpenCL C
    .language_version:
      - 2
      - 0
    .max_flat_workgroup_size: 512
    .name:           _ZL20rocblas_gemvn_kernelILi32ELi16ElPKffKPfEviiT3_lPKT2_lT1_lS7_lS8_lS4_lPT4_lS8_li
    .private_segment_fixed_size: 0
    .sgpr_count:     51
    .sgpr_spill_count: 0
    .symbol:         _ZL20rocblas_gemvn_kernelILi32ELi16ElPKffKPfEviiT3_lPKT2_lT1_lS7_lS8_lS4_lPT4_lS8_li.kd
    .uniform_work_group_size: 1
    .uses_dynamic_stack: false
    .vgpr_count:     55
    .vgpr_spill_count: 0
    .wavefront_size: 64
  - .agpr_count:     0
    .args:
      - .offset:         0
        .size:           4
        .value_kind:     by_value
      - .offset:         4
        .size:           4
        .value_kind:     by_value
      - .address_space:  global
        .offset:         8
        .size:           8
        .value_kind:     global_buffer
      - .offset:         16
        .size:           8
        .value_kind:     by_value
      - .address_space:  global
        .offset:         24
        .size:           8
        .value_kind:     global_buffer
      - .offset:         32
        .size:           8
        .value_kind:     by_value
      - .offset:         40
        .size:           4
        .value_kind:     by_value
      - .offset:         48
        .size:           8
        .value_kind:     by_value
      - .address_space:  global
        .offset:         56
        .size:           8
        .value_kind:     global_buffer
      - .offset:         64
        .size:           8
        .value_kind:     by_value
      - .offset:         72
        .size:           4
        .value_kind:     by_value
      - .offset:         80
        .size:           8
        .value_kind:     by_value
      - .address_space:  global
        .offset:         88
        .size:           8
        .value_kind:     global_buffer
      - .offset:         96
        .size:           8
        .value_kind:     by_value
      - .address_space:  global
        .offset:         104
        .size:           8
        .value_kind:     global_buffer
      - .offset:         112
        .size:           8
        .value_kind:     by_value
      - .offset:         120
        .size:           4
        .value_kind:     by_value
      - .offset:         128
        .size:           8
        .value_kind:     by_value
      - .offset:         136
        .size:           4
        .value_kind:     by_value
      - .offset:         144
        .size:           4
        .value_kind:     hidden_block_count_x
      - .offset:         148
        .size:           4
        .value_kind:     hidden_block_count_y
      - .offset:         152
        .size:           4
        .value_kind:     hidden_block_count_z
      - .offset:         156
        .size:           2
        .value_kind:     hidden_group_size_x
      - .offset:         158
        .size:           2
        .value_kind:     hidden_group_size_y
      - .offset:         160
        .size:           2
        .value_kind:     hidden_group_size_z
      - .offset:         162
        .size:           2
        .value_kind:     hidden_remainder_x
      - .offset:         164
        .size:           2
        .value_kind:     hidden_remainder_y
      - .offset:         166
        .size:           2
        .value_kind:     hidden_remainder_z
      - .offset:         184
        .size:           8
        .value_kind:     hidden_global_offset_x
      - .offset:         192
        .size:           8
        .value_kind:     hidden_global_offset_y
      - .offset:         200
        .size:           8
        .value_kind:     hidden_global_offset_z
      - .offset:         208
        .size:           2
        .value_kind:     hidden_grid_dims
    .group_segment_fixed_size: 16384
    .kernarg_segment_align: 8
    .kernarg_segment_size: 400
    .language:       OpenCL C
    .language_version:
      - 2
      - 0
    .max_flat_workgroup_size: 1024
    .name:           _ZL20rocblas_gemvn_kernelILi64ELi16EiPKfS1_KPfEviiT3_lPKT2_lT1_lS7_lS8_lS4_lPT4_lS8_li
    .private_segment_fixed_size: 0
    .sgpr_count:     45
    .sgpr_spill_count: 0
    .symbol:         _ZL20rocblas_gemvn_kernelILi64ELi16EiPKfS1_KPfEviiT3_lPKT2_lT1_lS7_lS8_lS4_lPT4_lS8_li.kd
    .uniform_work_group_size: 1
    .uses_dynamic_stack: false
    .vgpr_count:     45
    .vgpr_spill_count: 0
    .wavefront_size: 64
  - .agpr_count:     0
    .args:
      - .offset:         0
        .size:           4
        .value_kind:     by_value
      - .offset:         4
        .size:           4
        .value_kind:     by_value
      - .address_space:  global
        .offset:         8
        .size:           8
        .value_kind:     global_buffer
      - .offset:         16
        .size:           8
        .value_kind:     by_value
      - .address_space:  global
        .offset:         24
        .size:           8
        .value_kind:     global_buffer
      - .offset:         32
        .size:           8
        .value_kind:     by_value
      - .offset:         40
        .size:           8
        .value_kind:     by_value
      - .offset:         48
        .size:           8
        .value_kind:     by_value
      - .address_space:  global
        .offset:         56
        .size:           8
        .value_kind:     global_buffer
      - .offset:         64
        .size:           8
        .value_kind:     by_value
      - .offset:         72
        .size:           8
        .value_kind:     by_value
      - .offset:         80
        .size:           8
        .value_kind:     by_value
      - .address_space:  global
        .offset:         88
        .size:           8
        .value_kind:     global_buffer
      - .offset:         96
        .size:           8
        .value_kind:     by_value
      - .address_space:  global
        .offset:         104
        .size:           8
        .value_kind:     global_buffer
      - .offset:         112
        .size:           8
        .value_kind:     by_value
      - .offset:         120
        .size:           8
        .value_kind:     by_value
      - .offset:         128
        .size:           8
        .value_kind:     by_value
      - .offset:         136
        .size:           4
        .value_kind:     by_value
      - .offset:         144
        .size:           4
        .value_kind:     hidden_block_count_x
      - .offset:         148
        .size:           4
        .value_kind:     hidden_block_count_y
      - .offset:         152
        .size:           4
        .value_kind:     hidden_block_count_z
      - .offset:         156
        .size:           2
        .value_kind:     hidden_group_size_x
      - .offset:         158
        .size:           2
        .value_kind:     hidden_group_size_y
      - .offset:         160
        .size:           2
        .value_kind:     hidden_group_size_z
      - .offset:         162
        .size:           2
        .value_kind:     hidden_remainder_x
      - .offset:         164
        .size:           2
        .value_kind:     hidden_remainder_y
      - .offset:         166
        .size:           2
        .value_kind:     hidden_remainder_z
      - .offset:         184
        .size:           8
        .value_kind:     hidden_global_offset_x
      - .offset:         192
        .size:           8
        .value_kind:     hidden_global_offset_y
      - .offset:         200
        .size:           8
        .value_kind:     hidden_global_offset_z
      - .offset:         208
        .size:           2
        .value_kind:     hidden_grid_dims
    .group_segment_fixed_size: 16384
    .kernarg_segment_align: 8
    .kernarg_segment_size: 400
    .language:       OpenCL C
    .language_version:
      - 2
      - 0
    .max_flat_workgroup_size: 1024
    .name:           _ZL20rocblas_gemvn_kernelILi64ELi16ElPKfS1_KPfEviiT3_lPKT2_lT1_lS7_lS8_lS4_lPT4_lS8_li
    .private_segment_fixed_size: 0
    .sgpr_count:     51
    .sgpr_spill_count: 0
    .symbol:         _ZL20rocblas_gemvn_kernelILi64ELi16ElPKfS1_KPfEviiT3_lPKT2_lT1_lS7_lS8_lS4_lPT4_lS8_li.kd
    .uniform_work_group_size: 1
    .uses_dynamic_stack: false
    .vgpr_count:     55
    .vgpr_spill_count: 0
    .wavefront_size: 64
  - .agpr_count:     0
    .args:
      - .offset:         0
        .size:           4
        .value_kind:     by_value
      - .offset:         4
        .size:           4
        .value_kind:     by_value
      - .offset:         8
        .size:           4
        .value_kind:     by_value
      - .offset:         16
        .size:           8
        .value_kind:     by_value
      - .address_space:  global
        .offset:         24
        .size:           8
        .value_kind:     global_buffer
      - .offset:         32
        .size:           8
        .value_kind:     by_value
      - .offset:         40
        .size:           4
        .value_kind:     by_value
      - .offset:         48
        .size:           8
        .value_kind:     by_value
      - .address_space:  global
        .offset:         56
        .size:           8
        .value_kind:     global_buffer
      - .offset:         64
        .size:           8
        .value_kind:     by_value
      - .offset:         72
        .size:           4
        .value_kind:     by_value
      - .offset:         80
        .size:           8
        .value_kind:     by_value
      - .offset:         88
        .size:           4
        .value_kind:     by_value
      - .offset:         96
        .size:           8
        .value_kind:     by_value
      - .address_space:  global
        .offset:         104
        .size:           8
        .value_kind:     global_buffer
      - .offset:         112
        .size:           8
        .value_kind:     by_value
      - .offset:         120
        .size:           4
        .value_kind:     by_value
      - .offset:         128
        .size:           8
        .value_kind:     by_value
      - .offset:         136
        .size:           4
        .value_kind:     by_value
      - .offset:         144
        .size:           4
        .value_kind:     hidden_block_count_x
      - .offset:         148
        .size:           4
        .value_kind:     hidden_block_count_y
      - .offset:         152
        .size:           4
        .value_kind:     hidden_block_count_z
      - .offset:         156
        .size:           2
        .value_kind:     hidden_group_size_x
      - .offset:         158
        .size:           2
        .value_kind:     hidden_group_size_y
      - .offset:         160
        .size:           2
        .value_kind:     hidden_group_size_z
      - .offset:         162
        .size:           2
        .value_kind:     hidden_remainder_x
      - .offset:         164
        .size:           2
        .value_kind:     hidden_remainder_y
      - .offset:         166
        .size:           2
        .value_kind:     hidden_remainder_z
      - .offset:         184
        .size:           8
        .value_kind:     hidden_global_offset_x
      - .offset:         192
        .size:           8
        .value_kind:     hidden_global_offset_y
      - .offset:         200
        .size:           8
        .value_kind:     hidden_global_offset_z
      - .offset:         208
        .size:           2
        .value_kind:     hidden_grid_dims
    .group_segment_fixed_size: 16384
    .kernarg_segment_align: 8
    .kernarg_segment_size: 400
    .language:       OpenCL C
    .language_version:
      - 2
      - 0
    .max_flat_workgroup_size: 1024
    .name:           _ZL20rocblas_gemvn_kernelILi64ELi16EiPKffKPfEviiT3_lPKT2_lT1_lS7_lS8_lS4_lPT4_lS8_li
    .private_segment_fixed_size: 0
    .sgpr_count:     45
    .sgpr_spill_count: 0
    .symbol:         _ZL20rocblas_gemvn_kernelILi64ELi16EiPKffKPfEviiT3_lPKT2_lT1_lS7_lS8_lS4_lPT4_lS8_li.kd
    .uniform_work_group_size: 1
    .uses_dynamic_stack: false
    .vgpr_count:     45
    .vgpr_spill_count: 0
    .wavefront_size: 64
  - .agpr_count:     0
    .args:
      - .offset:         0
        .size:           4
        .value_kind:     by_value
      - .offset:         4
        .size:           4
        .value_kind:     by_value
      - .offset:         8
        .size:           4
        .value_kind:     by_value
      - .offset:         16
        .size:           8
        .value_kind:     by_value
      - .address_space:  global
        .offset:         24
        .size:           8
        .value_kind:     global_buffer
      - .offset:         32
        .size:           8
        .value_kind:     by_value
      - .offset:         40
        .size:           8
        .value_kind:     by_value
      - .offset:         48
        .size:           8
        .value_kind:     by_value
      - .address_space:  global
        .offset:         56
        .size:           8
        .value_kind:     global_buffer
      - .offset:         64
        .size:           8
        .value_kind:     by_value
      - .offset:         72
        .size:           8
        .value_kind:     by_value
      - .offset:         80
        .size:           8
        .value_kind:     by_value
      - .offset:         88
        .size:           4
        .value_kind:     by_value
      - .offset:         96
        .size:           8
        .value_kind:     by_value
      - .address_space:  global
        .offset:         104
        .size:           8
        .value_kind:     global_buffer
      - .offset:         112
        .size:           8
        .value_kind:     by_value
      - .offset:         120
        .size:           8
        .value_kind:     by_value
      - .offset:         128
        .size:           8
        .value_kind:     by_value
      - .offset:         136
        .size:           4
        .value_kind:     by_value
      - .offset:         144
        .size:           4
        .value_kind:     hidden_block_count_x
      - .offset:         148
        .size:           4
        .value_kind:     hidden_block_count_y
      - .offset:         152
        .size:           4
        .value_kind:     hidden_block_count_z
      - .offset:         156
        .size:           2
        .value_kind:     hidden_group_size_x
      - .offset:         158
        .size:           2
        .value_kind:     hidden_group_size_y
      - .offset:         160
        .size:           2
        .value_kind:     hidden_group_size_z
      - .offset:         162
        .size:           2
        .value_kind:     hidden_remainder_x
      - .offset:         164
        .size:           2
        .value_kind:     hidden_remainder_y
      - .offset:         166
        .size:           2
        .value_kind:     hidden_remainder_z
      - .offset:         184
        .size:           8
        .value_kind:     hidden_global_offset_x
      - .offset:         192
        .size:           8
        .value_kind:     hidden_global_offset_y
      - .offset:         200
        .size:           8
        .value_kind:     hidden_global_offset_z
      - .offset:         208
        .size:           2
        .value_kind:     hidden_grid_dims
    .group_segment_fixed_size: 16384
    .kernarg_segment_align: 8
    .kernarg_segment_size: 400
    .language:       OpenCL C
    .language_version:
      - 2
      - 0
    .max_flat_workgroup_size: 1024
    .name:           _ZL20rocblas_gemvn_kernelILi64ELi16ElPKffKPfEviiT3_lPKT2_lT1_lS7_lS8_lS4_lPT4_lS8_li
    .private_segment_fixed_size: 0
    .sgpr_count:     51
    .sgpr_spill_count: 0
    .symbol:         _ZL20rocblas_gemvn_kernelILi64ELi16ElPKffKPfEviiT3_lPKT2_lT1_lS7_lS8_lS4_lPT4_lS8_li.kd
    .uniform_work_group_size: 1
    .uses_dynamic_stack: false
    .vgpr_count:     55
    .vgpr_spill_count: 0
    .wavefront_size: 64
  - .agpr_count:     0
    .args:
      - .offset:         0
        .size:           4
        .value_kind:     by_value
      - .offset:         4
        .size:           4
        .value_kind:     by_value
      - .address_space:  global
        .offset:         8
        .size:           8
        .value_kind:     global_buffer
      - .offset:         16
        .size:           8
        .value_kind:     by_value
      - .address_space:  global
        .offset:         24
        .size:           8
        .value_kind:     global_buffer
      - .offset:         32
        .size:           8
        .value_kind:     by_value
      - .offset:         40
        .size:           4
        .value_kind:     by_value
      - .offset:         48
        .size:           8
        .value_kind:     by_value
      - .address_space:  global
        .offset:         56
        .size:           8
        .value_kind:     global_buffer
      - .offset:         64
        .size:           8
        .value_kind:     by_value
      - .offset:         72
        .size:           4
        .value_kind:     by_value
      - .offset:         80
        .size:           8
        .value_kind:     by_value
      - .address_space:  global
        .offset:         88
        .size:           8
        .value_kind:     global_buffer
      - .offset:         96
        .size:           8
        .value_kind:     by_value
      - .address_space:  global
        .offset:         104
        .size:           8
        .value_kind:     global_buffer
      - .offset:         112
        .size:           8
        .value_kind:     by_value
      - .offset:         120
        .size:           4
        .value_kind:     by_value
      - .offset:         128
        .size:           8
        .value_kind:     by_value
    .group_segment_fixed_size: 256
    .kernarg_segment_align: 8
    .kernarg_segment_size: 136
    .language:       OpenCL C
    .language_version:
      - 2
      - 0
    .max_flat_workgroup_size: 256
    .name:           _ZL22rocblas_gemvtsm_kernelILb0ELi256EPKfS1_KPfEviiT2_lPKT1_lilS7_lilS4_lPT3_lil
    .private_segment_fixed_size: 0
    .sgpr_count:     32
    .sgpr_spill_count: 0
    .symbol:         _ZL22rocblas_gemvtsm_kernelILb0ELi256EPKfS1_KPfEviiT2_lPKT1_lilS7_lilS4_lPT3_lil.kd
    .uniform_work_group_size: 1
    .uses_dynamic_stack: false
    .vgpr_count:     24
    .vgpr_spill_count: 0
    .wavefront_size: 64
  - .agpr_count:     0
    .args:
      - .offset:         0
        .size:           4
        .value_kind:     by_value
      - .offset:         4
        .size:           4
        .value_kind:     by_value
      - .offset:         8
        .size:           4
        .value_kind:     by_value
      - .offset:         16
        .size:           8
        .value_kind:     by_value
      - .address_space:  global
        .offset:         24
        .size:           8
        .value_kind:     global_buffer
      - .offset:         32
        .size:           8
        .value_kind:     by_value
      - .offset:         40
        .size:           4
        .value_kind:     by_value
      - .offset:         48
        .size:           8
        .value_kind:     by_value
      - .address_space:  global
        .offset:         56
        .size:           8
        .value_kind:     global_buffer
      - .offset:         64
        .size:           8
        .value_kind:     by_value
      - .offset:         72
        .size:           4
        .value_kind:     by_value
      - .offset:         80
        .size:           8
        .value_kind:     by_value
      - .offset:         88
        .size:           4
        .value_kind:     by_value
      - .offset:         96
        .size:           8
        .value_kind:     by_value
      - .address_space:  global
        .offset:         104
        .size:           8
        .value_kind:     global_buffer
      - .offset:         112
        .size:           8
        .value_kind:     by_value
      - .offset:         120
        .size:           4
        .value_kind:     by_value
      - .offset:         128
        .size:           8
        .value_kind:     by_value
    .group_segment_fixed_size: 256
    .kernarg_segment_align: 8
    .kernarg_segment_size: 136
    .language:       OpenCL C
    .language_version:
      - 2
      - 0
    .max_flat_workgroup_size: 256
    .name:           _ZL22rocblas_gemvtsm_kernelILb0ELi256EPKffKPfEviiT2_lPKT1_lilS7_lilS4_lPT3_lil
    .private_segment_fixed_size: 0
    .sgpr_count:     32
    .sgpr_spill_count: 0
    .symbol:         _ZL22rocblas_gemvtsm_kernelILb0ELi256EPKffKPfEviiT2_lPKT1_lilS7_lilS4_lPT3_lil.kd
    .uniform_work_group_size: 1
    .uses_dynamic_stack: false
    .vgpr_count:     24
    .vgpr_spill_count: 0
    .wavefront_size: 64
  - .agpr_count:     0
    .args:
      - .offset:         0
        .size:           4
        .value_kind:     by_value
      - .offset:         4
        .size:           4
        .value_kind:     by_value
      - .address_space:  global
        .offset:         8
        .size:           8
        .value_kind:     global_buffer
      - .offset:         16
        .size:           8
        .value_kind:     by_value
      - .address_space:  global
        .offset:         24
        .size:           8
        .value_kind:     global_buffer
      - .offset:         32
        .size:           8
        .value_kind:     by_value
      - .offset:         40
        .size:           4
        .value_kind:     by_value
      - .offset:         48
        .size:           8
        .value_kind:     by_value
      - .address_space:  global
        .offset:         56
        .size:           8
        .value_kind:     global_buffer
      - .offset:         64
        .size:           8
        .value_kind:     by_value
      - .offset:         72
        .size:           4
        .value_kind:     by_value
      - .offset:         80
        .size:           8
        .value_kind:     by_value
      - .address_space:  global
        .offset:         88
        .size:           8
        .value_kind:     global_buffer
      - .offset:         96
        .size:           4
        .value_kind:     by_value
      - .offset:         104
        .size:           4
        .value_kind:     hidden_block_count_x
      - .offset:         108
        .size:           4
        .value_kind:     hidden_block_count_y
      - .offset:         112
        .size:           4
        .value_kind:     hidden_block_count_z
      - .offset:         116
        .size:           2
        .value_kind:     hidden_group_size_x
      - .offset:         118
        .size:           2
        .value_kind:     hidden_group_size_y
      - .offset:         120
        .size:           2
        .value_kind:     hidden_group_size_z
      - .offset:         122
        .size:           2
        .value_kind:     hidden_remainder_x
      - .offset:         124
        .size:           2
        .value_kind:     hidden_remainder_y
      - .offset:         126
        .size:           2
        .value_kind:     hidden_remainder_z
      - .offset:         144
        .size:           8
        .value_kind:     hidden_global_offset_x
      - .offset:         152
        .size:           8
        .value_kind:     hidden_global_offset_y
      - .offset:         160
        .size:           8
        .value_kind:     hidden_global_offset_z
      - .offset:         168
        .size:           2
        .value_kind:     hidden_grid_dims
    .group_segment_fixed_size: 256
    .kernarg_segment_align: 8
    .kernarg_segment_size: 360
    .language:       OpenCL C
    .language_version:
      - 2
      - 0
    .max_flat_workgroup_size: 256
    .name:           _ZL23rocblas_gemvt_sn_kernelILb0ELi256ELi4EiPKfS1_fEviiT4_lPKT3_lilS5_lilPT5_i
    .private_segment_fixed_size: 0
    .sgpr_count:     60
    .sgpr_spill_count: 0
    .symbol:         _ZL23rocblas_gemvt_sn_kernelILb0ELi256ELi4EiPKfS1_fEviiT4_lPKT3_lilS5_lilPT5_i.kd
    .uniform_work_group_size: 1
    .uses_dynamic_stack: false
    .vgpr_count:     50
    .vgpr_spill_count: 0
    .wavefront_size: 64
  - .agpr_count:     0
    .args:
      - .offset:         0
        .size:           4
        .value_kind:     by_value
      - .offset:         4
        .size:           4
        .value_kind:     by_value
      - .address_space:  global
        .offset:         8
        .size:           8
        .value_kind:     global_buffer
      - .offset:         16
        .size:           8
        .value_kind:     by_value
      - .address_space:  global
        .offset:         24
        .size:           8
        .value_kind:     global_buffer
      - .offset:         32
        .size:           8
        .value_kind:     by_value
      - .offset:         40
        .size:           4
        .value_kind:     by_value
      - .offset:         48
        .size:           8
        .value_kind:     by_value
      - .address_space:  global
        .offset:         56
        .size:           8
        .value_kind:     global_buffer
      - .offset:         64
        .size:           8
        .value_kind:     by_value
      - .offset:         72
        .size:           4
        .value_kind:     by_value
      - .offset:         80
        .size:           8
        .value_kind:     by_value
      - .address_space:  global
        .offset:         88
        .size:           8
        .value_kind:     global_buffer
      - .offset:         96
        .size:           4
        .value_kind:     by_value
      - .offset:         104
        .size:           4
        .value_kind:     hidden_block_count_x
      - .offset:         108
        .size:           4
        .value_kind:     hidden_block_count_y
      - .offset:         112
        .size:           4
        .value_kind:     hidden_block_count_z
      - .offset:         116
        .size:           2
        .value_kind:     hidden_group_size_x
      - .offset:         118
        .size:           2
        .value_kind:     hidden_group_size_y
      - .offset:         120
        .size:           2
        .value_kind:     hidden_group_size_z
      - .offset:         122
        .size:           2
        .value_kind:     hidden_remainder_x
      - .offset:         124
        .size:           2
        .value_kind:     hidden_remainder_y
      - .offset:         126
        .size:           2
        .value_kind:     hidden_remainder_z
      - .offset:         144
        .size:           8
        .value_kind:     hidden_global_offset_x
      - .offset:         152
        .size:           8
        .value_kind:     hidden_global_offset_y
      - .offset:         160
        .size:           8
        .value_kind:     hidden_global_offset_z
      - .offset:         168
        .size:           2
        .value_kind:     hidden_grid_dims
    .group_segment_fixed_size: 256
    .kernarg_segment_align: 8
    .kernarg_segment_size: 360
    .language:       OpenCL C
    .language_version:
      - 2
      - 0
    .max_flat_workgroup_size: 256
    .name:           _ZL23rocblas_gemvt_sn_kernelILb0ELi256ELi4ElPKfS1_fEviiT4_lPKT3_lilS5_lilPT5_i
    .private_segment_fixed_size: 0
    .sgpr_count:     65
    .sgpr_spill_count: 0
    .symbol:         _ZL23rocblas_gemvt_sn_kernelILb0ELi256ELi4ElPKfS1_fEviiT4_lPKT3_lilS5_lilPT5_i.kd
    .uniform_work_group_size: 1
    .uses_dynamic_stack: false
    .vgpr_count:     56
    .vgpr_spill_count: 0
    .wavefront_size: 64
  - .agpr_count:     0
    .args:
      - .offset:         0
        .size:           4
        .value_kind:     by_value
      - .offset:         4
        .size:           4
        .value_kind:     by_value
      - .offset:         8
        .size:           4
        .value_kind:     by_value
      - .offset:         16
        .size:           8
        .value_kind:     by_value
      - .address_space:  global
        .offset:         24
        .size:           8
        .value_kind:     global_buffer
      - .offset:         32
        .size:           8
        .value_kind:     by_value
      - .offset:         40
        .size:           4
        .value_kind:     by_value
      - .offset:         48
        .size:           8
        .value_kind:     by_value
      - .address_space:  global
        .offset:         56
        .size:           8
        .value_kind:     global_buffer
      - .offset:         64
        .size:           8
        .value_kind:     by_value
      - .offset:         72
        .size:           4
        .value_kind:     by_value
      - .offset:         80
        .size:           8
        .value_kind:     by_value
      - .address_space:  global
        .offset:         88
        .size:           8
        .value_kind:     global_buffer
      - .offset:         96
        .size:           4
        .value_kind:     by_value
      - .offset:         104
        .size:           4
        .value_kind:     hidden_block_count_x
      - .offset:         108
        .size:           4
        .value_kind:     hidden_block_count_y
      - .offset:         112
        .size:           4
        .value_kind:     hidden_block_count_z
      - .offset:         116
        .size:           2
        .value_kind:     hidden_group_size_x
      - .offset:         118
        .size:           2
        .value_kind:     hidden_group_size_y
      - .offset:         120
        .size:           2
        .value_kind:     hidden_group_size_z
      - .offset:         122
        .size:           2
        .value_kind:     hidden_remainder_x
      - .offset:         124
        .size:           2
        .value_kind:     hidden_remainder_y
      - .offset:         126
        .size:           2
        .value_kind:     hidden_remainder_z
      - .offset:         144
        .size:           8
        .value_kind:     hidden_global_offset_x
      - .offset:         152
        .size:           8
        .value_kind:     hidden_global_offset_y
      - .offset:         160
        .size:           8
        .value_kind:     hidden_global_offset_z
      - .offset:         168
        .size:           2
        .value_kind:     hidden_grid_dims
    .group_segment_fixed_size: 256
    .kernarg_segment_align: 8
    .kernarg_segment_size: 360
    .language:       OpenCL C
    .language_version:
      - 2
      - 0
    .max_flat_workgroup_size: 256
    .name:           _ZL23rocblas_gemvt_sn_kernelILb0ELi256ELi4EiPKfffEviiT4_lPKT3_lilS5_lilPT5_i
    .private_segment_fixed_size: 0
    .sgpr_count:     60
    .sgpr_spill_count: 0
    .symbol:         _ZL23rocblas_gemvt_sn_kernelILb0ELi256ELi4EiPKfffEviiT4_lPKT3_lilS5_lilPT5_i.kd
    .uniform_work_group_size: 1
    .uses_dynamic_stack: false
    .vgpr_count:     50
    .vgpr_spill_count: 0
    .wavefront_size: 64
  - .agpr_count:     0
    .args:
      - .offset:         0
        .size:           4
        .value_kind:     by_value
      - .offset:         4
        .size:           4
        .value_kind:     by_value
      - .offset:         8
        .size:           4
        .value_kind:     by_value
      - .offset:         16
        .size:           8
        .value_kind:     by_value
      - .address_space:  global
        .offset:         24
        .size:           8
        .value_kind:     global_buffer
      - .offset:         32
        .size:           8
        .value_kind:     by_value
      - .offset:         40
        .size:           4
        .value_kind:     by_value
      - .offset:         48
        .size:           8
        .value_kind:     by_value
      - .address_space:  global
        .offset:         56
        .size:           8
        .value_kind:     global_buffer
      - .offset:         64
        .size:           8
        .value_kind:     by_value
      - .offset:         72
        .size:           4
        .value_kind:     by_value
      - .offset:         80
        .size:           8
        .value_kind:     by_value
      - .address_space:  global
        .offset:         88
        .size:           8
        .value_kind:     global_buffer
      - .offset:         96
        .size:           4
        .value_kind:     by_value
      - .offset:         104
        .size:           4
        .value_kind:     hidden_block_count_x
      - .offset:         108
        .size:           4
        .value_kind:     hidden_block_count_y
      - .offset:         112
        .size:           4
        .value_kind:     hidden_block_count_z
      - .offset:         116
        .size:           2
        .value_kind:     hidden_group_size_x
      - .offset:         118
        .size:           2
        .value_kind:     hidden_group_size_y
      - .offset:         120
        .size:           2
        .value_kind:     hidden_group_size_z
      - .offset:         122
        .size:           2
        .value_kind:     hidden_remainder_x
      - .offset:         124
        .size:           2
        .value_kind:     hidden_remainder_y
      - .offset:         126
        .size:           2
        .value_kind:     hidden_remainder_z
      - .offset:         144
        .size:           8
        .value_kind:     hidden_global_offset_x
      - .offset:         152
        .size:           8
        .value_kind:     hidden_global_offset_y
      - .offset:         160
        .size:           8
        .value_kind:     hidden_global_offset_z
      - .offset:         168
        .size:           2
        .value_kind:     hidden_grid_dims
    .group_segment_fixed_size: 256
    .kernarg_segment_align: 8
    .kernarg_segment_size: 360
    .language:       OpenCL C
    .language_version:
      - 2
      - 0
    .max_flat_workgroup_size: 256
    .name:           _ZL23rocblas_gemvt_sn_kernelILb0ELi256ELi4ElPKfffEviiT4_lPKT3_lilS5_lilPT5_i
    .private_segment_fixed_size: 0
    .sgpr_count:     65
    .sgpr_spill_count: 0
    .symbol:         _ZL23rocblas_gemvt_sn_kernelILb0ELi256ELi4ElPKfffEviiT4_lPKT3_lilS5_lilPT5_i.kd
    .uniform_work_group_size: 1
    .uses_dynamic_stack: false
    .vgpr_count:     56
    .vgpr_spill_count: 0
    .wavefront_size: 64
  - .agpr_count:     0
    .args:
      - .offset:         0
        .size:           4
        .value_kind:     by_value
      - .offset:         4
        .size:           4
        .value_kind:     by_value
      - .address_space:  global
        .offset:         8
        .size:           8
        .value_kind:     global_buffer
      - .offset:         16
        .size:           8
        .value_kind:     by_value
      - .address_space:  global
        .offset:         24
        .size:           8
        .value_kind:     global_buffer
      - .offset:         32
        .size:           8
        .value_kind:     by_value
      - .offset:         40
        .size:           4
        .value_kind:     by_value
      - .offset:         48
        .size:           8
        .value_kind:     by_value
      - .address_space:  global
        .offset:         56
        .size:           8
        .value_kind:     global_buffer
      - .offset:         64
        .size:           8
        .value_kind:     by_value
      - .offset:         72
        .size:           4
        .value_kind:     by_value
      - .offset:         80
        .size:           8
        .value_kind:     by_value
      - .address_space:  global
        .offset:         88
        .size:           8
        .value_kind:     global_buffer
      - .offset:         96
        .size:           8
        .value_kind:     by_value
      - .offset:         104
        .size:           4
        .value_kind:     by_value
      - .offset:         112
        .size:           8
        .value_kind:     by_value
      - .offset:         120
        .size:           4
        .value_kind:     by_value
      - .offset:         128
        .size:           4
        .value_kind:     hidden_block_count_x
      - .offset:         132
        .size:           4
        .value_kind:     hidden_block_count_y
      - .offset:         136
        .size:           4
        .value_kind:     hidden_block_count_z
      - .offset:         140
        .size:           2
        .value_kind:     hidden_group_size_x
      - .offset:         142
        .size:           2
        .value_kind:     hidden_group_size_y
      - .offset:         144
        .size:           2
        .value_kind:     hidden_group_size_z
      - .offset:         146
        .size:           2
        .value_kind:     hidden_remainder_x
      - .offset:         148
        .size:           2
        .value_kind:     hidden_remainder_y
      - .offset:         150
        .size:           2
        .value_kind:     hidden_remainder_z
      - .offset:         168
        .size:           8
        .value_kind:     hidden_global_offset_x
      - .offset:         176
        .size:           8
        .value_kind:     hidden_global_offset_y
      - .offset:         184
        .size:           8
        .value_kind:     hidden_global_offset_z
      - .offset:         192
        .size:           2
        .value_kind:     hidden_grid_dims
    .group_segment_fixed_size: 32768
    .kernarg_segment_align: 8
    .kernarg_segment_size: 384
    .language:       OpenCL C
    .language_version:
      - 2
      - 0
    .max_flat_workgroup_size: 1024
    .name:           _ZL36rocblas_gemvt_double_buffered_kernelILb0ELi128ELi8ELi8EPKfS1_KPfEviiT4_lPKT3_lilS7_lilPT5_lili
    .private_segment_fixed_size: 0
    .sgpr_count:     38
    .sgpr_spill_count: 0
    .symbol:         _ZL36rocblas_gemvt_double_buffered_kernelILb0ELi128ELi8ELi8EPKfS1_KPfEviiT4_lPKT3_lilS7_lilPT5_lili.kd
    .uniform_work_group_size: 1
    .uses_dynamic_stack: false
    .vgpr_count:     64
    .vgpr_spill_count: 0
    .wavefront_size: 64
  - .agpr_count:     0
    .args:
      - .offset:         0
        .size:           4
        .value_kind:     by_value
      - .offset:         4
        .size:           4
        .value_kind:     by_value
      - .offset:         8
        .size:           4
        .value_kind:     by_value
      - .offset:         16
        .size:           8
        .value_kind:     by_value
      - .address_space:  global
        .offset:         24
        .size:           8
        .value_kind:     global_buffer
      - .offset:         32
        .size:           8
        .value_kind:     by_value
      - .offset:         40
        .size:           4
        .value_kind:     by_value
      - .offset:         48
        .size:           8
        .value_kind:     by_value
      - .address_space:  global
        .offset:         56
        .size:           8
        .value_kind:     global_buffer
      - .offset:         64
        .size:           8
        .value_kind:     by_value
      - .offset:         72
        .size:           4
        .value_kind:     by_value
      - .offset:         80
        .size:           8
        .value_kind:     by_value
      - .address_space:  global
        .offset:         88
        .size:           8
        .value_kind:     global_buffer
      - .offset:         96
        .size:           8
        .value_kind:     by_value
      - .offset:         104
        .size:           4
        .value_kind:     by_value
      - .offset:         112
        .size:           8
        .value_kind:     by_value
      - .offset:         120
        .size:           4
        .value_kind:     by_value
      - .offset:         128
        .size:           4
        .value_kind:     hidden_block_count_x
      - .offset:         132
        .size:           4
        .value_kind:     hidden_block_count_y
      - .offset:         136
        .size:           4
        .value_kind:     hidden_block_count_z
      - .offset:         140
        .size:           2
        .value_kind:     hidden_group_size_x
      - .offset:         142
        .size:           2
        .value_kind:     hidden_group_size_y
      - .offset:         144
        .size:           2
        .value_kind:     hidden_group_size_z
      - .offset:         146
        .size:           2
        .value_kind:     hidden_remainder_x
      - .offset:         148
        .size:           2
        .value_kind:     hidden_remainder_y
      - .offset:         150
        .size:           2
        .value_kind:     hidden_remainder_z
      - .offset:         168
        .size:           8
        .value_kind:     hidden_global_offset_x
      - .offset:         176
        .size:           8
        .value_kind:     hidden_global_offset_y
      - .offset:         184
        .size:           8
        .value_kind:     hidden_global_offset_z
      - .offset:         192
        .size:           2
        .value_kind:     hidden_grid_dims
    .group_segment_fixed_size: 32768
    .kernarg_segment_align: 8
    .kernarg_segment_size: 384
    .language:       OpenCL C
    .language_version:
      - 2
      - 0
    .max_flat_workgroup_size: 1024
    .name:           _ZL36rocblas_gemvt_double_buffered_kernelILb0ELi128ELi8ELi8EPKffKPfEviiT4_lPKT3_lilS7_lilPT5_lili
    .private_segment_fixed_size: 0
    .sgpr_count:     38
    .sgpr_spill_count: 0
    .symbol:         _ZL36rocblas_gemvt_double_buffered_kernelILb0ELi128ELi8ELi8EPKffKPfEviiT4_lPKT3_lilS7_lilPT5_lili.kd
    .uniform_work_group_size: 1
    .uses_dynamic_stack: false
    .vgpr_count:     64
    .vgpr_spill_count: 0
    .wavefront_size: 64
  - .agpr_count:     0
    .args:
      - .offset:         0
        .size:           4
        .value_kind:     by_value
      - .offset:         4
        .size:           4
        .value_kind:     by_value
      - .address_space:  global
        .offset:         8
        .size:           8
        .value_kind:     global_buffer
      - .offset:         16
        .size:           8
        .value_kind:     by_value
      - .address_space:  global
        .offset:         24
        .size:           8
        .value_kind:     global_buffer
      - .offset:         32
        .size:           8
        .value_kind:     by_value
      - .offset:         40
        .size:           4
        .value_kind:     by_value
      - .offset:         48
        .size:           8
        .value_kind:     by_value
      - .address_space:  global
        .offset:         56
        .size:           8
        .value_kind:     global_buffer
      - .offset:         64
        .size:           8
        .value_kind:     by_value
      - .offset:         72
        .size:           4
        .value_kind:     by_value
      - .offset:         80
        .size:           8
        .value_kind:     by_value
      - .address_space:  global
        .offset:         88
        .size:           8
        .value_kind:     global_buffer
      - .offset:         96
        .size:           8
        .value_kind:     by_value
      - .address_space:  global
        .offset:         104
        .size:           8
        .value_kind:     global_buffer
      - .offset:         112
        .size:           8
        .value_kind:     by_value
      - .offset:         120
        .size:           4
        .value_kind:     by_value
      - .offset:         128
        .size:           8
        .value_kind:     by_value
      - .offset:         136
        .size:           4
        .value_kind:     by_value
    .group_segment_fixed_size: 256
    .kernarg_segment_align: 8
    .kernarg_segment_size: 140
    .language:       OpenCL C
    .language_version:
      - 2
      - 0
    .max_flat_workgroup_size: 256
    .name:           _ZL32rocblas_gemvt_warp_reduce_kernelILb0ELi256EiPKfS1_KPfEviiT3_lPKT2_lT1_lS7_lS8_lS4_lPT4_lS8_li
    .private_segment_fixed_size: 0
    .sgpr_count:     29
    .sgpr_spill_count: 0
    .symbol:         _ZL32rocblas_gemvt_warp_reduce_kernelILb0ELi256EiPKfS1_KPfEviiT3_lPKT2_lT1_lS7_lS8_lS4_lPT4_lS8_li.kd
    .uniform_work_group_size: 1
    .uses_dynamic_stack: false
    .vgpr_count:     12
    .vgpr_spill_count: 0
    .wavefront_size: 64
  - .agpr_count:     0
    .args:
      - .offset:         0
        .size:           4
        .value_kind:     by_value
      - .offset:         4
        .size:           4
        .value_kind:     by_value
      - .address_space:  global
        .offset:         8
        .size:           8
        .value_kind:     global_buffer
      - .offset:         16
        .size:           8
        .value_kind:     by_value
      - .address_space:  global
        .offset:         24
        .size:           8
        .value_kind:     global_buffer
      - .offset:         32
        .size:           8
        .value_kind:     by_value
      - .offset:         40
        .size:           8
        .value_kind:     by_value
      - .offset:         48
        .size:           8
        .value_kind:     by_value
      - .address_space:  global
        .offset:         56
        .size:           8
        .value_kind:     global_buffer
      - .offset:         64
        .size:           8
        .value_kind:     by_value
      - .offset:         72
        .size:           8
        .value_kind:     by_value
      - .offset:         80
        .size:           8
        .value_kind:     by_value
      - .address_space:  global
        .offset:         88
        .size:           8
        .value_kind:     global_buffer
      - .offset:         96
        .size:           8
        .value_kind:     by_value
      - .address_space:  global
        .offset:         104
        .size:           8
        .value_kind:     global_buffer
      - .offset:         112
        .size:           8
        .value_kind:     by_value
      - .offset:         120
        .size:           8
        .value_kind:     by_value
      - .offset:         128
        .size:           8
        .value_kind:     by_value
      - .offset:         136
        .size:           4
        .value_kind:     by_value
    .group_segment_fixed_size: 256
    .kernarg_segment_align: 8
    .kernarg_segment_size: 140
    .language:       OpenCL C
    .language_version:
      - 2
      - 0
    .max_flat_workgroup_size: 256
    .name:           _ZL32rocblas_gemvt_warp_reduce_kernelILb0ELi256ElPKfS1_KPfEviiT3_lPKT2_lT1_lS7_lS8_lS4_lPT4_lS8_li
    .private_segment_fixed_size: 0
    .sgpr_count:     37
    .sgpr_spill_count: 0
    .symbol:         _ZL32rocblas_gemvt_warp_reduce_kernelILb0ELi256ElPKfS1_KPfEviiT3_lPKT2_lT1_lS7_lS8_lS4_lPT4_lS8_li.kd
    .uniform_work_group_size: 1
    .uses_dynamic_stack: false
    .vgpr_count:     11
    .vgpr_spill_count: 0
    .wavefront_size: 64
  - .agpr_count:     0
    .args:
      - .offset:         0
        .size:           4
        .value_kind:     by_value
      - .offset:         4
        .size:           4
        .value_kind:     by_value
      - .offset:         8
        .size:           4
        .value_kind:     by_value
      - .offset:         16
        .size:           8
        .value_kind:     by_value
      - .address_space:  global
        .offset:         24
        .size:           8
        .value_kind:     global_buffer
      - .offset:         32
        .size:           8
        .value_kind:     by_value
      - .offset:         40
        .size:           4
        .value_kind:     by_value
      - .offset:         48
        .size:           8
        .value_kind:     by_value
      - .address_space:  global
        .offset:         56
        .size:           8
        .value_kind:     global_buffer
      - .offset:         64
        .size:           8
        .value_kind:     by_value
      - .offset:         72
        .size:           4
        .value_kind:     by_value
      - .offset:         80
        .size:           8
        .value_kind:     by_value
      - .offset:         88
        .size:           4
        .value_kind:     by_value
      - .offset:         96
        .size:           8
        .value_kind:     by_value
      - .address_space:  global
        .offset:         104
        .size:           8
        .value_kind:     global_buffer
      - .offset:         112
        .size:           8
        .value_kind:     by_value
      - .offset:         120
        .size:           4
        .value_kind:     by_value
      - .offset:         128
        .size:           8
        .value_kind:     by_value
      - .offset:         136
        .size:           4
        .value_kind:     by_value
    .group_segment_fixed_size: 256
    .kernarg_segment_align: 8
    .kernarg_segment_size: 140
    .language:       OpenCL C
    .language_version:
      - 2
      - 0
    .max_flat_workgroup_size: 256
    .name:           _ZL32rocblas_gemvt_warp_reduce_kernelILb0ELi256EiPKffKPfEviiT3_lPKT2_lT1_lS7_lS8_lS4_lPT4_lS8_li
    .private_segment_fixed_size: 0
    .sgpr_count:     34
    .sgpr_spill_count: 0
    .symbol:         _ZL32rocblas_gemvt_warp_reduce_kernelILb0ELi256EiPKffKPfEviiT3_lPKT2_lT1_lS7_lS8_lS4_lPT4_lS8_li.kd
    .uniform_work_group_size: 1
    .uses_dynamic_stack: false
    .vgpr_count:     12
    .vgpr_spill_count: 0
    .wavefront_size: 64
  - .agpr_count:     0
    .args:
      - .offset:         0
        .size:           4
        .value_kind:     by_value
      - .offset:         4
        .size:           4
        .value_kind:     by_value
      - .offset:         8
        .size:           4
        .value_kind:     by_value
      - .offset:         16
        .size:           8
        .value_kind:     by_value
      - .address_space:  global
        .offset:         24
        .size:           8
        .value_kind:     global_buffer
      - .offset:         32
        .size:           8
        .value_kind:     by_value
      - .offset:         40
        .size:           8
        .value_kind:     by_value
      - .offset:         48
        .size:           8
        .value_kind:     by_value
      - .address_space:  global
        .offset:         56
        .size:           8
        .value_kind:     global_buffer
      - .offset:         64
        .size:           8
        .value_kind:     by_value
      - .offset:         72
        .size:           8
        .value_kind:     by_value
      - .offset:         80
        .size:           8
        .value_kind:     by_value
      - .offset:         88
        .size:           4
        .value_kind:     by_value
      - .offset:         96
        .size:           8
        .value_kind:     by_value
      - .address_space:  global
        .offset:         104
        .size:           8
        .value_kind:     global_buffer
      - .offset:         112
        .size:           8
        .value_kind:     by_value
      - .offset:         120
        .size:           8
        .value_kind:     by_value
      - .offset:         128
        .size:           8
        .value_kind:     by_value
      - .offset:         136
        .size:           4
        .value_kind:     by_value
    .group_segment_fixed_size: 256
    .kernarg_segment_align: 8
    .kernarg_segment_size: 140
    .language:       OpenCL C
    .language_version:
      - 2
      - 0
    .max_flat_workgroup_size: 256
    .name:           _ZL32rocblas_gemvt_warp_reduce_kernelILb0ELi256ElPKffKPfEviiT3_lPKT2_lT1_lS7_lS8_lS4_lPT4_lS8_li
    .private_segment_fixed_size: 0
    .sgpr_count:     38
    .sgpr_spill_count: 0
    .symbol:         _ZL32rocblas_gemvt_warp_reduce_kernelILb0ELi256ElPKffKPfEviiT3_lPKT2_lT1_lS7_lS8_lS4_lPT4_lS8_li.kd
    .uniform_work_group_size: 1
    .uses_dynamic_stack: false
    .vgpr_count:     11
    .vgpr_spill_count: 0
    .wavefront_size: 64
  - .agpr_count:     0
    .args:
      - .offset:         0
        .size:           4
        .value_kind:     by_value
      - .offset:         4
        .size:           4
        .value_kind:     by_value
      - .address_space:  global
        .offset:         8
        .size:           8
        .value_kind:     global_buffer
      - .offset:         16
        .size:           8
        .value_kind:     by_value
      - .address_space:  global
        .offset:         24
        .size:           8
        .value_kind:     global_buffer
      - .offset:         32
        .size:           8
        .value_kind:     by_value
      - .offset:         40
        .size:           4
        .value_kind:     by_value
      - .offset:         48
        .size:           8
        .value_kind:     by_value
      - .address_space:  global
        .offset:         56
        .size:           8
        .value_kind:     global_buffer
      - .offset:         64
        .size:           8
        .value_kind:     by_value
      - .offset:         72
        .size:           4
        .value_kind:     by_value
      - .offset:         80
        .size:           8
        .value_kind:     by_value
      - .address_space:  global
        .offset:         88
        .size:           8
        .value_kind:     global_buffer
      - .offset:         96
        .size:           8
        .value_kind:     by_value
      - .address_space:  global
        .offset:         104
        .size:           8
        .value_kind:     global_buffer
      - .offset:         112
        .size:           8
        .value_kind:     by_value
      - .offset:         120
        .size:           4
        .value_kind:     by_value
      - .offset:         128
        .size:           8
        .value_kind:     by_value
      - .offset:         136
        .size:           4
        .value_kind:     by_value
    .group_segment_fixed_size: 1024
    .kernarg_segment_align: 8
    .kernarg_segment_size: 140
    .language:       OpenCL C
    .language_version:
      - 2
      - 0
    .max_flat_workgroup_size: 256
    .name:           _ZL20rocblas_gemvt_kernelILb0ELi256EPKfS1_KPfEviiT2_lPKT1_lilS7_lilS4_lPT3_lili
    .private_segment_fixed_size: 0
    .sgpr_count:     29
    .sgpr_spill_count: 0
    .symbol:         _ZL20rocblas_gemvt_kernelILb0ELi256EPKfS1_KPfEviiT2_lPKT1_lilS7_lilS4_lPT3_lili.kd
    .uniform_work_group_size: 1
    .uses_dynamic_stack: false
    .vgpr_count:     10
    .vgpr_spill_count: 0
    .wavefront_size: 64
  - .agpr_count:     0
    .args:
      - .offset:         0
        .size:           4
        .value_kind:     by_value
      - .offset:         4
        .size:           4
        .value_kind:     by_value
      - .offset:         8
        .size:           4
        .value_kind:     by_value
      - .offset:         16
        .size:           8
        .value_kind:     by_value
      - .address_space:  global
        .offset:         24
        .size:           8
        .value_kind:     global_buffer
      - .offset:         32
        .size:           8
        .value_kind:     by_value
      - .offset:         40
        .size:           4
        .value_kind:     by_value
      - .offset:         48
        .size:           8
        .value_kind:     by_value
      - .address_space:  global
        .offset:         56
        .size:           8
        .value_kind:     global_buffer
      - .offset:         64
        .size:           8
        .value_kind:     by_value
      - .offset:         72
        .size:           4
        .value_kind:     by_value
      - .offset:         80
        .size:           8
        .value_kind:     by_value
      - .offset:         88
        .size:           4
        .value_kind:     by_value
      - .offset:         96
        .size:           8
        .value_kind:     by_value
      - .address_space:  global
        .offset:         104
        .size:           8
        .value_kind:     global_buffer
      - .offset:         112
        .size:           8
        .value_kind:     by_value
      - .offset:         120
        .size:           4
        .value_kind:     by_value
      - .offset:         128
        .size:           8
        .value_kind:     by_value
      - .offset:         136
        .size:           4
        .value_kind:     by_value
    .group_segment_fixed_size: 1024
    .kernarg_segment_align: 8
    .kernarg_segment_size: 140
    .language:       OpenCL C
    .language_version:
      - 2
      - 0
    .max_flat_workgroup_size: 256
    .name:           _ZL20rocblas_gemvt_kernelILb0ELi256EPKffKPfEviiT2_lPKT1_lilS7_lilS4_lPT3_lili
    .private_segment_fixed_size: 0
    .sgpr_count:     34
    .sgpr_spill_count: 0
    .symbol:         _ZL20rocblas_gemvt_kernelILb0ELi256EPKffKPfEviiT2_lPKT1_lilS7_lilS4_lPT3_lili.kd
    .uniform_work_group_size: 1
    .uses_dynamic_stack: false
    .vgpr_count:     10
    .vgpr_spill_count: 0
    .wavefront_size: 64
  - .agpr_count:     0
    .args:
      - .offset:         0
        .size:           4
        .value_kind:     by_value
      - .offset:         4
        .size:           4
        .value_kind:     by_value
      - .address_space:  global
        .offset:         8
        .size:           8
        .value_kind:     global_buffer
      - .offset:         16
        .size:           8
        .value_kind:     by_value
      - .address_space:  global
        .offset:         24
        .size:           8
        .value_kind:     global_buffer
      - .offset:         32
        .size:           8
        .value_kind:     by_value
      - .offset:         40
        .size:           4
        .value_kind:     by_value
      - .offset:         48
        .size:           8
        .value_kind:     by_value
      - .address_space:  global
        .offset:         56
        .size:           8
        .value_kind:     global_buffer
      - .offset:         64
        .size:           8
        .value_kind:     by_value
      - .offset:         72
        .size:           4
        .value_kind:     by_value
      - .offset:         80
        .size:           8
        .value_kind:     by_value
      - .address_space:  global
        .offset:         88
        .size:           8
        .value_kind:     global_buffer
      - .offset:         96
        .size:           8
        .value_kind:     by_value
      - .address_space:  global
        .offset:         104
        .size:           8
        .value_kind:     global_buffer
      - .offset:         112
        .size:           8
        .value_kind:     by_value
      - .offset:         120
        .size:           4
        .value_kind:     by_value
      - .offset:         128
        .size:           8
        .value_kind:     by_value
      - .offset:         136
        .size:           4
        .value_kind:     by_value
    .group_segment_fixed_size: 256
    .kernarg_segment_align: 8
    .kernarg_segment_size: 140
    .language:       OpenCL C
    .language_version:
      - 2
      - 0
    .max_flat_workgroup_size: 1024
    .name:           _ZL32rocblas_gemvt_warp_reduce_kernelILb0ELi1024EiPKfS1_KPfEviiT3_lPKT2_lT1_lS7_lS8_lS4_lPT4_lS8_li
    .private_segment_fixed_size: 0
    .sgpr_count:     29
    .sgpr_spill_count: 0
    .symbol:         _ZL32rocblas_gemvt_warp_reduce_kernelILb0ELi1024EiPKfS1_KPfEviiT3_lPKT2_lT1_lS7_lS8_lS4_lPT4_lS8_li.kd
    .uniform_work_group_size: 1
    .uses_dynamic_stack: false
    .vgpr_count:     12
    .vgpr_spill_count: 0
    .wavefront_size: 64
  - .agpr_count:     0
    .args:
      - .offset:         0
        .size:           4
        .value_kind:     by_value
      - .offset:         4
        .size:           4
        .value_kind:     by_value
      - .address_space:  global
        .offset:         8
        .size:           8
        .value_kind:     global_buffer
      - .offset:         16
        .size:           8
        .value_kind:     by_value
      - .address_space:  global
        .offset:         24
        .size:           8
        .value_kind:     global_buffer
      - .offset:         32
        .size:           8
        .value_kind:     by_value
      - .offset:         40
        .size:           8
        .value_kind:     by_value
      - .offset:         48
        .size:           8
        .value_kind:     by_value
      - .address_space:  global
        .offset:         56
        .size:           8
        .value_kind:     global_buffer
      - .offset:         64
        .size:           8
        .value_kind:     by_value
      - .offset:         72
        .size:           8
        .value_kind:     by_value
      - .offset:         80
        .size:           8
        .value_kind:     by_value
      - .address_space:  global
        .offset:         88
        .size:           8
        .value_kind:     global_buffer
      - .offset:         96
        .size:           8
        .value_kind:     by_value
      - .address_space:  global
        .offset:         104
        .size:           8
        .value_kind:     global_buffer
      - .offset:         112
        .size:           8
        .value_kind:     by_value
      - .offset:         120
        .size:           8
        .value_kind:     by_value
      - .offset:         128
        .size:           8
        .value_kind:     by_value
      - .offset:         136
        .size:           4
        .value_kind:     by_value
    .group_segment_fixed_size: 256
    .kernarg_segment_align: 8
    .kernarg_segment_size: 140
    .language:       OpenCL C
    .language_version:
      - 2
      - 0
    .max_flat_workgroup_size: 1024
    .name:           _ZL32rocblas_gemvt_warp_reduce_kernelILb0ELi1024ElPKfS1_KPfEviiT3_lPKT2_lT1_lS7_lS8_lS4_lPT4_lS8_li
    .private_segment_fixed_size: 0
    .sgpr_count:     37
    .sgpr_spill_count: 0
    .symbol:         _ZL32rocblas_gemvt_warp_reduce_kernelILb0ELi1024ElPKfS1_KPfEviiT3_lPKT2_lT1_lS7_lS8_lS4_lPT4_lS8_li.kd
    .uniform_work_group_size: 1
    .uses_dynamic_stack: false
    .vgpr_count:     11
    .vgpr_spill_count: 0
    .wavefront_size: 64
  - .agpr_count:     0
    .args:
      - .offset:         0
        .size:           4
        .value_kind:     by_value
      - .offset:         4
        .size:           4
        .value_kind:     by_value
      - .offset:         8
        .size:           4
        .value_kind:     by_value
      - .offset:         16
        .size:           8
        .value_kind:     by_value
      - .address_space:  global
        .offset:         24
        .size:           8
        .value_kind:     global_buffer
      - .offset:         32
        .size:           8
        .value_kind:     by_value
      - .offset:         40
        .size:           4
        .value_kind:     by_value
      - .offset:         48
        .size:           8
        .value_kind:     by_value
      - .address_space:  global
        .offset:         56
        .size:           8
        .value_kind:     global_buffer
      - .offset:         64
        .size:           8
        .value_kind:     by_value
      - .offset:         72
        .size:           4
        .value_kind:     by_value
      - .offset:         80
        .size:           8
        .value_kind:     by_value
      - .offset:         88
        .size:           4
        .value_kind:     by_value
      - .offset:         96
        .size:           8
        .value_kind:     by_value
      - .address_space:  global
        .offset:         104
        .size:           8
        .value_kind:     global_buffer
      - .offset:         112
        .size:           8
        .value_kind:     by_value
      - .offset:         120
        .size:           4
        .value_kind:     by_value
      - .offset:         128
        .size:           8
        .value_kind:     by_value
      - .offset:         136
        .size:           4
        .value_kind:     by_value
    .group_segment_fixed_size: 256
    .kernarg_segment_align: 8
    .kernarg_segment_size: 140
    .language:       OpenCL C
    .language_version:
      - 2
      - 0
    .max_flat_workgroup_size: 1024
    .name:           _ZL32rocblas_gemvt_warp_reduce_kernelILb0ELi1024EiPKffKPfEviiT3_lPKT2_lT1_lS7_lS8_lS4_lPT4_lS8_li
    .private_segment_fixed_size: 0
    .sgpr_count:     34
    .sgpr_spill_count: 0
    .symbol:         _ZL32rocblas_gemvt_warp_reduce_kernelILb0ELi1024EiPKffKPfEviiT3_lPKT2_lT1_lS7_lS8_lS4_lPT4_lS8_li.kd
    .uniform_work_group_size: 1
    .uses_dynamic_stack: false
    .vgpr_count:     12
    .vgpr_spill_count: 0
    .wavefront_size: 64
  - .agpr_count:     0
    .args:
      - .offset:         0
        .size:           4
        .value_kind:     by_value
      - .offset:         4
        .size:           4
        .value_kind:     by_value
      - .offset:         8
        .size:           4
        .value_kind:     by_value
      - .offset:         16
        .size:           8
        .value_kind:     by_value
      - .address_space:  global
        .offset:         24
        .size:           8
        .value_kind:     global_buffer
      - .offset:         32
        .size:           8
        .value_kind:     by_value
      - .offset:         40
        .size:           8
        .value_kind:     by_value
      - .offset:         48
        .size:           8
        .value_kind:     by_value
      - .address_space:  global
        .offset:         56
        .size:           8
        .value_kind:     global_buffer
      - .offset:         64
        .size:           8
        .value_kind:     by_value
      - .offset:         72
        .size:           8
        .value_kind:     by_value
      - .offset:         80
        .size:           8
        .value_kind:     by_value
      - .offset:         88
        .size:           4
        .value_kind:     by_value
      - .offset:         96
        .size:           8
        .value_kind:     by_value
      - .address_space:  global
        .offset:         104
        .size:           8
        .value_kind:     global_buffer
      - .offset:         112
        .size:           8
        .value_kind:     by_value
      - .offset:         120
        .size:           8
        .value_kind:     by_value
      - .offset:         128
        .size:           8
        .value_kind:     by_value
      - .offset:         136
        .size:           4
        .value_kind:     by_value
    .group_segment_fixed_size: 256
    .kernarg_segment_align: 8
    .kernarg_segment_size: 140
    .language:       OpenCL C
    .language_version:
      - 2
      - 0
    .max_flat_workgroup_size: 1024
    .name:           _ZL32rocblas_gemvt_warp_reduce_kernelILb0ELi1024ElPKffKPfEviiT3_lPKT2_lT1_lS7_lS8_lS4_lPT4_lS8_li
    .private_segment_fixed_size: 0
    .sgpr_count:     38
    .sgpr_spill_count: 0
    .symbol:         _ZL32rocblas_gemvt_warp_reduce_kernelILb0ELi1024ElPKffKPfEviiT3_lPKT2_lT1_lS7_lS8_lS4_lPT4_lS8_li.kd
    .uniform_work_group_size: 1
    .uses_dynamic_stack: false
    .vgpr_count:     11
    .vgpr_spill_count: 0
    .wavefront_size: 64
  - .agpr_count:     0
    .args:
      - .offset:         0
        .size:           4
        .value_kind:     by_value
      - .offset:         4
        .size:           4
        .value_kind:     by_value
      - .address_space:  global
        .offset:         8
        .size:           8
        .value_kind:     global_buffer
      - .offset:         16
        .size:           8
        .value_kind:     by_value
      - .address_space:  global
        .offset:         24
        .size:           8
        .value_kind:     global_buffer
      - .offset:         32
        .size:           8
        .value_kind:     by_value
      - .offset:         40
        .size:           4
        .value_kind:     by_value
      - .offset:         48
        .size:           8
        .value_kind:     by_value
      - .address_space:  global
        .offset:         56
        .size:           8
        .value_kind:     global_buffer
      - .offset:         64
        .size:           8
        .value_kind:     by_value
      - .offset:         72
        .size:           4
        .value_kind:     by_value
      - .offset:         80
        .size:           8
        .value_kind:     by_value
      - .address_space:  global
        .offset:         88
        .size:           8
        .value_kind:     global_buffer
      - .offset:         96
        .size:           8
        .value_kind:     by_value
      - .address_space:  global
        .offset:         104
        .size:           8
        .value_kind:     global_buffer
      - .offset:         112
        .size:           8
        .value_kind:     by_value
      - .offset:         120
        .size:           4
        .value_kind:     by_value
      - .offset:         128
        .size:           8
        .value_kind:     by_value
    .group_segment_fixed_size: 256
    .kernarg_segment_align: 8
    .kernarg_segment_size: 136
    .language:       OpenCL C
    .language_version:
      - 2
      - 0
    .max_flat_workgroup_size: 256
    .name:           _ZL22rocblas_gemvtsm_kernelILb1ELi256EPKfS1_KPfEviiT2_lPKT1_lilS7_lilS4_lPT3_lil
    .private_segment_fixed_size: 0
    .sgpr_count:     32
    .sgpr_spill_count: 0
    .symbol:         _ZL22rocblas_gemvtsm_kernelILb1ELi256EPKfS1_KPfEviiT2_lPKT1_lilS7_lilS4_lPT3_lil.kd
    .uniform_work_group_size: 1
    .uses_dynamic_stack: false
    .vgpr_count:     24
    .vgpr_spill_count: 0
    .wavefront_size: 64
  - .agpr_count:     0
    .args:
      - .offset:         0
        .size:           4
        .value_kind:     by_value
      - .offset:         4
        .size:           4
        .value_kind:     by_value
      - .offset:         8
        .size:           4
        .value_kind:     by_value
      - .offset:         16
        .size:           8
        .value_kind:     by_value
      - .address_space:  global
        .offset:         24
        .size:           8
        .value_kind:     global_buffer
      - .offset:         32
        .size:           8
        .value_kind:     by_value
      - .offset:         40
        .size:           4
        .value_kind:     by_value
      - .offset:         48
        .size:           8
        .value_kind:     by_value
      - .address_space:  global
        .offset:         56
        .size:           8
        .value_kind:     global_buffer
      - .offset:         64
        .size:           8
        .value_kind:     by_value
      - .offset:         72
        .size:           4
        .value_kind:     by_value
      - .offset:         80
        .size:           8
        .value_kind:     by_value
      - .offset:         88
        .size:           4
        .value_kind:     by_value
      - .offset:         96
        .size:           8
        .value_kind:     by_value
      - .address_space:  global
        .offset:         104
        .size:           8
        .value_kind:     global_buffer
      - .offset:         112
        .size:           8
        .value_kind:     by_value
      - .offset:         120
        .size:           4
        .value_kind:     by_value
      - .offset:         128
        .size:           8
        .value_kind:     by_value
    .group_segment_fixed_size: 256
    .kernarg_segment_align: 8
    .kernarg_segment_size: 136
    .language:       OpenCL C
    .language_version:
      - 2
      - 0
    .max_flat_workgroup_size: 256
    .name:           _ZL22rocblas_gemvtsm_kernelILb1ELi256EPKffKPfEviiT2_lPKT1_lilS7_lilS4_lPT3_lil
    .private_segment_fixed_size: 0
    .sgpr_count:     32
    .sgpr_spill_count: 0
    .symbol:         _ZL22rocblas_gemvtsm_kernelILb1ELi256EPKffKPfEviiT2_lPKT1_lilS7_lilS4_lPT3_lil.kd
    .uniform_work_group_size: 1
    .uses_dynamic_stack: false
    .vgpr_count:     24
    .vgpr_spill_count: 0
    .wavefront_size: 64
  - .agpr_count:     0
    .args:
      - .offset:         0
        .size:           4
        .value_kind:     by_value
      - .offset:         4
        .size:           4
        .value_kind:     by_value
      - .address_space:  global
        .offset:         8
        .size:           8
        .value_kind:     global_buffer
      - .offset:         16
        .size:           8
        .value_kind:     by_value
      - .address_space:  global
        .offset:         24
        .size:           8
        .value_kind:     global_buffer
      - .offset:         32
        .size:           8
        .value_kind:     by_value
      - .offset:         40
        .size:           4
        .value_kind:     by_value
      - .offset:         48
        .size:           8
        .value_kind:     by_value
      - .address_space:  global
        .offset:         56
        .size:           8
        .value_kind:     global_buffer
      - .offset:         64
        .size:           8
        .value_kind:     by_value
      - .offset:         72
        .size:           4
        .value_kind:     by_value
      - .offset:         80
        .size:           8
        .value_kind:     by_value
      - .address_space:  global
        .offset:         88
        .size:           8
        .value_kind:     global_buffer
      - .offset:         96
        .size:           4
        .value_kind:     by_value
      - .offset:         104
        .size:           4
        .value_kind:     hidden_block_count_x
      - .offset:         108
        .size:           4
        .value_kind:     hidden_block_count_y
      - .offset:         112
        .size:           4
        .value_kind:     hidden_block_count_z
      - .offset:         116
        .size:           2
        .value_kind:     hidden_group_size_x
      - .offset:         118
        .size:           2
        .value_kind:     hidden_group_size_y
      - .offset:         120
        .size:           2
        .value_kind:     hidden_group_size_z
      - .offset:         122
        .size:           2
        .value_kind:     hidden_remainder_x
      - .offset:         124
        .size:           2
        .value_kind:     hidden_remainder_y
      - .offset:         126
        .size:           2
        .value_kind:     hidden_remainder_z
      - .offset:         144
        .size:           8
        .value_kind:     hidden_global_offset_x
      - .offset:         152
        .size:           8
        .value_kind:     hidden_global_offset_y
      - .offset:         160
        .size:           8
        .value_kind:     hidden_global_offset_z
      - .offset:         168
        .size:           2
        .value_kind:     hidden_grid_dims
    .group_segment_fixed_size: 256
    .kernarg_segment_align: 8
    .kernarg_segment_size: 360
    .language:       OpenCL C
    .language_version:
      - 2
      - 0
    .max_flat_workgroup_size: 256
    .name:           _ZL23rocblas_gemvt_sn_kernelILb1ELi256ELi4EiPKfS1_fEviiT4_lPKT3_lilS5_lilPT5_i
    .private_segment_fixed_size: 0
    .sgpr_count:     60
    .sgpr_spill_count: 0
    .symbol:         _ZL23rocblas_gemvt_sn_kernelILb1ELi256ELi4EiPKfS1_fEviiT4_lPKT3_lilS5_lilPT5_i.kd
    .uniform_work_group_size: 1
    .uses_dynamic_stack: false
    .vgpr_count:     50
    .vgpr_spill_count: 0
    .wavefront_size: 64
  - .agpr_count:     0
    .args:
      - .offset:         0
        .size:           4
        .value_kind:     by_value
      - .offset:         4
        .size:           4
        .value_kind:     by_value
      - .address_space:  global
        .offset:         8
        .size:           8
        .value_kind:     global_buffer
      - .offset:         16
        .size:           8
        .value_kind:     by_value
      - .address_space:  global
        .offset:         24
        .size:           8
        .value_kind:     global_buffer
      - .offset:         32
        .size:           8
        .value_kind:     by_value
      - .offset:         40
        .size:           4
        .value_kind:     by_value
      - .offset:         48
        .size:           8
        .value_kind:     by_value
      - .address_space:  global
        .offset:         56
        .size:           8
        .value_kind:     global_buffer
      - .offset:         64
        .size:           8
        .value_kind:     by_value
      - .offset:         72
        .size:           4
        .value_kind:     by_value
      - .offset:         80
        .size:           8
        .value_kind:     by_value
      - .address_space:  global
        .offset:         88
        .size:           8
        .value_kind:     global_buffer
      - .offset:         96
        .size:           4
        .value_kind:     by_value
      - .offset:         104
        .size:           4
        .value_kind:     hidden_block_count_x
      - .offset:         108
        .size:           4
        .value_kind:     hidden_block_count_y
      - .offset:         112
        .size:           4
        .value_kind:     hidden_block_count_z
      - .offset:         116
        .size:           2
        .value_kind:     hidden_group_size_x
      - .offset:         118
        .size:           2
        .value_kind:     hidden_group_size_y
      - .offset:         120
        .size:           2
        .value_kind:     hidden_group_size_z
      - .offset:         122
        .size:           2
        .value_kind:     hidden_remainder_x
      - .offset:         124
        .size:           2
        .value_kind:     hidden_remainder_y
      - .offset:         126
        .size:           2
        .value_kind:     hidden_remainder_z
      - .offset:         144
        .size:           8
        .value_kind:     hidden_global_offset_x
      - .offset:         152
        .size:           8
        .value_kind:     hidden_global_offset_y
      - .offset:         160
        .size:           8
        .value_kind:     hidden_global_offset_z
      - .offset:         168
        .size:           2
        .value_kind:     hidden_grid_dims
    .group_segment_fixed_size: 256
    .kernarg_segment_align: 8
    .kernarg_segment_size: 360
    .language:       OpenCL C
    .language_version:
      - 2
      - 0
    .max_flat_workgroup_size: 256
    .name:           _ZL23rocblas_gemvt_sn_kernelILb1ELi256ELi4ElPKfS1_fEviiT4_lPKT3_lilS5_lilPT5_i
    .private_segment_fixed_size: 0
    .sgpr_count:     65
    .sgpr_spill_count: 0
    .symbol:         _ZL23rocblas_gemvt_sn_kernelILb1ELi256ELi4ElPKfS1_fEviiT4_lPKT3_lilS5_lilPT5_i.kd
    .uniform_work_group_size: 1
    .uses_dynamic_stack: false
    .vgpr_count:     56
    .vgpr_spill_count: 0
    .wavefront_size: 64
  - .agpr_count:     0
    .args:
      - .offset:         0
        .size:           4
        .value_kind:     by_value
      - .offset:         4
        .size:           4
        .value_kind:     by_value
      - .offset:         8
        .size:           4
        .value_kind:     by_value
      - .offset:         16
        .size:           8
        .value_kind:     by_value
      - .address_space:  global
        .offset:         24
        .size:           8
        .value_kind:     global_buffer
      - .offset:         32
        .size:           8
        .value_kind:     by_value
      - .offset:         40
        .size:           4
        .value_kind:     by_value
      - .offset:         48
        .size:           8
        .value_kind:     by_value
      - .address_space:  global
        .offset:         56
        .size:           8
        .value_kind:     global_buffer
      - .offset:         64
        .size:           8
        .value_kind:     by_value
      - .offset:         72
        .size:           4
        .value_kind:     by_value
      - .offset:         80
        .size:           8
        .value_kind:     by_value
      - .address_space:  global
        .offset:         88
        .size:           8
        .value_kind:     global_buffer
      - .offset:         96
        .size:           4
        .value_kind:     by_value
      - .offset:         104
        .size:           4
        .value_kind:     hidden_block_count_x
      - .offset:         108
        .size:           4
        .value_kind:     hidden_block_count_y
      - .offset:         112
        .size:           4
        .value_kind:     hidden_block_count_z
      - .offset:         116
        .size:           2
        .value_kind:     hidden_group_size_x
      - .offset:         118
        .size:           2
        .value_kind:     hidden_group_size_y
      - .offset:         120
        .size:           2
        .value_kind:     hidden_group_size_z
      - .offset:         122
        .size:           2
        .value_kind:     hidden_remainder_x
      - .offset:         124
        .size:           2
        .value_kind:     hidden_remainder_y
      - .offset:         126
        .size:           2
        .value_kind:     hidden_remainder_z
      - .offset:         144
        .size:           8
        .value_kind:     hidden_global_offset_x
      - .offset:         152
        .size:           8
        .value_kind:     hidden_global_offset_y
      - .offset:         160
        .size:           8
        .value_kind:     hidden_global_offset_z
      - .offset:         168
        .size:           2
        .value_kind:     hidden_grid_dims
    .group_segment_fixed_size: 256
    .kernarg_segment_align: 8
    .kernarg_segment_size: 360
    .language:       OpenCL C
    .language_version:
      - 2
      - 0
    .max_flat_workgroup_size: 256
    .name:           _ZL23rocblas_gemvt_sn_kernelILb1ELi256ELi4EiPKfffEviiT4_lPKT3_lilS5_lilPT5_i
    .private_segment_fixed_size: 0
    .sgpr_count:     60
    .sgpr_spill_count: 0
    .symbol:         _ZL23rocblas_gemvt_sn_kernelILb1ELi256ELi4EiPKfffEviiT4_lPKT3_lilS5_lilPT5_i.kd
    .uniform_work_group_size: 1
    .uses_dynamic_stack: false
    .vgpr_count:     50
    .vgpr_spill_count: 0
    .wavefront_size: 64
  - .agpr_count:     0
    .args:
      - .offset:         0
        .size:           4
        .value_kind:     by_value
      - .offset:         4
        .size:           4
        .value_kind:     by_value
      - .offset:         8
        .size:           4
        .value_kind:     by_value
      - .offset:         16
        .size:           8
        .value_kind:     by_value
      - .address_space:  global
        .offset:         24
        .size:           8
        .value_kind:     global_buffer
      - .offset:         32
        .size:           8
        .value_kind:     by_value
      - .offset:         40
        .size:           4
        .value_kind:     by_value
      - .offset:         48
        .size:           8
        .value_kind:     by_value
      - .address_space:  global
        .offset:         56
        .size:           8
        .value_kind:     global_buffer
      - .offset:         64
        .size:           8
        .value_kind:     by_value
      - .offset:         72
        .size:           4
        .value_kind:     by_value
      - .offset:         80
        .size:           8
        .value_kind:     by_value
      - .address_space:  global
        .offset:         88
        .size:           8
        .value_kind:     global_buffer
      - .offset:         96
        .size:           4
        .value_kind:     by_value
      - .offset:         104
        .size:           4
        .value_kind:     hidden_block_count_x
      - .offset:         108
        .size:           4
        .value_kind:     hidden_block_count_y
      - .offset:         112
        .size:           4
        .value_kind:     hidden_block_count_z
      - .offset:         116
        .size:           2
        .value_kind:     hidden_group_size_x
      - .offset:         118
        .size:           2
        .value_kind:     hidden_group_size_y
      - .offset:         120
        .size:           2
        .value_kind:     hidden_group_size_z
      - .offset:         122
        .size:           2
        .value_kind:     hidden_remainder_x
      - .offset:         124
        .size:           2
        .value_kind:     hidden_remainder_y
      - .offset:         126
        .size:           2
        .value_kind:     hidden_remainder_z
      - .offset:         144
        .size:           8
        .value_kind:     hidden_global_offset_x
      - .offset:         152
        .size:           8
        .value_kind:     hidden_global_offset_y
      - .offset:         160
        .size:           8
        .value_kind:     hidden_global_offset_z
      - .offset:         168
        .size:           2
        .value_kind:     hidden_grid_dims
    .group_segment_fixed_size: 256
    .kernarg_segment_align: 8
    .kernarg_segment_size: 360
    .language:       OpenCL C
    .language_version:
      - 2
      - 0
    .max_flat_workgroup_size: 256
    .name:           _ZL23rocblas_gemvt_sn_kernelILb1ELi256ELi4ElPKfffEviiT4_lPKT3_lilS5_lilPT5_i
    .private_segment_fixed_size: 0
    .sgpr_count:     65
    .sgpr_spill_count: 0
    .symbol:         _ZL23rocblas_gemvt_sn_kernelILb1ELi256ELi4ElPKfffEviiT4_lPKT3_lilS5_lilPT5_i.kd
    .uniform_work_group_size: 1
    .uses_dynamic_stack: false
    .vgpr_count:     56
    .vgpr_spill_count: 0
    .wavefront_size: 64
  - .agpr_count:     0
    .args:
      - .offset:         0
        .size:           4
        .value_kind:     by_value
      - .offset:         4
        .size:           4
        .value_kind:     by_value
      - .address_space:  global
        .offset:         8
        .size:           8
        .value_kind:     global_buffer
      - .offset:         16
        .size:           8
        .value_kind:     by_value
      - .address_space:  global
        .offset:         24
        .size:           8
        .value_kind:     global_buffer
      - .offset:         32
        .size:           8
        .value_kind:     by_value
      - .offset:         40
        .size:           4
        .value_kind:     by_value
      - .offset:         48
        .size:           8
        .value_kind:     by_value
      - .address_space:  global
        .offset:         56
        .size:           8
        .value_kind:     global_buffer
      - .offset:         64
        .size:           8
        .value_kind:     by_value
      - .offset:         72
        .size:           4
        .value_kind:     by_value
      - .offset:         80
        .size:           8
        .value_kind:     by_value
      - .address_space:  global
        .offset:         88
        .size:           8
        .value_kind:     global_buffer
      - .offset:         96
        .size:           8
        .value_kind:     by_value
      - .offset:         104
        .size:           4
        .value_kind:     by_value
      - .offset:         112
        .size:           8
        .value_kind:     by_value
      - .offset:         120
        .size:           4
        .value_kind:     by_value
      - .offset:         128
        .size:           4
        .value_kind:     hidden_block_count_x
      - .offset:         132
        .size:           4
        .value_kind:     hidden_block_count_y
      - .offset:         136
        .size:           4
        .value_kind:     hidden_block_count_z
      - .offset:         140
        .size:           2
        .value_kind:     hidden_group_size_x
      - .offset:         142
        .size:           2
        .value_kind:     hidden_group_size_y
      - .offset:         144
        .size:           2
        .value_kind:     hidden_group_size_z
      - .offset:         146
        .size:           2
        .value_kind:     hidden_remainder_x
      - .offset:         148
        .size:           2
        .value_kind:     hidden_remainder_y
      - .offset:         150
        .size:           2
        .value_kind:     hidden_remainder_z
      - .offset:         168
        .size:           8
        .value_kind:     hidden_global_offset_x
      - .offset:         176
        .size:           8
        .value_kind:     hidden_global_offset_y
      - .offset:         184
        .size:           8
        .value_kind:     hidden_global_offset_z
      - .offset:         192
        .size:           2
        .value_kind:     hidden_grid_dims
    .group_segment_fixed_size: 32768
    .kernarg_segment_align: 8
    .kernarg_segment_size: 384
    .language:       OpenCL C
    .language_version:
      - 2
      - 0
    .max_flat_workgroup_size: 1024
    .name:           _ZL36rocblas_gemvt_double_buffered_kernelILb1ELi128ELi8ELi8EPKfS1_KPfEviiT4_lPKT3_lilS7_lilPT5_lili
    .private_segment_fixed_size: 0
    .sgpr_count:     38
    .sgpr_spill_count: 0
    .symbol:         _ZL36rocblas_gemvt_double_buffered_kernelILb1ELi128ELi8ELi8EPKfS1_KPfEviiT4_lPKT3_lilS7_lilPT5_lili.kd
    .uniform_work_group_size: 1
    .uses_dynamic_stack: false
    .vgpr_count:     64
    .vgpr_spill_count: 0
    .wavefront_size: 64
  - .agpr_count:     0
    .args:
      - .offset:         0
        .size:           4
        .value_kind:     by_value
      - .offset:         4
        .size:           4
        .value_kind:     by_value
      - .offset:         8
        .size:           4
        .value_kind:     by_value
      - .offset:         16
        .size:           8
        .value_kind:     by_value
      - .address_space:  global
        .offset:         24
        .size:           8
        .value_kind:     global_buffer
      - .offset:         32
        .size:           8
        .value_kind:     by_value
      - .offset:         40
        .size:           4
        .value_kind:     by_value
      - .offset:         48
        .size:           8
        .value_kind:     by_value
      - .address_space:  global
        .offset:         56
        .size:           8
        .value_kind:     global_buffer
      - .offset:         64
        .size:           8
        .value_kind:     by_value
      - .offset:         72
        .size:           4
        .value_kind:     by_value
      - .offset:         80
        .size:           8
        .value_kind:     by_value
      - .address_space:  global
        .offset:         88
        .size:           8
        .value_kind:     global_buffer
      - .offset:         96
        .size:           8
        .value_kind:     by_value
      - .offset:         104
        .size:           4
        .value_kind:     by_value
      - .offset:         112
        .size:           8
        .value_kind:     by_value
      - .offset:         120
        .size:           4
        .value_kind:     by_value
      - .offset:         128
        .size:           4
        .value_kind:     hidden_block_count_x
      - .offset:         132
        .size:           4
        .value_kind:     hidden_block_count_y
      - .offset:         136
        .size:           4
        .value_kind:     hidden_block_count_z
      - .offset:         140
        .size:           2
        .value_kind:     hidden_group_size_x
      - .offset:         142
        .size:           2
        .value_kind:     hidden_group_size_y
      - .offset:         144
        .size:           2
        .value_kind:     hidden_group_size_z
      - .offset:         146
        .size:           2
        .value_kind:     hidden_remainder_x
      - .offset:         148
        .size:           2
        .value_kind:     hidden_remainder_y
      - .offset:         150
        .size:           2
        .value_kind:     hidden_remainder_z
      - .offset:         168
        .size:           8
        .value_kind:     hidden_global_offset_x
      - .offset:         176
        .size:           8
        .value_kind:     hidden_global_offset_y
      - .offset:         184
        .size:           8
        .value_kind:     hidden_global_offset_z
      - .offset:         192
        .size:           2
        .value_kind:     hidden_grid_dims
    .group_segment_fixed_size: 32768
    .kernarg_segment_align: 8
    .kernarg_segment_size: 384
    .language:       OpenCL C
    .language_version:
      - 2
      - 0
    .max_flat_workgroup_size: 1024
    .name:           _ZL36rocblas_gemvt_double_buffered_kernelILb1ELi128ELi8ELi8EPKffKPfEviiT4_lPKT3_lilS7_lilPT5_lili
    .private_segment_fixed_size: 0
    .sgpr_count:     38
    .sgpr_spill_count: 0
    .symbol:         _ZL36rocblas_gemvt_double_buffered_kernelILb1ELi128ELi8ELi8EPKffKPfEviiT4_lPKT3_lilS7_lilPT5_lili.kd
    .uniform_work_group_size: 1
    .uses_dynamic_stack: false
    .vgpr_count:     64
    .vgpr_spill_count: 0
    .wavefront_size: 64
  - .agpr_count:     0
    .args:
      - .offset:         0
        .size:           4
        .value_kind:     by_value
      - .offset:         4
        .size:           4
        .value_kind:     by_value
      - .address_space:  global
        .offset:         8
        .size:           8
        .value_kind:     global_buffer
      - .offset:         16
        .size:           8
        .value_kind:     by_value
      - .address_space:  global
        .offset:         24
        .size:           8
        .value_kind:     global_buffer
      - .offset:         32
        .size:           8
        .value_kind:     by_value
      - .offset:         40
        .size:           4
        .value_kind:     by_value
      - .offset:         48
        .size:           8
        .value_kind:     by_value
      - .address_space:  global
        .offset:         56
        .size:           8
        .value_kind:     global_buffer
      - .offset:         64
        .size:           8
        .value_kind:     by_value
      - .offset:         72
        .size:           4
        .value_kind:     by_value
      - .offset:         80
        .size:           8
        .value_kind:     by_value
      - .address_space:  global
        .offset:         88
        .size:           8
        .value_kind:     global_buffer
      - .offset:         96
        .size:           8
        .value_kind:     by_value
      - .address_space:  global
        .offset:         104
        .size:           8
        .value_kind:     global_buffer
      - .offset:         112
        .size:           8
        .value_kind:     by_value
      - .offset:         120
        .size:           4
        .value_kind:     by_value
      - .offset:         128
        .size:           8
        .value_kind:     by_value
      - .offset:         136
        .size:           4
        .value_kind:     by_value
    .group_segment_fixed_size: 1024
    .kernarg_segment_align: 8
    .kernarg_segment_size: 140
    .language:       OpenCL C
    .language_version:
      - 2
      - 0
    .max_flat_workgroup_size: 256
    .name:           _ZL20rocblas_gemvt_kernelILb1ELi256EPKfS1_KPfEviiT2_lPKT1_lilS7_lilS4_lPT3_lili
    .private_segment_fixed_size: 0
    .sgpr_count:     29
    .sgpr_spill_count: 0
    .symbol:         _ZL20rocblas_gemvt_kernelILb1ELi256EPKfS1_KPfEviiT2_lPKT1_lilS7_lilS4_lPT3_lili.kd
    .uniform_work_group_size: 1
    .uses_dynamic_stack: false
    .vgpr_count:     10
    .vgpr_spill_count: 0
    .wavefront_size: 64
  - .agpr_count:     0
    .args:
      - .offset:         0
        .size:           4
        .value_kind:     by_value
      - .offset:         4
        .size:           4
        .value_kind:     by_value
      - .offset:         8
        .size:           4
        .value_kind:     by_value
      - .offset:         16
        .size:           8
        .value_kind:     by_value
      - .address_space:  global
        .offset:         24
        .size:           8
        .value_kind:     global_buffer
      - .offset:         32
        .size:           8
        .value_kind:     by_value
      - .offset:         40
        .size:           4
        .value_kind:     by_value
      - .offset:         48
        .size:           8
        .value_kind:     by_value
      - .address_space:  global
        .offset:         56
        .size:           8
        .value_kind:     global_buffer
      - .offset:         64
        .size:           8
        .value_kind:     by_value
      - .offset:         72
        .size:           4
        .value_kind:     by_value
      - .offset:         80
        .size:           8
        .value_kind:     by_value
      - .offset:         88
        .size:           4
        .value_kind:     by_value
      - .offset:         96
        .size:           8
        .value_kind:     by_value
      - .address_space:  global
        .offset:         104
        .size:           8
        .value_kind:     global_buffer
      - .offset:         112
        .size:           8
        .value_kind:     by_value
      - .offset:         120
        .size:           4
        .value_kind:     by_value
      - .offset:         128
        .size:           8
        .value_kind:     by_value
      - .offset:         136
        .size:           4
        .value_kind:     by_value
    .group_segment_fixed_size: 1024
    .kernarg_segment_align: 8
    .kernarg_segment_size: 140
    .language:       OpenCL C
    .language_version:
      - 2
      - 0
    .max_flat_workgroup_size: 256
    .name:           _ZL20rocblas_gemvt_kernelILb1ELi256EPKffKPfEviiT2_lPKT1_lilS7_lilS4_lPT3_lili
    .private_segment_fixed_size: 0
    .sgpr_count:     34
    .sgpr_spill_count: 0
    .symbol:         _ZL20rocblas_gemvt_kernelILb1ELi256EPKffKPfEviiT2_lPKT1_lilS7_lilS4_lPT3_lili.kd
    .uniform_work_group_size: 1
    .uses_dynamic_stack: false
    .vgpr_count:     10
    .vgpr_spill_count: 0
    .wavefront_size: 64
  - .agpr_count:     0
    .args:
      - .offset:         0
        .size:           4
        .value_kind:     by_value
      - .offset:         4
        .size:           4
        .value_kind:     by_value
      - .address_space:  global
        .offset:         8
        .size:           8
        .value_kind:     global_buffer
      - .offset:         16
        .size:           8
        .value_kind:     by_value
      - .address_space:  global
        .offset:         24
        .size:           8
        .value_kind:     global_buffer
      - .offset:         32
        .size:           8
        .value_kind:     by_value
      - .offset:         40
        .size:           4
        .value_kind:     by_value
      - .offset:         48
        .size:           8
        .value_kind:     by_value
      - .address_space:  global
        .offset:         56
        .size:           8
        .value_kind:     global_buffer
      - .offset:         64
        .size:           8
        .value_kind:     by_value
      - .offset:         72
        .size:           4
        .value_kind:     by_value
      - .offset:         80
        .size:           8
        .value_kind:     by_value
      - .address_space:  global
        .offset:         88
        .size:           8
        .value_kind:     global_buffer
      - .offset:         96
        .size:           8
        .value_kind:     by_value
      - .address_space:  global
        .offset:         104
        .size:           8
        .value_kind:     global_buffer
      - .offset:         112
        .size:           8
        .value_kind:     by_value
      - .offset:         120
        .size:           4
        .value_kind:     by_value
      - .offset:         128
        .size:           8
        .value_kind:     by_value
      - .offset:         136
        .size:           4
        .value_kind:     by_value
    .group_segment_fixed_size: 256
    .kernarg_segment_align: 8
    .kernarg_segment_size: 140
    .language:       OpenCL C
    .language_version:
      - 2
      - 0
    .max_flat_workgroup_size: 1024
    .name:           _ZL32rocblas_gemvt_warp_reduce_kernelILb1ELi1024EiPKfS1_KPfEviiT3_lPKT2_lT1_lS7_lS8_lS4_lPT4_lS8_li
    .private_segment_fixed_size: 0
    .sgpr_count:     29
    .sgpr_spill_count: 0
    .symbol:         _ZL32rocblas_gemvt_warp_reduce_kernelILb1ELi1024EiPKfS1_KPfEviiT3_lPKT2_lT1_lS7_lS8_lS4_lPT4_lS8_li.kd
    .uniform_work_group_size: 1
    .uses_dynamic_stack: false
    .vgpr_count:     12
    .vgpr_spill_count: 0
    .wavefront_size: 64
  - .agpr_count:     0
    .args:
      - .offset:         0
        .size:           4
        .value_kind:     by_value
      - .offset:         4
        .size:           4
        .value_kind:     by_value
      - .address_space:  global
        .offset:         8
        .size:           8
        .value_kind:     global_buffer
      - .offset:         16
        .size:           8
        .value_kind:     by_value
      - .address_space:  global
        .offset:         24
        .size:           8
        .value_kind:     global_buffer
      - .offset:         32
        .size:           8
        .value_kind:     by_value
      - .offset:         40
        .size:           8
        .value_kind:     by_value
      - .offset:         48
        .size:           8
        .value_kind:     by_value
      - .address_space:  global
        .offset:         56
        .size:           8
        .value_kind:     global_buffer
      - .offset:         64
        .size:           8
        .value_kind:     by_value
      - .offset:         72
        .size:           8
        .value_kind:     by_value
      - .offset:         80
        .size:           8
        .value_kind:     by_value
      - .address_space:  global
        .offset:         88
        .size:           8
        .value_kind:     global_buffer
      - .offset:         96
        .size:           8
        .value_kind:     by_value
      - .address_space:  global
        .offset:         104
        .size:           8
        .value_kind:     global_buffer
      - .offset:         112
        .size:           8
        .value_kind:     by_value
      - .offset:         120
        .size:           8
        .value_kind:     by_value
      - .offset:         128
        .size:           8
        .value_kind:     by_value
      - .offset:         136
        .size:           4
        .value_kind:     by_value
    .group_segment_fixed_size: 256
    .kernarg_segment_align: 8
    .kernarg_segment_size: 140
    .language:       OpenCL C
    .language_version:
      - 2
      - 0
    .max_flat_workgroup_size: 1024
    .name:           _ZL32rocblas_gemvt_warp_reduce_kernelILb1ELi1024ElPKfS1_KPfEviiT3_lPKT2_lT1_lS7_lS8_lS4_lPT4_lS8_li
    .private_segment_fixed_size: 0
    .sgpr_count:     37
    .sgpr_spill_count: 0
    .symbol:         _ZL32rocblas_gemvt_warp_reduce_kernelILb1ELi1024ElPKfS1_KPfEviiT3_lPKT2_lT1_lS7_lS8_lS4_lPT4_lS8_li.kd
    .uniform_work_group_size: 1
    .uses_dynamic_stack: false
    .vgpr_count:     11
    .vgpr_spill_count: 0
    .wavefront_size: 64
  - .agpr_count:     0
    .args:
      - .offset:         0
        .size:           4
        .value_kind:     by_value
      - .offset:         4
        .size:           4
        .value_kind:     by_value
      - .offset:         8
        .size:           4
        .value_kind:     by_value
      - .offset:         16
        .size:           8
        .value_kind:     by_value
      - .address_space:  global
        .offset:         24
        .size:           8
        .value_kind:     global_buffer
      - .offset:         32
        .size:           8
        .value_kind:     by_value
      - .offset:         40
        .size:           4
        .value_kind:     by_value
      - .offset:         48
        .size:           8
        .value_kind:     by_value
      - .address_space:  global
        .offset:         56
        .size:           8
        .value_kind:     global_buffer
      - .offset:         64
        .size:           8
        .value_kind:     by_value
      - .offset:         72
        .size:           4
        .value_kind:     by_value
      - .offset:         80
        .size:           8
        .value_kind:     by_value
      - .offset:         88
        .size:           4
        .value_kind:     by_value
      - .offset:         96
        .size:           8
        .value_kind:     by_value
      - .address_space:  global
        .offset:         104
        .size:           8
        .value_kind:     global_buffer
      - .offset:         112
        .size:           8
        .value_kind:     by_value
      - .offset:         120
        .size:           4
        .value_kind:     by_value
      - .offset:         128
        .size:           8
        .value_kind:     by_value
      - .offset:         136
        .size:           4
        .value_kind:     by_value
    .group_segment_fixed_size: 256
    .kernarg_segment_align: 8
    .kernarg_segment_size: 140
    .language:       OpenCL C
    .language_version:
      - 2
      - 0
    .max_flat_workgroup_size: 1024
    .name:           _ZL32rocblas_gemvt_warp_reduce_kernelILb1ELi1024EiPKffKPfEviiT3_lPKT2_lT1_lS7_lS8_lS4_lPT4_lS8_li
    .private_segment_fixed_size: 0
    .sgpr_count:     34
    .sgpr_spill_count: 0
    .symbol:         _ZL32rocblas_gemvt_warp_reduce_kernelILb1ELi1024EiPKffKPfEviiT3_lPKT2_lT1_lS7_lS8_lS4_lPT4_lS8_li.kd
    .uniform_work_group_size: 1
    .uses_dynamic_stack: false
    .vgpr_count:     12
    .vgpr_spill_count: 0
    .wavefront_size: 64
  - .agpr_count:     0
    .args:
      - .offset:         0
        .size:           4
        .value_kind:     by_value
      - .offset:         4
        .size:           4
        .value_kind:     by_value
      - .offset:         8
        .size:           4
        .value_kind:     by_value
      - .offset:         16
        .size:           8
        .value_kind:     by_value
      - .address_space:  global
        .offset:         24
        .size:           8
        .value_kind:     global_buffer
      - .offset:         32
        .size:           8
        .value_kind:     by_value
      - .offset:         40
        .size:           8
        .value_kind:     by_value
      - .offset:         48
        .size:           8
        .value_kind:     by_value
      - .address_space:  global
        .offset:         56
        .size:           8
        .value_kind:     global_buffer
      - .offset:         64
        .size:           8
        .value_kind:     by_value
      - .offset:         72
        .size:           8
        .value_kind:     by_value
      - .offset:         80
        .size:           8
        .value_kind:     by_value
      - .offset:         88
        .size:           4
        .value_kind:     by_value
      - .offset:         96
        .size:           8
        .value_kind:     by_value
      - .address_space:  global
        .offset:         104
        .size:           8
        .value_kind:     global_buffer
      - .offset:         112
        .size:           8
        .value_kind:     by_value
      - .offset:         120
        .size:           8
        .value_kind:     by_value
      - .offset:         128
        .size:           8
        .value_kind:     by_value
      - .offset:         136
        .size:           4
        .value_kind:     by_value
    .group_segment_fixed_size: 256
    .kernarg_segment_align: 8
    .kernarg_segment_size: 140
    .language:       OpenCL C
    .language_version:
      - 2
      - 0
    .max_flat_workgroup_size: 1024
    .name:           _ZL32rocblas_gemvt_warp_reduce_kernelILb1ELi1024ElPKffKPfEviiT3_lPKT2_lT1_lS7_lS8_lS4_lPT4_lS8_li
    .private_segment_fixed_size: 0
    .sgpr_count:     38
    .sgpr_spill_count: 0
    .symbol:         _ZL32rocblas_gemvt_warp_reduce_kernelILb1ELi1024ElPKffKPfEviiT3_lPKT2_lT1_lS7_lS8_lS4_lPT4_lS8_li.kd
    .uniform_work_group_size: 1
    .uses_dynamic_stack: false
    .vgpr_count:     11
    .vgpr_spill_count: 0
    .wavefront_size: 64
  - .agpr_count:     0
    .args:
      - .offset:         0
        .size:           4
        .value_kind:     by_value
      - .offset:         4
        .size:           4
        .value_kind:     by_value
      - .address_space:  global
        .offset:         8
        .size:           8
        .value_kind:     global_buffer
      - .offset:         16
        .size:           8
        .value_kind:     by_value
      - .address_space:  global
        .offset:         24
        .size:           8
        .value_kind:     global_buffer
      - .offset:         32
        .size:           8
        .value_kind:     by_value
      - .offset:         40
        .size:           4
        .value_kind:     by_value
      - .offset:         48
        .size:           8
        .value_kind:     by_value
      - .address_space:  global
        .offset:         56
        .size:           8
        .value_kind:     global_buffer
      - .offset:         64
        .size:           8
        .value_kind:     by_value
      - .offset:         72
        .size:           4
        .value_kind:     by_value
      - .offset:         80
        .size:           8
        .value_kind:     by_value
      - .address_space:  global
        .offset:         88
        .size:           8
        .value_kind:     global_buffer
      - .offset:         96
        .size:           8
        .value_kind:     by_value
      - .address_space:  global
        .offset:         104
        .size:           8
        .value_kind:     global_buffer
      - .offset:         112
        .size:           8
        .value_kind:     by_value
      - .offset:         120
        .size:           4
        .value_kind:     by_value
      - .offset:         128
        .size:           8
        .value_kind:     by_value
      - .offset:         136
        .size:           4
        .value_kind:     by_value
      - .offset:         144
        .size:           4
        .value_kind:     hidden_block_count_x
      - .offset:         148
        .size:           4
        .value_kind:     hidden_block_count_y
      - .offset:         152
        .size:           4
        .value_kind:     hidden_block_count_z
      - .offset:         156
        .size:           2
        .value_kind:     hidden_group_size_x
      - .offset:         158
        .size:           2
        .value_kind:     hidden_group_size_y
      - .offset:         160
        .size:           2
        .value_kind:     hidden_group_size_z
      - .offset:         162
        .size:           2
        .value_kind:     hidden_remainder_x
      - .offset:         164
        .size:           2
        .value_kind:     hidden_remainder_y
      - .offset:         166
        .size:           2
        .value_kind:     hidden_remainder_z
      - .offset:         184
        .size:           8
        .value_kind:     hidden_global_offset_x
      - .offset:         192
        .size:           8
        .value_kind:     hidden_global_offset_y
      - .offset:         200
        .size:           8
        .value_kind:     hidden_global_offset_z
      - .offset:         208
        .size:           2
        .value_kind:     hidden_grid_dims
    .group_segment_fixed_size: 6144
    .kernarg_segment_align: 8
    .kernarg_segment_size: 400
    .language:       OpenCL C
    .language_version:
      - 2
      - 0
    .max_flat_workgroup_size: 768
    .name:           _ZL34rocblas_gemvn_sm_mn_batched_kernelILi32ELi24EPKdS1_KPdEviiT2_lPKT1_lilS7_lilS4_lPT3_lili
    .private_segment_fixed_size: 0
    .sgpr_count:     76
    .sgpr_spill_count: 0
    .symbol:         _ZL34rocblas_gemvn_sm_mn_batched_kernelILi32ELi24EPKdS1_KPdEviiT2_lPKT1_lilS7_lilS4_lPT3_lili.kd
    .uniform_work_group_size: 1
    .uses_dynamic_stack: false
    .vgpr_count:     74
    .vgpr_spill_count: 0
    .wavefront_size: 64
  - .agpr_count:     0
    .args:
      - .offset:         0
        .size:           4
        .value_kind:     by_value
      - .offset:         4
        .size:           4
        .value_kind:     by_value
      - .offset:         8
        .size:           8
        .value_kind:     by_value
      - .offset:         16
        .size:           8
        .value_kind:     by_value
      - .address_space:  global
        .offset:         24
        .size:           8
        .value_kind:     global_buffer
      - .offset:         32
        .size:           8
        .value_kind:     by_value
      - .offset:         40
        .size:           4
        .value_kind:     by_value
      - .offset:         48
        .size:           8
        .value_kind:     by_value
      - .address_space:  global
        .offset:         56
        .size:           8
        .value_kind:     global_buffer
      - .offset:         64
        .size:           8
        .value_kind:     by_value
      - .offset:         72
        .size:           4
        .value_kind:     by_value
      - .offset:         80
        .size:           8
        .value_kind:     by_value
      - .offset:         88
        .size:           8
        .value_kind:     by_value
      - .offset:         96
        .size:           8
        .value_kind:     by_value
      - .address_space:  global
        .offset:         104
        .size:           8
        .value_kind:     global_buffer
      - .offset:         112
        .size:           8
        .value_kind:     by_value
      - .offset:         120
        .size:           4
        .value_kind:     by_value
      - .offset:         128
        .size:           8
        .value_kind:     by_value
      - .offset:         136
        .size:           4
        .value_kind:     by_value
      - .offset:         144
        .size:           4
        .value_kind:     hidden_block_count_x
      - .offset:         148
        .size:           4
        .value_kind:     hidden_block_count_y
      - .offset:         152
        .size:           4
        .value_kind:     hidden_block_count_z
      - .offset:         156
        .size:           2
        .value_kind:     hidden_group_size_x
      - .offset:         158
        .size:           2
        .value_kind:     hidden_group_size_y
      - .offset:         160
        .size:           2
        .value_kind:     hidden_group_size_z
      - .offset:         162
        .size:           2
        .value_kind:     hidden_remainder_x
      - .offset:         164
        .size:           2
        .value_kind:     hidden_remainder_y
      - .offset:         166
        .size:           2
        .value_kind:     hidden_remainder_z
      - .offset:         184
        .size:           8
        .value_kind:     hidden_global_offset_x
      - .offset:         192
        .size:           8
        .value_kind:     hidden_global_offset_y
      - .offset:         200
        .size:           8
        .value_kind:     hidden_global_offset_z
      - .offset:         208
        .size:           2
        .value_kind:     hidden_grid_dims
    .group_segment_fixed_size: 6144
    .kernarg_segment_align: 8
    .kernarg_segment_size: 400
    .language:       OpenCL C
    .language_version:
      - 2
      - 0
    .max_flat_workgroup_size: 768
    .name:           _ZL34rocblas_gemvn_sm_mn_batched_kernelILi32ELi24EPKddKPdEviiT2_lPKT1_lilS7_lilS4_lPT3_lili
    .private_segment_fixed_size: 0
    .sgpr_count:     76
    .sgpr_spill_count: 0
    .symbol:         _ZL34rocblas_gemvn_sm_mn_batched_kernelILi32ELi24EPKddKPdEviiT2_lPKT1_lilS7_lilS4_lPT3_lili.kd
    .uniform_work_group_size: 1
    .uses_dynamic_stack: false
    .vgpr_count:     74
    .vgpr_spill_count: 0
    .wavefront_size: 64
  - .agpr_count:     0
    .args:
      - .offset:         0
        .size:           4
        .value_kind:     by_value
      - .offset:         4
        .size:           4
        .value_kind:     by_value
      - .address_space:  global
        .offset:         8
        .size:           8
        .value_kind:     global_buffer
      - .offset:         16
        .size:           8
        .value_kind:     by_value
      - .address_space:  global
        .offset:         24
        .size:           8
        .value_kind:     global_buffer
      - .offset:         32
        .size:           8
        .value_kind:     by_value
      - .offset:         40
        .size:           4
        .value_kind:     by_value
      - .offset:         48
        .size:           8
        .value_kind:     by_value
      - .address_space:  global
        .offset:         56
        .size:           8
        .value_kind:     global_buffer
      - .offset:         64
        .size:           8
        .value_kind:     by_value
      - .offset:         72
        .size:           4
        .value_kind:     by_value
      - .offset:         80
        .size:           8
        .value_kind:     by_value
      - .address_space:  global
        .offset:         88
        .size:           8
        .value_kind:     global_buffer
      - .offset:         96
        .size:           8
        .value_kind:     by_value
      - .address_space:  global
        .offset:         104
        .size:           8
        .value_kind:     global_buffer
      - .offset:         112
        .size:           8
        .value_kind:     by_value
      - .offset:         120
        .size:           4
        .value_kind:     by_value
      - .offset:         128
        .size:           8
        .value_kind:     by_value
      - .offset:         136
        .size:           4
        .value_kind:     by_value
      - .offset:         144
        .size:           4
        .value_kind:     hidden_block_count_x
      - .offset:         148
        .size:           4
        .value_kind:     hidden_block_count_y
      - .offset:         152
        .size:           4
        .value_kind:     hidden_block_count_z
      - .offset:         156
        .size:           2
        .value_kind:     hidden_group_size_x
      - .offset:         158
        .size:           2
        .value_kind:     hidden_group_size_y
      - .offset:         160
        .size:           2
        .value_kind:     hidden_group_size_z
      - .offset:         162
        .size:           2
        .value_kind:     hidden_remainder_x
      - .offset:         164
        .size:           2
        .value_kind:     hidden_remainder_y
      - .offset:         166
        .size:           2
        .value_kind:     hidden_remainder_z
      - .offset:         184
        .size:           8
        .value_kind:     hidden_global_offset_x
      - .offset:         192
        .size:           8
        .value_kind:     hidden_global_offset_y
      - .offset:         200
        .size:           8
        .value_kind:     hidden_global_offset_z
      - .offset:         208
        .size:           2
        .value_kind:     hidden_grid_dims
    .group_segment_fixed_size: 8192
    .kernarg_segment_align: 8
    .kernarg_segment_size: 400
    .language:       OpenCL C
    .language_version:
      - 2
      - 0
    .max_flat_workgroup_size: 256
    .name:           _ZL20rocblas_gemvn_kernelILi64ELi4EiPKdS1_KPdEviiT3_lPKT2_lT1_lS7_lS8_lS4_lPT4_lS8_li
    .private_segment_fixed_size: 0
    .sgpr_count:     47
    .sgpr_spill_count: 0
    .symbol:         _ZL20rocblas_gemvn_kernelILi64ELi4EiPKdS1_KPdEviiT3_lPKT2_lT1_lS7_lS8_lS4_lPT4_lS8_li.kd
    .uniform_work_group_size: 1
    .uses_dynamic_stack: false
    .vgpr_count:     70
    .vgpr_spill_count: 0
    .wavefront_size: 64
  - .agpr_count:     0
    .args:
      - .offset:         0
        .size:           4
        .value_kind:     by_value
      - .offset:         4
        .size:           4
        .value_kind:     by_value
      - .address_space:  global
        .offset:         8
        .size:           8
        .value_kind:     global_buffer
      - .offset:         16
        .size:           8
        .value_kind:     by_value
      - .address_space:  global
        .offset:         24
        .size:           8
        .value_kind:     global_buffer
      - .offset:         32
        .size:           8
        .value_kind:     by_value
      - .offset:         40
        .size:           8
        .value_kind:     by_value
      - .offset:         48
        .size:           8
        .value_kind:     by_value
      - .address_space:  global
        .offset:         56
        .size:           8
        .value_kind:     global_buffer
      - .offset:         64
        .size:           8
        .value_kind:     by_value
      - .offset:         72
        .size:           8
        .value_kind:     by_value
      - .offset:         80
        .size:           8
        .value_kind:     by_value
      - .address_space:  global
        .offset:         88
        .size:           8
        .value_kind:     global_buffer
      - .offset:         96
        .size:           8
        .value_kind:     by_value
      - .address_space:  global
        .offset:         104
        .size:           8
        .value_kind:     global_buffer
      - .offset:         112
        .size:           8
        .value_kind:     by_value
      - .offset:         120
        .size:           8
        .value_kind:     by_value
      - .offset:         128
        .size:           8
        .value_kind:     by_value
      - .offset:         136
        .size:           4
        .value_kind:     by_value
      - .offset:         144
        .size:           4
        .value_kind:     hidden_block_count_x
      - .offset:         148
        .size:           4
        .value_kind:     hidden_block_count_y
      - .offset:         152
        .size:           4
        .value_kind:     hidden_block_count_z
      - .offset:         156
        .size:           2
        .value_kind:     hidden_group_size_x
      - .offset:         158
        .size:           2
        .value_kind:     hidden_group_size_y
      - .offset:         160
        .size:           2
        .value_kind:     hidden_group_size_z
      - .offset:         162
        .size:           2
        .value_kind:     hidden_remainder_x
      - .offset:         164
        .size:           2
        .value_kind:     hidden_remainder_y
      - .offset:         166
        .size:           2
        .value_kind:     hidden_remainder_z
      - .offset:         184
        .size:           8
        .value_kind:     hidden_global_offset_x
      - .offset:         192
        .size:           8
        .value_kind:     hidden_global_offset_y
      - .offset:         200
        .size:           8
        .value_kind:     hidden_global_offset_z
      - .offset:         208
        .size:           2
        .value_kind:     hidden_grid_dims
    .group_segment_fixed_size: 8192
    .kernarg_segment_align: 8
    .kernarg_segment_size: 400
    .language:       OpenCL C
    .language_version:
      - 2
      - 0
    .max_flat_workgroup_size: 256
    .name:           _ZL20rocblas_gemvn_kernelILi64ELi4ElPKdS1_KPdEviiT3_lPKT2_lT1_lS7_lS8_lS4_lPT4_lS8_li
    .private_segment_fixed_size: 0
    .sgpr_count:     53
    .sgpr_spill_count: 0
    .symbol:         _ZL20rocblas_gemvn_kernelILi64ELi4ElPKdS1_KPdEviiT3_lPKT2_lT1_lS7_lS8_lS4_lPT4_lS8_li.kd
    .uniform_work_group_size: 1
    .uses_dynamic_stack: false
    .vgpr_count:     80
    .vgpr_spill_count: 0
    .wavefront_size: 64
  - .agpr_count:     0
    .args:
      - .offset:         0
        .size:           4
        .value_kind:     by_value
      - .offset:         4
        .size:           4
        .value_kind:     by_value
      - .offset:         8
        .size:           8
        .value_kind:     by_value
      - .offset:         16
        .size:           8
        .value_kind:     by_value
      - .address_space:  global
        .offset:         24
        .size:           8
        .value_kind:     global_buffer
      - .offset:         32
        .size:           8
        .value_kind:     by_value
      - .offset:         40
        .size:           4
        .value_kind:     by_value
      - .offset:         48
        .size:           8
        .value_kind:     by_value
      - .address_space:  global
        .offset:         56
        .size:           8
        .value_kind:     global_buffer
      - .offset:         64
        .size:           8
        .value_kind:     by_value
      - .offset:         72
        .size:           4
        .value_kind:     by_value
      - .offset:         80
        .size:           8
        .value_kind:     by_value
      - .offset:         88
        .size:           8
        .value_kind:     by_value
      - .offset:         96
        .size:           8
        .value_kind:     by_value
      - .address_space:  global
        .offset:         104
        .size:           8
        .value_kind:     global_buffer
      - .offset:         112
        .size:           8
        .value_kind:     by_value
      - .offset:         120
        .size:           4
        .value_kind:     by_value
      - .offset:         128
        .size:           8
        .value_kind:     by_value
      - .offset:         136
        .size:           4
        .value_kind:     by_value
      - .offset:         144
        .size:           4
        .value_kind:     hidden_block_count_x
      - .offset:         148
        .size:           4
        .value_kind:     hidden_block_count_y
      - .offset:         152
        .size:           4
        .value_kind:     hidden_block_count_z
      - .offset:         156
        .size:           2
        .value_kind:     hidden_group_size_x
      - .offset:         158
        .size:           2
        .value_kind:     hidden_group_size_y
      - .offset:         160
        .size:           2
        .value_kind:     hidden_group_size_z
      - .offset:         162
        .size:           2
        .value_kind:     hidden_remainder_x
      - .offset:         164
        .size:           2
        .value_kind:     hidden_remainder_y
      - .offset:         166
        .size:           2
        .value_kind:     hidden_remainder_z
      - .offset:         184
        .size:           8
        .value_kind:     hidden_global_offset_x
      - .offset:         192
        .size:           8
        .value_kind:     hidden_global_offset_y
      - .offset:         200
        .size:           8
        .value_kind:     hidden_global_offset_z
      - .offset:         208
        .size:           2
        .value_kind:     hidden_grid_dims
    .group_segment_fixed_size: 8192
    .kernarg_segment_align: 8
    .kernarg_segment_size: 400
    .language:       OpenCL C
    .language_version:
      - 2
      - 0
    .max_flat_workgroup_size: 256
    .name:           _ZL20rocblas_gemvn_kernelILi64ELi4EiPKddKPdEviiT3_lPKT2_lT1_lS7_lS8_lS4_lPT4_lS8_li
    .private_segment_fixed_size: 0
    .sgpr_count:     47
    .sgpr_spill_count: 0
    .symbol:         _ZL20rocblas_gemvn_kernelILi64ELi4EiPKddKPdEviiT3_lPKT2_lT1_lS7_lS8_lS4_lPT4_lS8_li.kd
    .uniform_work_group_size: 1
    .uses_dynamic_stack: false
    .vgpr_count:     70
    .vgpr_spill_count: 0
    .wavefront_size: 64
  - .agpr_count:     0
    .args:
      - .offset:         0
        .size:           4
        .value_kind:     by_value
      - .offset:         4
        .size:           4
        .value_kind:     by_value
      - .offset:         8
        .size:           8
        .value_kind:     by_value
      - .offset:         16
        .size:           8
        .value_kind:     by_value
      - .address_space:  global
        .offset:         24
        .size:           8
        .value_kind:     global_buffer
      - .offset:         32
        .size:           8
        .value_kind:     by_value
      - .offset:         40
        .size:           8
        .value_kind:     by_value
      - .offset:         48
        .size:           8
        .value_kind:     by_value
      - .address_space:  global
        .offset:         56
        .size:           8
        .value_kind:     global_buffer
      - .offset:         64
        .size:           8
        .value_kind:     by_value
      - .offset:         72
        .size:           8
        .value_kind:     by_value
      - .offset:         80
        .size:           8
        .value_kind:     by_value
      - .offset:         88
        .size:           8
        .value_kind:     by_value
      - .offset:         96
        .size:           8
        .value_kind:     by_value
      - .address_space:  global
        .offset:         104
        .size:           8
        .value_kind:     global_buffer
      - .offset:         112
        .size:           8
        .value_kind:     by_value
      - .offset:         120
        .size:           8
        .value_kind:     by_value
      - .offset:         128
        .size:           8
        .value_kind:     by_value
      - .offset:         136
        .size:           4
        .value_kind:     by_value
      - .offset:         144
        .size:           4
        .value_kind:     hidden_block_count_x
      - .offset:         148
        .size:           4
        .value_kind:     hidden_block_count_y
      - .offset:         152
        .size:           4
        .value_kind:     hidden_block_count_z
      - .offset:         156
        .size:           2
        .value_kind:     hidden_group_size_x
      - .offset:         158
        .size:           2
        .value_kind:     hidden_group_size_y
      - .offset:         160
        .size:           2
        .value_kind:     hidden_group_size_z
      - .offset:         162
        .size:           2
        .value_kind:     hidden_remainder_x
      - .offset:         164
        .size:           2
        .value_kind:     hidden_remainder_y
      - .offset:         166
        .size:           2
        .value_kind:     hidden_remainder_z
      - .offset:         184
        .size:           8
        .value_kind:     hidden_global_offset_x
      - .offset:         192
        .size:           8
        .value_kind:     hidden_global_offset_y
      - .offset:         200
        .size:           8
        .value_kind:     hidden_global_offset_z
      - .offset:         208
        .size:           2
        .value_kind:     hidden_grid_dims
    .group_segment_fixed_size: 8192
    .kernarg_segment_align: 8
    .kernarg_segment_size: 400
    .language:       OpenCL C
    .language_version:
      - 2
      - 0
    .max_flat_workgroup_size: 256
    .name:           _ZL20rocblas_gemvn_kernelILi64ELi4ElPKddKPdEviiT3_lPKT2_lT1_lS7_lS8_lS4_lPT4_lS8_li
    .private_segment_fixed_size: 0
    .sgpr_count:     53
    .sgpr_spill_count: 0
    .symbol:         _ZL20rocblas_gemvn_kernelILi64ELi4ElPKddKPdEviiT3_lPKT2_lT1_lS7_lS8_lS4_lPT4_lS8_li.kd
    .uniform_work_group_size: 1
    .uses_dynamic_stack: false
    .vgpr_count:     80
    .vgpr_spill_count: 0
    .wavefront_size: 64
  - .agpr_count:     0
    .args:
      - .offset:         0
        .size:           4
        .value_kind:     by_value
      - .address_space:  global
        .offset:         8
        .size:           8
        .value_kind:     global_buffer
      - .offset:         16
        .size:           8
        .value_kind:     by_value
      - .address_space:  global
        .offset:         24
        .size:           8
        .value_kind:     global_buffer
      - .offset:         32
        .size:           8
        .value_kind:     by_value
      - .offset:         40
        .size:           4
        .value_kind:     by_value
      - .offset:         48
        .size:           8
        .value_kind:     by_value
      - .offset:         56
        .size:           4
        .value_kind:     by_value
      - .offset:         64
        .size:           4
        .value_kind:     hidden_block_count_x
      - .offset:         68
        .size:           4
        .value_kind:     hidden_block_count_y
      - .offset:         72
        .size:           4
        .value_kind:     hidden_block_count_z
      - .offset:         76
        .size:           2
        .value_kind:     hidden_group_size_x
      - .offset:         78
        .size:           2
        .value_kind:     hidden_group_size_y
      - .offset:         80
        .size:           2
        .value_kind:     hidden_group_size_z
      - .offset:         82
        .size:           2
        .value_kind:     hidden_remainder_x
      - .offset:         84
        .size:           2
        .value_kind:     hidden_remainder_y
      - .offset:         86
        .size:           2
        .value_kind:     hidden_remainder_z
      - .offset:         104
        .size:           8
        .value_kind:     hidden_global_offset_x
      - .offset:         112
        .size:           8
        .value_kind:     hidden_global_offset_y
      - .offset:         120
        .size:           8
        .value_kind:     hidden_global_offset_z
      - .offset:         128
        .size:           2
        .value_kind:     hidden_grid_dims
    .group_segment_fixed_size: 0
    .kernarg_segment_align: 8
    .kernarg_segment_size: 320
    .language:       OpenCL C
    .language_version:
      - 2
      - 0
    .max_flat_workgroup_size: 256
    .name:           _ZL24rocblas_gemv_scal_kernelILi256EPKdPKPdEviT0_lT1_lili
    .private_segment_fixed_size: 0
    .sgpr_count:     20
    .sgpr_spill_count: 0
    .symbol:         _ZL24rocblas_gemv_scal_kernelILi256EPKdPKPdEviT0_lT1_lili.kd
    .uniform_work_group_size: 1
    .uses_dynamic_stack: false
    .vgpr_count:     8
    .vgpr_spill_count: 0
    .wavefront_size: 64
  - .agpr_count:     0
    .args:
      - .offset:         0
        .size:           4
        .value_kind:     by_value
      - .offset:         8
        .size:           8
        .value_kind:     by_value
      - .offset:         16
        .size:           8
        .value_kind:     by_value
      - .address_space:  global
        .offset:         24
        .size:           8
        .value_kind:     global_buffer
      - .offset:         32
        .size:           8
        .value_kind:     by_value
      - .offset:         40
        .size:           4
        .value_kind:     by_value
      - .offset:         48
        .size:           8
        .value_kind:     by_value
      - .offset:         56
        .size:           4
        .value_kind:     by_value
      - .offset:         64
        .size:           4
        .value_kind:     hidden_block_count_x
      - .offset:         68
        .size:           4
        .value_kind:     hidden_block_count_y
      - .offset:         72
        .size:           4
        .value_kind:     hidden_block_count_z
      - .offset:         76
        .size:           2
        .value_kind:     hidden_group_size_x
      - .offset:         78
        .size:           2
        .value_kind:     hidden_group_size_y
      - .offset:         80
        .size:           2
        .value_kind:     hidden_group_size_z
      - .offset:         82
        .size:           2
        .value_kind:     hidden_remainder_x
      - .offset:         84
        .size:           2
        .value_kind:     hidden_remainder_y
      - .offset:         86
        .size:           2
        .value_kind:     hidden_remainder_z
      - .offset:         104
        .size:           8
        .value_kind:     hidden_global_offset_x
      - .offset:         112
        .size:           8
        .value_kind:     hidden_global_offset_y
      - .offset:         120
        .size:           8
        .value_kind:     hidden_global_offset_z
      - .offset:         128
        .size:           2
        .value_kind:     hidden_grid_dims
    .group_segment_fixed_size: 0
    .kernarg_segment_align: 8
    .kernarg_segment_size: 320
    .language:       OpenCL C
    .language_version:
      - 2
      - 0
    .max_flat_workgroup_size: 256
    .name:           _ZL24rocblas_gemv_scal_kernelILi256EdPKPdEviT0_lT1_lili
    .private_segment_fixed_size: 0
    .sgpr_count:     19
    .sgpr_spill_count: 0
    .symbol:         _ZL24rocblas_gemv_scal_kernelILi256EdPKPdEviT0_lT1_lili.kd
    .uniform_work_group_size: 1
    .uses_dynamic_stack: false
    .vgpr_count:     8
    .vgpr_spill_count: 0
    .wavefront_size: 64
  - .agpr_count:     0
    .args:
      - .offset:         0
        .size:           4
        .value_kind:     by_value
      - .offset:         4
        .size:           4
        .value_kind:     by_value
      - .address_space:  global
        .offset:         8
        .size:           8
        .value_kind:     global_buffer
      - .offset:         16
        .size:           8
        .value_kind:     by_value
      - .address_space:  global
        .offset:         24
        .size:           8
        .value_kind:     global_buffer
      - .offset:         32
        .size:           8
        .value_kind:     by_value
      - .offset:         40
        .size:           4
        .value_kind:     by_value
      - .offset:         48
        .size:           8
        .value_kind:     by_value
      - .address_space:  global
        .offset:         56
        .size:           8
        .value_kind:     global_buffer
      - .offset:         64
        .size:           8
        .value_kind:     by_value
      - .offset:         72
        .size:           4
        .value_kind:     by_value
      - .offset:         80
        .size:           8
        .value_kind:     by_value
      - .address_space:  global
        .offset:         88
        .size:           8
        .value_kind:     global_buffer
      - .offset:         96
        .size:           8
        .value_kind:     by_value
      - .offset:         104
        .size:           4
        .value_kind:     by_value
      - .offset:         112
        .size:           8
        .value_kind:     by_value
      - .offset:         120
        .size:           4
        .value_kind:     by_value
      - .offset:         128
        .size:           4
        .value_kind:     hidden_block_count_x
      - .offset:         132
        .size:           4
        .value_kind:     hidden_block_count_y
      - .offset:         136
        .size:           4
        .value_kind:     hidden_block_count_z
      - .offset:         140
        .size:           2
        .value_kind:     hidden_group_size_x
      - .offset:         142
        .size:           2
        .value_kind:     hidden_group_size_y
      - .offset:         144
        .size:           2
        .value_kind:     hidden_group_size_z
      - .offset:         146
        .size:           2
        .value_kind:     hidden_remainder_x
      - .offset:         148
        .size:           2
        .value_kind:     hidden_remainder_y
      - .offset:         150
        .size:           2
        .value_kind:     hidden_remainder_z
      - .offset:         168
        .size:           8
        .value_kind:     hidden_global_offset_x
      - .offset:         176
        .size:           8
        .value_kind:     hidden_global_offset_y
      - .offset:         184
        .size:           8
        .value_kind:     hidden_global_offset_z
      - .offset:         192
        .size:           2
        .value_kind:     hidden_grid_dims
    .group_segment_fixed_size: 8192
    .kernarg_segment_align: 8
    .kernarg_segment_size: 384
    .language:       OpenCL C
    .language_version:
      - 2
      - 0
    .max_flat_workgroup_size: 512
    .name:           _ZL36rocblas_gemvn_double_buffered_kernelILi128ELi4ELi16EPKdS1_KPdEviiT3_lPKT2_lilS7_lilPT4_lili
    .private_segment_fixed_size: 0
    .sgpr_count:     40
    .sgpr_spill_count: 0
    .symbol:         _ZL36rocblas_gemvn_double_buffered_kernelILi128ELi4ELi16EPKdS1_KPdEviiT3_lPKT2_lilS7_lilPT4_lili.kd
    .uniform_work_group_size: 1
    .uses_dynamic_stack: false
    .vgpr_count:     173
    .vgpr_spill_count: 0
    .wavefront_size: 64
  - .agpr_count:     0
    .args:
      - .offset:         0
        .size:           4
        .value_kind:     by_value
      - .offset:         4
        .size:           4
        .value_kind:     by_value
      - .offset:         8
        .size:           8
        .value_kind:     by_value
      - .offset:         16
        .size:           8
        .value_kind:     by_value
      - .address_space:  global
        .offset:         24
        .size:           8
        .value_kind:     global_buffer
      - .offset:         32
        .size:           8
        .value_kind:     by_value
      - .offset:         40
        .size:           4
        .value_kind:     by_value
      - .offset:         48
        .size:           8
        .value_kind:     by_value
      - .address_space:  global
        .offset:         56
        .size:           8
        .value_kind:     global_buffer
      - .offset:         64
        .size:           8
        .value_kind:     by_value
      - .offset:         72
        .size:           4
        .value_kind:     by_value
      - .offset:         80
        .size:           8
        .value_kind:     by_value
      - .address_space:  global
        .offset:         88
        .size:           8
        .value_kind:     global_buffer
      - .offset:         96
        .size:           8
        .value_kind:     by_value
      - .offset:         104
        .size:           4
        .value_kind:     by_value
      - .offset:         112
        .size:           8
        .value_kind:     by_value
      - .offset:         120
        .size:           4
        .value_kind:     by_value
      - .offset:         128
        .size:           4
        .value_kind:     hidden_block_count_x
      - .offset:         132
        .size:           4
        .value_kind:     hidden_block_count_y
      - .offset:         136
        .size:           4
        .value_kind:     hidden_block_count_z
      - .offset:         140
        .size:           2
        .value_kind:     hidden_group_size_x
      - .offset:         142
        .size:           2
        .value_kind:     hidden_group_size_y
      - .offset:         144
        .size:           2
        .value_kind:     hidden_group_size_z
      - .offset:         146
        .size:           2
        .value_kind:     hidden_remainder_x
      - .offset:         148
        .size:           2
        .value_kind:     hidden_remainder_y
      - .offset:         150
        .size:           2
        .value_kind:     hidden_remainder_z
      - .offset:         168
        .size:           8
        .value_kind:     hidden_global_offset_x
      - .offset:         176
        .size:           8
        .value_kind:     hidden_global_offset_y
      - .offset:         184
        .size:           8
        .value_kind:     hidden_global_offset_z
      - .offset:         192
        .size:           2
        .value_kind:     hidden_grid_dims
    .group_segment_fixed_size: 8192
    .kernarg_segment_align: 8
    .kernarg_segment_size: 384
    .language:       OpenCL C
    .language_version:
      - 2
      - 0
    .max_flat_workgroup_size: 512
    .name:           _ZL36rocblas_gemvn_double_buffered_kernelILi128ELi4ELi16EPKddKPdEviiT3_lPKT2_lilS7_lilPT4_lili
    .private_segment_fixed_size: 0
    .sgpr_count:     40
    .sgpr_spill_count: 0
    .symbol:         _ZL36rocblas_gemvn_double_buffered_kernelILi128ELi4ELi16EPKddKPdEviiT3_lPKT2_lilS7_lilPT4_lili.kd
    .uniform_work_group_size: 1
    .uses_dynamic_stack: false
    .vgpr_count:     173
    .vgpr_spill_count: 0
    .wavefront_size: 64
  - .agpr_count:     0
    .args:
      - .offset:         0
        .size:           4
        .value_kind:     by_value
      - .offset:         4
        .size:           4
        .value_kind:     by_value
      - .address_space:  global
        .offset:         8
        .size:           8
        .value_kind:     global_buffer
      - .offset:         16
        .size:           8
        .value_kind:     by_value
      - .address_space:  global
        .offset:         24
        .size:           8
        .value_kind:     global_buffer
      - .offset:         32
        .size:           8
        .value_kind:     by_value
      - .offset:         40
        .size:           4
        .value_kind:     by_value
      - .offset:         48
        .size:           8
        .value_kind:     by_value
      - .address_space:  global
        .offset:         56
        .size:           8
        .value_kind:     global_buffer
      - .offset:         64
        .size:           8
        .value_kind:     by_value
      - .offset:         72
        .size:           4
        .value_kind:     by_value
      - .offset:         80
        .size:           8
        .value_kind:     by_value
      - .address_space:  global
        .offset:         88
        .size:           8
        .value_kind:     global_buffer
      - .offset:         96
        .size:           8
        .value_kind:     by_value
      - .address_space:  global
        .offset:         104
        .size:           8
        .value_kind:     global_buffer
      - .offset:         112
        .size:           8
        .value_kind:     by_value
      - .offset:         120
        .size:           4
        .value_kind:     by_value
      - .offset:         128
        .size:           8
        .value_kind:     by_value
      - .offset:         136
        .size:           4
        .value_kind:     by_value
      - .offset:         144
        .size:           4
        .value_kind:     hidden_block_count_x
      - .offset:         148
        .size:           4
        .value_kind:     hidden_block_count_y
      - .offset:         152
        .size:           4
        .value_kind:     hidden_block_count_z
      - .offset:         156
        .size:           2
        .value_kind:     hidden_group_size_x
      - .offset:         158
        .size:           2
        .value_kind:     hidden_group_size_y
      - .offset:         160
        .size:           2
        .value_kind:     hidden_group_size_z
      - .offset:         162
        .size:           2
        .value_kind:     hidden_remainder_x
      - .offset:         164
        .size:           2
        .value_kind:     hidden_remainder_y
      - .offset:         166
        .size:           2
        .value_kind:     hidden_remainder_z
      - .offset:         184
        .size:           8
        .value_kind:     hidden_global_offset_x
      - .offset:         192
        .size:           8
        .value_kind:     hidden_global_offset_y
      - .offset:         200
        .size:           8
        .value_kind:     hidden_global_offset_z
      - .offset:         208
        .size:           2
        .value_kind:     hidden_grid_dims
    .group_segment_fixed_size: 16384
    .kernarg_segment_align: 8
    .kernarg_segment_size: 400
    .language:       OpenCL C
    .language_version:
      - 2
      - 0
    .max_flat_workgroup_size: 512
    .name:           _ZL20rocblas_gemvn_kernelILi32ELi16EiPKdS1_KPdEviiT3_lPKT2_lT1_lS7_lS8_lS4_lPT4_lS8_li
    .private_segment_fixed_size: 0
    .sgpr_count:     47
    .sgpr_spill_count: 0
    .symbol:         _ZL20rocblas_gemvn_kernelILi32ELi16EiPKdS1_KPdEviiT3_lPKT2_lT1_lS7_lS8_lS4_lPT4_lS8_li.kd
    .uniform_work_group_size: 1
    .uses_dynamic_stack: false
    .vgpr_count:     70
    .vgpr_spill_count: 0
    .wavefront_size: 64
  - .agpr_count:     0
    .args:
      - .offset:         0
        .size:           4
        .value_kind:     by_value
      - .offset:         4
        .size:           4
        .value_kind:     by_value
      - .address_space:  global
        .offset:         8
        .size:           8
        .value_kind:     global_buffer
      - .offset:         16
        .size:           8
        .value_kind:     by_value
      - .address_space:  global
        .offset:         24
        .size:           8
        .value_kind:     global_buffer
      - .offset:         32
        .size:           8
        .value_kind:     by_value
      - .offset:         40
        .size:           8
        .value_kind:     by_value
      - .offset:         48
        .size:           8
        .value_kind:     by_value
      - .address_space:  global
        .offset:         56
        .size:           8
        .value_kind:     global_buffer
      - .offset:         64
        .size:           8
        .value_kind:     by_value
      - .offset:         72
        .size:           8
        .value_kind:     by_value
      - .offset:         80
        .size:           8
        .value_kind:     by_value
      - .address_space:  global
        .offset:         88
        .size:           8
        .value_kind:     global_buffer
      - .offset:         96
        .size:           8
        .value_kind:     by_value
      - .address_space:  global
        .offset:         104
        .size:           8
        .value_kind:     global_buffer
      - .offset:         112
        .size:           8
        .value_kind:     by_value
      - .offset:         120
        .size:           8
        .value_kind:     by_value
      - .offset:         128
        .size:           8
        .value_kind:     by_value
      - .offset:         136
        .size:           4
        .value_kind:     by_value
      - .offset:         144
        .size:           4
        .value_kind:     hidden_block_count_x
      - .offset:         148
        .size:           4
        .value_kind:     hidden_block_count_y
      - .offset:         152
        .size:           4
        .value_kind:     hidden_block_count_z
      - .offset:         156
        .size:           2
        .value_kind:     hidden_group_size_x
      - .offset:         158
        .size:           2
        .value_kind:     hidden_group_size_y
      - .offset:         160
        .size:           2
        .value_kind:     hidden_group_size_z
      - .offset:         162
        .size:           2
        .value_kind:     hidden_remainder_x
      - .offset:         164
        .size:           2
        .value_kind:     hidden_remainder_y
      - .offset:         166
        .size:           2
        .value_kind:     hidden_remainder_z
      - .offset:         184
        .size:           8
        .value_kind:     hidden_global_offset_x
      - .offset:         192
        .size:           8
        .value_kind:     hidden_global_offset_y
      - .offset:         200
        .size:           8
        .value_kind:     hidden_global_offset_z
      - .offset:         208
        .size:           2
        .value_kind:     hidden_grid_dims
    .group_segment_fixed_size: 16384
    .kernarg_segment_align: 8
    .kernarg_segment_size: 400
    .language:       OpenCL C
    .language_version:
      - 2
      - 0
    .max_flat_workgroup_size: 512
    .name:           _ZL20rocblas_gemvn_kernelILi32ELi16ElPKdS1_KPdEviiT3_lPKT2_lT1_lS7_lS8_lS4_lPT4_lS8_li
    .private_segment_fixed_size: 0
    .sgpr_count:     53
    .sgpr_spill_count: 0
    .symbol:         _ZL20rocblas_gemvn_kernelILi32ELi16ElPKdS1_KPdEviiT3_lPKT2_lT1_lS7_lS8_lS4_lPT4_lS8_li.kd
    .uniform_work_group_size: 1
    .uses_dynamic_stack: false
    .vgpr_count:     80
    .vgpr_spill_count: 0
    .wavefront_size: 64
  - .agpr_count:     0
    .args:
      - .offset:         0
        .size:           4
        .value_kind:     by_value
      - .offset:         4
        .size:           4
        .value_kind:     by_value
      - .offset:         8
        .size:           8
        .value_kind:     by_value
      - .offset:         16
        .size:           8
        .value_kind:     by_value
      - .address_space:  global
        .offset:         24
        .size:           8
        .value_kind:     global_buffer
      - .offset:         32
        .size:           8
        .value_kind:     by_value
      - .offset:         40
        .size:           4
        .value_kind:     by_value
      - .offset:         48
        .size:           8
        .value_kind:     by_value
      - .address_space:  global
        .offset:         56
        .size:           8
        .value_kind:     global_buffer
      - .offset:         64
        .size:           8
        .value_kind:     by_value
      - .offset:         72
        .size:           4
        .value_kind:     by_value
      - .offset:         80
        .size:           8
        .value_kind:     by_value
      - .offset:         88
        .size:           8
        .value_kind:     by_value
      - .offset:         96
        .size:           8
        .value_kind:     by_value
      - .address_space:  global
        .offset:         104
        .size:           8
        .value_kind:     global_buffer
      - .offset:         112
        .size:           8
        .value_kind:     by_value
      - .offset:         120
        .size:           4
        .value_kind:     by_value
      - .offset:         128
        .size:           8
        .value_kind:     by_value
      - .offset:         136
        .size:           4
        .value_kind:     by_value
      - .offset:         144
        .size:           4
        .value_kind:     hidden_block_count_x
      - .offset:         148
        .size:           4
        .value_kind:     hidden_block_count_y
      - .offset:         152
        .size:           4
        .value_kind:     hidden_block_count_z
      - .offset:         156
        .size:           2
        .value_kind:     hidden_group_size_x
      - .offset:         158
        .size:           2
        .value_kind:     hidden_group_size_y
      - .offset:         160
        .size:           2
        .value_kind:     hidden_group_size_z
      - .offset:         162
        .size:           2
        .value_kind:     hidden_remainder_x
      - .offset:         164
        .size:           2
        .value_kind:     hidden_remainder_y
      - .offset:         166
        .size:           2
        .value_kind:     hidden_remainder_z
      - .offset:         184
        .size:           8
        .value_kind:     hidden_global_offset_x
      - .offset:         192
        .size:           8
        .value_kind:     hidden_global_offset_y
      - .offset:         200
        .size:           8
        .value_kind:     hidden_global_offset_z
      - .offset:         208
        .size:           2
        .value_kind:     hidden_grid_dims
    .group_segment_fixed_size: 16384
    .kernarg_segment_align: 8
    .kernarg_segment_size: 400
    .language:       OpenCL C
    .language_version:
      - 2
      - 0
    .max_flat_workgroup_size: 512
    .name:           _ZL20rocblas_gemvn_kernelILi32ELi16EiPKddKPdEviiT3_lPKT2_lT1_lS7_lS8_lS4_lPT4_lS8_li
    .private_segment_fixed_size: 0
    .sgpr_count:     47
    .sgpr_spill_count: 0
    .symbol:         _ZL20rocblas_gemvn_kernelILi32ELi16EiPKddKPdEviiT3_lPKT2_lT1_lS7_lS8_lS4_lPT4_lS8_li.kd
    .uniform_work_group_size: 1
    .uses_dynamic_stack: false
    .vgpr_count:     70
    .vgpr_spill_count: 0
    .wavefront_size: 64
  - .agpr_count:     0
    .args:
      - .offset:         0
        .size:           4
        .value_kind:     by_value
      - .offset:         4
        .size:           4
        .value_kind:     by_value
      - .offset:         8
        .size:           8
        .value_kind:     by_value
      - .offset:         16
        .size:           8
        .value_kind:     by_value
      - .address_space:  global
        .offset:         24
        .size:           8
        .value_kind:     global_buffer
      - .offset:         32
        .size:           8
        .value_kind:     by_value
      - .offset:         40
        .size:           8
        .value_kind:     by_value
      - .offset:         48
        .size:           8
        .value_kind:     by_value
      - .address_space:  global
        .offset:         56
        .size:           8
        .value_kind:     global_buffer
      - .offset:         64
        .size:           8
        .value_kind:     by_value
      - .offset:         72
        .size:           8
        .value_kind:     by_value
      - .offset:         80
        .size:           8
        .value_kind:     by_value
      - .offset:         88
        .size:           8
        .value_kind:     by_value
      - .offset:         96
        .size:           8
        .value_kind:     by_value
      - .address_space:  global
        .offset:         104
        .size:           8
        .value_kind:     global_buffer
      - .offset:         112
        .size:           8
        .value_kind:     by_value
      - .offset:         120
        .size:           8
        .value_kind:     by_value
      - .offset:         128
        .size:           8
        .value_kind:     by_value
      - .offset:         136
        .size:           4
        .value_kind:     by_value
      - .offset:         144
        .size:           4
        .value_kind:     hidden_block_count_x
      - .offset:         148
        .size:           4
        .value_kind:     hidden_block_count_y
      - .offset:         152
        .size:           4
        .value_kind:     hidden_block_count_z
      - .offset:         156
        .size:           2
        .value_kind:     hidden_group_size_x
      - .offset:         158
        .size:           2
        .value_kind:     hidden_group_size_y
      - .offset:         160
        .size:           2
        .value_kind:     hidden_group_size_z
      - .offset:         162
        .size:           2
        .value_kind:     hidden_remainder_x
      - .offset:         164
        .size:           2
        .value_kind:     hidden_remainder_y
      - .offset:         166
        .size:           2
        .value_kind:     hidden_remainder_z
      - .offset:         184
        .size:           8
        .value_kind:     hidden_global_offset_x
      - .offset:         192
        .size:           8
        .value_kind:     hidden_global_offset_y
      - .offset:         200
        .size:           8
        .value_kind:     hidden_global_offset_z
      - .offset:         208
        .size:           2
        .value_kind:     hidden_grid_dims
    .group_segment_fixed_size: 16384
    .kernarg_segment_align: 8
    .kernarg_segment_size: 400
    .language:       OpenCL C
    .language_version:
      - 2
      - 0
    .max_flat_workgroup_size: 512
    .name:           _ZL20rocblas_gemvn_kernelILi32ELi16ElPKddKPdEviiT3_lPKT2_lT1_lS7_lS8_lS4_lPT4_lS8_li
    .private_segment_fixed_size: 0
    .sgpr_count:     53
    .sgpr_spill_count: 0
    .symbol:         _ZL20rocblas_gemvn_kernelILi32ELi16ElPKddKPdEviiT3_lPKT2_lT1_lS7_lS8_lS4_lPT4_lS8_li.kd
    .uniform_work_group_size: 1
    .uses_dynamic_stack: false
    .vgpr_count:     80
    .vgpr_spill_count: 0
    .wavefront_size: 64
  - .agpr_count:     0
    .args:
      - .offset:         0
        .size:           4
        .value_kind:     by_value
      - .offset:         4
        .size:           4
        .value_kind:     by_value
      - .address_space:  global
        .offset:         8
        .size:           8
        .value_kind:     global_buffer
      - .offset:         16
        .size:           8
        .value_kind:     by_value
      - .address_space:  global
        .offset:         24
        .size:           8
        .value_kind:     global_buffer
      - .offset:         32
        .size:           8
        .value_kind:     by_value
      - .offset:         40
        .size:           4
        .value_kind:     by_value
      - .offset:         48
        .size:           8
        .value_kind:     by_value
      - .address_space:  global
        .offset:         56
        .size:           8
        .value_kind:     global_buffer
      - .offset:         64
        .size:           8
        .value_kind:     by_value
      - .offset:         72
        .size:           4
        .value_kind:     by_value
      - .offset:         80
        .size:           8
        .value_kind:     by_value
      - .address_space:  global
        .offset:         88
        .size:           8
        .value_kind:     global_buffer
      - .offset:         96
        .size:           8
        .value_kind:     by_value
      - .address_space:  global
        .offset:         104
        .size:           8
        .value_kind:     global_buffer
      - .offset:         112
        .size:           8
        .value_kind:     by_value
      - .offset:         120
        .size:           4
        .value_kind:     by_value
      - .offset:         128
        .size:           8
        .value_kind:     by_value
      - .offset:         136
        .size:           4
        .value_kind:     by_value
      - .offset:         144
        .size:           4
        .value_kind:     hidden_block_count_x
      - .offset:         148
        .size:           4
        .value_kind:     hidden_block_count_y
      - .offset:         152
        .size:           4
        .value_kind:     hidden_block_count_z
      - .offset:         156
        .size:           2
        .value_kind:     hidden_group_size_x
      - .offset:         158
        .size:           2
        .value_kind:     hidden_group_size_y
      - .offset:         160
        .size:           2
        .value_kind:     hidden_group_size_z
      - .offset:         162
        .size:           2
        .value_kind:     hidden_remainder_x
      - .offset:         164
        .size:           2
        .value_kind:     hidden_remainder_y
      - .offset:         166
        .size:           2
        .value_kind:     hidden_remainder_z
      - .offset:         184
        .size:           8
        .value_kind:     hidden_global_offset_x
      - .offset:         192
        .size:           8
        .value_kind:     hidden_global_offset_y
      - .offset:         200
        .size:           8
        .value_kind:     hidden_global_offset_z
      - .offset:         208
        .size:           2
        .value_kind:     hidden_grid_dims
    .group_segment_fixed_size: 32768
    .kernarg_segment_align: 8
    .kernarg_segment_size: 400
    .language:       OpenCL C
    .language_version:
      - 2
      - 0
    .max_flat_workgroup_size: 1024
    .name:           _ZL20rocblas_gemvn_kernelILi64ELi16EiPKdS1_KPdEviiT3_lPKT2_lT1_lS7_lS8_lS4_lPT4_lS8_li
    .private_segment_fixed_size: 0
    .sgpr_count:     47
    .sgpr_spill_count: 0
    .symbol:         _ZL20rocblas_gemvn_kernelILi64ELi16EiPKdS1_KPdEviiT3_lPKT2_lT1_lS7_lS8_lS4_lPT4_lS8_li.kd
    .uniform_work_group_size: 1
    .uses_dynamic_stack: false
    .vgpr_count:     61
    .vgpr_spill_count: 0
    .wavefront_size: 64
  - .agpr_count:     0
    .args:
      - .offset:         0
        .size:           4
        .value_kind:     by_value
      - .offset:         4
        .size:           4
        .value_kind:     by_value
      - .address_space:  global
        .offset:         8
        .size:           8
        .value_kind:     global_buffer
      - .offset:         16
        .size:           8
        .value_kind:     by_value
      - .address_space:  global
        .offset:         24
        .size:           8
        .value_kind:     global_buffer
      - .offset:         32
        .size:           8
        .value_kind:     by_value
      - .offset:         40
        .size:           8
        .value_kind:     by_value
      - .offset:         48
        .size:           8
        .value_kind:     by_value
      - .address_space:  global
        .offset:         56
        .size:           8
        .value_kind:     global_buffer
      - .offset:         64
        .size:           8
        .value_kind:     by_value
      - .offset:         72
        .size:           8
        .value_kind:     by_value
      - .offset:         80
        .size:           8
        .value_kind:     by_value
      - .address_space:  global
        .offset:         88
        .size:           8
        .value_kind:     global_buffer
      - .offset:         96
        .size:           8
        .value_kind:     by_value
      - .address_space:  global
        .offset:         104
        .size:           8
        .value_kind:     global_buffer
      - .offset:         112
        .size:           8
        .value_kind:     by_value
      - .offset:         120
        .size:           8
        .value_kind:     by_value
      - .offset:         128
        .size:           8
        .value_kind:     by_value
      - .offset:         136
        .size:           4
        .value_kind:     by_value
      - .offset:         144
        .size:           4
        .value_kind:     hidden_block_count_x
      - .offset:         148
        .size:           4
        .value_kind:     hidden_block_count_y
      - .offset:         152
        .size:           4
        .value_kind:     hidden_block_count_z
      - .offset:         156
        .size:           2
        .value_kind:     hidden_group_size_x
      - .offset:         158
        .size:           2
        .value_kind:     hidden_group_size_y
      - .offset:         160
        .size:           2
        .value_kind:     hidden_group_size_z
      - .offset:         162
        .size:           2
        .value_kind:     hidden_remainder_x
      - .offset:         164
        .size:           2
        .value_kind:     hidden_remainder_y
      - .offset:         166
        .size:           2
        .value_kind:     hidden_remainder_z
      - .offset:         184
        .size:           8
        .value_kind:     hidden_global_offset_x
      - .offset:         192
        .size:           8
        .value_kind:     hidden_global_offset_y
      - .offset:         200
        .size:           8
        .value_kind:     hidden_global_offset_z
      - .offset:         208
        .size:           2
        .value_kind:     hidden_grid_dims
    .group_segment_fixed_size: 32768
    .kernarg_segment_align: 8
    .kernarg_segment_size: 400
    .language:       OpenCL C
    .language_version:
      - 2
      - 0
    .max_flat_workgroup_size: 1024
    .name:           _ZL20rocblas_gemvn_kernelILi64ELi16ElPKdS1_KPdEviiT3_lPKT2_lT1_lS7_lS8_lS4_lPT4_lS8_li
    .private_segment_fixed_size: 0
    .sgpr_count:     53
    .sgpr_spill_count: 0
    .symbol:         _ZL20rocblas_gemvn_kernelILi64ELi16ElPKdS1_KPdEviiT3_lPKT2_lT1_lS7_lS8_lS4_lPT4_lS8_li.kd
    .uniform_work_group_size: 1
    .uses_dynamic_stack: false
    .vgpr_count:     72
    .vgpr_spill_count: 0
    .wavefront_size: 64
  - .agpr_count:     0
    .args:
      - .offset:         0
        .size:           4
        .value_kind:     by_value
      - .offset:         4
        .size:           4
        .value_kind:     by_value
      - .offset:         8
        .size:           8
        .value_kind:     by_value
      - .offset:         16
        .size:           8
        .value_kind:     by_value
      - .address_space:  global
        .offset:         24
        .size:           8
        .value_kind:     global_buffer
      - .offset:         32
        .size:           8
        .value_kind:     by_value
      - .offset:         40
        .size:           4
        .value_kind:     by_value
      - .offset:         48
        .size:           8
        .value_kind:     by_value
      - .address_space:  global
        .offset:         56
        .size:           8
        .value_kind:     global_buffer
      - .offset:         64
        .size:           8
        .value_kind:     by_value
      - .offset:         72
        .size:           4
        .value_kind:     by_value
      - .offset:         80
        .size:           8
        .value_kind:     by_value
      - .offset:         88
        .size:           8
        .value_kind:     by_value
      - .offset:         96
        .size:           8
        .value_kind:     by_value
      - .address_space:  global
        .offset:         104
        .size:           8
        .value_kind:     global_buffer
      - .offset:         112
        .size:           8
        .value_kind:     by_value
      - .offset:         120
        .size:           4
        .value_kind:     by_value
      - .offset:         128
        .size:           8
        .value_kind:     by_value
      - .offset:         136
        .size:           4
        .value_kind:     by_value
      - .offset:         144
        .size:           4
        .value_kind:     hidden_block_count_x
      - .offset:         148
        .size:           4
        .value_kind:     hidden_block_count_y
      - .offset:         152
        .size:           4
        .value_kind:     hidden_block_count_z
      - .offset:         156
        .size:           2
        .value_kind:     hidden_group_size_x
      - .offset:         158
        .size:           2
        .value_kind:     hidden_group_size_y
      - .offset:         160
        .size:           2
        .value_kind:     hidden_group_size_z
      - .offset:         162
        .size:           2
        .value_kind:     hidden_remainder_x
      - .offset:         164
        .size:           2
        .value_kind:     hidden_remainder_y
      - .offset:         166
        .size:           2
        .value_kind:     hidden_remainder_z
      - .offset:         184
        .size:           8
        .value_kind:     hidden_global_offset_x
      - .offset:         192
        .size:           8
        .value_kind:     hidden_global_offset_y
      - .offset:         200
        .size:           8
        .value_kind:     hidden_global_offset_z
      - .offset:         208
        .size:           2
        .value_kind:     hidden_grid_dims
    .group_segment_fixed_size: 32768
    .kernarg_segment_align: 8
    .kernarg_segment_size: 400
    .language:       OpenCL C
    .language_version:
      - 2
      - 0
    .max_flat_workgroup_size: 1024
    .name:           _ZL20rocblas_gemvn_kernelILi64ELi16EiPKddKPdEviiT3_lPKT2_lT1_lS7_lS8_lS4_lPT4_lS8_li
    .private_segment_fixed_size: 0
    .sgpr_count:     47
    .sgpr_spill_count: 0
    .symbol:         _ZL20rocblas_gemvn_kernelILi64ELi16EiPKddKPdEviiT3_lPKT2_lT1_lS7_lS8_lS4_lPT4_lS8_li.kd
    .uniform_work_group_size: 1
    .uses_dynamic_stack: false
    .vgpr_count:     61
    .vgpr_spill_count: 0
    .wavefront_size: 64
  - .agpr_count:     0
    .args:
      - .offset:         0
        .size:           4
        .value_kind:     by_value
      - .offset:         4
        .size:           4
        .value_kind:     by_value
      - .offset:         8
        .size:           8
        .value_kind:     by_value
      - .offset:         16
        .size:           8
        .value_kind:     by_value
      - .address_space:  global
        .offset:         24
        .size:           8
        .value_kind:     global_buffer
      - .offset:         32
        .size:           8
        .value_kind:     by_value
      - .offset:         40
        .size:           8
        .value_kind:     by_value
      - .offset:         48
        .size:           8
        .value_kind:     by_value
      - .address_space:  global
        .offset:         56
        .size:           8
        .value_kind:     global_buffer
      - .offset:         64
        .size:           8
        .value_kind:     by_value
      - .offset:         72
        .size:           8
        .value_kind:     by_value
      - .offset:         80
        .size:           8
        .value_kind:     by_value
      - .offset:         88
        .size:           8
        .value_kind:     by_value
      - .offset:         96
        .size:           8
        .value_kind:     by_value
      - .address_space:  global
        .offset:         104
        .size:           8
        .value_kind:     global_buffer
      - .offset:         112
        .size:           8
        .value_kind:     by_value
      - .offset:         120
        .size:           8
        .value_kind:     by_value
      - .offset:         128
        .size:           8
        .value_kind:     by_value
      - .offset:         136
        .size:           4
        .value_kind:     by_value
      - .offset:         144
        .size:           4
        .value_kind:     hidden_block_count_x
      - .offset:         148
        .size:           4
        .value_kind:     hidden_block_count_y
      - .offset:         152
        .size:           4
        .value_kind:     hidden_block_count_z
      - .offset:         156
        .size:           2
        .value_kind:     hidden_group_size_x
      - .offset:         158
        .size:           2
        .value_kind:     hidden_group_size_y
      - .offset:         160
        .size:           2
        .value_kind:     hidden_group_size_z
      - .offset:         162
        .size:           2
        .value_kind:     hidden_remainder_x
      - .offset:         164
        .size:           2
        .value_kind:     hidden_remainder_y
      - .offset:         166
        .size:           2
        .value_kind:     hidden_remainder_z
      - .offset:         184
        .size:           8
        .value_kind:     hidden_global_offset_x
      - .offset:         192
        .size:           8
        .value_kind:     hidden_global_offset_y
      - .offset:         200
        .size:           8
        .value_kind:     hidden_global_offset_z
      - .offset:         208
        .size:           2
        .value_kind:     hidden_grid_dims
    .group_segment_fixed_size: 32768
    .kernarg_segment_align: 8
    .kernarg_segment_size: 400
    .language:       OpenCL C
    .language_version:
      - 2
      - 0
    .max_flat_workgroup_size: 1024
    .name:           _ZL20rocblas_gemvn_kernelILi64ELi16ElPKddKPdEviiT3_lPKT2_lT1_lS7_lS8_lS4_lPT4_lS8_li
    .private_segment_fixed_size: 0
    .sgpr_count:     53
    .sgpr_spill_count: 0
    .symbol:         _ZL20rocblas_gemvn_kernelILi64ELi16ElPKddKPdEviiT3_lPKT2_lT1_lS7_lS8_lS4_lPT4_lS8_li.kd
    .uniform_work_group_size: 1
    .uses_dynamic_stack: false
    .vgpr_count:     72
    .vgpr_spill_count: 0
    .wavefront_size: 64
  - .agpr_count:     0
    .args:
      - .offset:         0
        .size:           4
        .value_kind:     by_value
      - .offset:         4
        .size:           4
        .value_kind:     by_value
      - .address_space:  global
        .offset:         8
        .size:           8
        .value_kind:     global_buffer
      - .offset:         16
        .size:           8
        .value_kind:     by_value
      - .address_space:  global
        .offset:         24
        .size:           8
        .value_kind:     global_buffer
      - .offset:         32
        .size:           8
        .value_kind:     by_value
      - .offset:         40
        .size:           4
        .value_kind:     by_value
      - .offset:         48
        .size:           8
        .value_kind:     by_value
      - .address_space:  global
        .offset:         56
        .size:           8
        .value_kind:     global_buffer
      - .offset:         64
        .size:           8
        .value_kind:     by_value
      - .offset:         72
        .size:           4
        .value_kind:     by_value
      - .offset:         80
        .size:           8
        .value_kind:     by_value
      - .address_space:  global
        .offset:         88
        .size:           8
        .value_kind:     global_buffer
      - .offset:         96
        .size:           8
        .value_kind:     by_value
      - .address_space:  global
        .offset:         104
        .size:           8
        .value_kind:     global_buffer
      - .offset:         112
        .size:           8
        .value_kind:     by_value
      - .offset:         120
        .size:           4
        .value_kind:     by_value
      - .offset:         128
        .size:           8
        .value_kind:     by_value
    .group_segment_fixed_size: 512
    .kernarg_segment_align: 8
    .kernarg_segment_size: 136
    .language:       OpenCL C
    .language_version:
      - 2
      - 0
    .max_flat_workgroup_size: 256
    .name:           _ZL22rocblas_gemvtsm_kernelILb0ELi256EPKdS1_KPdEviiT2_lPKT1_lilS7_lilS4_lPT3_lil
    .private_segment_fixed_size: 0
    .sgpr_count:     32
    .sgpr_spill_count: 0
    .symbol:         _ZL22rocblas_gemvtsm_kernelILb0ELi256EPKdS1_KPdEviiT2_lPKT1_lilS7_lilS4_lPT3_lil.kd
    .uniform_work_group_size: 1
    .uses_dynamic_stack: false
    .vgpr_count:     42
    .vgpr_spill_count: 0
    .wavefront_size: 64
  - .agpr_count:     0
    .args:
      - .offset:         0
        .size:           4
        .value_kind:     by_value
      - .offset:         4
        .size:           4
        .value_kind:     by_value
      - .offset:         8
        .size:           8
        .value_kind:     by_value
      - .offset:         16
        .size:           8
        .value_kind:     by_value
      - .address_space:  global
        .offset:         24
        .size:           8
        .value_kind:     global_buffer
      - .offset:         32
        .size:           8
        .value_kind:     by_value
      - .offset:         40
        .size:           4
        .value_kind:     by_value
      - .offset:         48
        .size:           8
        .value_kind:     by_value
      - .address_space:  global
        .offset:         56
        .size:           8
        .value_kind:     global_buffer
      - .offset:         64
        .size:           8
        .value_kind:     by_value
      - .offset:         72
        .size:           4
        .value_kind:     by_value
      - .offset:         80
        .size:           8
        .value_kind:     by_value
      - .offset:         88
        .size:           8
        .value_kind:     by_value
      - .offset:         96
        .size:           8
        .value_kind:     by_value
      - .address_space:  global
        .offset:         104
        .size:           8
        .value_kind:     global_buffer
      - .offset:         112
        .size:           8
        .value_kind:     by_value
      - .offset:         120
        .size:           4
        .value_kind:     by_value
      - .offset:         128
        .size:           8
        .value_kind:     by_value
    .group_segment_fixed_size: 512
    .kernarg_segment_align: 8
    .kernarg_segment_size: 136
    .language:       OpenCL C
    .language_version:
      - 2
      - 0
    .max_flat_workgroup_size: 256
    .name:           _ZL22rocblas_gemvtsm_kernelILb0ELi256EPKddKPdEviiT2_lPKT1_lilS7_lilS4_lPT3_lil
    .private_segment_fixed_size: 0
    .sgpr_count:     32
    .sgpr_spill_count: 0
    .symbol:         _ZL22rocblas_gemvtsm_kernelILb0ELi256EPKddKPdEviiT2_lPKT1_lilS7_lilS4_lPT3_lil.kd
    .uniform_work_group_size: 1
    .uses_dynamic_stack: false
    .vgpr_count:     42
    .vgpr_spill_count: 0
    .wavefront_size: 64
  - .agpr_count:     0
    .args:
      - .offset:         0
        .size:           4
        .value_kind:     by_value
      - .offset:         4
        .size:           4
        .value_kind:     by_value
      - .address_space:  global
        .offset:         8
        .size:           8
        .value_kind:     global_buffer
      - .offset:         16
        .size:           8
        .value_kind:     by_value
      - .address_space:  global
        .offset:         24
        .size:           8
        .value_kind:     global_buffer
      - .offset:         32
        .size:           8
        .value_kind:     by_value
      - .offset:         40
        .size:           4
        .value_kind:     by_value
      - .offset:         48
        .size:           8
        .value_kind:     by_value
      - .address_space:  global
        .offset:         56
        .size:           8
        .value_kind:     global_buffer
      - .offset:         64
        .size:           8
        .value_kind:     by_value
      - .offset:         72
        .size:           4
        .value_kind:     by_value
      - .offset:         80
        .size:           8
        .value_kind:     by_value
      - .address_space:  global
        .offset:         88
        .size:           8
        .value_kind:     global_buffer
      - .offset:         96
        .size:           4
        .value_kind:     by_value
      - .offset:         104
        .size:           4
        .value_kind:     hidden_block_count_x
      - .offset:         108
        .size:           4
        .value_kind:     hidden_block_count_y
      - .offset:         112
        .size:           4
        .value_kind:     hidden_block_count_z
      - .offset:         116
        .size:           2
        .value_kind:     hidden_group_size_x
      - .offset:         118
        .size:           2
        .value_kind:     hidden_group_size_y
      - .offset:         120
        .size:           2
        .value_kind:     hidden_group_size_z
      - .offset:         122
        .size:           2
        .value_kind:     hidden_remainder_x
      - .offset:         124
        .size:           2
        .value_kind:     hidden_remainder_y
      - .offset:         126
        .size:           2
        .value_kind:     hidden_remainder_z
      - .offset:         144
        .size:           8
        .value_kind:     hidden_global_offset_x
      - .offset:         152
        .size:           8
        .value_kind:     hidden_global_offset_y
      - .offset:         160
        .size:           8
        .value_kind:     hidden_global_offset_z
      - .offset:         168
        .size:           2
        .value_kind:     hidden_grid_dims
    .group_segment_fixed_size: 512
    .kernarg_segment_align: 8
    .kernarg_segment_size: 360
    .language:       OpenCL C
    .language_version:
      - 2
      - 0
    .max_flat_workgroup_size: 256
    .name:           _ZL23rocblas_gemvt_sn_kernelILb0ELi256ELi4EiPKdS1_dEviiT4_lPKT3_lilS5_lilPT5_i
    .private_segment_fixed_size: 0
    .sgpr_count:     64
    .sgpr_spill_count: 0
    .symbol:         _ZL23rocblas_gemvt_sn_kernelILb0ELi256ELi4EiPKdS1_dEviiT4_lPKT3_lilS5_lilPT5_i.kd
    .uniform_work_group_size: 1
    .uses_dynamic_stack: false
    .vgpr_count:     78
    .vgpr_spill_count: 0
    .wavefront_size: 64
  - .agpr_count:     0
    .args:
      - .offset:         0
        .size:           4
        .value_kind:     by_value
      - .offset:         4
        .size:           4
        .value_kind:     by_value
      - .address_space:  global
        .offset:         8
        .size:           8
        .value_kind:     global_buffer
      - .offset:         16
        .size:           8
        .value_kind:     by_value
      - .address_space:  global
        .offset:         24
        .size:           8
        .value_kind:     global_buffer
      - .offset:         32
        .size:           8
        .value_kind:     by_value
      - .offset:         40
        .size:           4
        .value_kind:     by_value
      - .offset:         48
        .size:           8
        .value_kind:     by_value
      - .address_space:  global
        .offset:         56
        .size:           8
        .value_kind:     global_buffer
      - .offset:         64
        .size:           8
        .value_kind:     by_value
      - .offset:         72
        .size:           4
        .value_kind:     by_value
      - .offset:         80
        .size:           8
        .value_kind:     by_value
      - .address_space:  global
        .offset:         88
        .size:           8
        .value_kind:     global_buffer
      - .offset:         96
        .size:           4
        .value_kind:     by_value
      - .offset:         104
        .size:           4
        .value_kind:     hidden_block_count_x
      - .offset:         108
        .size:           4
        .value_kind:     hidden_block_count_y
      - .offset:         112
        .size:           4
        .value_kind:     hidden_block_count_z
      - .offset:         116
        .size:           2
        .value_kind:     hidden_group_size_x
      - .offset:         118
        .size:           2
        .value_kind:     hidden_group_size_y
      - .offset:         120
        .size:           2
        .value_kind:     hidden_group_size_z
      - .offset:         122
        .size:           2
        .value_kind:     hidden_remainder_x
      - .offset:         124
        .size:           2
        .value_kind:     hidden_remainder_y
      - .offset:         126
        .size:           2
        .value_kind:     hidden_remainder_z
      - .offset:         144
        .size:           8
        .value_kind:     hidden_global_offset_x
      - .offset:         152
        .size:           8
        .value_kind:     hidden_global_offset_y
      - .offset:         160
        .size:           8
        .value_kind:     hidden_global_offset_z
      - .offset:         168
        .size:           2
        .value_kind:     hidden_grid_dims
    .group_segment_fixed_size: 512
    .kernarg_segment_align: 8
    .kernarg_segment_size: 360
    .language:       OpenCL C
    .language_version:
      - 2
      - 0
    .max_flat_workgroup_size: 256
    .name:           _ZL23rocblas_gemvt_sn_kernelILb0ELi256ELi4ElPKdS1_dEviiT4_lPKT3_lilS5_lilPT5_i
    .private_segment_fixed_size: 0
    .sgpr_count:     66
    .sgpr_spill_count: 0
    .symbol:         _ZL23rocblas_gemvt_sn_kernelILb0ELi256ELi4ElPKdS1_dEviiT4_lPKT3_lilS5_lilPT5_i.kd
    .uniform_work_group_size: 1
    .uses_dynamic_stack: false
    .vgpr_count:     82
    .vgpr_spill_count: 0
    .wavefront_size: 64
  - .agpr_count:     0
    .args:
      - .offset:         0
        .size:           4
        .value_kind:     by_value
      - .address_space:  global
        .offset:         8
        .size:           8
        .value_kind:     global_buffer
      - .offset:         16
        .size:           8
        .value_kind:     by_value
      - .address_space:  global
        .offset:         24
        .size:           8
        .value_kind:     global_buffer
      - .offset:         32
        .size:           8
        .value_kind:     by_value
      - .offset:         40
        .size:           4
        .value_kind:     by_value
      - .offset:         48
        .size:           8
        .value_kind:     by_value
      - .actual_access:  read_only
        .address_space:  global
        .offset:         56
        .size:           8
        .value_kind:     global_buffer
      - .offset:         64
        .size:           4
        .value_kind:     by_value
      - .offset:         72
        .size:           4
        .value_kind:     hidden_block_count_x
      - .offset:         76
        .size:           4
        .value_kind:     hidden_block_count_y
      - .offset:         80
        .size:           4
        .value_kind:     hidden_block_count_z
      - .offset:         84
        .size:           2
        .value_kind:     hidden_group_size_x
      - .offset:         86
        .size:           2
        .value_kind:     hidden_group_size_y
      - .offset:         88
        .size:           2
        .value_kind:     hidden_group_size_z
      - .offset:         90
        .size:           2
        .value_kind:     hidden_remainder_x
      - .offset:         92
        .size:           2
        .value_kind:     hidden_remainder_y
      - .offset:         94
        .size:           2
        .value_kind:     hidden_remainder_z
      - .offset:         112
        .size:           8
        .value_kind:     hidden_global_offset_x
      - .offset:         120
        .size:           8
        .value_kind:     hidden_global_offset_y
      - .offset:         128
        .size:           8
        .value_kind:     hidden_global_offset_z
      - .offset:         136
        .size:           2
        .value_kind:     hidden_grid_dims
    .group_segment_fixed_size: 512
    .kernarg_segment_align: 8
    .kernarg_segment_size: 328
    .language:       OpenCL C
    .language_version:
      - 2
      - 0
    .max_flat_workgroup_size: 256
    .name:           _ZL23rocblas_gemvt_sn_reduceILi256ELi8EdPKdKPdEviT2_lPT3_lilPT1_i
    .private_segment_fixed_size: 0
    .sgpr_count:     28
    .sgpr_spill_count: 0
    .symbol:         _ZL23rocblas_gemvt_sn_reduceILi256ELi8EdPKdKPdEviT2_lPT3_lilPT1_i.kd
    .uniform_work_group_size: 1
    .uses_dynamic_stack: false
    .vgpr_count:     22
    .vgpr_spill_count: 0
    .wavefront_size: 64
  - .agpr_count:     0
    .args:
      - .offset:         0
        .size:           4
        .value_kind:     by_value
      - .offset:         4
        .size:           4
        .value_kind:     by_value
      - .offset:         8
        .size:           8
        .value_kind:     by_value
      - .offset:         16
        .size:           8
        .value_kind:     by_value
      - .address_space:  global
        .offset:         24
        .size:           8
        .value_kind:     global_buffer
      - .offset:         32
        .size:           8
        .value_kind:     by_value
      - .offset:         40
        .size:           4
        .value_kind:     by_value
      - .offset:         48
        .size:           8
        .value_kind:     by_value
      - .address_space:  global
        .offset:         56
        .size:           8
        .value_kind:     global_buffer
      - .offset:         64
        .size:           8
        .value_kind:     by_value
      - .offset:         72
        .size:           4
        .value_kind:     by_value
      - .offset:         80
        .size:           8
        .value_kind:     by_value
      - .address_space:  global
        .offset:         88
        .size:           8
        .value_kind:     global_buffer
      - .offset:         96
        .size:           4
        .value_kind:     by_value
      - .offset:         104
        .size:           4
        .value_kind:     hidden_block_count_x
      - .offset:         108
        .size:           4
        .value_kind:     hidden_block_count_y
      - .offset:         112
        .size:           4
        .value_kind:     hidden_block_count_z
      - .offset:         116
        .size:           2
        .value_kind:     hidden_group_size_x
      - .offset:         118
        .size:           2
        .value_kind:     hidden_group_size_y
      - .offset:         120
        .size:           2
        .value_kind:     hidden_group_size_z
      - .offset:         122
        .size:           2
        .value_kind:     hidden_remainder_x
      - .offset:         124
        .size:           2
        .value_kind:     hidden_remainder_y
      - .offset:         126
        .size:           2
        .value_kind:     hidden_remainder_z
      - .offset:         144
        .size:           8
        .value_kind:     hidden_global_offset_x
      - .offset:         152
        .size:           8
        .value_kind:     hidden_global_offset_y
      - .offset:         160
        .size:           8
        .value_kind:     hidden_global_offset_z
      - .offset:         168
        .size:           2
        .value_kind:     hidden_grid_dims
    .group_segment_fixed_size: 512
    .kernarg_segment_align: 8
    .kernarg_segment_size: 360
    .language:       OpenCL C
    .language_version:
      - 2
      - 0
    .max_flat_workgroup_size: 256
    .name:           _ZL23rocblas_gemvt_sn_kernelILb0ELi256ELi4EiPKdddEviiT4_lPKT3_lilS5_lilPT5_i
    .private_segment_fixed_size: 0
    .sgpr_count:     64
    .sgpr_spill_count: 0
    .symbol:         _ZL23rocblas_gemvt_sn_kernelILb0ELi256ELi4EiPKdddEviiT4_lPKT3_lilS5_lilPT5_i.kd
    .uniform_work_group_size: 1
    .uses_dynamic_stack: false
    .vgpr_count:     78
    .vgpr_spill_count: 0
    .wavefront_size: 64
  - .agpr_count:     0
    .args:
      - .offset:         0
        .size:           4
        .value_kind:     by_value
      - .offset:         4
        .size:           4
        .value_kind:     by_value
      - .offset:         8
        .size:           8
        .value_kind:     by_value
      - .offset:         16
        .size:           8
        .value_kind:     by_value
      - .address_space:  global
        .offset:         24
        .size:           8
        .value_kind:     global_buffer
      - .offset:         32
        .size:           8
        .value_kind:     by_value
      - .offset:         40
        .size:           4
        .value_kind:     by_value
      - .offset:         48
        .size:           8
        .value_kind:     by_value
      - .address_space:  global
        .offset:         56
        .size:           8
        .value_kind:     global_buffer
      - .offset:         64
        .size:           8
        .value_kind:     by_value
      - .offset:         72
        .size:           4
        .value_kind:     by_value
      - .offset:         80
        .size:           8
        .value_kind:     by_value
      - .address_space:  global
        .offset:         88
        .size:           8
        .value_kind:     global_buffer
      - .offset:         96
        .size:           4
        .value_kind:     by_value
      - .offset:         104
        .size:           4
        .value_kind:     hidden_block_count_x
      - .offset:         108
        .size:           4
        .value_kind:     hidden_block_count_y
      - .offset:         112
        .size:           4
        .value_kind:     hidden_block_count_z
      - .offset:         116
        .size:           2
        .value_kind:     hidden_group_size_x
      - .offset:         118
        .size:           2
        .value_kind:     hidden_group_size_y
      - .offset:         120
        .size:           2
        .value_kind:     hidden_group_size_z
      - .offset:         122
        .size:           2
        .value_kind:     hidden_remainder_x
      - .offset:         124
        .size:           2
        .value_kind:     hidden_remainder_y
      - .offset:         126
        .size:           2
        .value_kind:     hidden_remainder_z
      - .offset:         144
        .size:           8
        .value_kind:     hidden_global_offset_x
      - .offset:         152
        .size:           8
        .value_kind:     hidden_global_offset_y
      - .offset:         160
        .size:           8
        .value_kind:     hidden_global_offset_z
      - .offset:         168
        .size:           2
        .value_kind:     hidden_grid_dims
    .group_segment_fixed_size: 512
    .kernarg_segment_align: 8
    .kernarg_segment_size: 360
    .language:       OpenCL C
    .language_version:
      - 2
      - 0
    .max_flat_workgroup_size: 256
    .name:           _ZL23rocblas_gemvt_sn_kernelILb0ELi256ELi4ElPKdddEviiT4_lPKT3_lilS5_lilPT5_i
    .private_segment_fixed_size: 0
    .sgpr_count:     66
    .sgpr_spill_count: 0
    .symbol:         _ZL23rocblas_gemvt_sn_kernelILb0ELi256ELi4ElPKdddEviiT4_lPKT3_lilS5_lilPT5_i.kd
    .uniform_work_group_size: 1
    .uses_dynamic_stack: false
    .vgpr_count:     82
    .vgpr_spill_count: 0
    .wavefront_size: 64
  - .agpr_count:     0
    .args:
      - .offset:         0
        .size:           4
        .value_kind:     by_value
      - .offset:         8
        .size:           8
        .value_kind:     by_value
      - .offset:         16
        .size:           8
        .value_kind:     by_value
      - .address_space:  global
        .offset:         24
        .size:           8
        .value_kind:     global_buffer
      - .offset:         32
        .size:           8
        .value_kind:     by_value
      - .offset:         40
        .size:           4
        .value_kind:     by_value
      - .offset:         48
        .size:           8
        .value_kind:     by_value
      - .actual_access:  read_only
        .address_space:  global
        .offset:         56
        .size:           8
        .value_kind:     global_buffer
      - .offset:         64
        .size:           4
        .value_kind:     by_value
      - .offset:         72
        .size:           4
        .value_kind:     hidden_block_count_x
      - .offset:         76
        .size:           4
        .value_kind:     hidden_block_count_y
      - .offset:         80
        .size:           4
        .value_kind:     hidden_block_count_z
      - .offset:         84
        .size:           2
        .value_kind:     hidden_group_size_x
      - .offset:         86
        .size:           2
        .value_kind:     hidden_group_size_y
      - .offset:         88
        .size:           2
        .value_kind:     hidden_group_size_z
      - .offset:         90
        .size:           2
        .value_kind:     hidden_remainder_x
      - .offset:         92
        .size:           2
        .value_kind:     hidden_remainder_y
      - .offset:         94
        .size:           2
        .value_kind:     hidden_remainder_z
      - .offset:         112
        .size:           8
        .value_kind:     hidden_global_offset_x
      - .offset:         120
        .size:           8
        .value_kind:     hidden_global_offset_y
      - .offset:         128
        .size:           8
        .value_kind:     hidden_global_offset_z
      - .offset:         136
        .size:           2
        .value_kind:     hidden_grid_dims
    .group_segment_fixed_size: 512
    .kernarg_segment_align: 8
    .kernarg_segment_size: 328
    .language:       OpenCL C
    .language_version:
      - 2
      - 0
    .max_flat_workgroup_size: 256
    .name:           _ZL23rocblas_gemvt_sn_reduceILi256ELi8EddKPdEviT2_lPT3_lilPT1_i
    .private_segment_fixed_size: 0
    .sgpr_count:     26
    .sgpr_spill_count: 0
    .symbol:         _ZL23rocblas_gemvt_sn_reduceILi256ELi8EddKPdEviT2_lPT3_lilPT1_i.kd
    .uniform_work_group_size: 1
    .uses_dynamic_stack: false
    .vgpr_count:     22
    .vgpr_spill_count: 0
    .wavefront_size: 64
  - .agpr_count:     0
    .args:
      - .offset:         0
        .size:           4
        .value_kind:     by_value
      - .offset:         4
        .size:           4
        .value_kind:     by_value
      - .address_space:  global
        .offset:         8
        .size:           8
        .value_kind:     global_buffer
      - .offset:         16
        .size:           8
        .value_kind:     by_value
      - .address_space:  global
        .offset:         24
        .size:           8
        .value_kind:     global_buffer
      - .offset:         32
        .size:           8
        .value_kind:     by_value
      - .offset:         40
        .size:           4
        .value_kind:     by_value
      - .offset:         48
        .size:           8
        .value_kind:     by_value
      - .address_space:  global
        .offset:         56
        .size:           8
        .value_kind:     global_buffer
      - .offset:         64
        .size:           8
        .value_kind:     by_value
      - .offset:         72
        .size:           4
        .value_kind:     by_value
      - .offset:         80
        .size:           8
        .value_kind:     by_value
      - .address_space:  global
        .offset:         88
        .size:           8
        .value_kind:     global_buffer
      - .offset:         96
        .size:           8
        .value_kind:     by_value
      - .offset:         104
        .size:           4
        .value_kind:     by_value
      - .offset:         112
        .size:           8
        .value_kind:     by_value
      - .offset:         120
        .size:           4
        .value_kind:     by_value
      - .offset:         128
        .size:           4
        .value_kind:     hidden_block_count_x
      - .offset:         132
        .size:           4
        .value_kind:     hidden_block_count_y
      - .offset:         136
        .size:           4
        .value_kind:     hidden_block_count_z
      - .offset:         140
        .size:           2
        .value_kind:     hidden_group_size_x
      - .offset:         142
        .size:           2
        .value_kind:     hidden_group_size_y
      - .offset:         144
        .size:           2
        .value_kind:     hidden_group_size_z
      - .offset:         146
        .size:           2
        .value_kind:     hidden_remainder_x
      - .offset:         148
        .size:           2
        .value_kind:     hidden_remainder_y
      - .offset:         150
        .size:           2
        .value_kind:     hidden_remainder_z
      - .offset:         168
        .size:           8
        .value_kind:     hidden_global_offset_x
      - .offset:         176
        .size:           8
        .value_kind:     hidden_global_offset_y
      - .offset:         184
        .size:           8
        .value_kind:     hidden_global_offset_z
      - .offset:         192
        .size:           2
        .value_kind:     hidden_grid_dims
    .group_segment_fixed_size: 65536
    .kernarg_segment_align: 8
    .kernarg_segment_size: 384
    .language:       OpenCL C
    .language_version:
      - 2
      - 0
    .max_flat_workgroup_size: 512
    .name:           _ZL36rocblas_gemvt_double_buffered_kernelILb0ELi128ELi4ELi16EPKdS1_KPdEviiT4_lPKT3_lilS7_lilPT5_lili
    .private_segment_fixed_size: 0
    .sgpr_count:     38
    .sgpr_spill_count: 0
    .symbol:         _ZL36rocblas_gemvt_double_buffered_kernelILb0ELi128ELi4ELi16EPKdS1_KPdEviiT4_lPKT3_lilS7_lilPT5_lili.kd
    .uniform_work_group_size: 1
    .uses_dynamic_stack: false
    .vgpr_count:     176
    .vgpr_spill_count: 0
    .wavefront_size: 64
  - .agpr_count:     0
    .args:
      - .offset:         0
        .size:           4
        .value_kind:     by_value
      - .offset:         4
        .size:           4
        .value_kind:     by_value
      - .offset:         8
        .size:           8
        .value_kind:     by_value
      - .offset:         16
        .size:           8
        .value_kind:     by_value
      - .address_space:  global
        .offset:         24
        .size:           8
        .value_kind:     global_buffer
      - .offset:         32
        .size:           8
        .value_kind:     by_value
      - .offset:         40
        .size:           4
        .value_kind:     by_value
      - .offset:         48
        .size:           8
        .value_kind:     by_value
      - .address_space:  global
        .offset:         56
        .size:           8
        .value_kind:     global_buffer
      - .offset:         64
        .size:           8
        .value_kind:     by_value
      - .offset:         72
        .size:           4
        .value_kind:     by_value
      - .offset:         80
        .size:           8
        .value_kind:     by_value
      - .address_space:  global
        .offset:         88
        .size:           8
        .value_kind:     global_buffer
      - .offset:         96
        .size:           8
        .value_kind:     by_value
      - .offset:         104
        .size:           4
        .value_kind:     by_value
      - .offset:         112
        .size:           8
        .value_kind:     by_value
      - .offset:         120
        .size:           4
        .value_kind:     by_value
      - .offset:         128
        .size:           4
        .value_kind:     hidden_block_count_x
      - .offset:         132
        .size:           4
        .value_kind:     hidden_block_count_y
      - .offset:         136
        .size:           4
        .value_kind:     hidden_block_count_z
      - .offset:         140
        .size:           2
        .value_kind:     hidden_group_size_x
      - .offset:         142
        .size:           2
        .value_kind:     hidden_group_size_y
      - .offset:         144
        .size:           2
        .value_kind:     hidden_group_size_z
      - .offset:         146
        .size:           2
        .value_kind:     hidden_remainder_x
      - .offset:         148
        .size:           2
        .value_kind:     hidden_remainder_y
      - .offset:         150
        .size:           2
        .value_kind:     hidden_remainder_z
      - .offset:         168
        .size:           8
        .value_kind:     hidden_global_offset_x
      - .offset:         176
        .size:           8
        .value_kind:     hidden_global_offset_y
      - .offset:         184
        .size:           8
        .value_kind:     hidden_global_offset_z
      - .offset:         192
        .size:           2
        .value_kind:     hidden_grid_dims
    .group_segment_fixed_size: 65536
    .kernarg_segment_align: 8
    .kernarg_segment_size: 384
    .language:       OpenCL C
    .language_version:
      - 2
      - 0
    .max_flat_workgroup_size: 512
    .name:           _ZL36rocblas_gemvt_double_buffered_kernelILb0ELi128ELi4ELi16EPKddKPdEviiT4_lPKT3_lilS7_lilPT5_lili
    .private_segment_fixed_size: 0
    .sgpr_count:     38
    .sgpr_spill_count: 0
    .symbol:         _ZL36rocblas_gemvt_double_buffered_kernelILb0ELi128ELi4ELi16EPKddKPdEviiT4_lPKT3_lilS7_lilPT5_lili.kd
    .uniform_work_group_size: 1
    .uses_dynamic_stack: false
    .vgpr_count:     176
    .vgpr_spill_count: 0
    .wavefront_size: 64
  - .agpr_count:     0
    .args:
      - .offset:         0
        .size:           4
        .value_kind:     by_value
      - .offset:         4
        .size:           4
        .value_kind:     by_value
      - .address_space:  global
        .offset:         8
        .size:           8
        .value_kind:     global_buffer
      - .offset:         16
        .size:           8
        .value_kind:     by_value
      - .address_space:  global
        .offset:         24
        .size:           8
        .value_kind:     global_buffer
      - .offset:         32
        .size:           8
        .value_kind:     by_value
      - .offset:         40
        .size:           4
        .value_kind:     by_value
      - .offset:         48
        .size:           8
        .value_kind:     by_value
      - .address_space:  global
        .offset:         56
        .size:           8
        .value_kind:     global_buffer
      - .offset:         64
        .size:           8
        .value_kind:     by_value
      - .offset:         72
        .size:           4
        .value_kind:     by_value
      - .offset:         80
        .size:           8
        .value_kind:     by_value
      - .address_space:  global
        .offset:         88
        .size:           8
        .value_kind:     global_buffer
      - .offset:         96
        .size:           8
        .value_kind:     by_value
      - .address_space:  global
        .offset:         104
        .size:           8
        .value_kind:     global_buffer
      - .offset:         112
        .size:           8
        .value_kind:     by_value
      - .offset:         120
        .size:           4
        .value_kind:     by_value
      - .offset:         128
        .size:           8
        .value_kind:     by_value
      - .offset:         136
        .size:           4
        .value_kind:     by_value
    .group_segment_fixed_size: 512
    .kernarg_segment_align: 8
    .kernarg_segment_size: 140
    .language:       OpenCL C
    .language_version:
      - 2
      - 0
    .max_flat_workgroup_size: 256
    .name:           _ZL32rocblas_gemvt_warp_reduce_kernelILb0ELi256EiPKdS1_KPdEviiT3_lPKT2_lT1_lS7_lS8_lS4_lPT4_lS8_li
    .private_segment_fixed_size: 0
    .sgpr_count:     32
    .sgpr_spill_count: 0
    .symbol:         _ZL32rocblas_gemvt_warp_reduce_kernelILb0ELi256EiPKdS1_KPdEviiT3_lPKT2_lT1_lS7_lS8_lS4_lPT4_lS8_li.kd
    .uniform_work_group_size: 1
    .uses_dynamic_stack: false
    .vgpr_count:     14
    .vgpr_spill_count: 0
    .wavefront_size: 64
  - .agpr_count:     0
    .args:
      - .offset:         0
        .size:           4
        .value_kind:     by_value
      - .offset:         4
        .size:           4
        .value_kind:     by_value
      - .address_space:  global
        .offset:         8
        .size:           8
        .value_kind:     global_buffer
      - .offset:         16
        .size:           8
        .value_kind:     by_value
      - .address_space:  global
        .offset:         24
        .size:           8
        .value_kind:     global_buffer
      - .offset:         32
        .size:           8
        .value_kind:     by_value
      - .offset:         40
        .size:           8
        .value_kind:     by_value
      - .offset:         48
        .size:           8
        .value_kind:     by_value
      - .address_space:  global
        .offset:         56
        .size:           8
        .value_kind:     global_buffer
      - .offset:         64
        .size:           8
        .value_kind:     by_value
      - .offset:         72
        .size:           8
        .value_kind:     by_value
      - .offset:         80
        .size:           8
        .value_kind:     by_value
      - .address_space:  global
        .offset:         88
        .size:           8
        .value_kind:     global_buffer
      - .offset:         96
        .size:           8
        .value_kind:     by_value
      - .address_space:  global
        .offset:         104
        .size:           8
        .value_kind:     global_buffer
      - .offset:         112
        .size:           8
        .value_kind:     by_value
      - .offset:         120
        .size:           8
        .value_kind:     by_value
      - .offset:         128
        .size:           8
        .value_kind:     by_value
      - .offset:         136
        .size:           4
        .value_kind:     by_value
    .group_segment_fixed_size: 512
    .kernarg_segment_align: 8
    .kernarg_segment_size: 140
    .language:       OpenCL C
    .language_version:
      - 2
      - 0
    .max_flat_workgroup_size: 256
    .name:           _ZL32rocblas_gemvt_warp_reduce_kernelILb0ELi256ElPKdS1_KPdEviiT3_lPKT2_lT1_lS7_lS8_lS4_lPT4_lS8_li
    .private_segment_fixed_size: 0
    .sgpr_count:     42
    .sgpr_spill_count: 0
    .symbol:         _ZL32rocblas_gemvt_warp_reduce_kernelILb0ELi256ElPKdS1_KPdEviiT3_lPKT2_lT1_lS7_lS8_lS4_lPT4_lS8_li.kd
    .uniform_work_group_size: 1
    .uses_dynamic_stack: false
    .vgpr_count:     14
    .vgpr_spill_count: 0
    .wavefront_size: 64
  - .agpr_count:     0
    .args:
      - .offset:         0
        .size:           4
        .value_kind:     by_value
      - .offset:         4
        .size:           4
        .value_kind:     by_value
      - .offset:         8
        .size:           8
        .value_kind:     by_value
      - .offset:         16
        .size:           8
        .value_kind:     by_value
      - .address_space:  global
        .offset:         24
        .size:           8
        .value_kind:     global_buffer
      - .offset:         32
        .size:           8
        .value_kind:     by_value
      - .offset:         40
        .size:           4
        .value_kind:     by_value
      - .offset:         48
        .size:           8
        .value_kind:     by_value
      - .address_space:  global
        .offset:         56
        .size:           8
        .value_kind:     global_buffer
      - .offset:         64
        .size:           8
        .value_kind:     by_value
      - .offset:         72
        .size:           4
        .value_kind:     by_value
      - .offset:         80
        .size:           8
        .value_kind:     by_value
      - .offset:         88
        .size:           8
        .value_kind:     by_value
      - .offset:         96
        .size:           8
        .value_kind:     by_value
      - .address_space:  global
        .offset:         104
        .size:           8
        .value_kind:     global_buffer
      - .offset:         112
        .size:           8
        .value_kind:     by_value
      - .offset:         120
        .size:           4
        .value_kind:     by_value
      - .offset:         128
        .size:           8
        .value_kind:     by_value
      - .offset:         136
        .size:           4
        .value_kind:     by_value
    .group_segment_fixed_size: 512
    .kernarg_segment_align: 8
    .kernarg_segment_size: 140
    .language:       OpenCL C
    .language_version:
      - 2
      - 0
    .max_flat_workgroup_size: 256
    .name:           _ZL32rocblas_gemvt_warp_reduce_kernelILb0ELi256EiPKddKPdEviiT3_lPKT2_lT1_lS7_lS8_lS4_lPT4_lS8_li
    .private_segment_fixed_size: 0
    .sgpr_count:     34
    .sgpr_spill_count: 0
    .symbol:         _ZL32rocblas_gemvt_warp_reduce_kernelILb0ELi256EiPKddKPdEviiT3_lPKT2_lT1_lS7_lS8_lS4_lPT4_lS8_li.kd
    .uniform_work_group_size: 1
    .uses_dynamic_stack: false
    .vgpr_count:     14
    .vgpr_spill_count: 0
    .wavefront_size: 64
  - .agpr_count:     0
    .args:
      - .offset:         0
        .size:           4
        .value_kind:     by_value
      - .offset:         4
        .size:           4
        .value_kind:     by_value
      - .offset:         8
        .size:           8
        .value_kind:     by_value
      - .offset:         16
        .size:           8
        .value_kind:     by_value
      - .address_space:  global
        .offset:         24
        .size:           8
        .value_kind:     global_buffer
      - .offset:         32
        .size:           8
        .value_kind:     by_value
      - .offset:         40
        .size:           8
        .value_kind:     by_value
      - .offset:         48
        .size:           8
        .value_kind:     by_value
      - .address_space:  global
        .offset:         56
        .size:           8
        .value_kind:     global_buffer
      - .offset:         64
        .size:           8
        .value_kind:     by_value
      - .offset:         72
        .size:           8
        .value_kind:     by_value
      - .offset:         80
        .size:           8
        .value_kind:     by_value
      - .offset:         88
        .size:           8
        .value_kind:     by_value
      - .offset:         96
        .size:           8
        .value_kind:     by_value
      - .address_space:  global
        .offset:         104
        .size:           8
        .value_kind:     global_buffer
      - .offset:         112
        .size:           8
        .value_kind:     by_value
      - .offset:         120
        .size:           8
        .value_kind:     by_value
      - .offset:         128
        .size:           8
        .value_kind:     by_value
      - .offset:         136
        .size:           4
        .value_kind:     by_value
    .group_segment_fixed_size: 512
    .kernarg_segment_align: 8
    .kernarg_segment_size: 140
    .language:       OpenCL C
    .language_version:
      - 2
      - 0
    .max_flat_workgroup_size: 256
    .name:           _ZL32rocblas_gemvt_warp_reduce_kernelILb0ELi256ElPKddKPdEviiT3_lPKT2_lT1_lS7_lS8_lS4_lPT4_lS8_li
    .private_segment_fixed_size: 0
    .sgpr_count:     38
    .sgpr_spill_count: 0
    .symbol:         _ZL32rocblas_gemvt_warp_reduce_kernelILb0ELi256ElPKddKPdEviiT3_lPKT2_lT1_lS7_lS8_lS4_lPT4_lS8_li.kd
    .uniform_work_group_size: 1
    .uses_dynamic_stack: false
    .vgpr_count:     14
    .vgpr_spill_count: 0
    .wavefront_size: 64
  - .agpr_count:     0
    .args:
      - .offset:         0
        .size:           4
        .value_kind:     by_value
      - .offset:         4
        .size:           4
        .value_kind:     by_value
      - .address_space:  global
        .offset:         8
        .size:           8
        .value_kind:     global_buffer
      - .offset:         16
        .size:           8
        .value_kind:     by_value
      - .address_space:  global
        .offset:         24
        .size:           8
        .value_kind:     global_buffer
      - .offset:         32
        .size:           8
        .value_kind:     by_value
      - .offset:         40
        .size:           4
        .value_kind:     by_value
      - .offset:         48
        .size:           8
        .value_kind:     by_value
      - .address_space:  global
        .offset:         56
        .size:           8
        .value_kind:     global_buffer
      - .offset:         64
        .size:           8
        .value_kind:     by_value
      - .offset:         72
        .size:           4
        .value_kind:     by_value
      - .offset:         80
        .size:           8
        .value_kind:     by_value
      - .address_space:  global
        .offset:         88
        .size:           8
        .value_kind:     global_buffer
      - .offset:         96
        .size:           8
        .value_kind:     by_value
      - .address_space:  global
        .offset:         104
        .size:           8
        .value_kind:     global_buffer
      - .offset:         112
        .size:           8
        .value_kind:     by_value
      - .offset:         120
        .size:           4
        .value_kind:     by_value
      - .offset:         128
        .size:           8
        .value_kind:     by_value
      - .offset:         136
        .size:           4
        .value_kind:     by_value
    .group_segment_fixed_size: 2048
    .kernarg_segment_align: 8
    .kernarg_segment_size: 140
    .language:       OpenCL C
    .language_version:
      - 2
      - 0
    .max_flat_workgroup_size: 256
    .name:           _ZL20rocblas_gemvt_kernelILb0ELi256EPKdS1_KPdEviiT2_lPKT1_lilS7_lilS4_lPT3_lili
    .private_segment_fixed_size: 0
    .sgpr_count:     32
    .sgpr_spill_count: 0
    .symbol:         _ZL20rocblas_gemvt_kernelILb0ELi256EPKdS1_KPdEviiT2_lPKT1_lilS7_lilS4_lPT3_lili.kd
    .uniform_work_group_size: 1
    .uses_dynamic_stack: false
    .vgpr_count:     14
    .vgpr_spill_count: 0
    .wavefront_size: 64
  - .agpr_count:     0
    .args:
      - .offset:         0
        .size:           4
        .value_kind:     by_value
      - .offset:         4
        .size:           4
        .value_kind:     by_value
      - .offset:         8
        .size:           8
        .value_kind:     by_value
      - .offset:         16
        .size:           8
        .value_kind:     by_value
      - .address_space:  global
        .offset:         24
        .size:           8
        .value_kind:     global_buffer
      - .offset:         32
        .size:           8
        .value_kind:     by_value
      - .offset:         40
        .size:           4
        .value_kind:     by_value
      - .offset:         48
        .size:           8
        .value_kind:     by_value
      - .address_space:  global
        .offset:         56
        .size:           8
        .value_kind:     global_buffer
      - .offset:         64
        .size:           8
        .value_kind:     by_value
      - .offset:         72
        .size:           4
        .value_kind:     by_value
      - .offset:         80
        .size:           8
        .value_kind:     by_value
      - .offset:         88
        .size:           8
        .value_kind:     by_value
      - .offset:         96
        .size:           8
        .value_kind:     by_value
      - .address_space:  global
        .offset:         104
        .size:           8
        .value_kind:     global_buffer
      - .offset:         112
        .size:           8
        .value_kind:     by_value
      - .offset:         120
        .size:           4
        .value_kind:     by_value
      - .offset:         128
        .size:           8
        .value_kind:     by_value
      - .offset:         136
        .size:           4
        .value_kind:     by_value
    .group_segment_fixed_size: 2048
    .kernarg_segment_align: 8
    .kernarg_segment_size: 140
    .language:       OpenCL C
    .language_version:
      - 2
      - 0
    .max_flat_workgroup_size: 256
    .name:           _ZL20rocblas_gemvt_kernelILb0ELi256EPKddKPdEviiT2_lPKT1_lilS7_lilS4_lPT3_lili
    .private_segment_fixed_size: 0
    .sgpr_count:     34
    .sgpr_spill_count: 0
    .symbol:         _ZL20rocblas_gemvt_kernelILb0ELi256EPKddKPdEviiT2_lPKT1_lilS7_lilS4_lPT3_lili.kd
    .uniform_work_group_size: 1
    .uses_dynamic_stack: false
    .vgpr_count:     14
    .vgpr_spill_count: 0
    .wavefront_size: 64
  - .agpr_count:     0
    .args:
      - .offset:         0
        .size:           4
        .value_kind:     by_value
      - .offset:         4
        .size:           4
        .value_kind:     by_value
      - .address_space:  global
        .offset:         8
        .size:           8
        .value_kind:     global_buffer
      - .offset:         16
        .size:           8
        .value_kind:     by_value
      - .address_space:  global
        .offset:         24
        .size:           8
        .value_kind:     global_buffer
      - .offset:         32
        .size:           8
        .value_kind:     by_value
      - .offset:         40
        .size:           4
        .value_kind:     by_value
      - .offset:         48
        .size:           8
        .value_kind:     by_value
      - .address_space:  global
        .offset:         56
        .size:           8
        .value_kind:     global_buffer
      - .offset:         64
        .size:           8
        .value_kind:     by_value
      - .offset:         72
        .size:           4
        .value_kind:     by_value
      - .offset:         80
        .size:           8
        .value_kind:     by_value
      - .address_space:  global
        .offset:         88
        .size:           8
        .value_kind:     global_buffer
      - .offset:         96
        .size:           8
        .value_kind:     by_value
      - .address_space:  global
        .offset:         104
        .size:           8
        .value_kind:     global_buffer
      - .offset:         112
        .size:           8
        .value_kind:     by_value
      - .offset:         120
        .size:           4
        .value_kind:     by_value
      - .offset:         128
        .size:           8
        .value_kind:     by_value
      - .offset:         136
        .size:           4
        .value_kind:     by_value
    .group_segment_fixed_size: 512
    .kernarg_segment_align: 8
    .kernarg_segment_size: 140
    .language:       OpenCL C
    .language_version:
      - 2
      - 0
    .max_flat_workgroup_size: 1024
    .name:           _ZL32rocblas_gemvt_warp_reduce_kernelILb0ELi1024EiPKdS1_KPdEviiT3_lPKT2_lT1_lS7_lS8_lS4_lPT4_lS8_li
    .private_segment_fixed_size: 0
    .sgpr_count:     32
    .sgpr_spill_count: 0
    .symbol:         _ZL32rocblas_gemvt_warp_reduce_kernelILb0ELi1024EiPKdS1_KPdEviiT3_lPKT2_lT1_lS7_lS8_lS4_lPT4_lS8_li.kd
    .uniform_work_group_size: 1
    .uses_dynamic_stack: false
    .vgpr_count:     14
    .vgpr_spill_count: 0
    .wavefront_size: 64
  - .agpr_count:     0
    .args:
      - .offset:         0
        .size:           4
        .value_kind:     by_value
      - .offset:         4
        .size:           4
        .value_kind:     by_value
      - .address_space:  global
        .offset:         8
        .size:           8
        .value_kind:     global_buffer
      - .offset:         16
        .size:           8
        .value_kind:     by_value
      - .address_space:  global
        .offset:         24
        .size:           8
        .value_kind:     global_buffer
      - .offset:         32
        .size:           8
        .value_kind:     by_value
      - .offset:         40
        .size:           8
        .value_kind:     by_value
      - .offset:         48
        .size:           8
        .value_kind:     by_value
      - .address_space:  global
        .offset:         56
        .size:           8
        .value_kind:     global_buffer
      - .offset:         64
        .size:           8
        .value_kind:     by_value
      - .offset:         72
        .size:           8
        .value_kind:     by_value
      - .offset:         80
        .size:           8
        .value_kind:     by_value
      - .address_space:  global
        .offset:         88
        .size:           8
        .value_kind:     global_buffer
      - .offset:         96
        .size:           8
        .value_kind:     by_value
      - .address_space:  global
        .offset:         104
        .size:           8
        .value_kind:     global_buffer
      - .offset:         112
        .size:           8
        .value_kind:     by_value
      - .offset:         120
        .size:           8
        .value_kind:     by_value
      - .offset:         128
        .size:           8
        .value_kind:     by_value
      - .offset:         136
        .size:           4
        .value_kind:     by_value
    .group_segment_fixed_size: 512
    .kernarg_segment_align: 8
    .kernarg_segment_size: 140
    .language:       OpenCL C
    .language_version:
      - 2
      - 0
    .max_flat_workgroup_size: 1024
    .name:           _ZL32rocblas_gemvt_warp_reduce_kernelILb0ELi1024ElPKdS1_KPdEviiT3_lPKT2_lT1_lS7_lS8_lS4_lPT4_lS8_li
    .private_segment_fixed_size: 0
    .sgpr_count:     42
    .sgpr_spill_count: 0
    .symbol:         _ZL32rocblas_gemvt_warp_reduce_kernelILb0ELi1024ElPKdS1_KPdEviiT3_lPKT2_lT1_lS7_lS8_lS4_lPT4_lS8_li.kd
    .uniform_work_group_size: 1
    .uses_dynamic_stack: false
    .vgpr_count:     14
    .vgpr_spill_count: 0
    .wavefront_size: 64
  - .agpr_count:     0
    .args:
      - .offset:         0
        .size:           4
        .value_kind:     by_value
      - .offset:         4
        .size:           4
        .value_kind:     by_value
      - .offset:         8
        .size:           8
        .value_kind:     by_value
      - .offset:         16
        .size:           8
        .value_kind:     by_value
      - .address_space:  global
        .offset:         24
        .size:           8
        .value_kind:     global_buffer
      - .offset:         32
        .size:           8
        .value_kind:     by_value
      - .offset:         40
        .size:           4
        .value_kind:     by_value
      - .offset:         48
        .size:           8
        .value_kind:     by_value
      - .address_space:  global
        .offset:         56
        .size:           8
        .value_kind:     global_buffer
      - .offset:         64
        .size:           8
        .value_kind:     by_value
      - .offset:         72
        .size:           4
        .value_kind:     by_value
      - .offset:         80
        .size:           8
        .value_kind:     by_value
      - .offset:         88
        .size:           8
        .value_kind:     by_value
      - .offset:         96
        .size:           8
        .value_kind:     by_value
      - .address_space:  global
        .offset:         104
        .size:           8
        .value_kind:     global_buffer
      - .offset:         112
        .size:           8
        .value_kind:     by_value
      - .offset:         120
        .size:           4
        .value_kind:     by_value
      - .offset:         128
        .size:           8
        .value_kind:     by_value
      - .offset:         136
        .size:           4
        .value_kind:     by_value
    .group_segment_fixed_size: 512
    .kernarg_segment_align: 8
    .kernarg_segment_size: 140
    .language:       OpenCL C
    .language_version:
      - 2
      - 0
    .max_flat_workgroup_size: 1024
    .name:           _ZL32rocblas_gemvt_warp_reduce_kernelILb0ELi1024EiPKddKPdEviiT3_lPKT2_lT1_lS7_lS8_lS4_lPT4_lS8_li
    .private_segment_fixed_size: 0
    .sgpr_count:     34
    .sgpr_spill_count: 0
    .symbol:         _ZL32rocblas_gemvt_warp_reduce_kernelILb0ELi1024EiPKddKPdEviiT3_lPKT2_lT1_lS7_lS8_lS4_lPT4_lS8_li.kd
    .uniform_work_group_size: 1
    .uses_dynamic_stack: false
    .vgpr_count:     14
    .vgpr_spill_count: 0
    .wavefront_size: 64
  - .agpr_count:     0
    .args:
      - .offset:         0
        .size:           4
        .value_kind:     by_value
      - .offset:         4
        .size:           4
        .value_kind:     by_value
      - .offset:         8
        .size:           8
        .value_kind:     by_value
      - .offset:         16
        .size:           8
        .value_kind:     by_value
      - .address_space:  global
        .offset:         24
        .size:           8
        .value_kind:     global_buffer
      - .offset:         32
        .size:           8
        .value_kind:     by_value
      - .offset:         40
        .size:           8
        .value_kind:     by_value
      - .offset:         48
        .size:           8
        .value_kind:     by_value
      - .address_space:  global
        .offset:         56
        .size:           8
        .value_kind:     global_buffer
      - .offset:         64
        .size:           8
        .value_kind:     by_value
      - .offset:         72
        .size:           8
        .value_kind:     by_value
      - .offset:         80
        .size:           8
        .value_kind:     by_value
      - .offset:         88
        .size:           8
        .value_kind:     by_value
      - .offset:         96
        .size:           8
        .value_kind:     by_value
      - .address_space:  global
        .offset:         104
        .size:           8
        .value_kind:     global_buffer
      - .offset:         112
        .size:           8
        .value_kind:     by_value
      - .offset:         120
        .size:           8
        .value_kind:     by_value
      - .offset:         128
        .size:           8
        .value_kind:     by_value
      - .offset:         136
        .size:           4
        .value_kind:     by_value
    .group_segment_fixed_size: 512
    .kernarg_segment_align: 8
    .kernarg_segment_size: 140
    .language:       OpenCL C
    .language_version:
      - 2
      - 0
    .max_flat_workgroup_size: 1024
    .name:           _ZL32rocblas_gemvt_warp_reduce_kernelILb0ELi1024ElPKddKPdEviiT3_lPKT2_lT1_lS7_lS8_lS4_lPT4_lS8_li
    .private_segment_fixed_size: 0
    .sgpr_count:     38
    .sgpr_spill_count: 0
    .symbol:         _ZL32rocblas_gemvt_warp_reduce_kernelILb0ELi1024ElPKddKPdEviiT3_lPKT2_lT1_lS7_lS8_lS4_lPT4_lS8_li.kd
    .uniform_work_group_size: 1
    .uses_dynamic_stack: false
    .vgpr_count:     14
    .vgpr_spill_count: 0
    .wavefront_size: 64
  - .agpr_count:     0
    .args:
      - .offset:         0
        .size:           4
        .value_kind:     by_value
      - .offset:         4
        .size:           4
        .value_kind:     by_value
      - .address_space:  global
        .offset:         8
        .size:           8
        .value_kind:     global_buffer
      - .offset:         16
        .size:           8
        .value_kind:     by_value
      - .address_space:  global
        .offset:         24
        .size:           8
        .value_kind:     global_buffer
      - .offset:         32
        .size:           8
        .value_kind:     by_value
      - .offset:         40
        .size:           4
        .value_kind:     by_value
      - .offset:         48
        .size:           8
        .value_kind:     by_value
      - .address_space:  global
        .offset:         56
        .size:           8
        .value_kind:     global_buffer
      - .offset:         64
        .size:           8
        .value_kind:     by_value
      - .offset:         72
        .size:           4
        .value_kind:     by_value
      - .offset:         80
        .size:           8
        .value_kind:     by_value
      - .address_space:  global
        .offset:         88
        .size:           8
        .value_kind:     global_buffer
      - .offset:         96
        .size:           8
        .value_kind:     by_value
      - .address_space:  global
        .offset:         104
        .size:           8
        .value_kind:     global_buffer
      - .offset:         112
        .size:           8
        .value_kind:     by_value
      - .offset:         120
        .size:           4
        .value_kind:     by_value
      - .offset:         128
        .size:           8
        .value_kind:     by_value
    .group_segment_fixed_size: 512
    .kernarg_segment_align: 8
    .kernarg_segment_size: 136
    .language:       OpenCL C
    .language_version:
      - 2
      - 0
    .max_flat_workgroup_size: 256
    .name:           _ZL22rocblas_gemvtsm_kernelILb1ELi256EPKdS1_KPdEviiT2_lPKT1_lilS7_lilS4_lPT3_lil
    .private_segment_fixed_size: 0
    .sgpr_count:     32
    .sgpr_spill_count: 0
    .symbol:         _ZL22rocblas_gemvtsm_kernelILb1ELi256EPKdS1_KPdEviiT2_lPKT1_lilS7_lilS4_lPT3_lil.kd
    .uniform_work_group_size: 1
    .uses_dynamic_stack: false
    .vgpr_count:     42
    .vgpr_spill_count: 0
    .wavefront_size: 64
  - .agpr_count:     0
    .args:
      - .offset:         0
        .size:           4
        .value_kind:     by_value
      - .offset:         4
        .size:           4
        .value_kind:     by_value
      - .offset:         8
        .size:           8
        .value_kind:     by_value
      - .offset:         16
        .size:           8
        .value_kind:     by_value
      - .address_space:  global
        .offset:         24
        .size:           8
        .value_kind:     global_buffer
      - .offset:         32
        .size:           8
        .value_kind:     by_value
      - .offset:         40
        .size:           4
        .value_kind:     by_value
      - .offset:         48
        .size:           8
        .value_kind:     by_value
      - .address_space:  global
        .offset:         56
        .size:           8
        .value_kind:     global_buffer
      - .offset:         64
        .size:           8
        .value_kind:     by_value
      - .offset:         72
        .size:           4
        .value_kind:     by_value
      - .offset:         80
        .size:           8
        .value_kind:     by_value
      - .offset:         88
        .size:           8
        .value_kind:     by_value
      - .offset:         96
        .size:           8
        .value_kind:     by_value
      - .address_space:  global
        .offset:         104
        .size:           8
        .value_kind:     global_buffer
      - .offset:         112
        .size:           8
        .value_kind:     by_value
      - .offset:         120
        .size:           4
        .value_kind:     by_value
      - .offset:         128
        .size:           8
        .value_kind:     by_value
    .group_segment_fixed_size: 512
    .kernarg_segment_align: 8
    .kernarg_segment_size: 136
    .language:       OpenCL C
    .language_version:
      - 2
      - 0
    .max_flat_workgroup_size: 256
    .name:           _ZL22rocblas_gemvtsm_kernelILb1ELi256EPKddKPdEviiT2_lPKT1_lilS7_lilS4_lPT3_lil
    .private_segment_fixed_size: 0
    .sgpr_count:     32
    .sgpr_spill_count: 0
    .symbol:         _ZL22rocblas_gemvtsm_kernelILb1ELi256EPKddKPdEviiT2_lPKT1_lilS7_lilS4_lPT3_lil.kd
    .uniform_work_group_size: 1
    .uses_dynamic_stack: false
    .vgpr_count:     42
    .vgpr_spill_count: 0
    .wavefront_size: 64
  - .agpr_count:     0
    .args:
      - .offset:         0
        .size:           4
        .value_kind:     by_value
      - .offset:         4
        .size:           4
        .value_kind:     by_value
      - .address_space:  global
        .offset:         8
        .size:           8
        .value_kind:     global_buffer
      - .offset:         16
        .size:           8
        .value_kind:     by_value
      - .address_space:  global
        .offset:         24
        .size:           8
        .value_kind:     global_buffer
      - .offset:         32
        .size:           8
        .value_kind:     by_value
      - .offset:         40
        .size:           4
        .value_kind:     by_value
      - .offset:         48
        .size:           8
        .value_kind:     by_value
      - .address_space:  global
        .offset:         56
        .size:           8
        .value_kind:     global_buffer
      - .offset:         64
        .size:           8
        .value_kind:     by_value
      - .offset:         72
        .size:           4
        .value_kind:     by_value
      - .offset:         80
        .size:           8
        .value_kind:     by_value
      - .address_space:  global
        .offset:         88
        .size:           8
        .value_kind:     global_buffer
      - .offset:         96
        .size:           4
        .value_kind:     by_value
      - .offset:         104
        .size:           4
        .value_kind:     hidden_block_count_x
      - .offset:         108
        .size:           4
        .value_kind:     hidden_block_count_y
      - .offset:         112
        .size:           4
        .value_kind:     hidden_block_count_z
      - .offset:         116
        .size:           2
        .value_kind:     hidden_group_size_x
      - .offset:         118
        .size:           2
        .value_kind:     hidden_group_size_y
      - .offset:         120
        .size:           2
        .value_kind:     hidden_group_size_z
      - .offset:         122
        .size:           2
        .value_kind:     hidden_remainder_x
      - .offset:         124
        .size:           2
        .value_kind:     hidden_remainder_y
      - .offset:         126
        .size:           2
        .value_kind:     hidden_remainder_z
      - .offset:         144
        .size:           8
        .value_kind:     hidden_global_offset_x
      - .offset:         152
        .size:           8
        .value_kind:     hidden_global_offset_y
      - .offset:         160
        .size:           8
        .value_kind:     hidden_global_offset_z
      - .offset:         168
        .size:           2
        .value_kind:     hidden_grid_dims
    .group_segment_fixed_size: 512
    .kernarg_segment_align: 8
    .kernarg_segment_size: 360
    .language:       OpenCL C
    .language_version:
      - 2
      - 0
    .max_flat_workgroup_size: 256
    .name:           _ZL23rocblas_gemvt_sn_kernelILb1ELi256ELi4EiPKdS1_dEviiT4_lPKT3_lilS5_lilPT5_i
    .private_segment_fixed_size: 0
    .sgpr_count:     64
    .sgpr_spill_count: 0
    .symbol:         _ZL23rocblas_gemvt_sn_kernelILb1ELi256ELi4EiPKdS1_dEviiT4_lPKT3_lilS5_lilPT5_i.kd
    .uniform_work_group_size: 1
    .uses_dynamic_stack: false
    .vgpr_count:     78
    .vgpr_spill_count: 0
    .wavefront_size: 64
  - .agpr_count:     0
    .args:
      - .offset:         0
        .size:           4
        .value_kind:     by_value
      - .offset:         4
        .size:           4
        .value_kind:     by_value
      - .address_space:  global
        .offset:         8
        .size:           8
        .value_kind:     global_buffer
      - .offset:         16
        .size:           8
        .value_kind:     by_value
      - .address_space:  global
        .offset:         24
        .size:           8
        .value_kind:     global_buffer
      - .offset:         32
        .size:           8
        .value_kind:     by_value
      - .offset:         40
        .size:           4
        .value_kind:     by_value
      - .offset:         48
        .size:           8
        .value_kind:     by_value
      - .address_space:  global
        .offset:         56
        .size:           8
        .value_kind:     global_buffer
      - .offset:         64
        .size:           8
        .value_kind:     by_value
      - .offset:         72
        .size:           4
        .value_kind:     by_value
      - .offset:         80
        .size:           8
        .value_kind:     by_value
      - .address_space:  global
        .offset:         88
        .size:           8
        .value_kind:     global_buffer
      - .offset:         96
        .size:           4
        .value_kind:     by_value
      - .offset:         104
        .size:           4
        .value_kind:     hidden_block_count_x
      - .offset:         108
        .size:           4
        .value_kind:     hidden_block_count_y
      - .offset:         112
        .size:           4
        .value_kind:     hidden_block_count_z
      - .offset:         116
        .size:           2
        .value_kind:     hidden_group_size_x
      - .offset:         118
        .size:           2
        .value_kind:     hidden_group_size_y
      - .offset:         120
        .size:           2
        .value_kind:     hidden_group_size_z
      - .offset:         122
        .size:           2
        .value_kind:     hidden_remainder_x
      - .offset:         124
        .size:           2
        .value_kind:     hidden_remainder_y
      - .offset:         126
        .size:           2
        .value_kind:     hidden_remainder_z
      - .offset:         144
        .size:           8
        .value_kind:     hidden_global_offset_x
      - .offset:         152
        .size:           8
        .value_kind:     hidden_global_offset_y
      - .offset:         160
        .size:           8
        .value_kind:     hidden_global_offset_z
      - .offset:         168
        .size:           2
        .value_kind:     hidden_grid_dims
    .group_segment_fixed_size: 512
    .kernarg_segment_align: 8
    .kernarg_segment_size: 360
    .language:       OpenCL C
    .language_version:
      - 2
      - 0
    .max_flat_workgroup_size: 256
    .name:           _ZL23rocblas_gemvt_sn_kernelILb1ELi256ELi4ElPKdS1_dEviiT4_lPKT3_lilS5_lilPT5_i
    .private_segment_fixed_size: 0
    .sgpr_count:     66
    .sgpr_spill_count: 0
    .symbol:         _ZL23rocblas_gemvt_sn_kernelILb1ELi256ELi4ElPKdS1_dEviiT4_lPKT3_lilS5_lilPT5_i.kd
    .uniform_work_group_size: 1
    .uses_dynamic_stack: false
    .vgpr_count:     82
    .vgpr_spill_count: 0
    .wavefront_size: 64
  - .agpr_count:     0
    .args:
      - .offset:         0
        .size:           4
        .value_kind:     by_value
      - .offset:         4
        .size:           4
        .value_kind:     by_value
      - .offset:         8
        .size:           8
        .value_kind:     by_value
      - .offset:         16
        .size:           8
        .value_kind:     by_value
      - .address_space:  global
        .offset:         24
        .size:           8
        .value_kind:     global_buffer
      - .offset:         32
        .size:           8
        .value_kind:     by_value
      - .offset:         40
        .size:           4
        .value_kind:     by_value
      - .offset:         48
        .size:           8
        .value_kind:     by_value
      - .address_space:  global
        .offset:         56
        .size:           8
        .value_kind:     global_buffer
      - .offset:         64
        .size:           8
        .value_kind:     by_value
      - .offset:         72
        .size:           4
        .value_kind:     by_value
      - .offset:         80
        .size:           8
        .value_kind:     by_value
      - .address_space:  global
        .offset:         88
        .size:           8
        .value_kind:     global_buffer
      - .offset:         96
        .size:           4
        .value_kind:     by_value
      - .offset:         104
        .size:           4
        .value_kind:     hidden_block_count_x
      - .offset:         108
        .size:           4
        .value_kind:     hidden_block_count_y
      - .offset:         112
        .size:           4
        .value_kind:     hidden_block_count_z
      - .offset:         116
        .size:           2
        .value_kind:     hidden_group_size_x
      - .offset:         118
        .size:           2
        .value_kind:     hidden_group_size_y
      - .offset:         120
        .size:           2
        .value_kind:     hidden_group_size_z
      - .offset:         122
        .size:           2
        .value_kind:     hidden_remainder_x
      - .offset:         124
        .size:           2
        .value_kind:     hidden_remainder_y
      - .offset:         126
        .size:           2
        .value_kind:     hidden_remainder_z
      - .offset:         144
        .size:           8
        .value_kind:     hidden_global_offset_x
      - .offset:         152
        .size:           8
        .value_kind:     hidden_global_offset_y
      - .offset:         160
        .size:           8
        .value_kind:     hidden_global_offset_z
      - .offset:         168
        .size:           2
        .value_kind:     hidden_grid_dims
    .group_segment_fixed_size: 512
    .kernarg_segment_align: 8
    .kernarg_segment_size: 360
    .language:       OpenCL C
    .language_version:
      - 2
      - 0
    .max_flat_workgroup_size: 256
    .name:           _ZL23rocblas_gemvt_sn_kernelILb1ELi256ELi4EiPKdddEviiT4_lPKT3_lilS5_lilPT5_i
    .private_segment_fixed_size: 0
    .sgpr_count:     64
    .sgpr_spill_count: 0
    .symbol:         _ZL23rocblas_gemvt_sn_kernelILb1ELi256ELi4EiPKdddEviiT4_lPKT3_lilS5_lilPT5_i.kd
    .uniform_work_group_size: 1
    .uses_dynamic_stack: false
    .vgpr_count:     78
    .vgpr_spill_count: 0
    .wavefront_size: 64
  - .agpr_count:     0
    .args:
      - .offset:         0
        .size:           4
        .value_kind:     by_value
      - .offset:         4
        .size:           4
        .value_kind:     by_value
      - .offset:         8
        .size:           8
        .value_kind:     by_value
      - .offset:         16
        .size:           8
        .value_kind:     by_value
      - .address_space:  global
        .offset:         24
        .size:           8
        .value_kind:     global_buffer
      - .offset:         32
        .size:           8
        .value_kind:     by_value
      - .offset:         40
        .size:           4
        .value_kind:     by_value
      - .offset:         48
        .size:           8
        .value_kind:     by_value
      - .address_space:  global
        .offset:         56
        .size:           8
        .value_kind:     global_buffer
      - .offset:         64
        .size:           8
        .value_kind:     by_value
      - .offset:         72
        .size:           4
        .value_kind:     by_value
      - .offset:         80
        .size:           8
        .value_kind:     by_value
      - .address_space:  global
        .offset:         88
        .size:           8
        .value_kind:     global_buffer
      - .offset:         96
        .size:           4
        .value_kind:     by_value
      - .offset:         104
        .size:           4
        .value_kind:     hidden_block_count_x
      - .offset:         108
        .size:           4
        .value_kind:     hidden_block_count_y
      - .offset:         112
        .size:           4
        .value_kind:     hidden_block_count_z
      - .offset:         116
        .size:           2
        .value_kind:     hidden_group_size_x
      - .offset:         118
        .size:           2
        .value_kind:     hidden_group_size_y
      - .offset:         120
        .size:           2
        .value_kind:     hidden_group_size_z
      - .offset:         122
        .size:           2
        .value_kind:     hidden_remainder_x
      - .offset:         124
        .size:           2
        .value_kind:     hidden_remainder_y
      - .offset:         126
        .size:           2
        .value_kind:     hidden_remainder_z
      - .offset:         144
        .size:           8
        .value_kind:     hidden_global_offset_x
      - .offset:         152
        .size:           8
        .value_kind:     hidden_global_offset_y
      - .offset:         160
        .size:           8
        .value_kind:     hidden_global_offset_z
      - .offset:         168
        .size:           2
        .value_kind:     hidden_grid_dims
    .group_segment_fixed_size: 512
    .kernarg_segment_align: 8
    .kernarg_segment_size: 360
    .language:       OpenCL C
    .language_version:
      - 2
      - 0
    .max_flat_workgroup_size: 256
    .name:           _ZL23rocblas_gemvt_sn_kernelILb1ELi256ELi4ElPKdddEviiT4_lPKT3_lilS5_lilPT5_i
    .private_segment_fixed_size: 0
    .sgpr_count:     66
    .sgpr_spill_count: 0
    .symbol:         _ZL23rocblas_gemvt_sn_kernelILb1ELi256ELi4ElPKdddEviiT4_lPKT3_lilS5_lilPT5_i.kd
    .uniform_work_group_size: 1
    .uses_dynamic_stack: false
    .vgpr_count:     82
    .vgpr_spill_count: 0
    .wavefront_size: 64
  - .agpr_count:     0
    .args:
      - .offset:         0
        .size:           4
        .value_kind:     by_value
      - .offset:         4
        .size:           4
        .value_kind:     by_value
      - .address_space:  global
        .offset:         8
        .size:           8
        .value_kind:     global_buffer
      - .offset:         16
        .size:           8
        .value_kind:     by_value
      - .address_space:  global
        .offset:         24
        .size:           8
        .value_kind:     global_buffer
      - .offset:         32
        .size:           8
        .value_kind:     by_value
      - .offset:         40
        .size:           4
        .value_kind:     by_value
      - .offset:         48
        .size:           8
        .value_kind:     by_value
      - .address_space:  global
        .offset:         56
        .size:           8
        .value_kind:     global_buffer
      - .offset:         64
        .size:           8
        .value_kind:     by_value
      - .offset:         72
        .size:           4
        .value_kind:     by_value
      - .offset:         80
        .size:           8
        .value_kind:     by_value
      - .address_space:  global
        .offset:         88
        .size:           8
        .value_kind:     global_buffer
      - .offset:         96
        .size:           8
        .value_kind:     by_value
      - .offset:         104
        .size:           4
        .value_kind:     by_value
      - .offset:         112
        .size:           8
        .value_kind:     by_value
      - .offset:         120
        .size:           4
        .value_kind:     by_value
      - .offset:         128
        .size:           4
        .value_kind:     hidden_block_count_x
      - .offset:         132
        .size:           4
        .value_kind:     hidden_block_count_y
      - .offset:         136
        .size:           4
        .value_kind:     hidden_block_count_z
      - .offset:         140
        .size:           2
        .value_kind:     hidden_group_size_x
      - .offset:         142
        .size:           2
        .value_kind:     hidden_group_size_y
      - .offset:         144
        .size:           2
        .value_kind:     hidden_group_size_z
      - .offset:         146
        .size:           2
        .value_kind:     hidden_remainder_x
      - .offset:         148
        .size:           2
        .value_kind:     hidden_remainder_y
      - .offset:         150
        .size:           2
        .value_kind:     hidden_remainder_z
      - .offset:         168
        .size:           8
        .value_kind:     hidden_global_offset_x
      - .offset:         176
        .size:           8
        .value_kind:     hidden_global_offset_y
      - .offset:         184
        .size:           8
        .value_kind:     hidden_global_offset_z
      - .offset:         192
        .size:           2
        .value_kind:     hidden_grid_dims
    .group_segment_fixed_size: 65536
    .kernarg_segment_align: 8
    .kernarg_segment_size: 384
    .language:       OpenCL C
    .language_version:
      - 2
      - 0
    .max_flat_workgroup_size: 512
    .name:           _ZL36rocblas_gemvt_double_buffered_kernelILb1ELi128ELi4ELi16EPKdS1_KPdEviiT4_lPKT3_lilS7_lilPT5_lili
    .private_segment_fixed_size: 0
    .sgpr_count:     38
    .sgpr_spill_count: 0
    .symbol:         _ZL36rocblas_gemvt_double_buffered_kernelILb1ELi128ELi4ELi16EPKdS1_KPdEviiT4_lPKT3_lilS7_lilPT5_lili.kd
    .uniform_work_group_size: 1
    .uses_dynamic_stack: false
    .vgpr_count:     176
    .vgpr_spill_count: 0
    .wavefront_size: 64
  - .agpr_count:     0
    .args:
      - .offset:         0
        .size:           4
        .value_kind:     by_value
      - .offset:         4
        .size:           4
        .value_kind:     by_value
      - .offset:         8
        .size:           8
        .value_kind:     by_value
      - .offset:         16
        .size:           8
        .value_kind:     by_value
      - .address_space:  global
        .offset:         24
        .size:           8
        .value_kind:     global_buffer
      - .offset:         32
        .size:           8
        .value_kind:     by_value
      - .offset:         40
        .size:           4
        .value_kind:     by_value
      - .offset:         48
        .size:           8
        .value_kind:     by_value
      - .address_space:  global
        .offset:         56
        .size:           8
        .value_kind:     global_buffer
      - .offset:         64
        .size:           8
        .value_kind:     by_value
      - .offset:         72
        .size:           4
        .value_kind:     by_value
      - .offset:         80
        .size:           8
        .value_kind:     by_value
      - .address_space:  global
        .offset:         88
        .size:           8
        .value_kind:     global_buffer
      - .offset:         96
        .size:           8
        .value_kind:     by_value
      - .offset:         104
        .size:           4
        .value_kind:     by_value
      - .offset:         112
        .size:           8
        .value_kind:     by_value
      - .offset:         120
        .size:           4
        .value_kind:     by_value
      - .offset:         128
        .size:           4
        .value_kind:     hidden_block_count_x
      - .offset:         132
        .size:           4
        .value_kind:     hidden_block_count_y
      - .offset:         136
        .size:           4
        .value_kind:     hidden_block_count_z
      - .offset:         140
        .size:           2
        .value_kind:     hidden_group_size_x
      - .offset:         142
        .size:           2
        .value_kind:     hidden_group_size_y
      - .offset:         144
        .size:           2
        .value_kind:     hidden_group_size_z
      - .offset:         146
        .size:           2
        .value_kind:     hidden_remainder_x
      - .offset:         148
        .size:           2
        .value_kind:     hidden_remainder_y
      - .offset:         150
        .size:           2
        .value_kind:     hidden_remainder_z
      - .offset:         168
        .size:           8
        .value_kind:     hidden_global_offset_x
      - .offset:         176
        .size:           8
        .value_kind:     hidden_global_offset_y
      - .offset:         184
        .size:           8
        .value_kind:     hidden_global_offset_z
      - .offset:         192
        .size:           2
        .value_kind:     hidden_grid_dims
    .group_segment_fixed_size: 65536
    .kernarg_segment_align: 8
    .kernarg_segment_size: 384
    .language:       OpenCL C
    .language_version:
      - 2
      - 0
    .max_flat_workgroup_size: 512
    .name:           _ZL36rocblas_gemvt_double_buffered_kernelILb1ELi128ELi4ELi16EPKddKPdEviiT4_lPKT3_lilS7_lilPT5_lili
    .private_segment_fixed_size: 0
    .sgpr_count:     38
    .sgpr_spill_count: 0
    .symbol:         _ZL36rocblas_gemvt_double_buffered_kernelILb1ELi128ELi4ELi16EPKddKPdEviiT4_lPKT3_lilS7_lilPT5_lili.kd
    .uniform_work_group_size: 1
    .uses_dynamic_stack: false
    .vgpr_count:     176
    .vgpr_spill_count: 0
    .wavefront_size: 64
  - .agpr_count:     0
    .args:
      - .offset:         0
        .size:           4
        .value_kind:     by_value
      - .offset:         4
        .size:           4
        .value_kind:     by_value
      - .address_space:  global
        .offset:         8
        .size:           8
        .value_kind:     global_buffer
      - .offset:         16
        .size:           8
        .value_kind:     by_value
      - .address_space:  global
        .offset:         24
        .size:           8
        .value_kind:     global_buffer
      - .offset:         32
        .size:           8
        .value_kind:     by_value
      - .offset:         40
        .size:           4
        .value_kind:     by_value
      - .offset:         48
        .size:           8
        .value_kind:     by_value
      - .address_space:  global
        .offset:         56
        .size:           8
        .value_kind:     global_buffer
      - .offset:         64
        .size:           8
        .value_kind:     by_value
      - .offset:         72
        .size:           4
        .value_kind:     by_value
      - .offset:         80
        .size:           8
        .value_kind:     by_value
      - .address_space:  global
        .offset:         88
        .size:           8
        .value_kind:     global_buffer
      - .offset:         96
        .size:           8
        .value_kind:     by_value
      - .address_space:  global
        .offset:         104
        .size:           8
        .value_kind:     global_buffer
      - .offset:         112
        .size:           8
        .value_kind:     by_value
      - .offset:         120
        .size:           4
        .value_kind:     by_value
      - .offset:         128
        .size:           8
        .value_kind:     by_value
      - .offset:         136
        .size:           4
        .value_kind:     by_value
    .group_segment_fixed_size: 2048
    .kernarg_segment_align: 8
    .kernarg_segment_size: 140
    .language:       OpenCL C
    .language_version:
      - 2
      - 0
    .max_flat_workgroup_size: 256
    .name:           _ZL20rocblas_gemvt_kernelILb1ELi256EPKdS1_KPdEviiT2_lPKT1_lilS7_lilS4_lPT3_lili
    .private_segment_fixed_size: 0
    .sgpr_count:     32
    .sgpr_spill_count: 0
    .symbol:         _ZL20rocblas_gemvt_kernelILb1ELi256EPKdS1_KPdEviiT2_lPKT1_lilS7_lilS4_lPT3_lili.kd
    .uniform_work_group_size: 1
    .uses_dynamic_stack: false
    .vgpr_count:     14
    .vgpr_spill_count: 0
    .wavefront_size: 64
  - .agpr_count:     0
    .args:
      - .offset:         0
        .size:           4
        .value_kind:     by_value
      - .offset:         4
        .size:           4
        .value_kind:     by_value
      - .offset:         8
        .size:           8
        .value_kind:     by_value
      - .offset:         16
        .size:           8
        .value_kind:     by_value
      - .address_space:  global
        .offset:         24
        .size:           8
        .value_kind:     global_buffer
      - .offset:         32
        .size:           8
        .value_kind:     by_value
      - .offset:         40
        .size:           4
        .value_kind:     by_value
      - .offset:         48
        .size:           8
        .value_kind:     by_value
      - .address_space:  global
        .offset:         56
        .size:           8
        .value_kind:     global_buffer
      - .offset:         64
        .size:           8
        .value_kind:     by_value
      - .offset:         72
        .size:           4
        .value_kind:     by_value
      - .offset:         80
        .size:           8
        .value_kind:     by_value
      - .offset:         88
        .size:           8
        .value_kind:     by_value
      - .offset:         96
        .size:           8
        .value_kind:     by_value
      - .address_space:  global
        .offset:         104
        .size:           8
        .value_kind:     global_buffer
      - .offset:         112
        .size:           8
        .value_kind:     by_value
      - .offset:         120
        .size:           4
        .value_kind:     by_value
      - .offset:         128
        .size:           8
        .value_kind:     by_value
      - .offset:         136
        .size:           4
        .value_kind:     by_value
    .group_segment_fixed_size: 2048
    .kernarg_segment_align: 8
    .kernarg_segment_size: 140
    .language:       OpenCL C
    .language_version:
      - 2
      - 0
    .max_flat_workgroup_size: 256
    .name:           _ZL20rocblas_gemvt_kernelILb1ELi256EPKddKPdEviiT2_lPKT1_lilS7_lilS4_lPT3_lili
    .private_segment_fixed_size: 0
    .sgpr_count:     34
    .sgpr_spill_count: 0
    .symbol:         _ZL20rocblas_gemvt_kernelILb1ELi256EPKddKPdEviiT2_lPKT1_lilS7_lilS4_lPT3_lili.kd
    .uniform_work_group_size: 1
    .uses_dynamic_stack: false
    .vgpr_count:     14
    .vgpr_spill_count: 0
    .wavefront_size: 64
  - .agpr_count:     0
    .args:
      - .offset:         0
        .size:           4
        .value_kind:     by_value
      - .offset:         4
        .size:           4
        .value_kind:     by_value
      - .address_space:  global
        .offset:         8
        .size:           8
        .value_kind:     global_buffer
      - .offset:         16
        .size:           8
        .value_kind:     by_value
      - .address_space:  global
        .offset:         24
        .size:           8
        .value_kind:     global_buffer
      - .offset:         32
        .size:           8
        .value_kind:     by_value
      - .offset:         40
        .size:           4
        .value_kind:     by_value
      - .offset:         48
        .size:           8
        .value_kind:     by_value
      - .address_space:  global
        .offset:         56
        .size:           8
        .value_kind:     global_buffer
      - .offset:         64
        .size:           8
        .value_kind:     by_value
      - .offset:         72
        .size:           4
        .value_kind:     by_value
      - .offset:         80
        .size:           8
        .value_kind:     by_value
      - .address_space:  global
        .offset:         88
        .size:           8
        .value_kind:     global_buffer
      - .offset:         96
        .size:           8
        .value_kind:     by_value
      - .address_space:  global
        .offset:         104
        .size:           8
        .value_kind:     global_buffer
      - .offset:         112
        .size:           8
        .value_kind:     by_value
      - .offset:         120
        .size:           4
        .value_kind:     by_value
      - .offset:         128
        .size:           8
        .value_kind:     by_value
      - .offset:         136
        .size:           4
        .value_kind:     by_value
    .group_segment_fixed_size: 512
    .kernarg_segment_align: 8
    .kernarg_segment_size: 140
    .language:       OpenCL C
    .language_version:
      - 2
      - 0
    .max_flat_workgroup_size: 1024
    .name:           _ZL32rocblas_gemvt_warp_reduce_kernelILb1ELi1024EiPKdS1_KPdEviiT3_lPKT2_lT1_lS7_lS8_lS4_lPT4_lS8_li
    .private_segment_fixed_size: 0
    .sgpr_count:     32
    .sgpr_spill_count: 0
    .symbol:         _ZL32rocblas_gemvt_warp_reduce_kernelILb1ELi1024EiPKdS1_KPdEviiT3_lPKT2_lT1_lS7_lS8_lS4_lPT4_lS8_li.kd
    .uniform_work_group_size: 1
    .uses_dynamic_stack: false
    .vgpr_count:     14
    .vgpr_spill_count: 0
    .wavefront_size: 64
  - .agpr_count:     0
    .args:
      - .offset:         0
        .size:           4
        .value_kind:     by_value
      - .offset:         4
        .size:           4
        .value_kind:     by_value
      - .address_space:  global
        .offset:         8
        .size:           8
        .value_kind:     global_buffer
      - .offset:         16
        .size:           8
        .value_kind:     by_value
      - .address_space:  global
        .offset:         24
        .size:           8
        .value_kind:     global_buffer
      - .offset:         32
        .size:           8
        .value_kind:     by_value
      - .offset:         40
        .size:           8
        .value_kind:     by_value
      - .offset:         48
        .size:           8
        .value_kind:     by_value
      - .address_space:  global
        .offset:         56
        .size:           8
        .value_kind:     global_buffer
      - .offset:         64
        .size:           8
        .value_kind:     by_value
      - .offset:         72
        .size:           8
        .value_kind:     by_value
      - .offset:         80
        .size:           8
        .value_kind:     by_value
      - .address_space:  global
        .offset:         88
        .size:           8
        .value_kind:     global_buffer
      - .offset:         96
        .size:           8
        .value_kind:     by_value
      - .address_space:  global
        .offset:         104
        .size:           8
        .value_kind:     global_buffer
      - .offset:         112
        .size:           8
        .value_kind:     by_value
      - .offset:         120
        .size:           8
        .value_kind:     by_value
      - .offset:         128
        .size:           8
        .value_kind:     by_value
      - .offset:         136
        .size:           4
        .value_kind:     by_value
    .group_segment_fixed_size: 512
    .kernarg_segment_align: 8
    .kernarg_segment_size: 140
    .language:       OpenCL C
    .language_version:
      - 2
      - 0
    .max_flat_workgroup_size: 1024
    .name:           _ZL32rocblas_gemvt_warp_reduce_kernelILb1ELi1024ElPKdS1_KPdEviiT3_lPKT2_lT1_lS7_lS8_lS4_lPT4_lS8_li
    .private_segment_fixed_size: 0
    .sgpr_count:     42
    .sgpr_spill_count: 0
    .symbol:         _ZL32rocblas_gemvt_warp_reduce_kernelILb1ELi1024ElPKdS1_KPdEviiT3_lPKT2_lT1_lS7_lS8_lS4_lPT4_lS8_li.kd
    .uniform_work_group_size: 1
    .uses_dynamic_stack: false
    .vgpr_count:     14
    .vgpr_spill_count: 0
    .wavefront_size: 64
  - .agpr_count:     0
    .args:
      - .offset:         0
        .size:           4
        .value_kind:     by_value
      - .offset:         4
        .size:           4
        .value_kind:     by_value
      - .offset:         8
        .size:           8
        .value_kind:     by_value
      - .offset:         16
        .size:           8
        .value_kind:     by_value
      - .address_space:  global
        .offset:         24
        .size:           8
        .value_kind:     global_buffer
      - .offset:         32
        .size:           8
        .value_kind:     by_value
      - .offset:         40
        .size:           4
        .value_kind:     by_value
      - .offset:         48
        .size:           8
        .value_kind:     by_value
      - .address_space:  global
        .offset:         56
        .size:           8
        .value_kind:     global_buffer
      - .offset:         64
        .size:           8
        .value_kind:     by_value
      - .offset:         72
        .size:           4
        .value_kind:     by_value
      - .offset:         80
        .size:           8
        .value_kind:     by_value
      - .offset:         88
        .size:           8
        .value_kind:     by_value
      - .offset:         96
        .size:           8
        .value_kind:     by_value
      - .address_space:  global
        .offset:         104
        .size:           8
        .value_kind:     global_buffer
      - .offset:         112
        .size:           8
        .value_kind:     by_value
      - .offset:         120
        .size:           4
        .value_kind:     by_value
      - .offset:         128
        .size:           8
        .value_kind:     by_value
      - .offset:         136
        .size:           4
        .value_kind:     by_value
    .group_segment_fixed_size: 512
    .kernarg_segment_align: 8
    .kernarg_segment_size: 140
    .language:       OpenCL C
    .language_version:
      - 2
      - 0
    .max_flat_workgroup_size: 1024
    .name:           _ZL32rocblas_gemvt_warp_reduce_kernelILb1ELi1024EiPKddKPdEviiT3_lPKT2_lT1_lS7_lS8_lS4_lPT4_lS8_li
    .private_segment_fixed_size: 0
    .sgpr_count:     34
    .sgpr_spill_count: 0
    .symbol:         _ZL32rocblas_gemvt_warp_reduce_kernelILb1ELi1024EiPKddKPdEviiT3_lPKT2_lT1_lS7_lS8_lS4_lPT4_lS8_li.kd
    .uniform_work_group_size: 1
    .uses_dynamic_stack: false
    .vgpr_count:     14
    .vgpr_spill_count: 0
    .wavefront_size: 64
  - .agpr_count:     0
    .args:
      - .offset:         0
        .size:           4
        .value_kind:     by_value
      - .offset:         4
        .size:           4
        .value_kind:     by_value
      - .offset:         8
        .size:           8
        .value_kind:     by_value
      - .offset:         16
        .size:           8
        .value_kind:     by_value
      - .address_space:  global
        .offset:         24
        .size:           8
        .value_kind:     global_buffer
      - .offset:         32
        .size:           8
        .value_kind:     by_value
      - .offset:         40
        .size:           8
        .value_kind:     by_value
      - .offset:         48
        .size:           8
        .value_kind:     by_value
      - .address_space:  global
        .offset:         56
        .size:           8
        .value_kind:     global_buffer
      - .offset:         64
        .size:           8
        .value_kind:     by_value
      - .offset:         72
        .size:           8
        .value_kind:     by_value
      - .offset:         80
        .size:           8
        .value_kind:     by_value
      - .offset:         88
        .size:           8
        .value_kind:     by_value
      - .offset:         96
        .size:           8
        .value_kind:     by_value
      - .address_space:  global
        .offset:         104
        .size:           8
        .value_kind:     global_buffer
      - .offset:         112
        .size:           8
        .value_kind:     by_value
      - .offset:         120
        .size:           8
        .value_kind:     by_value
      - .offset:         128
        .size:           8
        .value_kind:     by_value
      - .offset:         136
        .size:           4
        .value_kind:     by_value
    .group_segment_fixed_size: 512
    .kernarg_segment_align: 8
    .kernarg_segment_size: 140
    .language:       OpenCL C
    .language_version:
      - 2
      - 0
    .max_flat_workgroup_size: 1024
    .name:           _ZL32rocblas_gemvt_warp_reduce_kernelILb1ELi1024ElPKddKPdEviiT3_lPKT2_lT1_lS7_lS8_lS4_lPT4_lS8_li
    .private_segment_fixed_size: 0
    .sgpr_count:     38
    .sgpr_spill_count: 0
    .symbol:         _ZL32rocblas_gemvt_warp_reduce_kernelILb1ELi1024ElPKddKPdEviiT3_lPKT2_lT1_lS7_lS8_lS4_lPT4_lS8_li.kd
    .uniform_work_group_size: 1
    .uses_dynamic_stack: false
    .vgpr_count:     14
    .vgpr_spill_count: 0
    .wavefront_size: 64
  - .agpr_count:     0
    .args:
      - .offset:         0
        .size:           4
        .value_kind:     by_value
      - .offset:         4
        .size:           4
        .value_kind:     by_value
      - .address_space:  global
        .offset:         8
        .size:           8
        .value_kind:     global_buffer
      - .offset:         16
        .size:           8
        .value_kind:     by_value
      - .address_space:  global
        .offset:         24
        .size:           8
        .value_kind:     global_buffer
      - .offset:         32
        .size:           8
        .value_kind:     by_value
      - .offset:         40
        .size:           4
        .value_kind:     by_value
      - .offset:         48
        .size:           8
        .value_kind:     by_value
      - .address_space:  global
        .offset:         56
        .size:           8
        .value_kind:     global_buffer
      - .offset:         64
        .size:           8
        .value_kind:     by_value
      - .offset:         72
        .size:           4
        .value_kind:     by_value
      - .offset:         80
        .size:           8
        .value_kind:     by_value
      - .address_space:  global
        .offset:         88
        .size:           8
        .value_kind:     global_buffer
      - .offset:         96
        .size:           8
        .value_kind:     by_value
      - .address_space:  global
        .offset:         104
        .size:           8
        .value_kind:     global_buffer
      - .offset:         112
        .size:           8
        .value_kind:     by_value
      - .offset:         120
        .size:           4
        .value_kind:     by_value
      - .offset:         128
        .size:           8
        .value_kind:     by_value
      - .offset:         136
        .size:           4
        .value_kind:     by_value
      - .offset:         144
        .size:           4
        .value_kind:     hidden_block_count_x
      - .offset:         148
        .size:           4
        .value_kind:     hidden_block_count_y
      - .offset:         152
        .size:           4
        .value_kind:     hidden_block_count_z
      - .offset:         156
        .size:           2
        .value_kind:     hidden_group_size_x
      - .offset:         158
        .size:           2
        .value_kind:     hidden_group_size_y
      - .offset:         160
        .size:           2
        .value_kind:     hidden_group_size_z
      - .offset:         162
        .size:           2
        .value_kind:     hidden_remainder_x
      - .offset:         164
        .size:           2
        .value_kind:     hidden_remainder_y
      - .offset:         166
        .size:           2
        .value_kind:     hidden_remainder_z
      - .offset:         184
        .size:           8
        .value_kind:     hidden_global_offset_x
      - .offset:         192
        .size:           8
        .value_kind:     hidden_global_offset_y
      - .offset:         200
        .size:           8
        .value_kind:     hidden_global_offset_z
      - .offset:         208
        .size:           2
        .value_kind:     hidden_grid_dims
    .group_segment_fixed_size: 6144
    .kernarg_segment_align: 8
    .kernarg_segment_size: 400
    .language:       OpenCL C
    .language_version:
      - 2
      - 0
    .max_flat_workgroup_size: 768
    .name:           _ZL34rocblas_gemvn_sm_mn_batched_kernelILi32ELi24EPK19rocblas_complex_numIfES3_KPS1_EviiT2_lPKT1_lilS9_lilS6_lPT3_lili
    .private_segment_fixed_size: 0
    .sgpr_count:     76
    .sgpr_spill_count: 0
    .symbol:         _ZL34rocblas_gemvn_sm_mn_batched_kernelILi32ELi24EPK19rocblas_complex_numIfES3_KPS1_EviiT2_lPKT1_lilS9_lilS6_lPT3_lili.kd
    .uniform_work_group_size: 1
    .uses_dynamic_stack: false
    .vgpr_count:     78
    .vgpr_spill_count: 0
    .wavefront_size: 64
  - .agpr_count:     0
    .args:
      - .offset:         0
        .size:           4
        .value_kind:     by_value
      - .offset:         4
        .size:           4
        .value_kind:     by_value
      - .offset:         8
        .size:           8
        .value_kind:     by_value
      - .offset:         16
        .size:           8
        .value_kind:     by_value
      - .address_space:  global
        .offset:         24
        .size:           8
        .value_kind:     global_buffer
      - .offset:         32
        .size:           8
        .value_kind:     by_value
      - .offset:         40
        .size:           4
        .value_kind:     by_value
      - .offset:         48
        .size:           8
        .value_kind:     by_value
      - .address_space:  global
        .offset:         56
        .size:           8
        .value_kind:     global_buffer
      - .offset:         64
        .size:           8
        .value_kind:     by_value
      - .offset:         72
        .size:           4
        .value_kind:     by_value
      - .offset:         80
        .size:           8
        .value_kind:     by_value
      - .offset:         88
        .size:           8
        .value_kind:     by_value
      - .offset:         96
        .size:           8
        .value_kind:     by_value
      - .address_space:  global
        .offset:         104
        .size:           8
        .value_kind:     global_buffer
      - .offset:         112
        .size:           8
        .value_kind:     by_value
      - .offset:         120
        .size:           4
        .value_kind:     by_value
      - .offset:         128
        .size:           8
        .value_kind:     by_value
      - .offset:         136
        .size:           4
        .value_kind:     by_value
      - .offset:         144
        .size:           4
        .value_kind:     hidden_block_count_x
      - .offset:         148
        .size:           4
        .value_kind:     hidden_block_count_y
      - .offset:         152
        .size:           4
        .value_kind:     hidden_block_count_z
      - .offset:         156
        .size:           2
        .value_kind:     hidden_group_size_x
      - .offset:         158
        .size:           2
        .value_kind:     hidden_group_size_y
      - .offset:         160
        .size:           2
        .value_kind:     hidden_group_size_z
      - .offset:         162
        .size:           2
        .value_kind:     hidden_remainder_x
      - .offset:         164
        .size:           2
        .value_kind:     hidden_remainder_y
      - .offset:         166
        .size:           2
        .value_kind:     hidden_remainder_z
      - .offset:         184
        .size:           8
        .value_kind:     hidden_global_offset_x
      - .offset:         192
        .size:           8
        .value_kind:     hidden_global_offset_y
      - .offset:         200
        .size:           8
        .value_kind:     hidden_global_offset_z
      - .offset:         208
        .size:           2
        .value_kind:     hidden_grid_dims
    .group_segment_fixed_size: 6144
    .kernarg_segment_align: 8
    .kernarg_segment_size: 400
    .language:       OpenCL C
    .language_version:
      - 2
      - 0
    .max_flat_workgroup_size: 768
    .name:           _ZL34rocblas_gemvn_sm_mn_batched_kernelILi32ELi24EPK19rocblas_complex_numIfES1_KPS1_EviiT2_lPKT1_lilS9_lilS6_lPT3_lili
    .private_segment_fixed_size: 0
    .sgpr_count:     76
    .sgpr_spill_count: 0
    .symbol:         _ZL34rocblas_gemvn_sm_mn_batched_kernelILi32ELi24EPK19rocblas_complex_numIfES1_KPS1_EviiT2_lPKT1_lilS9_lilS6_lPT3_lili.kd
    .uniform_work_group_size: 1
    .uses_dynamic_stack: false
    .vgpr_count:     78
    .vgpr_spill_count: 0
    .wavefront_size: 64
  - .agpr_count:     0
    .args:
      - .offset:         0
        .size:           4
        .value_kind:     by_value
      - .offset:         4
        .size:           4
        .value_kind:     by_value
      - .address_space:  global
        .offset:         8
        .size:           8
        .value_kind:     global_buffer
      - .offset:         16
        .size:           8
        .value_kind:     by_value
      - .address_space:  global
        .offset:         24
        .size:           8
        .value_kind:     global_buffer
      - .offset:         32
        .size:           8
        .value_kind:     by_value
      - .offset:         40
        .size:           4
        .value_kind:     by_value
      - .offset:         48
        .size:           8
        .value_kind:     by_value
      - .address_space:  global
        .offset:         56
        .size:           8
        .value_kind:     global_buffer
      - .offset:         64
        .size:           8
        .value_kind:     by_value
      - .offset:         72
        .size:           4
        .value_kind:     by_value
      - .offset:         80
        .size:           8
        .value_kind:     by_value
      - .address_space:  global
        .offset:         88
        .size:           8
        .value_kind:     global_buffer
      - .offset:         96
        .size:           8
        .value_kind:     by_value
      - .address_space:  global
        .offset:         104
        .size:           8
        .value_kind:     global_buffer
      - .offset:         112
        .size:           8
        .value_kind:     by_value
      - .offset:         120
        .size:           4
        .value_kind:     by_value
      - .offset:         128
        .size:           8
        .value_kind:     by_value
      - .offset:         136
        .size:           4
        .value_kind:     by_value
      - .offset:         144
        .size:           4
        .value_kind:     hidden_block_count_x
      - .offset:         148
        .size:           4
        .value_kind:     hidden_block_count_y
      - .offset:         152
        .size:           4
        .value_kind:     hidden_block_count_z
      - .offset:         156
        .size:           2
        .value_kind:     hidden_group_size_x
      - .offset:         158
        .size:           2
        .value_kind:     hidden_group_size_y
      - .offset:         160
        .size:           2
        .value_kind:     hidden_group_size_z
      - .offset:         162
        .size:           2
        .value_kind:     hidden_remainder_x
      - .offset:         164
        .size:           2
        .value_kind:     hidden_remainder_y
      - .offset:         166
        .size:           2
        .value_kind:     hidden_remainder_z
      - .offset:         184
        .size:           8
        .value_kind:     hidden_global_offset_x
      - .offset:         192
        .size:           8
        .value_kind:     hidden_global_offset_y
      - .offset:         200
        .size:           8
        .value_kind:     hidden_global_offset_z
      - .offset:         208
        .size:           2
        .value_kind:     hidden_grid_dims
    .group_segment_fixed_size: 8192
    .kernarg_segment_align: 8
    .kernarg_segment_size: 400
    .language:       OpenCL C
    .language_version:
      - 2
      - 0
    .max_flat_workgroup_size: 256
    .name:           _ZL20rocblas_gemvn_kernelILi64ELi4EiPK19rocblas_complex_numIfES3_KPS1_EviiT3_lPKT2_lT1_lS9_lSA_lS6_lPT4_lSA_li
    .private_segment_fixed_size: 0
    .sgpr_count:     46
    .sgpr_spill_count: 0
    .symbol:         _ZL20rocblas_gemvn_kernelILi64ELi4EiPK19rocblas_complex_numIfES3_KPS1_EviiT3_lPKT2_lT1_lS9_lSA_lS6_lPT4_lSA_li.kd
    .uniform_work_group_size: 1
    .uses_dynamic_stack: false
    .vgpr_count:     70
    .vgpr_spill_count: 0
    .wavefront_size: 64
  - .agpr_count:     0
    .args:
      - .offset:         0
        .size:           4
        .value_kind:     by_value
      - .offset:         4
        .size:           4
        .value_kind:     by_value
      - .address_space:  global
        .offset:         8
        .size:           8
        .value_kind:     global_buffer
      - .offset:         16
        .size:           8
        .value_kind:     by_value
      - .address_space:  global
        .offset:         24
        .size:           8
        .value_kind:     global_buffer
      - .offset:         32
        .size:           8
        .value_kind:     by_value
      - .offset:         40
        .size:           8
        .value_kind:     by_value
      - .offset:         48
        .size:           8
        .value_kind:     by_value
      - .address_space:  global
        .offset:         56
        .size:           8
        .value_kind:     global_buffer
      - .offset:         64
        .size:           8
        .value_kind:     by_value
      - .offset:         72
        .size:           8
        .value_kind:     by_value
      - .offset:         80
        .size:           8
        .value_kind:     by_value
      - .address_space:  global
        .offset:         88
        .size:           8
        .value_kind:     global_buffer
      - .offset:         96
        .size:           8
        .value_kind:     by_value
      - .address_space:  global
        .offset:         104
        .size:           8
        .value_kind:     global_buffer
      - .offset:         112
        .size:           8
        .value_kind:     by_value
      - .offset:         120
        .size:           8
        .value_kind:     by_value
      - .offset:         128
        .size:           8
        .value_kind:     by_value
      - .offset:         136
        .size:           4
        .value_kind:     by_value
      - .offset:         144
        .size:           4
        .value_kind:     hidden_block_count_x
      - .offset:         148
        .size:           4
        .value_kind:     hidden_block_count_y
      - .offset:         152
        .size:           4
        .value_kind:     hidden_block_count_z
      - .offset:         156
        .size:           2
        .value_kind:     hidden_group_size_x
      - .offset:         158
        .size:           2
        .value_kind:     hidden_group_size_y
      - .offset:         160
        .size:           2
        .value_kind:     hidden_group_size_z
      - .offset:         162
        .size:           2
        .value_kind:     hidden_remainder_x
      - .offset:         164
        .size:           2
        .value_kind:     hidden_remainder_y
      - .offset:         166
        .size:           2
        .value_kind:     hidden_remainder_z
      - .offset:         184
        .size:           8
        .value_kind:     hidden_global_offset_x
      - .offset:         192
        .size:           8
        .value_kind:     hidden_global_offset_y
      - .offset:         200
        .size:           8
        .value_kind:     hidden_global_offset_z
      - .offset:         208
        .size:           2
        .value_kind:     hidden_grid_dims
    .group_segment_fixed_size: 8192
    .kernarg_segment_align: 8
    .kernarg_segment_size: 400
    .language:       OpenCL C
    .language_version:
      - 2
      - 0
    .max_flat_workgroup_size: 256
    .name:           _ZL20rocblas_gemvn_kernelILi64ELi4ElPK19rocblas_complex_numIfES3_KPS1_EviiT3_lPKT2_lT1_lS9_lSA_lS6_lPT4_lSA_li
    .private_segment_fixed_size: 0
    .sgpr_count:     51
    .sgpr_spill_count: 0
    .symbol:         _ZL20rocblas_gemvn_kernelILi64ELi4ElPK19rocblas_complex_numIfES3_KPS1_EviiT3_lPKT2_lT1_lS9_lSA_lS6_lPT4_lSA_li.kd
    .uniform_work_group_size: 1
    .uses_dynamic_stack: false
    .vgpr_count:     74
    .vgpr_spill_count: 0
    .wavefront_size: 64
  - .agpr_count:     0
    .args:
      - .offset:         0
        .size:           4
        .value_kind:     by_value
      - .offset:         4
        .size:           4
        .value_kind:     by_value
      - .offset:         8
        .size:           8
        .value_kind:     by_value
      - .offset:         16
        .size:           8
        .value_kind:     by_value
      - .address_space:  global
        .offset:         24
        .size:           8
        .value_kind:     global_buffer
      - .offset:         32
        .size:           8
        .value_kind:     by_value
      - .offset:         40
        .size:           4
        .value_kind:     by_value
      - .offset:         48
        .size:           8
        .value_kind:     by_value
      - .address_space:  global
        .offset:         56
        .size:           8
        .value_kind:     global_buffer
      - .offset:         64
        .size:           8
        .value_kind:     by_value
      - .offset:         72
        .size:           4
        .value_kind:     by_value
      - .offset:         80
        .size:           8
        .value_kind:     by_value
      - .offset:         88
        .size:           8
        .value_kind:     by_value
      - .offset:         96
        .size:           8
        .value_kind:     by_value
      - .address_space:  global
        .offset:         104
        .size:           8
        .value_kind:     global_buffer
      - .offset:         112
        .size:           8
        .value_kind:     by_value
      - .offset:         120
        .size:           4
        .value_kind:     by_value
      - .offset:         128
        .size:           8
        .value_kind:     by_value
      - .offset:         136
        .size:           4
        .value_kind:     by_value
      - .offset:         144
        .size:           4
        .value_kind:     hidden_block_count_x
      - .offset:         148
        .size:           4
        .value_kind:     hidden_block_count_y
      - .offset:         152
        .size:           4
        .value_kind:     hidden_block_count_z
      - .offset:         156
        .size:           2
        .value_kind:     hidden_group_size_x
      - .offset:         158
        .size:           2
        .value_kind:     hidden_group_size_y
      - .offset:         160
        .size:           2
        .value_kind:     hidden_group_size_z
      - .offset:         162
        .size:           2
        .value_kind:     hidden_remainder_x
      - .offset:         164
        .size:           2
        .value_kind:     hidden_remainder_y
      - .offset:         166
        .size:           2
        .value_kind:     hidden_remainder_z
      - .offset:         184
        .size:           8
        .value_kind:     hidden_global_offset_x
      - .offset:         192
        .size:           8
        .value_kind:     hidden_global_offset_y
      - .offset:         200
        .size:           8
        .value_kind:     hidden_global_offset_z
      - .offset:         208
        .size:           2
        .value_kind:     hidden_grid_dims
    .group_segment_fixed_size: 8192
    .kernarg_segment_align: 8
    .kernarg_segment_size: 400
    .language:       OpenCL C
    .language_version:
      - 2
      - 0
    .max_flat_workgroup_size: 256
    .name:           _ZL20rocblas_gemvn_kernelILi64ELi4EiPK19rocblas_complex_numIfES1_KPS1_EviiT3_lPKT2_lT1_lS9_lSA_lS6_lPT4_lSA_li
    .private_segment_fixed_size: 0
    .sgpr_count:     46
    .sgpr_spill_count: 0
    .symbol:         _ZL20rocblas_gemvn_kernelILi64ELi4EiPK19rocblas_complex_numIfES1_KPS1_EviiT3_lPKT2_lT1_lS9_lSA_lS6_lPT4_lSA_li.kd
    .uniform_work_group_size: 1
    .uses_dynamic_stack: false
    .vgpr_count:     70
    .vgpr_spill_count: 0
    .wavefront_size: 64
  - .agpr_count:     0
    .args:
      - .offset:         0
        .size:           4
        .value_kind:     by_value
      - .offset:         4
        .size:           4
        .value_kind:     by_value
      - .offset:         8
        .size:           8
        .value_kind:     by_value
      - .offset:         16
        .size:           8
        .value_kind:     by_value
      - .address_space:  global
        .offset:         24
        .size:           8
        .value_kind:     global_buffer
      - .offset:         32
        .size:           8
        .value_kind:     by_value
      - .offset:         40
        .size:           8
        .value_kind:     by_value
      - .offset:         48
        .size:           8
        .value_kind:     by_value
      - .address_space:  global
        .offset:         56
        .size:           8
        .value_kind:     global_buffer
      - .offset:         64
        .size:           8
        .value_kind:     by_value
      - .offset:         72
        .size:           8
        .value_kind:     by_value
      - .offset:         80
        .size:           8
        .value_kind:     by_value
      - .offset:         88
        .size:           8
        .value_kind:     by_value
      - .offset:         96
        .size:           8
        .value_kind:     by_value
      - .address_space:  global
        .offset:         104
        .size:           8
        .value_kind:     global_buffer
      - .offset:         112
        .size:           8
        .value_kind:     by_value
      - .offset:         120
        .size:           8
        .value_kind:     by_value
      - .offset:         128
        .size:           8
        .value_kind:     by_value
      - .offset:         136
        .size:           4
        .value_kind:     by_value
      - .offset:         144
        .size:           4
        .value_kind:     hidden_block_count_x
      - .offset:         148
        .size:           4
        .value_kind:     hidden_block_count_y
      - .offset:         152
        .size:           4
        .value_kind:     hidden_block_count_z
      - .offset:         156
        .size:           2
        .value_kind:     hidden_group_size_x
      - .offset:         158
        .size:           2
        .value_kind:     hidden_group_size_y
      - .offset:         160
        .size:           2
        .value_kind:     hidden_group_size_z
      - .offset:         162
        .size:           2
        .value_kind:     hidden_remainder_x
      - .offset:         164
        .size:           2
        .value_kind:     hidden_remainder_y
      - .offset:         166
        .size:           2
        .value_kind:     hidden_remainder_z
      - .offset:         184
        .size:           8
        .value_kind:     hidden_global_offset_x
      - .offset:         192
        .size:           8
        .value_kind:     hidden_global_offset_y
      - .offset:         200
        .size:           8
        .value_kind:     hidden_global_offset_z
      - .offset:         208
        .size:           2
        .value_kind:     hidden_grid_dims
    .group_segment_fixed_size: 8192
    .kernarg_segment_align: 8
    .kernarg_segment_size: 400
    .language:       OpenCL C
    .language_version:
      - 2
      - 0
    .max_flat_workgroup_size: 256
    .name:           _ZL20rocblas_gemvn_kernelILi64ELi4ElPK19rocblas_complex_numIfES1_KPS1_EviiT3_lPKT2_lT1_lS9_lSA_lS6_lPT4_lSA_li
    .private_segment_fixed_size: 0
    .sgpr_count:     51
    .sgpr_spill_count: 0
    .symbol:         _ZL20rocblas_gemvn_kernelILi64ELi4ElPK19rocblas_complex_numIfES1_KPS1_EviiT3_lPKT2_lT1_lS9_lSA_lS6_lPT4_lSA_li.kd
    .uniform_work_group_size: 1
    .uses_dynamic_stack: false
    .vgpr_count:     74
    .vgpr_spill_count: 0
    .wavefront_size: 64
  - .agpr_count:     0
    .args:
      - .offset:         0
        .size:           4
        .value_kind:     by_value
      - .offset:         4
        .size:           4
        .value_kind:     by_value
      - .address_space:  global
        .offset:         8
        .size:           8
        .value_kind:     global_buffer
      - .offset:         16
        .size:           8
        .value_kind:     by_value
      - .address_space:  global
        .offset:         24
        .size:           8
        .value_kind:     global_buffer
      - .offset:         32
        .size:           8
        .value_kind:     by_value
      - .offset:         40
        .size:           4
        .value_kind:     by_value
      - .offset:         48
        .size:           8
        .value_kind:     by_value
      - .address_space:  global
        .offset:         56
        .size:           8
        .value_kind:     global_buffer
      - .offset:         64
        .size:           8
        .value_kind:     by_value
      - .offset:         72
        .size:           4
        .value_kind:     by_value
      - .offset:         80
        .size:           8
        .value_kind:     by_value
      - .address_space:  global
        .offset:         88
        .size:           8
        .value_kind:     global_buffer
      - .offset:         96
        .size:           8
        .value_kind:     by_value
      - .address_space:  global
        .offset:         104
        .size:           8
        .value_kind:     global_buffer
      - .offset:         112
        .size:           8
        .value_kind:     by_value
      - .offset:         120
        .size:           4
        .value_kind:     by_value
      - .offset:         128
        .size:           8
        .value_kind:     by_value
      - .offset:         136
        .size:           4
        .value_kind:     by_value
      - .offset:         144
        .size:           4
        .value_kind:     hidden_block_count_x
      - .offset:         148
        .size:           4
        .value_kind:     hidden_block_count_y
      - .offset:         152
        .size:           4
        .value_kind:     hidden_block_count_z
      - .offset:         156
        .size:           2
        .value_kind:     hidden_group_size_x
      - .offset:         158
        .size:           2
        .value_kind:     hidden_group_size_y
      - .offset:         160
        .size:           2
        .value_kind:     hidden_group_size_z
      - .offset:         162
        .size:           2
        .value_kind:     hidden_remainder_x
      - .offset:         164
        .size:           2
        .value_kind:     hidden_remainder_y
      - .offset:         166
        .size:           2
        .value_kind:     hidden_remainder_z
      - .offset:         184
        .size:           8
        .value_kind:     hidden_global_offset_x
      - .offset:         192
        .size:           8
        .value_kind:     hidden_global_offset_y
      - .offset:         200
        .size:           8
        .value_kind:     hidden_global_offset_z
      - .offset:         208
        .size:           2
        .value_kind:     hidden_grid_dims
    .group_segment_fixed_size: 16384
    .kernarg_segment_align: 8
    .kernarg_segment_size: 400
    .language:       OpenCL C
    .language_version:
      - 2
      - 0
    .max_flat_workgroup_size: 512
    .name:           _ZL20rocblas_gemvn_kernelILi32ELi16EiPK19rocblas_complex_numIfES3_KPS1_EviiT3_lPKT2_lT1_lS9_lSA_lS6_lPT4_lSA_li
    .private_segment_fixed_size: 0
    .sgpr_count:     46
    .sgpr_spill_count: 0
    .symbol:         _ZL20rocblas_gemvn_kernelILi32ELi16EiPK19rocblas_complex_numIfES3_KPS1_EviiT3_lPKT2_lT1_lS9_lSA_lS6_lPT4_lSA_li.kd
    .uniform_work_group_size: 1
    .uses_dynamic_stack: false
    .vgpr_count:     70
    .vgpr_spill_count: 0
    .wavefront_size: 64
  - .agpr_count:     0
    .args:
      - .offset:         0
        .size:           4
        .value_kind:     by_value
      - .offset:         4
        .size:           4
        .value_kind:     by_value
      - .address_space:  global
        .offset:         8
        .size:           8
        .value_kind:     global_buffer
      - .offset:         16
        .size:           8
        .value_kind:     by_value
      - .address_space:  global
        .offset:         24
        .size:           8
        .value_kind:     global_buffer
      - .offset:         32
        .size:           8
        .value_kind:     by_value
      - .offset:         40
        .size:           8
        .value_kind:     by_value
      - .offset:         48
        .size:           8
        .value_kind:     by_value
      - .address_space:  global
        .offset:         56
        .size:           8
        .value_kind:     global_buffer
      - .offset:         64
        .size:           8
        .value_kind:     by_value
      - .offset:         72
        .size:           8
        .value_kind:     by_value
      - .offset:         80
        .size:           8
        .value_kind:     by_value
      - .address_space:  global
        .offset:         88
        .size:           8
        .value_kind:     global_buffer
      - .offset:         96
        .size:           8
        .value_kind:     by_value
      - .address_space:  global
        .offset:         104
        .size:           8
        .value_kind:     global_buffer
      - .offset:         112
        .size:           8
        .value_kind:     by_value
      - .offset:         120
        .size:           8
        .value_kind:     by_value
      - .offset:         128
        .size:           8
        .value_kind:     by_value
      - .offset:         136
        .size:           4
        .value_kind:     by_value
      - .offset:         144
        .size:           4
        .value_kind:     hidden_block_count_x
      - .offset:         148
        .size:           4
        .value_kind:     hidden_block_count_y
      - .offset:         152
        .size:           4
        .value_kind:     hidden_block_count_z
      - .offset:         156
        .size:           2
        .value_kind:     hidden_group_size_x
      - .offset:         158
        .size:           2
        .value_kind:     hidden_group_size_y
      - .offset:         160
        .size:           2
        .value_kind:     hidden_group_size_z
      - .offset:         162
        .size:           2
        .value_kind:     hidden_remainder_x
      - .offset:         164
        .size:           2
        .value_kind:     hidden_remainder_y
      - .offset:         166
        .size:           2
        .value_kind:     hidden_remainder_z
      - .offset:         184
        .size:           8
        .value_kind:     hidden_global_offset_x
      - .offset:         192
        .size:           8
        .value_kind:     hidden_global_offset_y
      - .offset:         200
        .size:           8
        .value_kind:     hidden_global_offset_z
      - .offset:         208
        .size:           2
        .value_kind:     hidden_grid_dims
    .group_segment_fixed_size: 16384
    .kernarg_segment_align: 8
    .kernarg_segment_size: 400
    .language:       OpenCL C
    .language_version:
      - 2
      - 0
    .max_flat_workgroup_size: 512
    .name:           _ZL20rocblas_gemvn_kernelILi32ELi16ElPK19rocblas_complex_numIfES3_KPS1_EviiT3_lPKT2_lT1_lS9_lSA_lS6_lPT4_lSA_li
    .private_segment_fixed_size: 0
    .sgpr_count:     51
    .sgpr_spill_count: 0
    .symbol:         _ZL20rocblas_gemvn_kernelILi32ELi16ElPK19rocblas_complex_numIfES3_KPS1_EviiT3_lPKT2_lT1_lS9_lSA_lS6_lPT4_lSA_li.kd
    .uniform_work_group_size: 1
    .uses_dynamic_stack: false
    .vgpr_count:     74
    .vgpr_spill_count: 0
    .wavefront_size: 64
  - .agpr_count:     0
    .args:
      - .offset:         0
        .size:           4
        .value_kind:     by_value
      - .offset:         4
        .size:           4
        .value_kind:     by_value
      - .offset:         8
        .size:           8
        .value_kind:     by_value
      - .offset:         16
        .size:           8
        .value_kind:     by_value
      - .address_space:  global
        .offset:         24
        .size:           8
        .value_kind:     global_buffer
      - .offset:         32
        .size:           8
        .value_kind:     by_value
      - .offset:         40
        .size:           4
        .value_kind:     by_value
      - .offset:         48
        .size:           8
        .value_kind:     by_value
      - .address_space:  global
        .offset:         56
        .size:           8
        .value_kind:     global_buffer
      - .offset:         64
        .size:           8
        .value_kind:     by_value
      - .offset:         72
        .size:           4
        .value_kind:     by_value
      - .offset:         80
        .size:           8
        .value_kind:     by_value
      - .offset:         88
        .size:           8
        .value_kind:     by_value
      - .offset:         96
        .size:           8
        .value_kind:     by_value
      - .address_space:  global
        .offset:         104
        .size:           8
        .value_kind:     global_buffer
      - .offset:         112
        .size:           8
        .value_kind:     by_value
      - .offset:         120
        .size:           4
        .value_kind:     by_value
      - .offset:         128
        .size:           8
        .value_kind:     by_value
      - .offset:         136
        .size:           4
        .value_kind:     by_value
      - .offset:         144
        .size:           4
        .value_kind:     hidden_block_count_x
      - .offset:         148
        .size:           4
        .value_kind:     hidden_block_count_y
      - .offset:         152
        .size:           4
        .value_kind:     hidden_block_count_z
      - .offset:         156
        .size:           2
        .value_kind:     hidden_group_size_x
      - .offset:         158
        .size:           2
        .value_kind:     hidden_group_size_y
      - .offset:         160
        .size:           2
        .value_kind:     hidden_group_size_z
      - .offset:         162
        .size:           2
        .value_kind:     hidden_remainder_x
      - .offset:         164
        .size:           2
        .value_kind:     hidden_remainder_y
      - .offset:         166
        .size:           2
        .value_kind:     hidden_remainder_z
      - .offset:         184
        .size:           8
        .value_kind:     hidden_global_offset_x
      - .offset:         192
        .size:           8
        .value_kind:     hidden_global_offset_y
      - .offset:         200
        .size:           8
        .value_kind:     hidden_global_offset_z
      - .offset:         208
        .size:           2
        .value_kind:     hidden_grid_dims
    .group_segment_fixed_size: 16384
    .kernarg_segment_align: 8
    .kernarg_segment_size: 400
    .language:       OpenCL C
    .language_version:
      - 2
      - 0
    .max_flat_workgroup_size: 512
    .name:           _ZL20rocblas_gemvn_kernelILi32ELi16EiPK19rocblas_complex_numIfES1_KPS1_EviiT3_lPKT2_lT1_lS9_lSA_lS6_lPT4_lSA_li
    .private_segment_fixed_size: 0
    .sgpr_count:     46
    .sgpr_spill_count: 0
    .symbol:         _ZL20rocblas_gemvn_kernelILi32ELi16EiPK19rocblas_complex_numIfES1_KPS1_EviiT3_lPKT2_lT1_lS9_lSA_lS6_lPT4_lSA_li.kd
    .uniform_work_group_size: 1
    .uses_dynamic_stack: false
    .vgpr_count:     70
    .vgpr_spill_count: 0
    .wavefront_size: 64
  - .agpr_count:     0
    .args:
      - .offset:         0
        .size:           4
        .value_kind:     by_value
      - .offset:         4
        .size:           4
        .value_kind:     by_value
      - .offset:         8
        .size:           8
        .value_kind:     by_value
      - .offset:         16
        .size:           8
        .value_kind:     by_value
      - .address_space:  global
        .offset:         24
        .size:           8
        .value_kind:     global_buffer
      - .offset:         32
        .size:           8
        .value_kind:     by_value
      - .offset:         40
        .size:           8
        .value_kind:     by_value
      - .offset:         48
        .size:           8
        .value_kind:     by_value
      - .address_space:  global
        .offset:         56
        .size:           8
        .value_kind:     global_buffer
      - .offset:         64
        .size:           8
        .value_kind:     by_value
      - .offset:         72
        .size:           8
        .value_kind:     by_value
      - .offset:         80
        .size:           8
        .value_kind:     by_value
      - .offset:         88
        .size:           8
        .value_kind:     by_value
      - .offset:         96
        .size:           8
        .value_kind:     by_value
      - .address_space:  global
        .offset:         104
        .size:           8
        .value_kind:     global_buffer
      - .offset:         112
        .size:           8
        .value_kind:     by_value
      - .offset:         120
        .size:           8
        .value_kind:     by_value
      - .offset:         128
        .size:           8
        .value_kind:     by_value
      - .offset:         136
        .size:           4
        .value_kind:     by_value
      - .offset:         144
        .size:           4
        .value_kind:     hidden_block_count_x
      - .offset:         148
        .size:           4
        .value_kind:     hidden_block_count_y
      - .offset:         152
        .size:           4
        .value_kind:     hidden_block_count_z
      - .offset:         156
        .size:           2
        .value_kind:     hidden_group_size_x
      - .offset:         158
        .size:           2
        .value_kind:     hidden_group_size_y
      - .offset:         160
        .size:           2
        .value_kind:     hidden_group_size_z
      - .offset:         162
        .size:           2
        .value_kind:     hidden_remainder_x
      - .offset:         164
        .size:           2
        .value_kind:     hidden_remainder_y
      - .offset:         166
        .size:           2
        .value_kind:     hidden_remainder_z
      - .offset:         184
        .size:           8
        .value_kind:     hidden_global_offset_x
      - .offset:         192
        .size:           8
        .value_kind:     hidden_global_offset_y
      - .offset:         200
        .size:           8
        .value_kind:     hidden_global_offset_z
      - .offset:         208
        .size:           2
        .value_kind:     hidden_grid_dims
    .group_segment_fixed_size: 16384
    .kernarg_segment_align: 8
    .kernarg_segment_size: 400
    .language:       OpenCL C
    .language_version:
      - 2
      - 0
    .max_flat_workgroup_size: 512
    .name:           _ZL20rocblas_gemvn_kernelILi32ELi16ElPK19rocblas_complex_numIfES1_KPS1_EviiT3_lPKT2_lT1_lS9_lSA_lS6_lPT4_lSA_li
    .private_segment_fixed_size: 0
    .sgpr_count:     51
    .sgpr_spill_count: 0
    .symbol:         _ZL20rocblas_gemvn_kernelILi32ELi16ElPK19rocblas_complex_numIfES1_KPS1_EviiT3_lPKT2_lT1_lS9_lSA_lS6_lPT4_lSA_li.kd
    .uniform_work_group_size: 1
    .uses_dynamic_stack: false
    .vgpr_count:     74
    .vgpr_spill_count: 0
    .wavefront_size: 64
  - .agpr_count:     0
    .args:
      - .offset:         0
        .size:           4
        .value_kind:     by_value
      - .offset:         4
        .size:           4
        .value_kind:     by_value
      - .address_space:  global
        .offset:         8
        .size:           8
        .value_kind:     global_buffer
      - .offset:         16
        .size:           8
        .value_kind:     by_value
      - .address_space:  global
        .offset:         24
        .size:           8
        .value_kind:     global_buffer
      - .offset:         32
        .size:           8
        .value_kind:     by_value
      - .offset:         40
        .size:           4
        .value_kind:     by_value
      - .offset:         48
        .size:           8
        .value_kind:     by_value
      - .address_space:  global
        .offset:         56
        .size:           8
        .value_kind:     global_buffer
      - .offset:         64
        .size:           8
        .value_kind:     by_value
      - .offset:         72
        .size:           4
        .value_kind:     by_value
      - .offset:         80
        .size:           8
        .value_kind:     by_value
      - .address_space:  global
        .offset:         88
        .size:           8
        .value_kind:     global_buffer
      - .offset:         96
        .size:           8
        .value_kind:     by_value
      - .address_space:  global
        .offset:         104
        .size:           8
        .value_kind:     global_buffer
      - .offset:         112
        .size:           8
        .value_kind:     by_value
      - .offset:         120
        .size:           4
        .value_kind:     by_value
      - .offset:         128
        .size:           8
        .value_kind:     by_value
      - .offset:         136
        .size:           4
        .value_kind:     by_value
      - .offset:         144
        .size:           4
        .value_kind:     hidden_block_count_x
      - .offset:         148
        .size:           4
        .value_kind:     hidden_block_count_y
      - .offset:         152
        .size:           4
        .value_kind:     hidden_block_count_z
      - .offset:         156
        .size:           2
        .value_kind:     hidden_group_size_x
      - .offset:         158
        .size:           2
        .value_kind:     hidden_group_size_y
      - .offset:         160
        .size:           2
        .value_kind:     hidden_group_size_z
      - .offset:         162
        .size:           2
        .value_kind:     hidden_remainder_x
      - .offset:         164
        .size:           2
        .value_kind:     hidden_remainder_y
      - .offset:         166
        .size:           2
        .value_kind:     hidden_remainder_z
      - .offset:         184
        .size:           8
        .value_kind:     hidden_global_offset_x
      - .offset:         192
        .size:           8
        .value_kind:     hidden_global_offset_y
      - .offset:         200
        .size:           8
        .value_kind:     hidden_global_offset_z
      - .offset:         208
        .size:           2
        .value_kind:     hidden_grid_dims
    .group_segment_fixed_size: 32768
    .kernarg_segment_align: 8
    .kernarg_segment_size: 400
    .language:       OpenCL C
    .language_version:
      - 2
      - 0
    .max_flat_workgroup_size: 1024
    .name:           _ZL20rocblas_gemvn_kernelILi64ELi16EiPK19rocblas_complex_numIfES3_KPS1_EviiT3_lPKT2_lT1_lS9_lSA_lS6_lPT4_lSA_li
    .private_segment_fixed_size: 0
    .sgpr_count:     46
    .sgpr_spill_count: 0
    .symbol:         _ZL20rocblas_gemvn_kernelILi64ELi16EiPK19rocblas_complex_numIfES3_KPS1_EviiT3_lPKT2_lT1_lS9_lSA_lS6_lPT4_lSA_li.kd
    .uniform_work_group_size: 1
    .uses_dynamic_stack: false
    .vgpr_count:     65
    .vgpr_spill_count: 0
    .wavefront_size: 64
  - .agpr_count:     0
    .args:
      - .offset:         0
        .size:           4
        .value_kind:     by_value
      - .offset:         4
        .size:           4
        .value_kind:     by_value
      - .address_space:  global
        .offset:         8
        .size:           8
        .value_kind:     global_buffer
      - .offset:         16
        .size:           8
        .value_kind:     by_value
      - .address_space:  global
        .offset:         24
        .size:           8
        .value_kind:     global_buffer
      - .offset:         32
        .size:           8
        .value_kind:     by_value
      - .offset:         40
        .size:           8
        .value_kind:     by_value
      - .offset:         48
        .size:           8
        .value_kind:     by_value
      - .address_space:  global
        .offset:         56
        .size:           8
        .value_kind:     global_buffer
      - .offset:         64
        .size:           8
        .value_kind:     by_value
      - .offset:         72
        .size:           8
        .value_kind:     by_value
      - .offset:         80
        .size:           8
        .value_kind:     by_value
      - .address_space:  global
        .offset:         88
        .size:           8
        .value_kind:     global_buffer
      - .offset:         96
        .size:           8
        .value_kind:     by_value
      - .address_space:  global
        .offset:         104
        .size:           8
        .value_kind:     global_buffer
      - .offset:         112
        .size:           8
        .value_kind:     by_value
      - .offset:         120
        .size:           8
        .value_kind:     by_value
      - .offset:         128
        .size:           8
        .value_kind:     by_value
      - .offset:         136
        .size:           4
        .value_kind:     by_value
      - .offset:         144
        .size:           4
        .value_kind:     hidden_block_count_x
      - .offset:         148
        .size:           4
        .value_kind:     hidden_block_count_y
      - .offset:         152
        .size:           4
        .value_kind:     hidden_block_count_z
      - .offset:         156
        .size:           2
        .value_kind:     hidden_group_size_x
      - .offset:         158
        .size:           2
        .value_kind:     hidden_group_size_y
      - .offset:         160
        .size:           2
        .value_kind:     hidden_group_size_z
      - .offset:         162
        .size:           2
        .value_kind:     hidden_remainder_x
      - .offset:         164
        .size:           2
        .value_kind:     hidden_remainder_y
      - .offset:         166
        .size:           2
        .value_kind:     hidden_remainder_z
      - .offset:         184
        .size:           8
        .value_kind:     hidden_global_offset_x
      - .offset:         192
        .size:           8
        .value_kind:     hidden_global_offset_y
      - .offset:         200
        .size:           8
        .value_kind:     hidden_global_offset_z
      - .offset:         208
        .size:           2
        .value_kind:     hidden_grid_dims
    .group_segment_fixed_size: 32768
    .kernarg_segment_align: 8
    .kernarg_segment_size: 400
    .language:       OpenCL C
    .language_version:
      - 2
      - 0
    .max_flat_workgroup_size: 1024
    .name:           _ZL20rocblas_gemvn_kernelILi64ELi16ElPK19rocblas_complex_numIfES3_KPS1_EviiT3_lPKT2_lT1_lS9_lSA_lS6_lPT4_lSA_li
    .private_segment_fixed_size: 0
    .sgpr_count:     51
    .sgpr_spill_count: 0
    .symbol:         _ZL20rocblas_gemvn_kernelILi64ELi16ElPK19rocblas_complex_numIfES3_KPS1_EviiT3_lPKT2_lT1_lS9_lSA_lS6_lPT4_lSA_li.kd
    .uniform_work_group_size: 1
    .uses_dynamic_stack: false
    .vgpr_count:     69
    .vgpr_spill_count: 0
    .wavefront_size: 64
  - .agpr_count:     0
    .args:
      - .offset:         0
        .size:           4
        .value_kind:     by_value
      - .offset:         4
        .size:           4
        .value_kind:     by_value
      - .offset:         8
        .size:           8
        .value_kind:     by_value
      - .offset:         16
        .size:           8
        .value_kind:     by_value
      - .address_space:  global
        .offset:         24
        .size:           8
        .value_kind:     global_buffer
      - .offset:         32
        .size:           8
        .value_kind:     by_value
      - .offset:         40
        .size:           4
        .value_kind:     by_value
      - .offset:         48
        .size:           8
        .value_kind:     by_value
      - .address_space:  global
        .offset:         56
        .size:           8
        .value_kind:     global_buffer
      - .offset:         64
        .size:           8
        .value_kind:     by_value
      - .offset:         72
        .size:           4
        .value_kind:     by_value
      - .offset:         80
        .size:           8
        .value_kind:     by_value
      - .offset:         88
        .size:           8
        .value_kind:     by_value
      - .offset:         96
        .size:           8
        .value_kind:     by_value
      - .address_space:  global
        .offset:         104
        .size:           8
        .value_kind:     global_buffer
      - .offset:         112
        .size:           8
        .value_kind:     by_value
      - .offset:         120
        .size:           4
        .value_kind:     by_value
      - .offset:         128
        .size:           8
        .value_kind:     by_value
      - .offset:         136
        .size:           4
        .value_kind:     by_value
      - .offset:         144
        .size:           4
        .value_kind:     hidden_block_count_x
      - .offset:         148
        .size:           4
        .value_kind:     hidden_block_count_y
      - .offset:         152
        .size:           4
        .value_kind:     hidden_block_count_z
      - .offset:         156
        .size:           2
        .value_kind:     hidden_group_size_x
      - .offset:         158
        .size:           2
        .value_kind:     hidden_group_size_y
      - .offset:         160
        .size:           2
        .value_kind:     hidden_group_size_z
      - .offset:         162
        .size:           2
        .value_kind:     hidden_remainder_x
      - .offset:         164
        .size:           2
        .value_kind:     hidden_remainder_y
      - .offset:         166
        .size:           2
        .value_kind:     hidden_remainder_z
      - .offset:         184
        .size:           8
        .value_kind:     hidden_global_offset_x
      - .offset:         192
        .size:           8
        .value_kind:     hidden_global_offset_y
      - .offset:         200
        .size:           8
        .value_kind:     hidden_global_offset_z
      - .offset:         208
        .size:           2
        .value_kind:     hidden_grid_dims
    .group_segment_fixed_size: 32768
    .kernarg_segment_align: 8
    .kernarg_segment_size: 400
    .language:       OpenCL C
    .language_version:
      - 2
      - 0
    .max_flat_workgroup_size: 1024
    .name:           _ZL20rocblas_gemvn_kernelILi64ELi16EiPK19rocblas_complex_numIfES1_KPS1_EviiT3_lPKT2_lT1_lS9_lSA_lS6_lPT4_lSA_li
    .private_segment_fixed_size: 0
    .sgpr_count:     46
    .sgpr_spill_count: 0
    .symbol:         _ZL20rocblas_gemvn_kernelILi64ELi16EiPK19rocblas_complex_numIfES1_KPS1_EviiT3_lPKT2_lT1_lS9_lSA_lS6_lPT4_lSA_li.kd
    .uniform_work_group_size: 1
    .uses_dynamic_stack: false
    .vgpr_count:     65
    .vgpr_spill_count: 0
    .wavefront_size: 64
  - .agpr_count:     0
    .args:
      - .offset:         0
        .size:           4
        .value_kind:     by_value
      - .offset:         4
        .size:           4
        .value_kind:     by_value
      - .offset:         8
        .size:           8
        .value_kind:     by_value
      - .offset:         16
        .size:           8
        .value_kind:     by_value
      - .address_space:  global
        .offset:         24
        .size:           8
        .value_kind:     global_buffer
      - .offset:         32
        .size:           8
        .value_kind:     by_value
      - .offset:         40
        .size:           8
        .value_kind:     by_value
      - .offset:         48
        .size:           8
        .value_kind:     by_value
      - .address_space:  global
        .offset:         56
        .size:           8
        .value_kind:     global_buffer
      - .offset:         64
        .size:           8
        .value_kind:     by_value
      - .offset:         72
        .size:           8
        .value_kind:     by_value
      - .offset:         80
        .size:           8
        .value_kind:     by_value
      - .offset:         88
        .size:           8
        .value_kind:     by_value
      - .offset:         96
        .size:           8
        .value_kind:     by_value
      - .address_space:  global
        .offset:         104
        .size:           8
        .value_kind:     global_buffer
      - .offset:         112
        .size:           8
        .value_kind:     by_value
      - .offset:         120
        .size:           8
        .value_kind:     by_value
      - .offset:         128
        .size:           8
        .value_kind:     by_value
      - .offset:         136
        .size:           4
        .value_kind:     by_value
      - .offset:         144
        .size:           4
        .value_kind:     hidden_block_count_x
      - .offset:         148
        .size:           4
        .value_kind:     hidden_block_count_y
      - .offset:         152
        .size:           4
        .value_kind:     hidden_block_count_z
      - .offset:         156
        .size:           2
        .value_kind:     hidden_group_size_x
      - .offset:         158
        .size:           2
        .value_kind:     hidden_group_size_y
      - .offset:         160
        .size:           2
        .value_kind:     hidden_group_size_z
      - .offset:         162
        .size:           2
        .value_kind:     hidden_remainder_x
      - .offset:         164
        .size:           2
        .value_kind:     hidden_remainder_y
      - .offset:         166
        .size:           2
        .value_kind:     hidden_remainder_z
      - .offset:         184
        .size:           8
        .value_kind:     hidden_global_offset_x
      - .offset:         192
        .size:           8
        .value_kind:     hidden_global_offset_y
      - .offset:         200
        .size:           8
        .value_kind:     hidden_global_offset_z
      - .offset:         208
        .size:           2
        .value_kind:     hidden_grid_dims
    .group_segment_fixed_size: 32768
    .kernarg_segment_align: 8
    .kernarg_segment_size: 400
    .language:       OpenCL C
    .language_version:
      - 2
      - 0
    .max_flat_workgroup_size: 1024
    .name:           _ZL20rocblas_gemvn_kernelILi64ELi16ElPK19rocblas_complex_numIfES1_KPS1_EviiT3_lPKT2_lT1_lS9_lSA_lS6_lPT4_lSA_li
    .private_segment_fixed_size: 0
    .sgpr_count:     51
    .sgpr_spill_count: 0
    .symbol:         _ZL20rocblas_gemvn_kernelILi64ELi16ElPK19rocblas_complex_numIfES1_KPS1_EviiT3_lPKT2_lT1_lS9_lSA_lS6_lPT4_lSA_li.kd
    .uniform_work_group_size: 1
    .uses_dynamic_stack: false
    .vgpr_count:     69
    .vgpr_spill_count: 0
    .wavefront_size: 64
  - .agpr_count:     0
    .args:
      - .offset:         0
        .size:           4
        .value_kind:     by_value
      - .offset:         4
        .size:           4
        .value_kind:     by_value
      - .address_space:  global
        .offset:         8
        .size:           8
        .value_kind:     global_buffer
      - .offset:         16
        .size:           8
        .value_kind:     by_value
      - .address_space:  global
        .offset:         24
        .size:           8
        .value_kind:     global_buffer
      - .offset:         32
        .size:           8
        .value_kind:     by_value
      - .offset:         40
        .size:           4
        .value_kind:     by_value
      - .offset:         48
        .size:           8
        .value_kind:     by_value
      - .address_space:  global
        .offset:         56
        .size:           8
        .value_kind:     global_buffer
      - .offset:         64
        .size:           8
        .value_kind:     by_value
      - .offset:         72
        .size:           4
        .value_kind:     by_value
      - .offset:         80
        .size:           8
        .value_kind:     by_value
      - .address_space:  global
        .offset:         88
        .size:           8
        .value_kind:     global_buffer
      - .offset:         96
        .size:           8
        .value_kind:     by_value
      - .address_space:  global
        .offset:         104
        .size:           8
        .value_kind:     global_buffer
      - .offset:         112
        .size:           8
        .value_kind:     by_value
      - .offset:         120
        .size:           4
        .value_kind:     by_value
      - .offset:         128
        .size:           8
        .value_kind:     by_value
    .group_segment_fixed_size: 512
    .kernarg_segment_align: 8
    .kernarg_segment_size: 136
    .language:       OpenCL C
    .language_version:
      - 2
      - 0
    .max_flat_workgroup_size: 256
    .name:           _ZL22rocblas_gemvtsm_kernelILb0ELi256EPK19rocblas_complex_numIfES3_KPS1_EviiT2_lPKT1_lilS9_lilS6_lPT3_lil
    .private_segment_fixed_size: 0
    .sgpr_count:     34
    .sgpr_spill_count: 0
    .symbol:         _ZL22rocblas_gemvtsm_kernelILb0ELi256EPK19rocblas_complex_numIfES3_KPS1_EviiT2_lPKT1_lilS9_lilS6_lPT3_lil.kd
    .uniform_work_group_size: 1
    .uses_dynamic_stack: false
    .vgpr_count:     49
    .vgpr_spill_count: 0
    .wavefront_size: 64
  - .agpr_count:     0
    .args:
      - .offset:         0
        .size:           4
        .value_kind:     by_value
      - .offset:         4
        .size:           4
        .value_kind:     by_value
      - .offset:         8
        .size:           8
        .value_kind:     by_value
      - .offset:         16
        .size:           8
        .value_kind:     by_value
      - .address_space:  global
        .offset:         24
        .size:           8
        .value_kind:     global_buffer
      - .offset:         32
        .size:           8
        .value_kind:     by_value
      - .offset:         40
        .size:           4
        .value_kind:     by_value
      - .offset:         48
        .size:           8
        .value_kind:     by_value
      - .address_space:  global
        .offset:         56
        .size:           8
        .value_kind:     global_buffer
      - .offset:         64
        .size:           8
        .value_kind:     by_value
      - .offset:         72
        .size:           4
        .value_kind:     by_value
      - .offset:         80
        .size:           8
        .value_kind:     by_value
      - .offset:         88
        .size:           8
        .value_kind:     by_value
      - .offset:         96
        .size:           8
        .value_kind:     by_value
      - .address_space:  global
        .offset:         104
        .size:           8
        .value_kind:     global_buffer
      - .offset:         112
        .size:           8
        .value_kind:     by_value
      - .offset:         120
        .size:           4
        .value_kind:     by_value
      - .offset:         128
        .size:           8
        .value_kind:     by_value
    .group_segment_fixed_size: 512
    .kernarg_segment_align: 8
    .kernarg_segment_size: 136
    .language:       OpenCL C
    .language_version:
      - 2
      - 0
    .max_flat_workgroup_size: 256
    .name:           _ZL22rocblas_gemvtsm_kernelILb0ELi256EPK19rocblas_complex_numIfES1_KPS1_EviiT2_lPKT1_lilS9_lilS6_lPT3_lil
    .private_segment_fixed_size: 0
    .sgpr_count:     34
    .sgpr_spill_count: 0
    .symbol:         _ZL22rocblas_gemvtsm_kernelILb0ELi256EPK19rocblas_complex_numIfES1_KPS1_EviiT2_lPKT1_lilS9_lilS6_lPT3_lil.kd
    .uniform_work_group_size: 1
    .uses_dynamic_stack: false
    .vgpr_count:     49
    .vgpr_spill_count: 0
    .wavefront_size: 64
  - .agpr_count:     0
    .args:
      - .offset:         0
        .size:           4
        .value_kind:     by_value
      - .offset:         4
        .size:           4
        .value_kind:     by_value
      - .address_space:  global
        .offset:         8
        .size:           8
        .value_kind:     global_buffer
      - .offset:         16
        .size:           8
        .value_kind:     by_value
      - .address_space:  global
        .offset:         24
        .size:           8
        .value_kind:     global_buffer
      - .offset:         32
        .size:           8
        .value_kind:     by_value
      - .offset:         40
        .size:           4
        .value_kind:     by_value
      - .offset:         48
        .size:           8
        .value_kind:     by_value
      - .address_space:  global
        .offset:         56
        .size:           8
        .value_kind:     global_buffer
      - .offset:         64
        .size:           8
        .value_kind:     by_value
      - .offset:         72
        .size:           4
        .value_kind:     by_value
      - .offset:         80
        .size:           8
        .value_kind:     by_value
      - .address_space:  global
        .offset:         88
        .size:           8
        .value_kind:     global_buffer
      - .offset:         96
        .size:           4
        .value_kind:     by_value
      - .offset:         104
        .size:           4
        .value_kind:     hidden_block_count_x
      - .offset:         108
        .size:           4
        .value_kind:     hidden_block_count_y
      - .offset:         112
        .size:           4
        .value_kind:     hidden_block_count_z
      - .offset:         116
        .size:           2
        .value_kind:     hidden_group_size_x
      - .offset:         118
        .size:           2
        .value_kind:     hidden_group_size_y
      - .offset:         120
        .size:           2
        .value_kind:     hidden_group_size_z
      - .offset:         122
        .size:           2
        .value_kind:     hidden_remainder_x
      - .offset:         124
        .size:           2
        .value_kind:     hidden_remainder_y
      - .offset:         126
        .size:           2
        .value_kind:     hidden_remainder_z
      - .offset:         144
        .size:           8
        .value_kind:     hidden_global_offset_x
      - .offset:         152
        .size:           8
        .value_kind:     hidden_global_offset_y
      - .offset:         160
        .size:           8
        .value_kind:     hidden_global_offset_z
      - .offset:         168
        .size:           2
        .value_kind:     hidden_grid_dims
    .group_segment_fixed_size: 512
    .kernarg_segment_align: 8
    .kernarg_segment_size: 360
    .language:       OpenCL C
    .language_version:
      - 2
      - 0
    .max_flat_workgroup_size: 256
    .name:           _ZL23rocblas_gemvt_sn_kernelILb0ELi256ELi4EiPK19rocblas_complex_numIfES3_S1_EviiT4_lPKT3_lilS7_lilPT5_i
    .private_segment_fixed_size: 48
    .sgpr_count:     55
    .sgpr_spill_count: 0
    .symbol:         _ZL23rocblas_gemvt_sn_kernelILb0ELi256ELi4EiPK19rocblas_complex_numIfES3_S1_EviiT4_lPKT3_lilS7_lilPT5_i.kd
    .uniform_work_group_size: 1
    .uses_dynamic_stack: false
    .vgpr_count:     74
    .vgpr_spill_count: 0
    .wavefront_size: 64
  - .agpr_count:     0
    .args:
      - .offset:         0
        .size:           4
        .value_kind:     by_value
      - .offset:         4
        .size:           4
        .value_kind:     by_value
      - .address_space:  global
        .offset:         8
        .size:           8
        .value_kind:     global_buffer
      - .offset:         16
        .size:           8
        .value_kind:     by_value
      - .address_space:  global
        .offset:         24
        .size:           8
        .value_kind:     global_buffer
      - .offset:         32
        .size:           8
        .value_kind:     by_value
      - .offset:         40
        .size:           4
        .value_kind:     by_value
      - .offset:         48
        .size:           8
        .value_kind:     by_value
      - .address_space:  global
        .offset:         56
        .size:           8
        .value_kind:     global_buffer
      - .offset:         64
        .size:           8
        .value_kind:     by_value
      - .offset:         72
        .size:           4
        .value_kind:     by_value
      - .offset:         80
        .size:           8
        .value_kind:     by_value
      - .address_space:  global
        .offset:         88
        .size:           8
        .value_kind:     global_buffer
      - .offset:         96
        .size:           4
        .value_kind:     by_value
      - .offset:         104
        .size:           4
        .value_kind:     hidden_block_count_x
      - .offset:         108
        .size:           4
        .value_kind:     hidden_block_count_y
      - .offset:         112
        .size:           4
        .value_kind:     hidden_block_count_z
      - .offset:         116
        .size:           2
        .value_kind:     hidden_group_size_x
      - .offset:         118
        .size:           2
        .value_kind:     hidden_group_size_y
      - .offset:         120
        .size:           2
        .value_kind:     hidden_group_size_z
      - .offset:         122
        .size:           2
        .value_kind:     hidden_remainder_x
      - .offset:         124
        .size:           2
        .value_kind:     hidden_remainder_y
      - .offset:         126
        .size:           2
        .value_kind:     hidden_remainder_z
      - .offset:         144
        .size:           8
        .value_kind:     hidden_global_offset_x
      - .offset:         152
        .size:           8
        .value_kind:     hidden_global_offset_y
      - .offset:         160
        .size:           8
        .value_kind:     hidden_global_offset_z
      - .offset:         168
        .size:           2
        .value_kind:     hidden_grid_dims
    .group_segment_fixed_size: 512
    .kernarg_segment_align: 8
    .kernarg_segment_size: 360
    .language:       OpenCL C
    .language_version:
      - 2
      - 0
    .max_flat_workgroup_size: 256
    .name:           _ZL23rocblas_gemvt_sn_kernelILb0ELi256ELi4ElPK19rocblas_complex_numIfES3_S1_EviiT4_lPKT3_lilS7_lilPT5_i
    .private_segment_fixed_size: 48
    .sgpr_count:     59
    .sgpr_spill_count: 0
    .symbol:         _ZL23rocblas_gemvt_sn_kernelILb0ELi256ELi4ElPK19rocblas_complex_numIfES3_S1_EviiT4_lPKT3_lilS7_lilPT5_i.kd
    .uniform_work_group_size: 1
    .uses_dynamic_stack: false
    .vgpr_count:     76
    .vgpr_spill_count: 0
    .wavefront_size: 64
  - .agpr_count:     0
    .args:
      - .offset:         0
        .size:           4
        .value_kind:     by_value
      - .address_space:  global
        .offset:         8
        .size:           8
        .value_kind:     global_buffer
      - .offset:         16
        .size:           8
        .value_kind:     by_value
      - .address_space:  global
        .offset:         24
        .size:           8
        .value_kind:     global_buffer
      - .offset:         32
        .size:           8
        .value_kind:     by_value
      - .offset:         40
        .size:           4
        .value_kind:     by_value
      - .offset:         48
        .size:           8
        .value_kind:     by_value
      - .actual_access:  read_only
        .address_space:  global
        .offset:         56
        .size:           8
        .value_kind:     global_buffer
      - .offset:         64
        .size:           4
        .value_kind:     by_value
      - .offset:         72
        .size:           4
        .value_kind:     hidden_block_count_x
      - .offset:         76
        .size:           4
        .value_kind:     hidden_block_count_y
      - .offset:         80
        .size:           4
        .value_kind:     hidden_block_count_z
      - .offset:         84
        .size:           2
        .value_kind:     hidden_group_size_x
      - .offset:         86
        .size:           2
        .value_kind:     hidden_group_size_y
      - .offset:         88
        .size:           2
        .value_kind:     hidden_group_size_z
      - .offset:         90
        .size:           2
        .value_kind:     hidden_remainder_x
      - .offset:         92
        .size:           2
        .value_kind:     hidden_remainder_y
      - .offset:         94
        .size:           2
        .value_kind:     hidden_remainder_z
      - .offset:         112
        .size:           8
        .value_kind:     hidden_global_offset_x
      - .offset:         120
        .size:           8
        .value_kind:     hidden_global_offset_y
      - .offset:         128
        .size:           8
        .value_kind:     hidden_global_offset_z
      - .offset:         136
        .size:           2
        .value_kind:     hidden_grid_dims
    .group_segment_fixed_size: 512
    .kernarg_segment_align: 8
    .kernarg_segment_size: 328
    .language:       OpenCL C
    .language_version:
      - 2
      - 0
    .max_flat_workgroup_size: 256
    .name:           _ZL23rocblas_gemvt_sn_reduceILi256ELi8E19rocblas_complex_numIfEPKS1_KPS1_EviT2_lPT3_lilPT1_i
    .private_segment_fixed_size: 0
    .sgpr_count:     28
    .sgpr_spill_count: 0
    .symbol:         _ZL23rocblas_gemvt_sn_reduceILi256ELi8E19rocblas_complex_numIfEPKS1_KPS1_EviT2_lPT3_lilPT1_i.kd
    .uniform_work_group_size: 1
    .uses_dynamic_stack: false
    .vgpr_count:     22
    .vgpr_spill_count: 0
    .wavefront_size: 64
  - .agpr_count:     0
    .args:
      - .offset:         0
        .size:           4
        .value_kind:     by_value
      - .offset:         4
        .size:           4
        .value_kind:     by_value
      - .offset:         8
        .size:           8
        .value_kind:     by_value
      - .offset:         16
        .size:           8
        .value_kind:     by_value
      - .address_space:  global
        .offset:         24
        .size:           8
        .value_kind:     global_buffer
      - .offset:         32
        .size:           8
        .value_kind:     by_value
      - .offset:         40
        .size:           4
        .value_kind:     by_value
      - .offset:         48
        .size:           8
        .value_kind:     by_value
      - .address_space:  global
        .offset:         56
        .size:           8
        .value_kind:     global_buffer
      - .offset:         64
        .size:           8
        .value_kind:     by_value
      - .offset:         72
        .size:           4
        .value_kind:     by_value
      - .offset:         80
        .size:           8
        .value_kind:     by_value
      - .address_space:  global
        .offset:         88
        .size:           8
        .value_kind:     global_buffer
      - .offset:         96
        .size:           4
        .value_kind:     by_value
      - .offset:         104
        .size:           4
        .value_kind:     hidden_block_count_x
      - .offset:         108
        .size:           4
        .value_kind:     hidden_block_count_y
      - .offset:         112
        .size:           4
        .value_kind:     hidden_block_count_z
      - .offset:         116
        .size:           2
        .value_kind:     hidden_group_size_x
      - .offset:         118
        .size:           2
        .value_kind:     hidden_group_size_y
      - .offset:         120
        .size:           2
        .value_kind:     hidden_group_size_z
      - .offset:         122
        .size:           2
        .value_kind:     hidden_remainder_x
      - .offset:         124
        .size:           2
        .value_kind:     hidden_remainder_y
      - .offset:         126
        .size:           2
        .value_kind:     hidden_remainder_z
      - .offset:         144
        .size:           8
        .value_kind:     hidden_global_offset_x
      - .offset:         152
        .size:           8
        .value_kind:     hidden_global_offset_y
      - .offset:         160
        .size:           8
        .value_kind:     hidden_global_offset_z
      - .offset:         168
        .size:           2
        .value_kind:     hidden_grid_dims
    .group_segment_fixed_size: 512
    .kernarg_segment_align: 8
    .kernarg_segment_size: 360
    .language:       OpenCL C
    .language_version:
      - 2
      - 0
    .max_flat_workgroup_size: 256
    .name:           _ZL23rocblas_gemvt_sn_kernelILb0ELi256ELi4EiPK19rocblas_complex_numIfES1_S1_EviiT4_lPKT3_lilS7_lilPT5_i
    .private_segment_fixed_size: 48
    .sgpr_count:     55
    .sgpr_spill_count: 0
    .symbol:         _ZL23rocblas_gemvt_sn_kernelILb0ELi256ELi4EiPK19rocblas_complex_numIfES1_S1_EviiT4_lPKT3_lilS7_lilPT5_i.kd
    .uniform_work_group_size: 1
    .uses_dynamic_stack: false
    .vgpr_count:     82
    .vgpr_spill_count: 0
    .wavefront_size: 64
  - .agpr_count:     0
    .args:
      - .offset:         0
        .size:           4
        .value_kind:     by_value
      - .offset:         4
        .size:           4
        .value_kind:     by_value
      - .offset:         8
        .size:           8
        .value_kind:     by_value
      - .offset:         16
        .size:           8
        .value_kind:     by_value
      - .address_space:  global
        .offset:         24
        .size:           8
        .value_kind:     global_buffer
      - .offset:         32
        .size:           8
        .value_kind:     by_value
      - .offset:         40
        .size:           4
        .value_kind:     by_value
      - .offset:         48
        .size:           8
        .value_kind:     by_value
      - .address_space:  global
        .offset:         56
        .size:           8
        .value_kind:     global_buffer
      - .offset:         64
        .size:           8
        .value_kind:     by_value
      - .offset:         72
        .size:           4
        .value_kind:     by_value
      - .offset:         80
        .size:           8
        .value_kind:     by_value
      - .address_space:  global
        .offset:         88
        .size:           8
        .value_kind:     global_buffer
      - .offset:         96
        .size:           4
        .value_kind:     by_value
      - .offset:         104
        .size:           4
        .value_kind:     hidden_block_count_x
      - .offset:         108
        .size:           4
        .value_kind:     hidden_block_count_y
      - .offset:         112
        .size:           4
        .value_kind:     hidden_block_count_z
      - .offset:         116
        .size:           2
        .value_kind:     hidden_group_size_x
      - .offset:         118
        .size:           2
        .value_kind:     hidden_group_size_y
      - .offset:         120
        .size:           2
        .value_kind:     hidden_group_size_z
      - .offset:         122
        .size:           2
        .value_kind:     hidden_remainder_x
      - .offset:         124
        .size:           2
        .value_kind:     hidden_remainder_y
      - .offset:         126
        .size:           2
        .value_kind:     hidden_remainder_z
      - .offset:         144
        .size:           8
        .value_kind:     hidden_global_offset_x
      - .offset:         152
        .size:           8
        .value_kind:     hidden_global_offset_y
      - .offset:         160
        .size:           8
        .value_kind:     hidden_global_offset_z
      - .offset:         168
        .size:           2
        .value_kind:     hidden_grid_dims
    .group_segment_fixed_size: 512
    .kernarg_segment_align: 8
    .kernarg_segment_size: 360
    .language:       OpenCL C
    .language_version:
      - 2
      - 0
    .max_flat_workgroup_size: 256
    .name:           _ZL23rocblas_gemvt_sn_kernelILb0ELi256ELi4ElPK19rocblas_complex_numIfES1_S1_EviiT4_lPKT3_lilS7_lilPT5_i
    .private_segment_fixed_size: 48
    .sgpr_count:     59
    .sgpr_spill_count: 0
    .symbol:         _ZL23rocblas_gemvt_sn_kernelILb0ELi256ELi4ElPK19rocblas_complex_numIfES1_S1_EviiT4_lPKT3_lilS7_lilPT5_i.kd
    .uniform_work_group_size: 1
    .uses_dynamic_stack: false
    .vgpr_count:     78
    .vgpr_spill_count: 0
    .wavefront_size: 64
  - .agpr_count:     0
    .args:
      - .offset:         0
        .size:           4
        .value_kind:     by_value
      - .offset:         4
        .size:           8
        .value_kind:     by_value
      - .offset:         16
        .size:           8
        .value_kind:     by_value
      - .address_space:  global
        .offset:         24
        .size:           8
        .value_kind:     global_buffer
      - .offset:         32
        .size:           8
        .value_kind:     by_value
      - .offset:         40
        .size:           4
        .value_kind:     by_value
      - .offset:         48
        .size:           8
        .value_kind:     by_value
      - .actual_access:  read_only
        .address_space:  global
        .offset:         56
        .size:           8
        .value_kind:     global_buffer
      - .offset:         64
        .size:           4
        .value_kind:     by_value
      - .offset:         72
        .size:           4
        .value_kind:     hidden_block_count_x
      - .offset:         76
        .size:           4
        .value_kind:     hidden_block_count_y
      - .offset:         80
        .size:           4
        .value_kind:     hidden_block_count_z
      - .offset:         84
        .size:           2
        .value_kind:     hidden_group_size_x
      - .offset:         86
        .size:           2
        .value_kind:     hidden_group_size_y
      - .offset:         88
        .size:           2
        .value_kind:     hidden_group_size_z
      - .offset:         90
        .size:           2
        .value_kind:     hidden_remainder_x
      - .offset:         92
        .size:           2
        .value_kind:     hidden_remainder_y
      - .offset:         94
        .size:           2
        .value_kind:     hidden_remainder_z
      - .offset:         112
        .size:           8
        .value_kind:     hidden_global_offset_x
      - .offset:         120
        .size:           8
        .value_kind:     hidden_global_offset_y
      - .offset:         128
        .size:           8
        .value_kind:     hidden_global_offset_z
      - .offset:         136
        .size:           2
        .value_kind:     hidden_grid_dims
    .group_segment_fixed_size: 512
    .kernarg_segment_align: 8
    .kernarg_segment_size: 328
    .language:       OpenCL C
    .language_version:
      - 2
      - 0
    .max_flat_workgroup_size: 256
    .name:           _ZL23rocblas_gemvt_sn_reduceILi256ELi8E19rocblas_complex_numIfES1_KPS1_EviT2_lPT3_lilPT1_i
    .private_segment_fixed_size: 0
    .sgpr_count:     28
    .sgpr_spill_count: 0
    .symbol:         _ZL23rocblas_gemvt_sn_reduceILi256ELi8E19rocblas_complex_numIfES1_KPS1_EviT2_lPT3_lilPT1_i.kd
    .uniform_work_group_size: 1
    .uses_dynamic_stack: false
    .vgpr_count:     22
    .vgpr_spill_count: 0
    .wavefront_size: 64
  - .agpr_count:     0
    .args:
      - .offset:         0
        .size:           4
        .value_kind:     by_value
      - .offset:         4
        .size:           4
        .value_kind:     by_value
      - .address_space:  global
        .offset:         8
        .size:           8
        .value_kind:     global_buffer
      - .offset:         16
        .size:           8
        .value_kind:     by_value
      - .address_space:  global
        .offset:         24
        .size:           8
        .value_kind:     global_buffer
      - .offset:         32
        .size:           8
        .value_kind:     by_value
      - .offset:         40
        .size:           4
        .value_kind:     by_value
      - .offset:         48
        .size:           8
        .value_kind:     by_value
      - .address_space:  global
        .offset:         56
        .size:           8
        .value_kind:     global_buffer
      - .offset:         64
        .size:           8
        .value_kind:     by_value
      - .offset:         72
        .size:           4
        .value_kind:     by_value
      - .offset:         80
        .size:           8
        .value_kind:     by_value
      - .address_space:  global
        .offset:         88
        .size:           8
        .value_kind:     global_buffer
      - .offset:         96
        .size:           8
        .value_kind:     by_value
      - .address_space:  global
        .offset:         104
        .size:           8
        .value_kind:     global_buffer
      - .offset:         112
        .size:           8
        .value_kind:     by_value
      - .offset:         120
        .size:           4
        .value_kind:     by_value
      - .offset:         128
        .size:           8
        .value_kind:     by_value
      - .offset:         136
        .size:           4
        .value_kind:     by_value
    .group_segment_fixed_size: 512
    .kernarg_segment_align: 8
    .kernarg_segment_size: 140
    .language:       OpenCL C
    .language_version:
      - 2
      - 0
    .max_flat_workgroup_size: 256
    .name:           _ZL32rocblas_gemvt_warp_reduce_kernelILb0ELi256EiPK19rocblas_complex_numIfES3_KPS1_EviiT3_lPKT2_lT1_lS9_lSA_lS6_lPT4_lSA_li
    .private_segment_fixed_size: 0
    .sgpr_count:     32
    .sgpr_spill_count: 0
    .symbol:         _ZL32rocblas_gemvt_warp_reduce_kernelILb0ELi256EiPK19rocblas_complex_numIfES3_KPS1_EviiT3_lPKT2_lT1_lS9_lSA_lS6_lPT4_lSA_li.kd
    .uniform_work_group_size: 1
    .uses_dynamic_stack: false
    .vgpr_count:     16
    .vgpr_spill_count: 0
    .wavefront_size: 64
  - .agpr_count:     0
    .args:
      - .offset:         0
        .size:           4
        .value_kind:     by_value
      - .offset:         4
        .size:           4
        .value_kind:     by_value
      - .address_space:  global
        .offset:         8
        .size:           8
        .value_kind:     global_buffer
      - .offset:         16
        .size:           8
        .value_kind:     by_value
      - .address_space:  global
        .offset:         24
        .size:           8
        .value_kind:     global_buffer
      - .offset:         32
        .size:           8
        .value_kind:     by_value
      - .offset:         40
        .size:           8
        .value_kind:     by_value
      - .offset:         48
        .size:           8
        .value_kind:     by_value
      - .address_space:  global
        .offset:         56
        .size:           8
        .value_kind:     global_buffer
      - .offset:         64
        .size:           8
        .value_kind:     by_value
      - .offset:         72
        .size:           8
        .value_kind:     by_value
      - .offset:         80
        .size:           8
        .value_kind:     by_value
      - .address_space:  global
        .offset:         88
        .size:           8
        .value_kind:     global_buffer
      - .offset:         96
        .size:           8
        .value_kind:     by_value
      - .address_space:  global
        .offset:         104
        .size:           8
        .value_kind:     global_buffer
      - .offset:         112
        .size:           8
        .value_kind:     by_value
      - .offset:         120
        .size:           8
        .value_kind:     by_value
      - .offset:         128
        .size:           8
        .value_kind:     by_value
      - .offset:         136
        .size:           4
        .value_kind:     by_value
    .group_segment_fixed_size: 512
    .kernarg_segment_align: 8
    .kernarg_segment_size: 140
    .language:       OpenCL C
    .language_version:
      - 2
      - 0
    .max_flat_workgroup_size: 256
    .name:           _ZL32rocblas_gemvt_warp_reduce_kernelILb0ELi256ElPK19rocblas_complex_numIfES3_KPS1_EviiT3_lPKT2_lT1_lS9_lSA_lS6_lPT4_lSA_li
    .private_segment_fixed_size: 0
    .sgpr_count:     42
    .sgpr_spill_count: 0
    .symbol:         _ZL32rocblas_gemvt_warp_reduce_kernelILb0ELi256ElPK19rocblas_complex_numIfES3_KPS1_EviiT3_lPKT2_lT1_lS9_lSA_lS6_lPT4_lSA_li.kd
    .uniform_work_group_size: 1
    .uses_dynamic_stack: false
    .vgpr_count:     16
    .vgpr_spill_count: 0
    .wavefront_size: 64
  - .agpr_count:     0
    .args:
      - .offset:         0
        .size:           4
        .value_kind:     by_value
      - .offset:         4
        .size:           4
        .value_kind:     by_value
      - .offset:         8
        .size:           8
        .value_kind:     by_value
      - .offset:         16
        .size:           8
        .value_kind:     by_value
      - .address_space:  global
        .offset:         24
        .size:           8
        .value_kind:     global_buffer
      - .offset:         32
        .size:           8
        .value_kind:     by_value
      - .offset:         40
        .size:           4
        .value_kind:     by_value
      - .offset:         48
        .size:           8
        .value_kind:     by_value
      - .address_space:  global
        .offset:         56
        .size:           8
        .value_kind:     global_buffer
      - .offset:         64
        .size:           8
        .value_kind:     by_value
      - .offset:         72
        .size:           4
        .value_kind:     by_value
      - .offset:         80
        .size:           8
        .value_kind:     by_value
      - .offset:         88
        .size:           8
        .value_kind:     by_value
      - .offset:         96
        .size:           8
        .value_kind:     by_value
      - .address_space:  global
        .offset:         104
        .size:           8
        .value_kind:     global_buffer
      - .offset:         112
        .size:           8
        .value_kind:     by_value
      - .offset:         120
        .size:           4
        .value_kind:     by_value
      - .offset:         128
        .size:           8
        .value_kind:     by_value
      - .offset:         136
        .size:           4
        .value_kind:     by_value
    .group_segment_fixed_size: 512
    .kernarg_segment_align: 8
    .kernarg_segment_size: 140
    .language:       OpenCL C
    .language_version:
      - 2
      - 0
    .max_flat_workgroup_size: 256
    .name:           _ZL32rocblas_gemvt_warp_reduce_kernelILb0ELi256EiPK19rocblas_complex_numIfES1_KPS1_EviiT3_lPKT2_lT1_lS9_lSA_lS6_lPT4_lSA_li
    .private_segment_fixed_size: 0
    .sgpr_count:     30
    .sgpr_spill_count: 0
    .symbol:         _ZL32rocblas_gemvt_warp_reduce_kernelILb0ELi256EiPK19rocblas_complex_numIfES1_KPS1_EviiT3_lPKT2_lT1_lS9_lSA_lS6_lPT4_lSA_li.kd
    .uniform_work_group_size: 1
    .uses_dynamic_stack: false
    .vgpr_count:     16
    .vgpr_spill_count: 0
    .wavefront_size: 64
  - .agpr_count:     0
    .args:
      - .offset:         0
        .size:           4
        .value_kind:     by_value
      - .offset:         4
        .size:           4
        .value_kind:     by_value
      - .offset:         8
        .size:           8
        .value_kind:     by_value
      - .offset:         16
        .size:           8
        .value_kind:     by_value
      - .address_space:  global
        .offset:         24
        .size:           8
        .value_kind:     global_buffer
      - .offset:         32
        .size:           8
        .value_kind:     by_value
      - .offset:         40
        .size:           8
        .value_kind:     by_value
      - .offset:         48
        .size:           8
        .value_kind:     by_value
      - .address_space:  global
        .offset:         56
        .size:           8
        .value_kind:     global_buffer
      - .offset:         64
        .size:           8
        .value_kind:     by_value
      - .offset:         72
        .size:           8
        .value_kind:     by_value
      - .offset:         80
        .size:           8
        .value_kind:     by_value
      - .offset:         88
        .size:           8
        .value_kind:     by_value
      - .offset:         96
        .size:           8
        .value_kind:     by_value
      - .address_space:  global
        .offset:         104
        .size:           8
        .value_kind:     global_buffer
      - .offset:         112
        .size:           8
        .value_kind:     by_value
      - .offset:         120
        .size:           8
        .value_kind:     by_value
      - .offset:         128
        .size:           8
        .value_kind:     by_value
      - .offset:         136
        .size:           4
        .value_kind:     by_value
    .group_segment_fixed_size: 512
    .kernarg_segment_align: 8
    .kernarg_segment_size: 140
    .language:       OpenCL C
    .language_version:
      - 2
      - 0
    .max_flat_workgroup_size: 256
    .name:           _ZL32rocblas_gemvt_warp_reduce_kernelILb0ELi256ElPK19rocblas_complex_numIfES1_KPS1_EviiT3_lPKT2_lT1_lS9_lSA_lS6_lPT4_lSA_li
    .private_segment_fixed_size: 0
    .sgpr_count:     34
    .sgpr_spill_count: 0
    .symbol:         _ZL32rocblas_gemvt_warp_reduce_kernelILb0ELi256ElPK19rocblas_complex_numIfES1_KPS1_EviiT3_lPKT2_lT1_lS9_lSA_lS6_lPT4_lSA_li.kd
    .uniform_work_group_size: 1
    .uses_dynamic_stack: false
    .vgpr_count:     16
    .vgpr_spill_count: 0
    .wavefront_size: 64
  - .agpr_count:     0
    .args:
      - .offset:         0
        .size:           4
        .value_kind:     by_value
      - .offset:         4
        .size:           4
        .value_kind:     by_value
      - .address_space:  global
        .offset:         8
        .size:           8
        .value_kind:     global_buffer
      - .offset:         16
        .size:           8
        .value_kind:     by_value
      - .address_space:  global
        .offset:         24
        .size:           8
        .value_kind:     global_buffer
      - .offset:         32
        .size:           8
        .value_kind:     by_value
      - .offset:         40
        .size:           4
        .value_kind:     by_value
      - .offset:         48
        .size:           8
        .value_kind:     by_value
      - .address_space:  global
        .offset:         56
        .size:           8
        .value_kind:     global_buffer
      - .offset:         64
        .size:           8
        .value_kind:     by_value
      - .offset:         72
        .size:           4
        .value_kind:     by_value
      - .offset:         80
        .size:           8
        .value_kind:     by_value
      - .address_space:  global
        .offset:         88
        .size:           8
        .value_kind:     global_buffer
      - .offset:         96
        .size:           8
        .value_kind:     by_value
      - .address_space:  global
        .offset:         104
        .size:           8
        .value_kind:     global_buffer
      - .offset:         112
        .size:           8
        .value_kind:     by_value
      - .offset:         120
        .size:           4
        .value_kind:     by_value
      - .offset:         128
        .size:           8
        .value_kind:     by_value
      - .offset:         136
        .size:           4
        .value_kind:     by_value
    .group_segment_fixed_size: 2048
    .kernarg_segment_align: 8
    .kernarg_segment_size: 140
    .language:       OpenCL C
    .language_version:
      - 2
      - 0
    .max_flat_workgroup_size: 256
    .name:           _ZL20rocblas_gemvt_kernelILb0ELi256EPK19rocblas_complex_numIfES3_KPS1_EviiT2_lPKT1_lilS9_lilS6_lPT3_lili
    .private_segment_fixed_size: 0
    .sgpr_count:     32
    .sgpr_spill_count: 0
    .symbol:         _ZL20rocblas_gemvt_kernelILb0ELi256EPK19rocblas_complex_numIfES3_KPS1_EviiT2_lPKT1_lilS9_lilS6_lPT3_lili.kd
    .uniform_work_group_size: 1
    .uses_dynamic_stack: false
    .vgpr_count:     18
    .vgpr_spill_count: 0
    .wavefront_size: 64
  - .agpr_count:     0
    .args:
      - .offset:         0
        .size:           4
        .value_kind:     by_value
      - .offset:         4
        .size:           4
        .value_kind:     by_value
      - .offset:         8
        .size:           8
        .value_kind:     by_value
      - .offset:         16
        .size:           8
        .value_kind:     by_value
      - .address_space:  global
        .offset:         24
        .size:           8
        .value_kind:     global_buffer
      - .offset:         32
        .size:           8
        .value_kind:     by_value
      - .offset:         40
        .size:           4
        .value_kind:     by_value
      - .offset:         48
        .size:           8
        .value_kind:     by_value
      - .address_space:  global
        .offset:         56
        .size:           8
        .value_kind:     global_buffer
      - .offset:         64
        .size:           8
        .value_kind:     by_value
      - .offset:         72
        .size:           4
        .value_kind:     by_value
      - .offset:         80
        .size:           8
        .value_kind:     by_value
      - .offset:         88
        .size:           8
        .value_kind:     by_value
      - .offset:         96
        .size:           8
        .value_kind:     by_value
      - .address_space:  global
        .offset:         104
        .size:           8
        .value_kind:     global_buffer
      - .offset:         112
        .size:           8
        .value_kind:     by_value
      - .offset:         120
        .size:           4
        .value_kind:     by_value
      - .offset:         128
        .size:           8
        .value_kind:     by_value
      - .offset:         136
        .size:           4
        .value_kind:     by_value
    .group_segment_fixed_size: 2048
    .kernarg_segment_align: 8
    .kernarg_segment_size: 140
    .language:       OpenCL C
    .language_version:
      - 2
      - 0
    .max_flat_workgroup_size: 256
    .name:           _ZL20rocblas_gemvt_kernelILb0ELi256EPK19rocblas_complex_numIfES1_KPS1_EviiT2_lPKT1_lilS9_lilS6_lPT3_lili
    .private_segment_fixed_size: 0
    .sgpr_count:     30
    .sgpr_spill_count: 0
    .symbol:         _ZL20rocblas_gemvt_kernelILb0ELi256EPK19rocblas_complex_numIfES1_KPS1_EviiT2_lPKT1_lilS9_lilS6_lPT3_lili.kd
    .uniform_work_group_size: 1
    .uses_dynamic_stack: false
    .vgpr_count:     18
    .vgpr_spill_count: 0
    .wavefront_size: 64
  - .agpr_count:     0
    .args:
      - .offset:         0
        .size:           4
        .value_kind:     by_value
      - .offset:         4
        .size:           4
        .value_kind:     by_value
      - .address_space:  global
        .offset:         8
        .size:           8
        .value_kind:     global_buffer
      - .offset:         16
        .size:           8
        .value_kind:     by_value
      - .address_space:  global
        .offset:         24
        .size:           8
        .value_kind:     global_buffer
      - .offset:         32
        .size:           8
        .value_kind:     by_value
      - .offset:         40
        .size:           4
        .value_kind:     by_value
      - .offset:         48
        .size:           8
        .value_kind:     by_value
      - .address_space:  global
        .offset:         56
        .size:           8
        .value_kind:     global_buffer
      - .offset:         64
        .size:           8
        .value_kind:     by_value
      - .offset:         72
        .size:           4
        .value_kind:     by_value
      - .offset:         80
        .size:           8
        .value_kind:     by_value
      - .address_space:  global
        .offset:         88
        .size:           8
        .value_kind:     global_buffer
      - .offset:         96
        .size:           8
        .value_kind:     by_value
      - .address_space:  global
        .offset:         104
        .size:           8
        .value_kind:     global_buffer
      - .offset:         112
        .size:           8
        .value_kind:     by_value
      - .offset:         120
        .size:           4
        .value_kind:     by_value
      - .offset:         128
        .size:           8
        .value_kind:     by_value
      - .offset:         136
        .size:           4
        .value_kind:     by_value
    .group_segment_fixed_size: 512
    .kernarg_segment_align: 8
    .kernarg_segment_size: 140
    .language:       OpenCL C
    .language_version:
      - 2
      - 0
    .max_flat_workgroup_size: 1024
    .name:           _ZL32rocblas_gemvt_warp_reduce_kernelILb0ELi1024EiPK19rocblas_complex_numIfES3_KPS1_EviiT3_lPKT2_lT1_lS9_lSA_lS6_lPT4_lSA_li
    .private_segment_fixed_size: 0
    .sgpr_count:     32
    .sgpr_spill_count: 0
    .symbol:         _ZL32rocblas_gemvt_warp_reduce_kernelILb0ELi1024EiPK19rocblas_complex_numIfES3_KPS1_EviiT3_lPKT2_lT1_lS9_lSA_lS6_lPT4_lSA_li.kd
    .uniform_work_group_size: 1
    .uses_dynamic_stack: false
    .vgpr_count:     16
    .vgpr_spill_count: 0
    .wavefront_size: 64
  - .agpr_count:     0
    .args:
      - .offset:         0
        .size:           4
        .value_kind:     by_value
      - .offset:         4
        .size:           4
        .value_kind:     by_value
      - .address_space:  global
        .offset:         8
        .size:           8
        .value_kind:     global_buffer
      - .offset:         16
        .size:           8
        .value_kind:     by_value
      - .address_space:  global
        .offset:         24
        .size:           8
        .value_kind:     global_buffer
      - .offset:         32
        .size:           8
        .value_kind:     by_value
      - .offset:         40
        .size:           8
        .value_kind:     by_value
      - .offset:         48
        .size:           8
        .value_kind:     by_value
      - .address_space:  global
        .offset:         56
        .size:           8
        .value_kind:     global_buffer
      - .offset:         64
        .size:           8
        .value_kind:     by_value
      - .offset:         72
        .size:           8
        .value_kind:     by_value
      - .offset:         80
        .size:           8
        .value_kind:     by_value
      - .address_space:  global
        .offset:         88
        .size:           8
        .value_kind:     global_buffer
      - .offset:         96
        .size:           8
        .value_kind:     by_value
      - .address_space:  global
        .offset:         104
        .size:           8
        .value_kind:     global_buffer
      - .offset:         112
        .size:           8
        .value_kind:     by_value
      - .offset:         120
        .size:           8
        .value_kind:     by_value
      - .offset:         128
        .size:           8
        .value_kind:     by_value
      - .offset:         136
        .size:           4
        .value_kind:     by_value
    .group_segment_fixed_size: 512
    .kernarg_segment_align: 8
    .kernarg_segment_size: 140
    .language:       OpenCL C
    .language_version:
      - 2
      - 0
    .max_flat_workgroup_size: 1024
    .name:           _ZL32rocblas_gemvt_warp_reduce_kernelILb0ELi1024ElPK19rocblas_complex_numIfES3_KPS1_EviiT3_lPKT2_lT1_lS9_lSA_lS6_lPT4_lSA_li
    .private_segment_fixed_size: 0
    .sgpr_count:     42
    .sgpr_spill_count: 0
    .symbol:         _ZL32rocblas_gemvt_warp_reduce_kernelILb0ELi1024ElPK19rocblas_complex_numIfES3_KPS1_EviiT3_lPKT2_lT1_lS9_lSA_lS6_lPT4_lSA_li.kd
    .uniform_work_group_size: 1
    .uses_dynamic_stack: false
    .vgpr_count:     16
    .vgpr_spill_count: 0
    .wavefront_size: 64
  - .agpr_count:     0
    .args:
      - .offset:         0
        .size:           4
        .value_kind:     by_value
      - .offset:         4
        .size:           4
        .value_kind:     by_value
      - .offset:         8
        .size:           8
        .value_kind:     by_value
      - .offset:         16
        .size:           8
        .value_kind:     by_value
      - .address_space:  global
        .offset:         24
        .size:           8
        .value_kind:     global_buffer
      - .offset:         32
        .size:           8
        .value_kind:     by_value
      - .offset:         40
        .size:           4
        .value_kind:     by_value
      - .offset:         48
        .size:           8
        .value_kind:     by_value
      - .address_space:  global
        .offset:         56
        .size:           8
        .value_kind:     global_buffer
      - .offset:         64
        .size:           8
        .value_kind:     by_value
      - .offset:         72
        .size:           4
        .value_kind:     by_value
      - .offset:         80
        .size:           8
        .value_kind:     by_value
      - .offset:         88
        .size:           8
        .value_kind:     by_value
      - .offset:         96
        .size:           8
        .value_kind:     by_value
      - .address_space:  global
        .offset:         104
        .size:           8
        .value_kind:     global_buffer
      - .offset:         112
        .size:           8
        .value_kind:     by_value
      - .offset:         120
        .size:           4
        .value_kind:     by_value
      - .offset:         128
        .size:           8
        .value_kind:     by_value
      - .offset:         136
        .size:           4
        .value_kind:     by_value
    .group_segment_fixed_size: 512
    .kernarg_segment_align: 8
    .kernarg_segment_size: 140
    .language:       OpenCL C
    .language_version:
      - 2
      - 0
    .max_flat_workgroup_size: 1024
    .name:           _ZL32rocblas_gemvt_warp_reduce_kernelILb0ELi1024EiPK19rocblas_complex_numIfES1_KPS1_EviiT3_lPKT2_lT1_lS9_lSA_lS6_lPT4_lSA_li
    .private_segment_fixed_size: 0
    .sgpr_count:     30
    .sgpr_spill_count: 0
    .symbol:         _ZL32rocblas_gemvt_warp_reduce_kernelILb0ELi1024EiPK19rocblas_complex_numIfES1_KPS1_EviiT3_lPKT2_lT1_lS9_lSA_lS6_lPT4_lSA_li.kd
    .uniform_work_group_size: 1
    .uses_dynamic_stack: false
    .vgpr_count:     16
    .vgpr_spill_count: 0
    .wavefront_size: 64
  - .agpr_count:     0
    .args:
      - .offset:         0
        .size:           4
        .value_kind:     by_value
      - .offset:         4
        .size:           4
        .value_kind:     by_value
      - .offset:         8
        .size:           8
        .value_kind:     by_value
      - .offset:         16
        .size:           8
        .value_kind:     by_value
      - .address_space:  global
        .offset:         24
        .size:           8
        .value_kind:     global_buffer
      - .offset:         32
        .size:           8
        .value_kind:     by_value
      - .offset:         40
        .size:           8
        .value_kind:     by_value
      - .offset:         48
        .size:           8
        .value_kind:     by_value
      - .address_space:  global
        .offset:         56
        .size:           8
        .value_kind:     global_buffer
      - .offset:         64
        .size:           8
        .value_kind:     by_value
      - .offset:         72
        .size:           8
        .value_kind:     by_value
      - .offset:         80
        .size:           8
        .value_kind:     by_value
      - .offset:         88
        .size:           8
        .value_kind:     by_value
      - .offset:         96
        .size:           8
        .value_kind:     by_value
      - .address_space:  global
        .offset:         104
        .size:           8
        .value_kind:     global_buffer
      - .offset:         112
        .size:           8
        .value_kind:     by_value
      - .offset:         120
        .size:           8
        .value_kind:     by_value
      - .offset:         128
        .size:           8
        .value_kind:     by_value
      - .offset:         136
        .size:           4
        .value_kind:     by_value
    .group_segment_fixed_size: 512
    .kernarg_segment_align: 8
    .kernarg_segment_size: 140
    .language:       OpenCL C
    .language_version:
      - 2
      - 0
    .max_flat_workgroup_size: 1024
    .name:           _ZL32rocblas_gemvt_warp_reduce_kernelILb0ELi1024ElPK19rocblas_complex_numIfES1_KPS1_EviiT3_lPKT2_lT1_lS9_lSA_lS6_lPT4_lSA_li
    .private_segment_fixed_size: 0
    .sgpr_count:     34
    .sgpr_spill_count: 0
    .symbol:         _ZL32rocblas_gemvt_warp_reduce_kernelILb0ELi1024ElPK19rocblas_complex_numIfES1_KPS1_EviiT3_lPKT2_lT1_lS9_lSA_lS6_lPT4_lSA_li.kd
    .uniform_work_group_size: 1
    .uses_dynamic_stack: false
    .vgpr_count:     16
    .vgpr_spill_count: 0
    .wavefront_size: 64
  - .agpr_count:     0
    .args:
      - .offset:         0
        .size:           4
        .value_kind:     by_value
      - .offset:         4
        .size:           4
        .value_kind:     by_value
      - .address_space:  global
        .offset:         8
        .size:           8
        .value_kind:     global_buffer
      - .offset:         16
        .size:           8
        .value_kind:     by_value
      - .address_space:  global
        .offset:         24
        .size:           8
        .value_kind:     global_buffer
      - .offset:         32
        .size:           8
        .value_kind:     by_value
      - .offset:         40
        .size:           4
        .value_kind:     by_value
      - .offset:         48
        .size:           8
        .value_kind:     by_value
      - .address_space:  global
        .offset:         56
        .size:           8
        .value_kind:     global_buffer
      - .offset:         64
        .size:           8
        .value_kind:     by_value
      - .offset:         72
        .size:           4
        .value_kind:     by_value
      - .offset:         80
        .size:           8
        .value_kind:     by_value
      - .address_space:  global
        .offset:         88
        .size:           8
        .value_kind:     global_buffer
      - .offset:         96
        .size:           8
        .value_kind:     by_value
      - .address_space:  global
        .offset:         104
        .size:           8
        .value_kind:     global_buffer
      - .offset:         112
        .size:           8
        .value_kind:     by_value
      - .offset:         120
        .size:           4
        .value_kind:     by_value
      - .offset:         128
        .size:           8
        .value_kind:     by_value
    .group_segment_fixed_size: 512
    .kernarg_segment_align: 8
    .kernarg_segment_size: 136
    .language:       OpenCL C
    .language_version:
      - 2
      - 0
    .max_flat_workgroup_size: 256
    .name:           _ZL22rocblas_gemvtsm_kernelILb1ELi256EPK19rocblas_complex_numIfES3_KPS1_EviiT2_lPKT1_lilS9_lilS6_lPT3_lil
    .private_segment_fixed_size: 0
    .sgpr_count:     34
    .sgpr_spill_count: 0
    .symbol:         _ZL22rocblas_gemvtsm_kernelILb1ELi256EPK19rocblas_complex_numIfES3_KPS1_EviiT2_lPKT1_lilS9_lilS6_lPT3_lil.kd
    .uniform_work_group_size: 1
    .uses_dynamic_stack: false
    .vgpr_count:     49
    .vgpr_spill_count: 0
    .wavefront_size: 64
  - .agpr_count:     0
    .args:
      - .offset:         0
        .size:           4
        .value_kind:     by_value
      - .offset:         4
        .size:           4
        .value_kind:     by_value
      - .offset:         8
        .size:           8
        .value_kind:     by_value
      - .offset:         16
        .size:           8
        .value_kind:     by_value
      - .address_space:  global
        .offset:         24
        .size:           8
        .value_kind:     global_buffer
      - .offset:         32
        .size:           8
        .value_kind:     by_value
      - .offset:         40
        .size:           4
        .value_kind:     by_value
      - .offset:         48
        .size:           8
        .value_kind:     by_value
      - .address_space:  global
        .offset:         56
        .size:           8
        .value_kind:     global_buffer
      - .offset:         64
        .size:           8
        .value_kind:     by_value
      - .offset:         72
        .size:           4
        .value_kind:     by_value
      - .offset:         80
        .size:           8
        .value_kind:     by_value
      - .offset:         88
        .size:           8
        .value_kind:     by_value
      - .offset:         96
        .size:           8
        .value_kind:     by_value
      - .address_space:  global
        .offset:         104
        .size:           8
        .value_kind:     global_buffer
      - .offset:         112
        .size:           8
        .value_kind:     by_value
      - .offset:         120
        .size:           4
        .value_kind:     by_value
      - .offset:         128
        .size:           8
        .value_kind:     by_value
    .group_segment_fixed_size: 512
    .kernarg_segment_align: 8
    .kernarg_segment_size: 136
    .language:       OpenCL C
    .language_version:
      - 2
      - 0
    .max_flat_workgroup_size: 256
    .name:           _ZL22rocblas_gemvtsm_kernelILb1ELi256EPK19rocblas_complex_numIfES1_KPS1_EviiT2_lPKT1_lilS9_lilS6_lPT3_lil
    .private_segment_fixed_size: 0
    .sgpr_count:     34
    .sgpr_spill_count: 0
    .symbol:         _ZL22rocblas_gemvtsm_kernelILb1ELi256EPK19rocblas_complex_numIfES1_KPS1_EviiT2_lPKT1_lilS9_lilS6_lPT3_lil.kd
    .uniform_work_group_size: 1
    .uses_dynamic_stack: false
    .vgpr_count:     49
    .vgpr_spill_count: 0
    .wavefront_size: 64
  - .agpr_count:     0
    .args:
      - .offset:         0
        .size:           4
        .value_kind:     by_value
      - .offset:         4
        .size:           4
        .value_kind:     by_value
      - .address_space:  global
        .offset:         8
        .size:           8
        .value_kind:     global_buffer
      - .offset:         16
        .size:           8
        .value_kind:     by_value
      - .address_space:  global
        .offset:         24
        .size:           8
        .value_kind:     global_buffer
      - .offset:         32
        .size:           8
        .value_kind:     by_value
      - .offset:         40
        .size:           4
        .value_kind:     by_value
      - .offset:         48
        .size:           8
        .value_kind:     by_value
      - .address_space:  global
        .offset:         56
        .size:           8
        .value_kind:     global_buffer
      - .offset:         64
        .size:           8
        .value_kind:     by_value
      - .offset:         72
        .size:           4
        .value_kind:     by_value
      - .offset:         80
        .size:           8
        .value_kind:     by_value
      - .address_space:  global
        .offset:         88
        .size:           8
        .value_kind:     global_buffer
      - .offset:         96
        .size:           4
        .value_kind:     by_value
      - .offset:         104
        .size:           4
        .value_kind:     hidden_block_count_x
      - .offset:         108
        .size:           4
        .value_kind:     hidden_block_count_y
      - .offset:         112
        .size:           4
        .value_kind:     hidden_block_count_z
      - .offset:         116
        .size:           2
        .value_kind:     hidden_group_size_x
      - .offset:         118
        .size:           2
        .value_kind:     hidden_group_size_y
      - .offset:         120
        .size:           2
        .value_kind:     hidden_group_size_z
      - .offset:         122
        .size:           2
        .value_kind:     hidden_remainder_x
      - .offset:         124
        .size:           2
        .value_kind:     hidden_remainder_y
      - .offset:         126
        .size:           2
        .value_kind:     hidden_remainder_z
      - .offset:         144
        .size:           8
        .value_kind:     hidden_global_offset_x
      - .offset:         152
        .size:           8
        .value_kind:     hidden_global_offset_y
      - .offset:         160
        .size:           8
        .value_kind:     hidden_global_offset_z
      - .offset:         168
        .size:           2
        .value_kind:     hidden_grid_dims
    .group_segment_fixed_size: 512
    .kernarg_segment_align: 8
    .kernarg_segment_size: 360
    .language:       OpenCL C
    .language_version:
      - 2
      - 0
    .max_flat_workgroup_size: 256
    .name:           _ZL23rocblas_gemvt_sn_kernelILb1ELi256ELi4EiPK19rocblas_complex_numIfES3_S1_EviiT4_lPKT3_lilS7_lilPT5_i
    .private_segment_fixed_size: 48
    .sgpr_count:     55
    .sgpr_spill_count: 0
    .symbol:         _ZL23rocblas_gemvt_sn_kernelILb1ELi256ELi4EiPK19rocblas_complex_numIfES3_S1_EviiT4_lPKT3_lilS7_lilPT5_i.kd
    .uniform_work_group_size: 1
    .uses_dynamic_stack: false
    .vgpr_count:     76
    .vgpr_spill_count: 0
    .wavefront_size: 64
  - .agpr_count:     0
    .args:
      - .offset:         0
        .size:           4
        .value_kind:     by_value
      - .offset:         4
        .size:           4
        .value_kind:     by_value
      - .address_space:  global
        .offset:         8
        .size:           8
        .value_kind:     global_buffer
      - .offset:         16
        .size:           8
        .value_kind:     by_value
      - .address_space:  global
        .offset:         24
        .size:           8
        .value_kind:     global_buffer
      - .offset:         32
        .size:           8
        .value_kind:     by_value
      - .offset:         40
        .size:           4
        .value_kind:     by_value
      - .offset:         48
        .size:           8
        .value_kind:     by_value
      - .address_space:  global
        .offset:         56
        .size:           8
        .value_kind:     global_buffer
      - .offset:         64
        .size:           8
        .value_kind:     by_value
      - .offset:         72
        .size:           4
        .value_kind:     by_value
      - .offset:         80
        .size:           8
        .value_kind:     by_value
      - .address_space:  global
        .offset:         88
        .size:           8
        .value_kind:     global_buffer
      - .offset:         96
        .size:           4
        .value_kind:     by_value
      - .offset:         104
        .size:           4
        .value_kind:     hidden_block_count_x
      - .offset:         108
        .size:           4
        .value_kind:     hidden_block_count_y
      - .offset:         112
        .size:           4
        .value_kind:     hidden_block_count_z
      - .offset:         116
        .size:           2
        .value_kind:     hidden_group_size_x
      - .offset:         118
        .size:           2
        .value_kind:     hidden_group_size_y
      - .offset:         120
        .size:           2
        .value_kind:     hidden_group_size_z
      - .offset:         122
        .size:           2
        .value_kind:     hidden_remainder_x
      - .offset:         124
        .size:           2
        .value_kind:     hidden_remainder_y
      - .offset:         126
        .size:           2
        .value_kind:     hidden_remainder_z
      - .offset:         144
        .size:           8
        .value_kind:     hidden_global_offset_x
      - .offset:         152
        .size:           8
        .value_kind:     hidden_global_offset_y
      - .offset:         160
        .size:           8
        .value_kind:     hidden_global_offset_z
      - .offset:         168
        .size:           2
        .value_kind:     hidden_grid_dims
    .group_segment_fixed_size: 512
    .kernarg_segment_align: 8
    .kernarg_segment_size: 360
    .language:       OpenCL C
    .language_version:
      - 2
      - 0
    .max_flat_workgroup_size: 256
    .name:           _ZL23rocblas_gemvt_sn_kernelILb1ELi256ELi4ElPK19rocblas_complex_numIfES3_S1_EviiT4_lPKT3_lilS7_lilPT5_i
    .private_segment_fixed_size: 48
    .sgpr_count:     55
    .sgpr_spill_count: 0
    .symbol:         _ZL23rocblas_gemvt_sn_kernelILb1ELi256ELi4ElPK19rocblas_complex_numIfES3_S1_EviiT4_lPKT3_lilS7_lilPT5_i.kd
    .uniform_work_group_size: 1
    .uses_dynamic_stack: false
    .vgpr_count:     76
    .vgpr_spill_count: 0
    .wavefront_size: 64
  - .agpr_count:     0
    .args:
      - .offset:         0
        .size:           4
        .value_kind:     by_value
      - .offset:         4
        .size:           4
        .value_kind:     by_value
      - .offset:         8
        .size:           8
        .value_kind:     by_value
      - .offset:         16
        .size:           8
        .value_kind:     by_value
      - .address_space:  global
        .offset:         24
        .size:           8
        .value_kind:     global_buffer
      - .offset:         32
        .size:           8
        .value_kind:     by_value
      - .offset:         40
        .size:           4
        .value_kind:     by_value
      - .offset:         48
        .size:           8
        .value_kind:     by_value
      - .address_space:  global
        .offset:         56
        .size:           8
        .value_kind:     global_buffer
      - .offset:         64
        .size:           8
        .value_kind:     by_value
      - .offset:         72
        .size:           4
        .value_kind:     by_value
      - .offset:         80
        .size:           8
        .value_kind:     by_value
      - .address_space:  global
        .offset:         88
        .size:           8
        .value_kind:     global_buffer
      - .offset:         96
        .size:           4
        .value_kind:     by_value
      - .offset:         104
        .size:           4
        .value_kind:     hidden_block_count_x
      - .offset:         108
        .size:           4
        .value_kind:     hidden_block_count_y
      - .offset:         112
        .size:           4
        .value_kind:     hidden_block_count_z
      - .offset:         116
        .size:           2
        .value_kind:     hidden_group_size_x
      - .offset:         118
        .size:           2
        .value_kind:     hidden_group_size_y
      - .offset:         120
        .size:           2
        .value_kind:     hidden_group_size_z
      - .offset:         122
        .size:           2
        .value_kind:     hidden_remainder_x
      - .offset:         124
        .size:           2
        .value_kind:     hidden_remainder_y
      - .offset:         126
        .size:           2
        .value_kind:     hidden_remainder_z
      - .offset:         144
        .size:           8
        .value_kind:     hidden_global_offset_x
      - .offset:         152
        .size:           8
        .value_kind:     hidden_global_offset_y
      - .offset:         160
        .size:           8
        .value_kind:     hidden_global_offset_z
      - .offset:         168
        .size:           2
        .value_kind:     hidden_grid_dims
    .group_segment_fixed_size: 512
    .kernarg_segment_align: 8
    .kernarg_segment_size: 360
    .language:       OpenCL C
    .language_version:
      - 2
      - 0
    .max_flat_workgroup_size: 256
    .name:           _ZL23rocblas_gemvt_sn_kernelILb1ELi256ELi4EiPK19rocblas_complex_numIfES1_S1_EviiT4_lPKT3_lilS7_lilPT5_i
    .private_segment_fixed_size: 48
    .sgpr_count:     55
    .sgpr_spill_count: 0
    .symbol:         _ZL23rocblas_gemvt_sn_kernelILb1ELi256ELi4EiPK19rocblas_complex_numIfES1_S1_EviiT4_lPKT3_lilS7_lilPT5_i.kd
    .uniform_work_group_size: 1
    .uses_dynamic_stack: false
    .vgpr_count:     82
    .vgpr_spill_count: 0
    .wavefront_size: 64
  - .agpr_count:     0
    .args:
      - .offset:         0
        .size:           4
        .value_kind:     by_value
      - .offset:         4
        .size:           4
        .value_kind:     by_value
      - .offset:         8
        .size:           8
        .value_kind:     by_value
      - .offset:         16
        .size:           8
        .value_kind:     by_value
      - .address_space:  global
        .offset:         24
        .size:           8
        .value_kind:     global_buffer
      - .offset:         32
        .size:           8
        .value_kind:     by_value
      - .offset:         40
        .size:           4
        .value_kind:     by_value
      - .offset:         48
        .size:           8
        .value_kind:     by_value
      - .address_space:  global
        .offset:         56
        .size:           8
        .value_kind:     global_buffer
      - .offset:         64
        .size:           8
        .value_kind:     by_value
      - .offset:         72
        .size:           4
        .value_kind:     by_value
      - .offset:         80
        .size:           8
        .value_kind:     by_value
      - .address_space:  global
        .offset:         88
        .size:           8
        .value_kind:     global_buffer
      - .offset:         96
        .size:           4
        .value_kind:     by_value
      - .offset:         104
        .size:           4
        .value_kind:     hidden_block_count_x
      - .offset:         108
        .size:           4
        .value_kind:     hidden_block_count_y
      - .offset:         112
        .size:           4
        .value_kind:     hidden_block_count_z
      - .offset:         116
        .size:           2
        .value_kind:     hidden_group_size_x
      - .offset:         118
        .size:           2
        .value_kind:     hidden_group_size_y
      - .offset:         120
        .size:           2
        .value_kind:     hidden_group_size_z
      - .offset:         122
        .size:           2
        .value_kind:     hidden_remainder_x
      - .offset:         124
        .size:           2
        .value_kind:     hidden_remainder_y
      - .offset:         126
        .size:           2
        .value_kind:     hidden_remainder_z
      - .offset:         144
        .size:           8
        .value_kind:     hidden_global_offset_x
      - .offset:         152
        .size:           8
        .value_kind:     hidden_global_offset_y
      - .offset:         160
        .size:           8
        .value_kind:     hidden_global_offset_z
      - .offset:         168
        .size:           2
        .value_kind:     hidden_grid_dims
    .group_segment_fixed_size: 512
    .kernarg_segment_align: 8
    .kernarg_segment_size: 360
    .language:       OpenCL C
    .language_version:
      - 2
      - 0
    .max_flat_workgroup_size: 256
    .name:           _ZL23rocblas_gemvt_sn_kernelILb1ELi256ELi4ElPK19rocblas_complex_numIfES1_S1_EviiT4_lPKT3_lilS7_lilPT5_i
    .private_segment_fixed_size: 48
    .sgpr_count:     55
    .sgpr_spill_count: 0
    .symbol:         _ZL23rocblas_gemvt_sn_kernelILb1ELi256ELi4ElPK19rocblas_complex_numIfES1_S1_EviiT4_lPKT3_lilS7_lilPT5_i.kd
    .uniform_work_group_size: 1
    .uses_dynamic_stack: false
    .vgpr_count:     78
    .vgpr_spill_count: 0
    .wavefront_size: 64
  - .agpr_count:     0
    .args:
      - .offset:         0
        .size:           4
        .value_kind:     by_value
      - .offset:         4
        .size:           4
        .value_kind:     by_value
      - .address_space:  global
        .offset:         8
        .size:           8
        .value_kind:     global_buffer
      - .offset:         16
        .size:           8
        .value_kind:     by_value
      - .address_space:  global
        .offset:         24
        .size:           8
        .value_kind:     global_buffer
      - .offset:         32
        .size:           8
        .value_kind:     by_value
      - .offset:         40
        .size:           4
        .value_kind:     by_value
      - .offset:         48
        .size:           8
        .value_kind:     by_value
      - .address_space:  global
        .offset:         56
        .size:           8
        .value_kind:     global_buffer
      - .offset:         64
        .size:           8
        .value_kind:     by_value
      - .offset:         72
        .size:           4
        .value_kind:     by_value
      - .offset:         80
        .size:           8
        .value_kind:     by_value
      - .address_space:  global
        .offset:         88
        .size:           8
        .value_kind:     global_buffer
      - .offset:         96
        .size:           8
        .value_kind:     by_value
      - .address_space:  global
        .offset:         104
        .size:           8
        .value_kind:     global_buffer
      - .offset:         112
        .size:           8
        .value_kind:     by_value
      - .offset:         120
        .size:           4
        .value_kind:     by_value
      - .offset:         128
        .size:           8
        .value_kind:     by_value
      - .offset:         136
        .size:           4
        .value_kind:     by_value
    .group_segment_fixed_size: 2048
    .kernarg_segment_align: 8
    .kernarg_segment_size: 140
    .language:       OpenCL C
    .language_version:
      - 2
      - 0
    .max_flat_workgroup_size: 256
    .name:           _ZL20rocblas_gemvt_kernelILb1ELi256EPK19rocblas_complex_numIfES3_KPS1_EviiT2_lPKT1_lilS9_lilS6_lPT3_lili
    .private_segment_fixed_size: 0
    .sgpr_count:     32
    .sgpr_spill_count: 0
    .symbol:         _ZL20rocblas_gemvt_kernelILb1ELi256EPK19rocblas_complex_numIfES3_KPS1_EviiT2_lPKT1_lilS9_lilS6_lPT3_lili.kd
    .uniform_work_group_size: 1
    .uses_dynamic_stack: false
    .vgpr_count:     18
    .vgpr_spill_count: 0
    .wavefront_size: 64
  - .agpr_count:     0
    .args:
      - .offset:         0
        .size:           4
        .value_kind:     by_value
      - .offset:         4
        .size:           4
        .value_kind:     by_value
      - .offset:         8
        .size:           8
        .value_kind:     by_value
      - .offset:         16
        .size:           8
        .value_kind:     by_value
      - .address_space:  global
        .offset:         24
        .size:           8
        .value_kind:     global_buffer
      - .offset:         32
        .size:           8
        .value_kind:     by_value
      - .offset:         40
        .size:           4
        .value_kind:     by_value
      - .offset:         48
        .size:           8
        .value_kind:     by_value
      - .address_space:  global
        .offset:         56
        .size:           8
        .value_kind:     global_buffer
      - .offset:         64
        .size:           8
        .value_kind:     by_value
      - .offset:         72
        .size:           4
        .value_kind:     by_value
      - .offset:         80
        .size:           8
        .value_kind:     by_value
      - .offset:         88
        .size:           8
        .value_kind:     by_value
      - .offset:         96
        .size:           8
        .value_kind:     by_value
      - .address_space:  global
        .offset:         104
        .size:           8
        .value_kind:     global_buffer
      - .offset:         112
        .size:           8
        .value_kind:     by_value
      - .offset:         120
        .size:           4
        .value_kind:     by_value
      - .offset:         128
        .size:           8
        .value_kind:     by_value
      - .offset:         136
        .size:           4
        .value_kind:     by_value
    .group_segment_fixed_size: 2048
    .kernarg_segment_align: 8
    .kernarg_segment_size: 140
    .language:       OpenCL C
    .language_version:
      - 2
      - 0
    .max_flat_workgroup_size: 256
    .name:           _ZL20rocblas_gemvt_kernelILb1ELi256EPK19rocblas_complex_numIfES1_KPS1_EviiT2_lPKT1_lilS9_lilS6_lPT3_lili
    .private_segment_fixed_size: 0
    .sgpr_count:     30
    .sgpr_spill_count: 0
    .symbol:         _ZL20rocblas_gemvt_kernelILb1ELi256EPK19rocblas_complex_numIfES1_KPS1_EviiT2_lPKT1_lilS9_lilS6_lPT3_lili.kd
    .uniform_work_group_size: 1
    .uses_dynamic_stack: false
    .vgpr_count:     18
    .vgpr_spill_count: 0
    .wavefront_size: 64
  - .agpr_count:     0
    .args:
      - .offset:         0
        .size:           4
        .value_kind:     by_value
      - .offset:         4
        .size:           4
        .value_kind:     by_value
      - .address_space:  global
        .offset:         8
        .size:           8
        .value_kind:     global_buffer
      - .offset:         16
        .size:           8
        .value_kind:     by_value
      - .address_space:  global
        .offset:         24
        .size:           8
        .value_kind:     global_buffer
      - .offset:         32
        .size:           8
        .value_kind:     by_value
      - .offset:         40
        .size:           4
        .value_kind:     by_value
      - .offset:         48
        .size:           8
        .value_kind:     by_value
      - .address_space:  global
        .offset:         56
        .size:           8
        .value_kind:     global_buffer
      - .offset:         64
        .size:           8
        .value_kind:     by_value
      - .offset:         72
        .size:           4
        .value_kind:     by_value
      - .offset:         80
        .size:           8
        .value_kind:     by_value
      - .address_space:  global
        .offset:         88
        .size:           8
        .value_kind:     global_buffer
      - .offset:         96
        .size:           8
        .value_kind:     by_value
      - .address_space:  global
        .offset:         104
        .size:           8
        .value_kind:     global_buffer
      - .offset:         112
        .size:           8
        .value_kind:     by_value
      - .offset:         120
        .size:           4
        .value_kind:     by_value
      - .offset:         128
        .size:           8
        .value_kind:     by_value
      - .offset:         136
        .size:           4
        .value_kind:     by_value
    .group_segment_fixed_size: 512
    .kernarg_segment_align: 8
    .kernarg_segment_size: 140
    .language:       OpenCL C
    .language_version:
      - 2
      - 0
    .max_flat_workgroup_size: 1024
    .name:           _ZL32rocblas_gemvt_warp_reduce_kernelILb1ELi1024EiPK19rocblas_complex_numIfES3_KPS1_EviiT3_lPKT2_lT1_lS9_lSA_lS6_lPT4_lSA_li
    .private_segment_fixed_size: 0
    .sgpr_count:     32
    .sgpr_spill_count: 0
    .symbol:         _ZL32rocblas_gemvt_warp_reduce_kernelILb1ELi1024EiPK19rocblas_complex_numIfES3_KPS1_EviiT3_lPKT2_lT1_lS9_lSA_lS6_lPT4_lSA_li.kd
    .uniform_work_group_size: 1
    .uses_dynamic_stack: false
    .vgpr_count:     18
    .vgpr_spill_count: 0
    .wavefront_size: 64
  - .agpr_count:     0
    .args:
      - .offset:         0
        .size:           4
        .value_kind:     by_value
      - .offset:         4
        .size:           4
        .value_kind:     by_value
      - .address_space:  global
        .offset:         8
        .size:           8
        .value_kind:     global_buffer
      - .offset:         16
        .size:           8
        .value_kind:     by_value
      - .address_space:  global
        .offset:         24
        .size:           8
        .value_kind:     global_buffer
      - .offset:         32
        .size:           8
        .value_kind:     by_value
      - .offset:         40
        .size:           8
        .value_kind:     by_value
      - .offset:         48
        .size:           8
        .value_kind:     by_value
      - .address_space:  global
        .offset:         56
        .size:           8
        .value_kind:     global_buffer
      - .offset:         64
        .size:           8
        .value_kind:     by_value
      - .offset:         72
        .size:           8
        .value_kind:     by_value
      - .offset:         80
        .size:           8
        .value_kind:     by_value
      - .address_space:  global
        .offset:         88
        .size:           8
        .value_kind:     global_buffer
      - .offset:         96
        .size:           8
        .value_kind:     by_value
      - .address_space:  global
        .offset:         104
        .size:           8
        .value_kind:     global_buffer
      - .offset:         112
        .size:           8
        .value_kind:     by_value
      - .offset:         120
        .size:           8
        .value_kind:     by_value
      - .offset:         128
        .size:           8
        .value_kind:     by_value
      - .offset:         136
        .size:           4
        .value_kind:     by_value
    .group_segment_fixed_size: 512
    .kernarg_segment_align: 8
    .kernarg_segment_size: 140
    .language:       OpenCL C
    .language_version:
      - 2
      - 0
    .max_flat_workgroup_size: 1024
    .name:           _ZL32rocblas_gemvt_warp_reduce_kernelILb1ELi1024ElPK19rocblas_complex_numIfES3_KPS1_EviiT3_lPKT2_lT1_lS9_lSA_lS6_lPT4_lSA_li
    .private_segment_fixed_size: 0
    .sgpr_count:     42
    .sgpr_spill_count: 0
    .symbol:         _ZL32rocblas_gemvt_warp_reduce_kernelILb1ELi1024ElPK19rocblas_complex_numIfES3_KPS1_EviiT3_lPKT2_lT1_lS9_lSA_lS6_lPT4_lSA_li.kd
    .uniform_work_group_size: 1
    .uses_dynamic_stack: false
    .vgpr_count:     18
    .vgpr_spill_count: 0
    .wavefront_size: 64
  - .agpr_count:     0
    .args:
      - .offset:         0
        .size:           4
        .value_kind:     by_value
      - .offset:         4
        .size:           4
        .value_kind:     by_value
      - .offset:         8
        .size:           8
        .value_kind:     by_value
      - .offset:         16
        .size:           8
        .value_kind:     by_value
      - .address_space:  global
        .offset:         24
        .size:           8
        .value_kind:     global_buffer
      - .offset:         32
        .size:           8
        .value_kind:     by_value
      - .offset:         40
        .size:           4
        .value_kind:     by_value
      - .offset:         48
        .size:           8
        .value_kind:     by_value
      - .address_space:  global
        .offset:         56
        .size:           8
        .value_kind:     global_buffer
      - .offset:         64
        .size:           8
        .value_kind:     by_value
      - .offset:         72
        .size:           4
        .value_kind:     by_value
      - .offset:         80
        .size:           8
        .value_kind:     by_value
      - .offset:         88
        .size:           8
        .value_kind:     by_value
      - .offset:         96
        .size:           8
        .value_kind:     by_value
      - .address_space:  global
        .offset:         104
        .size:           8
        .value_kind:     global_buffer
      - .offset:         112
        .size:           8
        .value_kind:     by_value
      - .offset:         120
        .size:           4
        .value_kind:     by_value
      - .offset:         128
        .size:           8
        .value_kind:     by_value
      - .offset:         136
        .size:           4
        .value_kind:     by_value
    .group_segment_fixed_size: 512
    .kernarg_segment_align: 8
    .kernarg_segment_size: 140
    .language:       OpenCL C
    .language_version:
      - 2
      - 0
    .max_flat_workgroup_size: 1024
    .name:           _ZL32rocblas_gemvt_warp_reduce_kernelILb1ELi1024EiPK19rocblas_complex_numIfES1_KPS1_EviiT3_lPKT2_lT1_lS9_lSA_lS6_lPT4_lSA_li
    .private_segment_fixed_size: 0
    .sgpr_count:     30
    .sgpr_spill_count: 0
    .symbol:         _ZL32rocblas_gemvt_warp_reduce_kernelILb1ELi1024EiPK19rocblas_complex_numIfES1_KPS1_EviiT3_lPKT2_lT1_lS9_lSA_lS6_lPT4_lSA_li.kd
    .uniform_work_group_size: 1
    .uses_dynamic_stack: false
    .vgpr_count:     18
    .vgpr_spill_count: 0
    .wavefront_size: 64
  - .agpr_count:     0
    .args:
      - .offset:         0
        .size:           4
        .value_kind:     by_value
      - .offset:         4
        .size:           4
        .value_kind:     by_value
      - .offset:         8
        .size:           8
        .value_kind:     by_value
      - .offset:         16
        .size:           8
        .value_kind:     by_value
      - .address_space:  global
        .offset:         24
        .size:           8
        .value_kind:     global_buffer
      - .offset:         32
        .size:           8
        .value_kind:     by_value
      - .offset:         40
        .size:           8
        .value_kind:     by_value
      - .offset:         48
        .size:           8
        .value_kind:     by_value
      - .address_space:  global
        .offset:         56
        .size:           8
        .value_kind:     global_buffer
      - .offset:         64
        .size:           8
        .value_kind:     by_value
      - .offset:         72
        .size:           8
        .value_kind:     by_value
      - .offset:         80
        .size:           8
        .value_kind:     by_value
      - .offset:         88
        .size:           8
        .value_kind:     by_value
      - .offset:         96
        .size:           8
        .value_kind:     by_value
      - .address_space:  global
        .offset:         104
        .size:           8
        .value_kind:     global_buffer
      - .offset:         112
        .size:           8
        .value_kind:     by_value
      - .offset:         120
        .size:           8
        .value_kind:     by_value
      - .offset:         128
        .size:           8
        .value_kind:     by_value
      - .offset:         136
        .size:           4
        .value_kind:     by_value
    .group_segment_fixed_size: 512
    .kernarg_segment_align: 8
    .kernarg_segment_size: 140
    .language:       OpenCL C
    .language_version:
      - 2
      - 0
    .max_flat_workgroup_size: 1024
    .name:           _ZL32rocblas_gemvt_warp_reduce_kernelILb1ELi1024ElPK19rocblas_complex_numIfES1_KPS1_EviiT3_lPKT2_lT1_lS9_lSA_lS6_lPT4_lSA_li
    .private_segment_fixed_size: 0
    .sgpr_count:     34
    .sgpr_spill_count: 0
    .symbol:         _ZL32rocblas_gemvt_warp_reduce_kernelILb1ELi1024ElPK19rocblas_complex_numIfES1_KPS1_EviiT3_lPKT2_lT1_lS9_lSA_lS6_lPT4_lSA_li.kd
    .uniform_work_group_size: 1
    .uses_dynamic_stack: false
    .vgpr_count:     18
    .vgpr_spill_count: 0
    .wavefront_size: 64
  - .agpr_count:     0
    .args:
      - .offset:         0
        .size:           4
        .value_kind:     by_value
      - .offset:         4
        .size:           4
        .value_kind:     by_value
      - .address_space:  global
        .offset:         8
        .size:           8
        .value_kind:     global_buffer
      - .offset:         16
        .size:           8
        .value_kind:     by_value
      - .address_space:  global
        .offset:         24
        .size:           8
        .value_kind:     global_buffer
      - .offset:         32
        .size:           8
        .value_kind:     by_value
      - .offset:         40
        .size:           4
        .value_kind:     by_value
      - .offset:         48
        .size:           8
        .value_kind:     by_value
      - .address_space:  global
        .offset:         56
        .size:           8
        .value_kind:     global_buffer
      - .offset:         64
        .size:           8
        .value_kind:     by_value
      - .offset:         72
        .size:           4
        .value_kind:     by_value
      - .offset:         80
        .size:           8
        .value_kind:     by_value
      - .address_space:  global
        .offset:         88
        .size:           8
        .value_kind:     global_buffer
      - .offset:         96
        .size:           8
        .value_kind:     by_value
      - .address_space:  global
        .offset:         104
        .size:           8
        .value_kind:     global_buffer
      - .offset:         112
        .size:           8
        .value_kind:     by_value
      - .offset:         120
        .size:           4
        .value_kind:     by_value
      - .offset:         128
        .size:           8
        .value_kind:     by_value
      - .offset:         136
        .size:           4
        .value_kind:     by_value
      - .offset:         144
        .size:           4
        .value_kind:     hidden_block_count_x
      - .offset:         148
        .size:           4
        .value_kind:     hidden_block_count_y
      - .offset:         152
        .size:           4
        .value_kind:     hidden_block_count_z
      - .offset:         156
        .size:           2
        .value_kind:     hidden_group_size_x
      - .offset:         158
        .size:           2
        .value_kind:     hidden_group_size_y
      - .offset:         160
        .size:           2
        .value_kind:     hidden_group_size_z
      - .offset:         162
        .size:           2
        .value_kind:     hidden_remainder_x
      - .offset:         164
        .size:           2
        .value_kind:     hidden_remainder_y
      - .offset:         166
        .size:           2
        .value_kind:     hidden_remainder_z
      - .offset:         184
        .size:           8
        .value_kind:     hidden_global_offset_x
      - .offset:         192
        .size:           8
        .value_kind:     hidden_global_offset_y
      - .offset:         200
        .size:           8
        .value_kind:     hidden_global_offset_z
      - .offset:         208
        .size:           2
        .value_kind:     hidden_grid_dims
    .group_segment_fixed_size: 12288
    .kernarg_segment_align: 8
    .kernarg_segment_size: 400
    .language:       OpenCL C
    .language_version:
      - 2
      - 0
    .max_flat_workgroup_size: 768
    .name:           _ZL34rocblas_gemvn_sm_mn_batched_kernelILi32ELi24EPK19rocblas_complex_numIdES3_KPS1_EviiT2_lPKT1_lilS9_lilS6_lPT3_lili
    .private_segment_fixed_size: 0
    .sgpr_count:     76
    .sgpr_spill_count: 0
    .symbol:         _ZL34rocblas_gemvn_sm_mn_batched_kernelILi32ELi24EPK19rocblas_complex_numIdES3_KPS1_EviiT2_lPKT1_lilS9_lilS6_lPT3_lili.kd
    .uniform_work_group_size: 1
    .uses_dynamic_stack: false
    .vgpr_count:     146
    .vgpr_spill_count: 0
    .wavefront_size: 64
  - .agpr_count:     0
    .args:
      - .offset:         0
        .size:           4
        .value_kind:     by_value
      - .offset:         4
        .size:           4
        .value_kind:     by_value
      - .offset:         8
        .size:           16
        .value_kind:     by_value
      - .offset:         24
        .size:           8
        .value_kind:     by_value
      - .address_space:  global
        .offset:         32
        .size:           8
        .value_kind:     global_buffer
      - .offset:         40
        .size:           8
        .value_kind:     by_value
      - .offset:         48
        .size:           4
        .value_kind:     by_value
      - .offset:         56
        .size:           8
        .value_kind:     by_value
      - .address_space:  global
        .offset:         64
        .size:           8
        .value_kind:     global_buffer
      - .offset:         72
        .size:           8
        .value_kind:     by_value
      - .offset:         80
        .size:           4
        .value_kind:     by_value
      - .offset:         88
        .size:           8
        .value_kind:     by_value
      - .offset:         96
        .size:           16
        .value_kind:     by_value
      - .offset:         112
        .size:           8
        .value_kind:     by_value
      - .address_space:  global
        .offset:         120
        .size:           8
        .value_kind:     global_buffer
      - .offset:         128
        .size:           8
        .value_kind:     by_value
      - .offset:         136
        .size:           4
        .value_kind:     by_value
      - .offset:         144
        .size:           8
        .value_kind:     by_value
      - .offset:         152
        .size:           4
        .value_kind:     by_value
      - .offset:         160
        .size:           4
        .value_kind:     hidden_block_count_x
      - .offset:         164
        .size:           4
        .value_kind:     hidden_block_count_y
      - .offset:         168
        .size:           4
        .value_kind:     hidden_block_count_z
      - .offset:         172
        .size:           2
        .value_kind:     hidden_group_size_x
      - .offset:         174
        .size:           2
        .value_kind:     hidden_group_size_y
      - .offset:         176
        .size:           2
        .value_kind:     hidden_group_size_z
      - .offset:         178
        .size:           2
        .value_kind:     hidden_remainder_x
      - .offset:         180
        .size:           2
        .value_kind:     hidden_remainder_y
      - .offset:         182
        .size:           2
        .value_kind:     hidden_remainder_z
      - .offset:         200
        .size:           8
        .value_kind:     hidden_global_offset_x
      - .offset:         208
        .size:           8
        .value_kind:     hidden_global_offset_y
      - .offset:         216
        .size:           8
        .value_kind:     hidden_global_offset_z
      - .offset:         224
        .size:           2
        .value_kind:     hidden_grid_dims
    .group_segment_fixed_size: 12288
    .kernarg_segment_align: 8
    .kernarg_segment_size: 416
    .language:       OpenCL C
    .language_version:
      - 2
      - 0
    .max_flat_workgroup_size: 768
    .name:           _ZL34rocblas_gemvn_sm_mn_batched_kernelILi32ELi24EPK19rocblas_complex_numIdES1_KPS1_EviiT2_lPKT1_lilS9_lilS6_lPT3_lili
    .private_segment_fixed_size: 0
    .sgpr_count:     76
    .sgpr_spill_count: 0
    .symbol:         _ZL34rocblas_gemvn_sm_mn_batched_kernelILi32ELi24EPK19rocblas_complex_numIdES1_KPS1_EviiT2_lPKT1_lilS9_lilS6_lPT3_lili.kd
    .uniform_work_group_size: 1
    .uses_dynamic_stack: false
    .vgpr_count:     146
    .vgpr_spill_count: 0
    .wavefront_size: 64
  - .agpr_count:     0
    .args:
      - .offset:         0
        .size:           4
        .value_kind:     by_value
      - .offset:         4
        .size:           4
        .value_kind:     by_value
      - .address_space:  global
        .offset:         8
        .size:           8
        .value_kind:     global_buffer
      - .offset:         16
        .size:           8
        .value_kind:     by_value
      - .address_space:  global
        .offset:         24
        .size:           8
        .value_kind:     global_buffer
      - .offset:         32
        .size:           8
        .value_kind:     by_value
      - .offset:         40
        .size:           4
        .value_kind:     by_value
      - .offset:         48
        .size:           8
        .value_kind:     by_value
      - .address_space:  global
        .offset:         56
        .size:           8
        .value_kind:     global_buffer
      - .offset:         64
        .size:           8
        .value_kind:     by_value
      - .offset:         72
        .size:           4
        .value_kind:     by_value
      - .offset:         80
        .size:           8
        .value_kind:     by_value
      - .address_space:  global
        .offset:         88
        .size:           8
        .value_kind:     global_buffer
      - .offset:         96
        .size:           8
        .value_kind:     by_value
      - .address_space:  global
        .offset:         104
        .size:           8
        .value_kind:     global_buffer
      - .offset:         112
        .size:           8
        .value_kind:     by_value
      - .offset:         120
        .size:           4
        .value_kind:     by_value
      - .offset:         128
        .size:           8
        .value_kind:     by_value
      - .offset:         136
        .size:           4
        .value_kind:     by_value
      - .offset:         144
        .size:           4
        .value_kind:     hidden_block_count_x
      - .offset:         148
        .size:           4
        .value_kind:     hidden_block_count_y
      - .offset:         152
        .size:           4
        .value_kind:     hidden_block_count_z
      - .offset:         156
        .size:           2
        .value_kind:     hidden_group_size_x
      - .offset:         158
        .size:           2
        .value_kind:     hidden_group_size_y
      - .offset:         160
        .size:           2
        .value_kind:     hidden_group_size_z
      - .offset:         162
        .size:           2
        .value_kind:     hidden_remainder_x
      - .offset:         164
        .size:           2
        .value_kind:     hidden_remainder_y
      - .offset:         166
        .size:           2
        .value_kind:     hidden_remainder_z
      - .offset:         184
        .size:           8
        .value_kind:     hidden_global_offset_x
      - .offset:         192
        .size:           8
        .value_kind:     hidden_global_offset_y
      - .offset:         200
        .size:           8
        .value_kind:     hidden_global_offset_z
      - .offset:         208
        .size:           2
        .value_kind:     hidden_grid_dims
    .group_segment_fixed_size: 4096
    .kernarg_segment_align: 8
    .kernarg_segment_size: 400
    .language:       OpenCL C
    .language_version:
      - 2
      - 0
    .max_flat_workgroup_size: 256
    .name:           _ZL20rocblas_gemvn_kernelILi64ELi4EiPK19rocblas_complex_numIdES3_KPS1_EviiT3_lPKT2_lT1_lS9_lSA_lS6_lPT4_lSA_li
    .private_segment_fixed_size: 0
    .sgpr_count:     42
    .sgpr_spill_count: 0
    .symbol:         _ZL20rocblas_gemvn_kernelILi64ELi4EiPK19rocblas_complex_numIdES3_KPS1_EviiT3_lPKT2_lT1_lS9_lSA_lS6_lPT4_lSA_li.kd
    .uniform_work_group_size: 1
    .uses_dynamic_stack: false
    .vgpr_count:     24
    .vgpr_spill_count: 0
    .wavefront_size: 64
  - .agpr_count:     0
    .args:
      - .offset:         0
        .size:           4
        .value_kind:     by_value
      - .offset:         4
        .size:           4
        .value_kind:     by_value
      - .address_space:  global
        .offset:         8
        .size:           8
        .value_kind:     global_buffer
      - .offset:         16
        .size:           8
        .value_kind:     by_value
      - .address_space:  global
        .offset:         24
        .size:           8
        .value_kind:     global_buffer
      - .offset:         32
        .size:           8
        .value_kind:     by_value
      - .offset:         40
        .size:           8
        .value_kind:     by_value
      - .offset:         48
        .size:           8
        .value_kind:     by_value
      - .address_space:  global
        .offset:         56
        .size:           8
        .value_kind:     global_buffer
      - .offset:         64
        .size:           8
        .value_kind:     by_value
      - .offset:         72
        .size:           8
        .value_kind:     by_value
      - .offset:         80
        .size:           8
        .value_kind:     by_value
      - .address_space:  global
        .offset:         88
        .size:           8
        .value_kind:     global_buffer
      - .offset:         96
        .size:           8
        .value_kind:     by_value
      - .address_space:  global
        .offset:         104
        .size:           8
        .value_kind:     global_buffer
      - .offset:         112
        .size:           8
        .value_kind:     by_value
      - .offset:         120
        .size:           8
        .value_kind:     by_value
      - .offset:         128
        .size:           8
        .value_kind:     by_value
      - .offset:         136
        .size:           4
        .value_kind:     by_value
      - .offset:         144
        .size:           4
        .value_kind:     hidden_block_count_x
      - .offset:         148
        .size:           4
        .value_kind:     hidden_block_count_y
      - .offset:         152
        .size:           4
        .value_kind:     hidden_block_count_z
      - .offset:         156
        .size:           2
        .value_kind:     hidden_group_size_x
      - .offset:         158
        .size:           2
        .value_kind:     hidden_group_size_y
      - .offset:         160
        .size:           2
        .value_kind:     hidden_group_size_z
      - .offset:         162
        .size:           2
        .value_kind:     hidden_remainder_x
      - .offset:         164
        .size:           2
        .value_kind:     hidden_remainder_y
      - .offset:         166
        .size:           2
        .value_kind:     hidden_remainder_z
      - .offset:         184
        .size:           8
        .value_kind:     hidden_global_offset_x
      - .offset:         192
        .size:           8
        .value_kind:     hidden_global_offset_y
      - .offset:         200
        .size:           8
        .value_kind:     hidden_global_offset_z
      - .offset:         208
        .size:           2
        .value_kind:     hidden_grid_dims
    .group_segment_fixed_size: 4096
    .kernarg_segment_align: 8
    .kernarg_segment_size: 400
    .language:       OpenCL C
    .language_version:
      - 2
      - 0
    .max_flat_workgroup_size: 256
    .name:           _ZL20rocblas_gemvn_kernelILi64ELi4ElPK19rocblas_complex_numIdES3_KPS1_EviiT3_lPKT2_lT1_lS9_lSA_lS6_lPT4_lSA_li
    .private_segment_fixed_size: 0
    .sgpr_count:     44
    .sgpr_spill_count: 0
    .symbol:         _ZL20rocblas_gemvn_kernelILi64ELi4ElPK19rocblas_complex_numIdES3_KPS1_EviiT3_lPKT2_lT1_lS9_lSA_lS6_lPT4_lSA_li.kd
    .uniform_work_group_size: 1
    .uses_dynamic_stack: false
    .vgpr_count:     22
    .vgpr_spill_count: 0
    .wavefront_size: 64
  - .agpr_count:     0
    .args:
      - .offset:         0
        .size:           4
        .value_kind:     by_value
      - .offset:         4
        .size:           4
        .value_kind:     by_value
      - .offset:         8
        .size:           16
        .value_kind:     by_value
      - .offset:         24
        .size:           8
        .value_kind:     by_value
      - .address_space:  global
        .offset:         32
        .size:           8
        .value_kind:     global_buffer
      - .offset:         40
        .size:           8
        .value_kind:     by_value
      - .offset:         48
        .size:           4
        .value_kind:     by_value
      - .offset:         56
        .size:           8
        .value_kind:     by_value
      - .address_space:  global
        .offset:         64
        .size:           8
        .value_kind:     global_buffer
      - .offset:         72
        .size:           8
        .value_kind:     by_value
      - .offset:         80
        .size:           4
        .value_kind:     by_value
      - .offset:         88
        .size:           8
        .value_kind:     by_value
      - .offset:         96
        .size:           16
        .value_kind:     by_value
      - .offset:         112
        .size:           8
        .value_kind:     by_value
      - .address_space:  global
        .offset:         120
        .size:           8
        .value_kind:     global_buffer
      - .offset:         128
        .size:           8
        .value_kind:     by_value
      - .offset:         136
        .size:           4
        .value_kind:     by_value
      - .offset:         144
        .size:           8
        .value_kind:     by_value
      - .offset:         152
        .size:           4
        .value_kind:     by_value
      - .offset:         160
        .size:           4
        .value_kind:     hidden_block_count_x
      - .offset:         164
        .size:           4
        .value_kind:     hidden_block_count_y
      - .offset:         168
        .size:           4
        .value_kind:     hidden_block_count_z
      - .offset:         172
        .size:           2
        .value_kind:     hidden_group_size_x
      - .offset:         174
        .size:           2
        .value_kind:     hidden_group_size_y
      - .offset:         176
        .size:           2
        .value_kind:     hidden_group_size_z
      - .offset:         178
        .size:           2
        .value_kind:     hidden_remainder_x
      - .offset:         180
        .size:           2
        .value_kind:     hidden_remainder_y
      - .offset:         182
        .size:           2
        .value_kind:     hidden_remainder_z
      - .offset:         200
        .size:           8
        .value_kind:     hidden_global_offset_x
      - .offset:         208
        .size:           8
        .value_kind:     hidden_global_offset_y
      - .offset:         216
        .size:           8
        .value_kind:     hidden_global_offset_z
      - .offset:         224
        .size:           2
        .value_kind:     hidden_grid_dims
    .group_segment_fixed_size: 4096
    .kernarg_segment_align: 8
    .kernarg_segment_size: 416
    .language:       OpenCL C
    .language_version:
      - 2
      - 0
    .max_flat_workgroup_size: 256
    .name:           _ZL20rocblas_gemvn_kernelILi64ELi4EiPK19rocblas_complex_numIdES1_KPS1_EviiT3_lPKT2_lT1_lS9_lSA_lS6_lPT4_lSA_li
    .private_segment_fixed_size: 0
    .sgpr_count:     46
    .sgpr_spill_count: 0
    .symbol:         _ZL20rocblas_gemvn_kernelILi64ELi4EiPK19rocblas_complex_numIdES1_KPS1_EviiT3_lPKT2_lT1_lS9_lSA_lS6_lPT4_lSA_li.kd
    .uniform_work_group_size: 1
    .uses_dynamic_stack: false
    .vgpr_count:     24
    .vgpr_spill_count: 0
    .wavefront_size: 64
  - .agpr_count:     0
    .args:
      - .offset:         0
        .size:           4
        .value_kind:     by_value
      - .offset:         4
        .size:           4
        .value_kind:     by_value
      - .offset:         8
        .size:           16
        .value_kind:     by_value
      - .offset:         24
        .size:           8
        .value_kind:     by_value
      - .address_space:  global
        .offset:         32
        .size:           8
        .value_kind:     global_buffer
      - .offset:         40
        .size:           8
        .value_kind:     by_value
      - .offset:         48
        .size:           8
        .value_kind:     by_value
      - .offset:         56
        .size:           8
        .value_kind:     by_value
      - .address_space:  global
        .offset:         64
        .size:           8
        .value_kind:     global_buffer
      - .offset:         72
        .size:           8
        .value_kind:     by_value
      - .offset:         80
        .size:           8
        .value_kind:     by_value
      - .offset:         88
        .size:           8
        .value_kind:     by_value
      - .offset:         96
        .size:           16
        .value_kind:     by_value
      - .offset:         112
        .size:           8
        .value_kind:     by_value
      - .address_space:  global
        .offset:         120
        .size:           8
        .value_kind:     global_buffer
      - .offset:         128
        .size:           8
        .value_kind:     by_value
      - .offset:         136
        .size:           8
        .value_kind:     by_value
      - .offset:         144
        .size:           8
        .value_kind:     by_value
      - .offset:         152
        .size:           4
        .value_kind:     by_value
      - .offset:         160
        .size:           4
        .value_kind:     hidden_block_count_x
      - .offset:         164
        .size:           4
        .value_kind:     hidden_block_count_y
      - .offset:         168
        .size:           4
        .value_kind:     hidden_block_count_z
      - .offset:         172
        .size:           2
        .value_kind:     hidden_group_size_x
      - .offset:         174
        .size:           2
        .value_kind:     hidden_group_size_y
      - .offset:         176
        .size:           2
        .value_kind:     hidden_group_size_z
      - .offset:         178
        .size:           2
        .value_kind:     hidden_remainder_x
      - .offset:         180
        .size:           2
        .value_kind:     hidden_remainder_y
      - .offset:         182
        .size:           2
        .value_kind:     hidden_remainder_z
      - .offset:         200
        .size:           8
        .value_kind:     hidden_global_offset_x
      - .offset:         208
        .size:           8
        .value_kind:     hidden_global_offset_y
      - .offset:         216
        .size:           8
        .value_kind:     hidden_global_offset_z
      - .offset:         224
        .size:           2
        .value_kind:     hidden_grid_dims
    .group_segment_fixed_size: 4096
    .kernarg_segment_align: 8
    .kernarg_segment_size: 416
    .language:       OpenCL C
    .language_version:
      - 2
      - 0
    .max_flat_workgroup_size: 256
    .name:           _ZL20rocblas_gemvn_kernelILi64ELi4ElPK19rocblas_complex_numIdES1_KPS1_EviiT3_lPKT2_lT1_lS9_lSA_lS6_lPT4_lSA_li
    .private_segment_fixed_size: 0
    .sgpr_count:     46
    .sgpr_spill_count: 0
    .symbol:         _ZL20rocblas_gemvn_kernelILi64ELi4ElPK19rocblas_complex_numIdES1_KPS1_EviiT3_lPKT2_lT1_lS9_lSA_lS6_lPT4_lSA_li.kd
    .uniform_work_group_size: 1
    .uses_dynamic_stack: false
    .vgpr_count:     22
    .vgpr_spill_count: 0
    .wavefront_size: 64
  - .agpr_count:     0
    .args:
      - .offset:         0
        .size:           4
        .value_kind:     by_value
      - .offset:         4
        .size:           4
        .value_kind:     by_value
      - .address_space:  global
        .offset:         8
        .size:           8
        .value_kind:     global_buffer
      - .offset:         16
        .size:           8
        .value_kind:     by_value
      - .address_space:  global
        .offset:         24
        .size:           8
        .value_kind:     global_buffer
      - .offset:         32
        .size:           8
        .value_kind:     by_value
      - .offset:         40
        .size:           4
        .value_kind:     by_value
      - .offset:         48
        .size:           8
        .value_kind:     by_value
      - .address_space:  global
        .offset:         56
        .size:           8
        .value_kind:     global_buffer
      - .offset:         64
        .size:           8
        .value_kind:     by_value
      - .offset:         72
        .size:           4
        .value_kind:     by_value
      - .offset:         80
        .size:           8
        .value_kind:     by_value
      - .address_space:  global
        .offset:         88
        .size:           8
        .value_kind:     global_buffer
      - .offset:         96
        .size:           8
        .value_kind:     by_value
      - .address_space:  global
        .offset:         104
        .size:           8
        .value_kind:     global_buffer
      - .offset:         112
        .size:           8
        .value_kind:     by_value
      - .offset:         120
        .size:           4
        .value_kind:     by_value
      - .offset:         128
        .size:           8
        .value_kind:     by_value
      - .offset:         136
        .size:           4
        .value_kind:     by_value
      - .offset:         144
        .size:           4
        .value_kind:     hidden_block_count_x
      - .offset:         148
        .size:           4
        .value_kind:     hidden_block_count_y
      - .offset:         152
        .size:           4
        .value_kind:     hidden_block_count_z
      - .offset:         156
        .size:           2
        .value_kind:     hidden_group_size_x
      - .offset:         158
        .size:           2
        .value_kind:     hidden_group_size_y
      - .offset:         160
        .size:           2
        .value_kind:     hidden_group_size_z
      - .offset:         162
        .size:           2
        .value_kind:     hidden_remainder_x
      - .offset:         164
        .size:           2
        .value_kind:     hidden_remainder_y
      - .offset:         166
        .size:           2
        .value_kind:     hidden_remainder_z
      - .offset:         184
        .size:           8
        .value_kind:     hidden_global_offset_x
      - .offset:         192
        .size:           8
        .value_kind:     hidden_global_offset_y
      - .offset:         200
        .size:           8
        .value_kind:     hidden_global_offset_z
      - .offset:         208
        .size:           2
        .value_kind:     hidden_grid_dims
    .group_segment_fixed_size: 8192
    .kernarg_segment_align: 8
    .kernarg_segment_size: 400
    .language:       OpenCL C
    .language_version:
      - 2
      - 0
    .max_flat_workgroup_size: 512
    .name:           _ZL20rocblas_gemvn_kernelILi32ELi16EiPK19rocblas_complex_numIdES3_KPS1_EviiT3_lPKT2_lT1_lS9_lSA_lS6_lPT4_lSA_li
    .private_segment_fixed_size: 0
    .sgpr_count:     42
    .sgpr_spill_count: 0
    .symbol:         _ZL20rocblas_gemvn_kernelILi32ELi16EiPK19rocblas_complex_numIdES3_KPS1_EviiT3_lPKT2_lT1_lS9_lSA_lS6_lPT4_lSA_li.kd
    .uniform_work_group_size: 1
    .uses_dynamic_stack: false
    .vgpr_count:     24
    .vgpr_spill_count: 0
    .wavefront_size: 64
  - .agpr_count:     0
    .args:
      - .offset:         0
        .size:           4
        .value_kind:     by_value
      - .offset:         4
        .size:           4
        .value_kind:     by_value
      - .address_space:  global
        .offset:         8
        .size:           8
        .value_kind:     global_buffer
      - .offset:         16
        .size:           8
        .value_kind:     by_value
      - .address_space:  global
        .offset:         24
        .size:           8
        .value_kind:     global_buffer
      - .offset:         32
        .size:           8
        .value_kind:     by_value
      - .offset:         40
        .size:           8
        .value_kind:     by_value
      - .offset:         48
        .size:           8
        .value_kind:     by_value
      - .address_space:  global
        .offset:         56
        .size:           8
        .value_kind:     global_buffer
      - .offset:         64
        .size:           8
        .value_kind:     by_value
      - .offset:         72
        .size:           8
        .value_kind:     by_value
      - .offset:         80
        .size:           8
        .value_kind:     by_value
      - .address_space:  global
        .offset:         88
        .size:           8
        .value_kind:     global_buffer
      - .offset:         96
        .size:           8
        .value_kind:     by_value
      - .address_space:  global
        .offset:         104
        .size:           8
        .value_kind:     global_buffer
      - .offset:         112
        .size:           8
        .value_kind:     by_value
      - .offset:         120
        .size:           8
        .value_kind:     by_value
      - .offset:         128
        .size:           8
        .value_kind:     by_value
      - .offset:         136
        .size:           4
        .value_kind:     by_value
      - .offset:         144
        .size:           4
        .value_kind:     hidden_block_count_x
      - .offset:         148
        .size:           4
        .value_kind:     hidden_block_count_y
      - .offset:         152
        .size:           4
        .value_kind:     hidden_block_count_z
      - .offset:         156
        .size:           2
        .value_kind:     hidden_group_size_x
      - .offset:         158
        .size:           2
        .value_kind:     hidden_group_size_y
      - .offset:         160
        .size:           2
        .value_kind:     hidden_group_size_z
      - .offset:         162
        .size:           2
        .value_kind:     hidden_remainder_x
      - .offset:         164
        .size:           2
        .value_kind:     hidden_remainder_y
      - .offset:         166
        .size:           2
        .value_kind:     hidden_remainder_z
      - .offset:         184
        .size:           8
        .value_kind:     hidden_global_offset_x
      - .offset:         192
        .size:           8
        .value_kind:     hidden_global_offset_y
      - .offset:         200
        .size:           8
        .value_kind:     hidden_global_offset_z
      - .offset:         208
        .size:           2
        .value_kind:     hidden_grid_dims
    .group_segment_fixed_size: 8192
    .kernarg_segment_align: 8
    .kernarg_segment_size: 400
    .language:       OpenCL C
    .language_version:
      - 2
      - 0
    .max_flat_workgroup_size: 512
    .name:           _ZL20rocblas_gemvn_kernelILi32ELi16ElPK19rocblas_complex_numIdES3_KPS1_EviiT3_lPKT2_lT1_lS9_lSA_lS6_lPT4_lSA_li
    .private_segment_fixed_size: 0
    .sgpr_count:     44
    .sgpr_spill_count: 0
    .symbol:         _ZL20rocblas_gemvn_kernelILi32ELi16ElPK19rocblas_complex_numIdES3_KPS1_EviiT3_lPKT2_lT1_lS9_lSA_lS6_lPT4_lSA_li.kd
    .uniform_work_group_size: 1
    .uses_dynamic_stack: false
    .vgpr_count:     22
    .vgpr_spill_count: 0
    .wavefront_size: 64
  - .agpr_count:     0
    .args:
      - .offset:         0
        .size:           4
        .value_kind:     by_value
      - .offset:         4
        .size:           4
        .value_kind:     by_value
      - .offset:         8
        .size:           16
        .value_kind:     by_value
      - .offset:         24
        .size:           8
        .value_kind:     by_value
      - .address_space:  global
        .offset:         32
        .size:           8
        .value_kind:     global_buffer
      - .offset:         40
        .size:           8
        .value_kind:     by_value
      - .offset:         48
        .size:           4
        .value_kind:     by_value
      - .offset:         56
        .size:           8
        .value_kind:     by_value
      - .address_space:  global
        .offset:         64
        .size:           8
        .value_kind:     global_buffer
      - .offset:         72
        .size:           8
        .value_kind:     by_value
      - .offset:         80
        .size:           4
        .value_kind:     by_value
      - .offset:         88
        .size:           8
        .value_kind:     by_value
      - .offset:         96
        .size:           16
        .value_kind:     by_value
      - .offset:         112
        .size:           8
        .value_kind:     by_value
      - .address_space:  global
        .offset:         120
        .size:           8
        .value_kind:     global_buffer
      - .offset:         128
        .size:           8
        .value_kind:     by_value
      - .offset:         136
        .size:           4
        .value_kind:     by_value
      - .offset:         144
        .size:           8
        .value_kind:     by_value
      - .offset:         152
        .size:           4
        .value_kind:     by_value
      - .offset:         160
        .size:           4
        .value_kind:     hidden_block_count_x
      - .offset:         164
        .size:           4
        .value_kind:     hidden_block_count_y
      - .offset:         168
        .size:           4
        .value_kind:     hidden_block_count_z
      - .offset:         172
        .size:           2
        .value_kind:     hidden_group_size_x
      - .offset:         174
        .size:           2
        .value_kind:     hidden_group_size_y
      - .offset:         176
        .size:           2
        .value_kind:     hidden_group_size_z
      - .offset:         178
        .size:           2
        .value_kind:     hidden_remainder_x
      - .offset:         180
        .size:           2
        .value_kind:     hidden_remainder_y
      - .offset:         182
        .size:           2
        .value_kind:     hidden_remainder_z
      - .offset:         200
        .size:           8
        .value_kind:     hidden_global_offset_x
      - .offset:         208
        .size:           8
        .value_kind:     hidden_global_offset_y
      - .offset:         216
        .size:           8
        .value_kind:     hidden_global_offset_z
      - .offset:         224
        .size:           2
        .value_kind:     hidden_grid_dims
    .group_segment_fixed_size: 8192
    .kernarg_segment_align: 8
    .kernarg_segment_size: 416
    .language:       OpenCL C
    .language_version:
      - 2
      - 0
    .max_flat_workgroup_size: 512
    .name:           _ZL20rocblas_gemvn_kernelILi32ELi16EiPK19rocblas_complex_numIdES1_KPS1_EviiT3_lPKT2_lT1_lS9_lSA_lS6_lPT4_lSA_li
    .private_segment_fixed_size: 0
    .sgpr_count:     46
    .sgpr_spill_count: 0
    .symbol:         _ZL20rocblas_gemvn_kernelILi32ELi16EiPK19rocblas_complex_numIdES1_KPS1_EviiT3_lPKT2_lT1_lS9_lSA_lS6_lPT4_lSA_li.kd
    .uniform_work_group_size: 1
    .uses_dynamic_stack: false
    .vgpr_count:     24
    .vgpr_spill_count: 0
    .wavefront_size: 64
  - .agpr_count:     0
    .args:
      - .offset:         0
        .size:           4
        .value_kind:     by_value
      - .offset:         4
        .size:           4
        .value_kind:     by_value
      - .offset:         8
        .size:           16
        .value_kind:     by_value
      - .offset:         24
        .size:           8
        .value_kind:     by_value
      - .address_space:  global
        .offset:         32
        .size:           8
        .value_kind:     global_buffer
      - .offset:         40
        .size:           8
        .value_kind:     by_value
      - .offset:         48
        .size:           8
        .value_kind:     by_value
      - .offset:         56
        .size:           8
        .value_kind:     by_value
      - .address_space:  global
        .offset:         64
        .size:           8
        .value_kind:     global_buffer
      - .offset:         72
        .size:           8
        .value_kind:     by_value
      - .offset:         80
        .size:           8
        .value_kind:     by_value
      - .offset:         88
        .size:           8
        .value_kind:     by_value
      - .offset:         96
        .size:           16
        .value_kind:     by_value
      - .offset:         112
        .size:           8
        .value_kind:     by_value
      - .address_space:  global
        .offset:         120
        .size:           8
        .value_kind:     global_buffer
      - .offset:         128
        .size:           8
        .value_kind:     by_value
      - .offset:         136
        .size:           8
        .value_kind:     by_value
      - .offset:         144
        .size:           8
        .value_kind:     by_value
      - .offset:         152
        .size:           4
        .value_kind:     by_value
      - .offset:         160
        .size:           4
        .value_kind:     hidden_block_count_x
      - .offset:         164
        .size:           4
        .value_kind:     hidden_block_count_y
      - .offset:         168
        .size:           4
        .value_kind:     hidden_block_count_z
      - .offset:         172
        .size:           2
        .value_kind:     hidden_group_size_x
      - .offset:         174
        .size:           2
        .value_kind:     hidden_group_size_y
      - .offset:         176
        .size:           2
        .value_kind:     hidden_group_size_z
      - .offset:         178
        .size:           2
        .value_kind:     hidden_remainder_x
      - .offset:         180
        .size:           2
        .value_kind:     hidden_remainder_y
      - .offset:         182
        .size:           2
        .value_kind:     hidden_remainder_z
      - .offset:         200
        .size:           8
        .value_kind:     hidden_global_offset_x
      - .offset:         208
        .size:           8
        .value_kind:     hidden_global_offset_y
      - .offset:         216
        .size:           8
        .value_kind:     hidden_global_offset_z
      - .offset:         224
        .size:           2
        .value_kind:     hidden_grid_dims
    .group_segment_fixed_size: 8192
    .kernarg_segment_align: 8
    .kernarg_segment_size: 416
    .language:       OpenCL C
    .language_version:
      - 2
      - 0
    .max_flat_workgroup_size: 512
    .name:           _ZL20rocblas_gemvn_kernelILi32ELi16ElPK19rocblas_complex_numIdES1_KPS1_EviiT3_lPKT2_lT1_lS9_lSA_lS6_lPT4_lSA_li
    .private_segment_fixed_size: 0
    .sgpr_count:     46
    .sgpr_spill_count: 0
    .symbol:         _ZL20rocblas_gemvn_kernelILi32ELi16ElPK19rocblas_complex_numIdES1_KPS1_EviiT3_lPKT2_lT1_lS9_lSA_lS6_lPT4_lSA_li.kd
    .uniform_work_group_size: 1
    .uses_dynamic_stack: false
    .vgpr_count:     22
    .vgpr_spill_count: 0
    .wavefront_size: 64
  - .agpr_count:     0
    .args:
      - .offset:         0
        .size:           4
        .value_kind:     by_value
      - .offset:         4
        .size:           4
        .value_kind:     by_value
      - .address_space:  global
        .offset:         8
        .size:           8
        .value_kind:     global_buffer
      - .offset:         16
        .size:           8
        .value_kind:     by_value
      - .address_space:  global
        .offset:         24
        .size:           8
        .value_kind:     global_buffer
      - .offset:         32
        .size:           8
        .value_kind:     by_value
      - .offset:         40
        .size:           4
        .value_kind:     by_value
      - .offset:         48
        .size:           8
        .value_kind:     by_value
      - .address_space:  global
        .offset:         56
        .size:           8
        .value_kind:     global_buffer
      - .offset:         64
        .size:           8
        .value_kind:     by_value
      - .offset:         72
        .size:           4
        .value_kind:     by_value
      - .offset:         80
        .size:           8
        .value_kind:     by_value
      - .address_space:  global
        .offset:         88
        .size:           8
        .value_kind:     global_buffer
      - .offset:         96
        .size:           8
        .value_kind:     by_value
      - .address_space:  global
        .offset:         104
        .size:           8
        .value_kind:     global_buffer
      - .offset:         112
        .size:           8
        .value_kind:     by_value
      - .offset:         120
        .size:           4
        .value_kind:     by_value
      - .offset:         128
        .size:           8
        .value_kind:     by_value
      - .offset:         136
        .size:           4
        .value_kind:     by_value
      - .offset:         144
        .size:           4
        .value_kind:     hidden_block_count_x
      - .offset:         148
        .size:           4
        .value_kind:     hidden_block_count_y
      - .offset:         152
        .size:           4
        .value_kind:     hidden_block_count_z
      - .offset:         156
        .size:           2
        .value_kind:     hidden_group_size_x
      - .offset:         158
        .size:           2
        .value_kind:     hidden_group_size_y
      - .offset:         160
        .size:           2
        .value_kind:     hidden_group_size_z
      - .offset:         162
        .size:           2
        .value_kind:     hidden_remainder_x
      - .offset:         164
        .size:           2
        .value_kind:     hidden_remainder_y
      - .offset:         166
        .size:           2
        .value_kind:     hidden_remainder_z
      - .offset:         184
        .size:           8
        .value_kind:     hidden_global_offset_x
      - .offset:         192
        .size:           8
        .value_kind:     hidden_global_offset_y
      - .offset:         200
        .size:           8
        .value_kind:     hidden_global_offset_z
      - .offset:         208
        .size:           2
        .value_kind:     hidden_grid_dims
    .group_segment_fixed_size: 16384
    .kernarg_segment_align: 8
    .kernarg_segment_size: 400
    .language:       OpenCL C
    .language_version:
      - 2
      - 0
    .max_flat_workgroup_size: 1024
    .name:           _ZL20rocblas_gemvn_kernelILi64ELi16EiPK19rocblas_complex_numIdES3_KPS1_EviiT3_lPKT2_lT1_lS9_lSA_lS6_lPT4_lSA_li
    .private_segment_fixed_size: 0
    .sgpr_count:     42
    .sgpr_spill_count: 0
    .symbol:         _ZL20rocblas_gemvn_kernelILi64ELi16EiPK19rocblas_complex_numIdES3_KPS1_EviiT3_lPKT2_lT1_lS9_lSA_lS6_lPT4_lSA_li.kd
    .uniform_work_group_size: 1
    .uses_dynamic_stack: false
    .vgpr_count:     24
    .vgpr_spill_count: 0
    .wavefront_size: 64
  - .agpr_count:     0
    .args:
      - .offset:         0
        .size:           4
        .value_kind:     by_value
      - .offset:         4
        .size:           4
        .value_kind:     by_value
      - .address_space:  global
        .offset:         8
        .size:           8
        .value_kind:     global_buffer
      - .offset:         16
        .size:           8
        .value_kind:     by_value
      - .address_space:  global
        .offset:         24
        .size:           8
        .value_kind:     global_buffer
      - .offset:         32
        .size:           8
        .value_kind:     by_value
      - .offset:         40
        .size:           8
        .value_kind:     by_value
      - .offset:         48
        .size:           8
        .value_kind:     by_value
      - .address_space:  global
        .offset:         56
        .size:           8
        .value_kind:     global_buffer
      - .offset:         64
        .size:           8
        .value_kind:     by_value
      - .offset:         72
        .size:           8
        .value_kind:     by_value
      - .offset:         80
        .size:           8
        .value_kind:     by_value
      - .address_space:  global
        .offset:         88
        .size:           8
        .value_kind:     global_buffer
      - .offset:         96
        .size:           8
        .value_kind:     by_value
      - .address_space:  global
        .offset:         104
        .size:           8
        .value_kind:     global_buffer
      - .offset:         112
        .size:           8
        .value_kind:     by_value
      - .offset:         120
        .size:           8
        .value_kind:     by_value
      - .offset:         128
        .size:           8
        .value_kind:     by_value
      - .offset:         136
        .size:           4
        .value_kind:     by_value
      - .offset:         144
        .size:           4
        .value_kind:     hidden_block_count_x
      - .offset:         148
        .size:           4
        .value_kind:     hidden_block_count_y
      - .offset:         152
        .size:           4
        .value_kind:     hidden_block_count_z
      - .offset:         156
        .size:           2
        .value_kind:     hidden_group_size_x
      - .offset:         158
        .size:           2
        .value_kind:     hidden_group_size_y
      - .offset:         160
        .size:           2
        .value_kind:     hidden_group_size_z
      - .offset:         162
        .size:           2
        .value_kind:     hidden_remainder_x
      - .offset:         164
        .size:           2
        .value_kind:     hidden_remainder_y
      - .offset:         166
        .size:           2
        .value_kind:     hidden_remainder_z
      - .offset:         184
        .size:           8
        .value_kind:     hidden_global_offset_x
      - .offset:         192
        .size:           8
        .value_kind:     hidden_global_offset_y
      - .offset:         200
        .size:           8
        .value_kind:     hidden_global_offset_z
      - .offset:         208
        .size:           2
        .value_kind:     hidden_grid_dims
    .group_segment_fixed_size: 16384
    .kernarg_segment_align: 8
    .kernarg_segment_size: 400
    .language:       OpenCL C
    .language_version:
      - 2
      - 0
    .max_flat_workgroup_size: 1024
    .name:           _ZL20rocblas_gemvn_kernelILi64ELi16ElPK19rocblas_complex_numIdES3_KPS1_EviiT3_lPKT2_lT1_lS9_lSA_lS6_lPT4_lSA_li
    .private_segment_fixed_size: 0
    .sgpr_count:     44
    .sgpr_spill_count: 0
    .symbol:         _ZL20rocblas_gemvn_kernelILi64ELi16ElPK19rocblas_complex_numIdES3_KPS1_EviiT3_lPKT2_lT1_lS9_lSA_lS6_lPT4_lSA_li.kd
    .uniform_work_group_size: 1
    .uses_dynamic_stack: false
    .vgpr_count:     22
    .vgpr_spill_count: 0
    .wavefront_size: 64
  - .agpr_count:     0
    .args:
      - .offset:         0
        .size:           4
        .value_kind:     by_value
      - .offset:         4
        .size:           4
        .value_kind:     by_value
      - .offset:         8
        .size:           16
        .value_kind:     by_value
      - .offset:         24
        .size:           8
        .value_kind:     by_value
      - .address_space:  global
        .offset:         32
        .size:           8
        .value_kind:     global_buffer
      - .offset:         40
        .size:           8
        .value_kind:     by_value
      - .offset:         48
        .size:           4
        .value_kind:     by_value
      - .offset:         56
        .size:           8
        .value_kind:     by_value
      - .address_space:  global
        .offset:         64
        .size:           8
        .value_kind:     global_buffer
      - .offset:         72
        .size:           8
        .value_kind:     by_value
      - .offset:         80
        .size:           4
        .value_kind:     by_value
      - .offset:         88
        .size:           8
        .value_kind:     by_value
      - .offset:         96
        .size:           16
        .value_kind:     by_value
      - .offset:         112
        .size:           8
        .value_kind:     by_value
      - .address_space:  global
        .offset:         120
        .size:           8
        .value_kind:     global_buffer
      - .offset:         128
        .size:           8
        .value_kind:     by_value
      - .offset:         136
        .size:           4
        .value_kind:     by_value
      - .offset:         144
        .size:           8
        .value_kind:     by_value
      - .offset:         152
        .size:           4
        .value_kind:     by_value
      - .offset:         160
        .size:           4
        .value_kind:     hidden_block_count_x
      - .offset:         164
        .size:           4
        .value_kind:     hidden_block_count_y
      - .offset:         168
        .size:           4
        .value_kind:     hidden_block_count_z
      - .offset:         172
        .size:           2
        .value_kind:     hidden_group_size_x
      - .offset:         174
        .size:           2
        .value_kind:     hidden_group_size_y
      - .offset:         176
        .size:           2
        .value_kind:     hidden_group_size_z
      - .offset:         178
        .size:           2
        .value_kind:     hidden_remainder_x
      - .offset:         180
        .size:           2
        .value_kind:     hidden_remainder_y
      - .offset:         182
        .size:           2
        .value_kind:     hidden_remainder_z
      - .offset:         200
        .size:           8
        .value_kind:     hidden_global_offset_x
      - .offset:         208
        .size:           8
        .value_kind:     hidden_global_offset_y
      - .offset:         216
        .size:           8
        .value_kind:     hidden_global_offset_z
      - .offset:         224
        .size:           2
        .value_kind:     hidden_grid_dims
    .group_segment_fixed_size: 16384
    .kernarg_segment_align: 8
    .kernarg_segment_size: 416
    .language:       OpenCL C
    .language_version:
      - 2
      - 0
    .max_flat_workgroup_size: 1024
    .name:           _ZL20rocblas_gemvn_kernelILi64ELi16EiPK19rocblas_complex_numIdES1_KPS1_EviiT3_lPKT2_lT1_lS9_lSA_lS6_lPT4_lSA_li
    .private_segment_fixed_size: 0
    .sgpr_count:     46
    .sgpr_spill_count: 0
    .symbol:         _ZL20rocblas_gemvn_kernelILi64ELi16EiPK19rocblas_complex_numIdES1_KPS1_EviiT3_lPKT2_lT1_lS9_lSA_lS6_lPT4_lSA_li.kd
    .uniform_work_group_size: 1
    .uses_dynamic_stack: false
    .vgpr_count:     24
    .vgpr_spill_count: 0
    .wavefront_size: 64
  - .agpr_count:     0
    .args:
      - .offset:         0
        .size:           4
        .value_kind:     by_value
      - .offset:         4
        .size:           4
        .value_kind:     by_value
      - .offset:         8
        .size:           16
        .value_kind:     by_value
      - .offset:         24
        .size:           8
        .value_kind:     by_value
      - .address_space:  global
        .offset:         32
        .size:           8
        .value_kind:     global_buffer
      - .offset:         40
        .size:           8
        .value_kind:     by_value
      - .offset:         48
        .size:           8
        .value_kind:     by_value
      - .offset:         56
        .size:           8
        .value_kind:     by_value
      - .address_space:  global
        .offset:         64
        .size:           8
        .value_kind:     global_buffer
      - .offset:         72
        .size:           8
        .value_kind:     by_value
      - .offset:         80
        .size:           8
        .value_kind:     by_value
      - .offset:         88
        .size:           8
        .value_kind:     by_value
      - .offset:         96
        .size:           16
        .value_kind:     by_value
      - .offset:         112
        .size:           8
        .value_kind:     by_value
      - .address_space:  global
        .offset:         120
        .size:           8
        .value_kind:     global_buffer
      - .offset:         128
        .size:           8
        .value_kind:     by_value
      - .offset:         136
        .size:           8
        .value_kind:     by_value
      - .offset:         144
        .size:           8
        .value_kind:     by_value
      - .offset:         152
        .size:           4
        .value_kind:     by_value
      - .offset:         160
        .size:           4
        .value_kind:     hidden_block_count_x
      - .offset:         164
        .size:           4
        .value_kind:     hidden_block_count_y
      - .offset:         168
        .size:           4
        .value_kind:     hidden_block_count_z
      - .offset:         172
        .size:           2
        .value_kind:     hidden_group_size_x
      - .offset:         174
        .size:           2
        .value_kind:     hidden_group_size_y
      - .offset:         176
        .size:           2
        .value_kind:     hidden_group_size_z
      - .offset:         178
        .size:           2
        .value_kind:     hidden_remainder_x
      - .offset:         180
        .size:           2
        .value_kind:     hidden_remainder_y
      - .offset:         182
        .size:           2
        .value_kind:     hidden_remainder_z
      - .offset:         200
        .size:           8
        .value_kind:     hidden_global_offset_x
      - .offset:         208
        .size:           8
        .value_kind:     hidden_global_offset_y
      - .offset:         216
        .size:           8
        .value_kind:     hidden_global_offset_z
      - .offset:         224
        .size:           2
        .value_kind:     hidden_grid_dims
    .group_segment_fixed_size: 16384
    .kernarg_segment_align: 8
    .kernarg_segment_size: 416
    .language:       OpenCL C
    .language_version:
      - 2
      - 0
    .max_flat_workgroup_size: 1024
    .name:           _ZL20rocblas_gemvn_kernelILi64ELi16ElPK19rocblas_complex_numIdES1_KPS1_EviiT3_lPKT2_lT1_lS9_lSA_lS6_lPT4_lSA_li
    .private_segment_fixed_size: 0
    .sgpr_count:     46
    .sgpr_spill_count: 0
    .symbol:         _ZL20rocblas_gemvn_kernelILi64ELi16ElPK19rocblas_complex_numIdES1_KPS1_EviiT3_lPKT2_lT1_lS9_lSA_lS6_lPT4_lSA_li.kd
    .uniform_work_group_size: 1
    .uses_dynamic_stack: false
    .vgpr_count:     22
    .vgpr_spill_count: 0
    .wavefront_size: 64
  - .agpr_count:     0
    .args:
      - .offset:         0
        .size:           4
        .value_kind:     by_value
      - .offset:         4
        .size:           4
        .value_kind:     by_value
      - .address_space:  global
        .offset:         8
        .size:           8
        .value_kind:     global_buffer
      - .offset:         16
        .size:           8
        .value_kind:     by_value
      - .address_space:  global
        .offset:         24
        .size:           8
        .value_kind:     global_buffer
      - .offset:         32
        .size:           8
        .value_kind:     by_value
      - .offset:         40
        .size:           4
        .value_kind:     by_value
      - .offset:         48
        .size:           8
        .value_kind:     by_value
      - .address_space:  global
        .offset:         56
        .size:           8
        .value_kind:     global_buffer
      - .offset:         64
        .size:           8
        .value_kind:     by_value
      - .offset:         72
        .size:           4
        .value_kind:     by_value
      - .offset:         80
        .size:           8
        .value_kind:     by_value
      - .address_space:  global
        .offset:         88
        .size:           8
        .value_kind:     global_buffer
      - .offset:         96
        .size:           8
        .value_kind:     by_value
      - .address_space:  global
        .offset:         104
        .size:           8
        .value_kind:     global_buffer
      - .offset:         112
        .size:           8
        .value_kind:     by_value
      - .offset:         120
        .size:           4
        .value_kind:     by_value
      - .offset:         128
        .size:           8
        .value_kind:     by_value
    .group_segment_fixed_size: 1024
    .kernarg_segment_align: 8
    .kernarg_segment_size: 136
    .language:       OpenCL C
    .language_version:
      - 2
      - 0
    .max_flat_workgroup_size: 256
    .name:           _ZL22rocblas_gemvtsm_kernelILb0ELi256EPK19rocblas_complex_numIdES3_KPS1_EviiT2_lPKT1_lilS9_lilS6_lPT3_lil
    .private_segment_fixed_size: 0
    .sgpr_count:     37
    .sgpr_spill_count: 0
    .symbol:         _ZL22rocblas_gemvtsm_kernelILb0ELi256EPK19rocblas_complex_numIdES3_KPS1_EviiT2_lPKT1_lilS9_lilS6_lPT3_lil.kd
    .uniform_work_group_size: 1
    .uses_dynamic_stack: false
    .vgpr_count:     56
    .vgpr_spill_count: 0
    .wavefront_size: 64
  - .agpr_count:     0
    .args:
      - .offset:         0
        .size:           4
        .value_kind:     by_value
      - .offset:         4
        .size:           4
        .value_kind:     by_value
      - .offset:         8
        .size:           16
        .value_kind:     by_value
      - .offset:         24
        .size:           8
        .value_kind:     by_value
      - .address_space:  global
        .offset:         32
        .size:           8
        .value_kind:     global_buffer
      - .offset:         40
        .size:           8
        .value_kind:     by_value
      - .offset:         48
        .size:           4
        .value_kind:     by_value
      - .offset:         56
        .size:           8
        .value_kind:     by_value
      - .address_space:  global
        .offset:         64
        .size:           8
        .value_kind:     global_buffer
      - .offset:         72
        .size:           8
        .value_kind:     by_value
      - .offset:         80
        .size:           4
        .value_kind:     by_value
      - .offset:         88
        .size:           8
        .value_kind:     by_value
      - .offset:         96
        .size:           16
        .value_kind:     by_value
      - .offset:         112
        .size:           8
        .value_kind:     by_value
      - .address_space:  global
        .offset:         120
        .size:           8
        .value_kind:     global_buffer
      - .offset:         128
        .size:           8
        .value_kind:     by_value
      - .offset:         136
        .size:           4
        .value_kind:     by_value
      - .offset:         144
        .size:           8
        .value_kind:     by_value
    .group_segment_fixed_size: 1024
    .kernarg_segment_align: 8
    .kernarg_segment_size: 152
    .language:       OpenCL C
    .language_version:
      - 2
      - 0
    .max_flat_workgroup_size: 256
    .name:           _ZL22rocblas_gemvtsm_kernelILb0ELi256EPK19rocblas_complex_numIdES1_KPS1_EviiT2_lPKT1_lilS9_lilS6_lPT3_lil
    .private_segment_fixed_size: 0
    .sgpr_count:     37
    .sgpr_spill_count: 0
    .symbol:         _ZL22rocblas_gemvtsm_kernelILb0ELi256EPK19rocblas_complex_numIdES1_KPS1_EviiT2_lPKT1_lilS9_lilS6_lPT3_lil.kd
    .uniform_work_group_size: 1
    .uses_dynamic_stack: false
    .vgpr_count:     56
    .vgpr_spill_count: 0
    .wavefront_size: 64
  - .agpr_count:     0
    .args:
      - .offset:         0
        .size:           4
        .value_kind:     by_value
      - .offset:         4
        .size:           4
        .value_kind:     by_value
      - .address_space:  global
        .offset:         8
        .size:           8
        .value_kind:     global_buffer
      - .offset:         16
        .size:           8
        .value_kind:     by_value
      - .address_space:  global
        .offset:         24
        .size:           8
        .value_kind:     global_buffer
      - .offset:         32
        .size:           8
        .value_kind:     by_value
      - .offset:         40
        .size:           4
        .value_kind:     by_value
      - .offset:         48
        .size:           8
        .value_kind:     by_value
      - .address_space:  global
        .offset:         56
        .size:           8
        .value_kind:     global_buffer
      - .offset:         64
        .size:           8
        .value_kind:     by_value
      - .offset:         72
        .size:           4
        .value_kind:     by_value
      - .offset:         80
        .size:           8
        .value_kind:     by_value
      - .address_space:  global
        .offset:         88
        .size:           8
        .value_kind:     global_buffer
      - .offset:         96
        .size:           4
        .value_kind:     by_value
      - .offset:         104
        .size:           4
        .value_kind:     hidden_block_count_x
      - .offset:         108
        .size:           4
        .value_kind:     hidden_block_count_y
      - .offset:         112
        .size:           4
        .value_kind:     hidden_block_count_z
      - .offset:         116
        .size:           2
        .value_kind:     hidden_group_size_x
      - .offset:         118
        .size:           2
        .value_kind:     hidden_group_size_y
      - .offset:         120
        .size:           2
        .value_kind:     hidden_group_size_z
      - .offset:         122
        .size:           2
        .value_kind:     hidden_remainder_x
      - .offset:         124
        .size:           2
        .value_kind:     hidden_remainder_y
      - .offset:         126
        .size:           2
        .value_kind:     hidden_remainder_z
      - .offset:         144
        .size:           8
        .value_kind:     hidden_global_offset_x
      - .offset:         152
        .size:           8
        .value_kind:     hidden_global_offset_y
      - .offset:         160
        .size:           8
        .value_kind:     hidden_global_offset_z
      - .offset:         168
        .size:           2
        .value_kind:     hidden_grid_dims
    .group_segment_fixed_size: 1024
    .kernarg_segment_align: 8
    .kernarg_segment_size: 360
    .language:       OpenCL C
    .language_version:
      - 2
      - 0
    .max_flat_workgroup_size: 256
    .name:           _ZL23rocblas_gemvt_sn_kernelILb0ELi256ELi4EiPK19rocblas_complex_numIdES3_S1_EviiT4_lPKT3_lilS7_lilPT5_i
    .private_segment_fixed_size: 80
    .sgpr_count:     56
    .sgpr_spill_count: 0
    .symbol:         _ZL23rocblas_gemvt_sn_kernelILb0ELi256ELi4EiPK19rocblas_complex_numIdES3_S1_EviiT4_lPKT3_lilS7_lilPT5_i.kd
    .uniform_work_group_size: 1
    .uses_dynamic_stack: false
    .vgpr_count:     70
    .vgpr_spill_count: 0
    .wavefront_size: 64
  - .agpr_count:     0
    .args:
      - .offset:         0
        .size:           4
        .value_kind:     by_value
      - .offset:         4
        .size:           4
        .value_kind:     by_value
      - .address_space:  global
        .offset:         8
        .size:           8
        .value_kind:     global_buffer
      - .offset:         16
        .size:           8
        .value_kind:     by_value
      - .address_space:  global
        .offset:         24
        .size:           8
        .value_kind:     global_buffer
      - .offset:         32
        .size:           8
        .value_kind:     by_value
      - .offset:         40
        .size:           4
        .value_kind:     by_value
      - .offset:         48
        .size:           8
        .value_kind:     by_value
      - .address_space:  global
        .offset:         56
        .size:           8
        .value_kind:     global_buffer
      - .offset:         64
        .size:           8
        .value_kind:     by_value
      - .offset:         72
        .size:           4
        .value_kind:     by_value
      - .offset:         80
        .size:           8
        .value_kind:     by_value
      - .address_space:  global
        .offset:         88
        .size:           8
        .value_kind:     global_buffer
      - .offset:         96
        .size:           4
        .value_kind:     by_value
      - .offset:         104
        .size:           4
        .value_kind:     hidden_block_count_x
      - .offset:         108
        .size:           4
        .value_kind:     hidden_block_count_y
      - .offset:         112
        .size:           4
        .value_kind:     hidden_block_count_z
      - .offset:         116
        .size:           2
        .value_kind:     hidden_group_size_x
      - .offset:         118
        .size:           2
        .value_kind:     hidden_group_size_y
      - .offset:         120
        .size:           2
        .value_kind:     hidden_group_size_z
      - .offset:         122
        .size:           2
        .value_kind:     hidden_remainder_x
      - .offset:         124
        .size:           2
        .value_kind:     hidden_remainder_y
      - .offset:         126
        .size:           2
        .value_kind:     hidden_remainder_z
      - .offset:         144
        .size:           8
        .value_kind:     hidden_global_offset_x
      - .offset:         152
        .size:           8
        .value_kind:     hidden_global_offset_y
      - .offset:         160
        .size:           8
        .value_kind:     hidden_global_offset_z
      - .offset:         168
        .size:           2
        .value_kind:     hidden_grid_dims
    .group_segment_fixed_size: 1024
    .kernarg_segment_align: 8
    .kernarg_segment_size: 360
    .language:       OpenCL C
    .language_version:
      - 2
      - 0
    .max_flat_workgroup_size: 256
    .name:           _ZL23rocblas_gemvt_sn_kernelILb0ELi256ELi4ElPK19rocblas_complex_numIdES3_S1_EviiT4_lPKT3_lilS7_lilPT5_i
    .private_segment_fixed_size: 80
    .sgpr_count:     55
    .sgpr_spill_count: 0
    .symbol:         _ZL23rocblas_gemvt_sn_kernelILb0ELi256ELi4ElPK19rocblas_complex_numIdES3_S1_EviiT4_lPKT3_lilS7_lilPT5_i.kd
    .uniform_work_group_size: 1
    .uses_dynamic_stack: false
    .vgpr_count:     78
    .vgpr_spill_count: 0
    .wavefront_size: 64
  - .agpr_count:     0
    .args:
      - .offset:         0
        .size:           4
        .value_kind:     by_value
      - .address_space:  global
        .offset:         8
        .size:           8
        .value_kind:     global_buffer
      - .offset:         16
        .size:           8
        .value_kind:     by_value
      - .address_space:  global
        .offset:         24
        .size:           8
        .value_kind:     global_buffer
      - .offset:         32
        .size:           8
        .value_kind:     by_value
      - .offset:         40
        .size:           4
        .value_kind:     by_value
      - .offset:         48
        .size:           8
        .value_kind:     by_value
      - .actual_access:  read_only
        .address_space:  global
        .offset:         56
        .size:           8
        .value_kind:     global_buffer
      - .offset:         64
        .size:           4
        .value_kind:     by_value
      - .offset:         72
        .size:           4
        .value_kind:     hidden_block_count_x
      - .offset:         76
        .size:           4
        .value_kind:     hidden_block_count_y
      - .offset:         80
        .size:           4
        .value_kind:     hidden_block_count_z
      - .offset:         84
        .size:           2
        .value_kind:     hidden_group_size_x
      - .offset:         86
        .size:           2
        .value_kind:     hidden_group_size_y
      - .offset:         88
        .size:           2
        .value_kind:     hidden_group_size_z
      - .offset:         90
        .size:           2
        .value_kind:     hidden_remainder_x
      - .offset:         92
        .size:           2
        .value_kind:     hidden_remainder_y
      - .offset:         94
        .size:           2
        .value_kind:     hidden_remainder_z
      - .offset:         112
        .size:           8
        .value_kind:     hidden_global_offset_x
      - .offset:         120
        .size:           8
        .value_kind:     hidden_global_offset_y
      - .offset:         128
        .size:           8
        .value_kind:     hidden_global_offset_z
      - .offset:         136
        .size:           2
        .value_kind:     hidden_grid_dims
    .group_segment_fixed_size: 1024
    .kernarg_segment_align: 8
    .kernarg_segment_size: 328
    .language:       OpenCL C
    .language_version:
      - 2
      - 0
    .max_flat_workgroup_size: 256
    .name:           _ZL23rocblas_gemvt_sn_reduceILi256ELi8E19rocblas_complex_numIdEPKS1_KPS1_EviT2_lPT3_lilPT1_i
    .private_segment_fixed_size: 0
    .sgpr_count:     30
    .sgpr_spill_count: 0
    .symbol:         _ZL23rocblas_gemvt_sn_reduceILi256ELi8E19rocblas_complex_numIdEPKS1_KPS1_EviT2_lPT3_lilPT1_i.kd
    .uniform_work_group_size: 1
    .uses_dynamic_stack: false
    .vgpr_count:     40
    .vgpr_spill_count: 0
    .wavefront_size: 64
  - .agpr_count:     0
    .args:
      - .offset:         0
        .size:           4
        .value_kind:     by_value
      - .offset:         4
        .size:           4
        .value_kind:     by_value
      - .offset:         8
        .size:           16
        .value_kind:     by_value
      - .offset:         24
        .size:           8
        .value_kind:     by_value
      - .address_space:  global
        .offset:         32
        .size:           8
        .value_kind:     global_buffer
      - .offset:         40
        .size:           8
        .value_kind:     by_value
      - .offset:         48
        .size:           4
        .value_kind:     by_value
      - .offset:         56
        .size:           8
        .value_kind:     by_value
      - .address_space:  global
        .offset:         64
        .size:           8
        .value_kind:     global_buffer
      - .offset:         72
        .size:           8
        .value_kind:     by_value
      - .offset:         80
        .size:           4
        .value_kind:     by_value
      - .offset:         88
        .size:           8
        .value_kind:     by_value
      - .address_space:  global
        .offset:         96
        .size:           8
        .value_kind:     global_buffer
      - .offset:         104
        .size:           4
        .value_kind:     by_value
      - .offset:         112
        .size:           4
        .value_kind:     hidden_block_count_x
      - .offset:         116
        .size:           4
        .value_kind:     hidden_block_count_y
      - .offset:         120
        .size:           4
        .value_kind:     hidden_block_count_z
      - .offset:         124
        .size:           2
        .value_kind:     hidden_group_size_x
      - .offset:         126
        .size:           2
        .value_kind:     hidden_group_size_y
      - .offset:         128
        .size:           2
        .value_kind:     hidden_group_size_z
      - .offset:         130
        .size:           2
        .value_kind:     hidden_remainder_x
      - .offset:         132
        .size:           2
        .value_kind:     hidden_remainder_y
      - .offset:         134
        .size:           2
        .value_kind:     hidden_remainder_z
      - .offset:         152
        .size:           8
        .value_kind:     hidden_global_offset_x
      - .offset:         160
        .size:           8
        .value_kind:     hidden_global_offset_y
      - .offset:         168
        .size:           8
        .value_kind:     hidden_global_offset_z
      - .offset:         176
        .size:           2
        .value_kind:     hidden_grid_dims
    .group_segment_fixed_size: 1024
    .kernarg_segment_align: 8
    .kernarg_segment_size: 368
    .language:       OpenCL C
    .language_version:
      - 2
      - 0
    .max_flat_workgroup_size: 256
    .name:           _ZL23rocblas_gemvt_sn_kernelILb0ELi256ELi4EiPK19rocblas_complex_numIdES1_S1_EviiT4_lPKT3_lilS7_lilPT5_i
    .private_segment_fixed_size: 80
    .sgpr_count:     56
    .sgpr_spill_count: 0
    .symbol:         _ZL23rocblas_gemvt_sn_kernelILb0ELi256ELi4EiPK19rocblas_complex_numIdES1_S1_EviiT4_lPKT3_lilS7_lilPT5_i.kd
    .uniform_work_group_size: 1
    .uses_dynamic_stack: false
    .vgpr_count:     74
    .vgpr_spill_count: 0
    .wavefront_size: 64
  - .agpr_count:     0
    .args:
      - .offset:         0
        .size:           4
        .value_kind:     by_value
      - .offset:         4
        .size:           4
        .value_kind:     by_value
      - .offset:         8
        .size:           16
        .value_kind:     by_value
      - .offset:         24
        .size:           8
        .value_kind:     by_value
      - .address_space:  global
        .offset:         32
        .size:           8
        .value_kind:     global_buffer
      - .offset:         40
        .size:           8
        .value_kind:     by_value
      - .offset:         48
        .size:           4
        .value_kind:     by_value
      - .offset:         56
        .size:           8
        .value_kind:     by_value
      - .address_space:  global
        .offset:         64
        .size:           8
        .value_kind:     global_buffer
      - .offset:         72
        .size:           8
        .value_kind:     by_value
      - .offset:         80
        .size:           4
        .value_kind:     by_value
      - .offset:         88
        .size:           8
        .value_kind:     by_value
      - .address_space:  global
        .offset:         96
        .size:           8
        .value_kind:     global_buffer
      - .offset:         104
        .size:           4
        .value_kind:     by_value
      - .offset:         112
        .size:           4
        .value_kind:     hidden_block_count_x
      - .offset:         116
        .size:           4
        .value_kind:     hidden_block_count_y
      - .offset:         120
        .size:           4
        .value_kind:     hidden_block_count_z
      - .offset:         124
        .size:           2
        .value_kind:     hidden_group_size_x
      - .offset:         126
        .size:           2
        .value_kind:     hidden_group_size_y
      - .offset:         128
        .size:           2
        .value_kind:     hidden_group_size_z
      - .offset:         130
        .size:           2
        .value_kind:     hidden_remainder_x
      - .offset:         132
        .size:           2
        .value_kind:     hidden_remainder_y
      - .offset:         134
        .size:           2
        .value_kind:     hidden_remainder_z
      - .offset:         152
        .size:           8
        .value_kind:     hidden_global_offset_x
      - .offset:         160
        .size:           8
        .value_kind:     hidden_global_offset_y
      - .offset:         168
        .size:           8
        .value_kind:     hidden_global_offset_z
      - .offset:         176
        .size:           2
        .value_kind:     hidden_grid_dims
    .group_segment_fixed_size: 1024
    .kernarg_segment_align: 8
    .kernarg_segment_size: 368
    .language:       OpenCL C
    .language_version:
      - 2
      - 0
    .max_flat_workgroup_size: 256
    .name:           _ZL23rocblas_gemvt_sn_kernelILb0ELi256ELi4ElPK19rocblas_complex_numIdES1_S1_EviiT4_lPKT3_lilS7_lilPT5_i
    .private_segment_fixed_size: 80
    .sgpr_count:     55
    .sgpr_spill_count: 0
    .symbol:         _ZL23rocblas_gemvt_sn_kernelILb0ELi256ELi4ElPK19rocblas_complex_numIdES1_S1_EviiT4_lPKT3_lilS7_lilPT5_i.kd
    .uniform_work_group_size: 1
    .uses_dynamic_stack: false
    .vgpr_count:     74
    .vgpr_spill_count: 0
    .wavefront_size: 64
  - .agpr_count:     0
    .args:
      - .offset:         0
        .size:           4
        .value_kind:     by_value
      - .offset:         8
        .size:           16
        .value_kind:     by_value
      - .offset:         24
        .size:           8
        .value_kind:     by_value
      - .address_space:  global
        .offset:         32
        .size:           8
        .value_kind:     global_buffer
      - .offset:         40
        .size:           8
        .value_kind:     by_value
      - .offset:         48
        .size:           4
        .value_kind:     by_value
      - .offset:         56
        .size:           8
        .value_kind:     by_value
      - .actual_access:  read_only
        .address_space:  global
        .offset:         64
        .size:           8
        .value_kind:     global_buffer
      - .offset:         72
        .size:           4
        .value_kind:     by_value
      - .offset:         80
        .size:           4
        .value_kind:     hidden_block_count_x
      - .offset:         84
        .size:           4
        .value_kind:     hidden_block_count_y
      - .offset:         88
        .size:           4
        .value_kind:     hidden_block_count_z
      - .offset:         92
        .size:           2
        .value_kind:     hidden_group_size_x
      - .offset:         94
        .size:           2
        .value_kind:     hidden_group_size_y
      - .offset:         96
        .size:           2
        .value_kind:     hidden_group_size_z
      - .offset:         98
        .size:           2
        .value_kind:     hidden_remainder_x
      - .offset:         100
        .size:           2
        .value_kind:     hidden_remainder_y
      - .offset:         102
        .size:           2
        .value_kind:     hidden_remainder_z
      - .offset:         120
        .size:           8
        .value_kind:     hidden_global_offset_x
      - .offset:         128
        .size:           8
        .value_kind:     hidden_global_offset_y
      - .offset:         136
        .size:           8
        .value_kind:     hidden_global_offset_z
      - .offset:         144
        .size:           2
        .value_kind:     hidden_grid_dims
    .group_segment_fixed_size: 1024
    .kernarg_segment_align: 8
    .kernarg_segment_size: 336
    .language:       OpenCL C
    .language_version:
      - 2
      - 0
    .max_flat_workgroup_size: 256
    .name:           _ZL23rocblas_gemvt_sn_reduceILi256ELi8E19rocblas_complex_numIdES1_KPS1_EviT2_lPT3_lilPT1_i
    .private_segment_fixed_size: 0
    .sgpr_count:     26
    .sgpr_spill_count: 0
    .symbol:         _ZL23rocblas_gemvt_sn_reduceILi256ELi8E19rocblas_complex_numIdES1_KPS1_EviT2_lPT3_lilPT1_i.kd
    .uniform_work_group_size: 1
    .uses_dynamic_stack: false
    .vgpr_count:     40
    .vgpr_spill_count: 0
    .wavefront_size: 64
  - .agpr_count:     0
    .args:
      - .offset:         0
        .size:           4
        .value_kind:     by_value
      - .offset:         4
        .size:           4
        .value_kind:     by_value
      - .address_space:  global
        .offset:         8
        .size:           8
        .value_kind:     global_buffer
      - .offset:         16
        .size:           8
        .value_kind:     by_value
      - .address_space:  global
        .offset:         24
        .size:           8
        .value_kind:     global_buffer
      - .offset:         32
        .size:           8
        .value_kind:     by_value
      - .offset:         40
        .size:           4
        .value_kind:     by_value
      - .offset:         48
        .size:           8
        .value_kind:     by_value
      - .address_space:  global
        .offset:         56
        .size:           8
        .value_kind:     global_buffer
      - .offset:         64
        .size:           8
        .value_kind:     by_value
      - .offset:         72
        .size:           4
        .value_kind:     by_value
      - .offset:         80
        .size:           8
        .value_kind:     by_value
      - .address_space:  global
        .offset:         88
        .size:           8
        .value_kind:     global_buffer
      - .offset:         96
        .size:           8
        .value_kind:     by_value
      - .address_space:  global
        .offset:         104
        .size:           8
        .value_kind:     global_buffer
      - .offset:         112
        .size:           8
        .value_kind:     by_value
      - .offset:         120
        .size:           4
        .value_kind:     by_value
      - .offset:         128
        .size:           8
        .value_kind:     by_value
      - .offset:         136
        .size:           4
        .value_kind:     by_value
    .group_segment_fixed_size: 1024
    .kernarg_segment_align: 8
    .kernarg_segment_size: 140
    .language:       OpenCL C
    .language_version:
      - 2
      - 0
    .max_flat_workgroup_size: 256
    .name:           _ZL32rocblas_gemvt_warp_reduce_kernelILb0ELi256EiPK19rocblas_complex_numIdES3_KPS1_EviiT3_lPKT2_lT1_lS9_lSA_lS6_lPT4_lSA_li
    .private_segment_fixed_size: 0
    .sgpr_count:     38
    .sgpr_spill_count: 0
    .symbol:         _ZL32rocblas_gemvt_warp_reduce_kernelILb0ELi256EiPK19rocblas_complex_numIdES3_KPS1_EviiT3_lPKT2_lT1_lS9_lSA_lS6_lPT4_lSA_li.kd
    .uniform_work_group_size: 1
    .uses_dynamic_stack: false
    .vgpr_count:     22
    .vgpr_spill_count: 0
    .wavefront_size: 64
  - .agpr_count:     0
    .args:
      - .offset:         0
        .size:           4
        .value_kind:     by_value
      - .offset:         4
        .size:           4
        .value_kind:     by_value
      - .address_space:  global
        .offset:         8
        .size:           8
        .value_kind:     global_buffer
      - .offset:         16
        .size:           8
        .value_kind:     by_value
      - .address_space:  global
        .offset:         24
        .size:           8
        .value_kind:     global_buffer
      - .offset:         32
        .size:           8
        .value_kind:     by_value
      - .offset:         40
        .size:           8
        .value_kind:     by_value
      - .offset:         48
        .size:           8
        .value_kind:     by_value
      - .address_space:  global
        .offset:         56
        .size:           8
        .value_kind:     global_buffer
      - .offset:         64
        .size:           8
        .value_kind:     by_value
      - .offset:         72
        .size:           8
        .value_kind:     by_value
      - .offset:         80
        .size:           8
        .value_kind:     by_value
      - .address_space:  global
        .offset:         88
        .size:           8
        .value_kind:     global_buffer
      - .offset:         96
        .size:           8
        .value_kind:     by_value
      - .address_space:  global
        .offset:         104
        .size:           8
        .value_kind:     global_buffer
      - .offset:         112
        .size:           8
        .value_kind:     by_value
      - .offset:         120
        .size:           8
        .value_kind:     by_value
      - .offset:         128
        .size:           8
        .value_kind:     by_value
      - .offset:         136
        .size:           4
        .value_kind:     by_value
    .group_segment_fixed_size: 1024
    .kernarg_segment_align: 8
    .kernarg_segment_size: 140
    .language:       OpenCL C
    .language_version:
      - 2
      - 0
    .max_flat_workgroup_size: 256
    .name:           _ZL32rocblas_gemvt_warp_reduce_kernelILb0ELi256ElPK19rocblas_complex_numIdES3_KPS1_EviiT3_lPKT2_lT1_lS9_lSA_lS6_lPT4_lSA_li
    .private_segment_fixed_size: 0
    .sgpr_count:     46
    .sgpr_spill_count: 0
    .symbol:         _ZL32rocblas_gemvt_warp_reduce_kernelILb0ELi256ElPK19rocblas_complex_numIdES3_KPS1_EviiT3_lPKT2_lT1_lS9_lSA_lS6_lPT4_lSA_li.kd
    .uniform_work_group_size: 1
    .uses_dynamic_stack: false
    .vgpr_count:     22
    .vgpr_spill_count: 0
    .wavefront_size: 64
  - .agpr_count:     0
    .args:
      - .offset:         0
        .size:           4
        .value_kind:     by_value
      - .offset:         4
        .size:           4
        .value_kind:     by_value
      - .offset:         8
        .size:           16
        .value_kind:     by_value
      - .offset:         24
        .size:           8
        .value_kind:     by_value
      - .address_space:  global
        .offset:         32
        .size:           8
        .value_kind:     global_buffer
      - .offset:         40
        .size:           8
        .value_kind:     by_value
      - .offset:         48
        .size:           4
        .value_kind:     by_value
      - .offset:         56
        .size:           8
        .value_kind:     by_value
      - .address_space:  global
        .offset:         64
        .size:           8
        .value_kind:     global_buffer
      - .offset:         72
        .size:           8
        .value_kind:     by_value
      - .offset:         80
        .size:           4
        .value_kind:     by_value
      - .offset:         88
        .size:           8
        .value_kind:     by_value
      - .offset:         96
        .size:           16
        .value_kind:     by_value
      - .offset:         112
        .size:           8
        .value_kind:     by_value
      - .address_space:  global
        .offset:         120
        .size:           8
        .value_kind:     global_buffer
      - .offset:         128
        .size:           8
        .value_kind:     by_value
      - .offset:         136
        .size:           4
        .value_kind:     by_value
      - .offset:         144
        .size:           8
        .value_kind:     by_value
      - .offset:         152
        .size:           4
        .value_kind:     by_value
    .group_segment_fixed_size: 1024
    .kernarg_segment_align: 8
    .kernarg_segment_size: 156
    .language:       OpenCL C
    .language_version:
      - 2
      - 0
    .max_flat_workgroup_size: 256
    .name:           _ZL32rocblas_gemvt_warp_reduce_kernelILb0ELi256EiPK19rocblas_complex_numIdES1_KPS1_EviiT3_lPKT2_lT1_lS9_lSA_lS6_lPT4_lSA_li
    .private_segment_fixed_size: 0
    .sgpr_count:     38
    .sgpr_spill_count: 0
    .symbol:         _ZL32rocblas_gemvt_warp_reduce_kernelILb0ELi256EiPK19rocblas_complex_numIdES1_KPS1_EviiT3_lPKT2_lT1_lS9_lSA_lS6_lPT4_lSA_li.kd
    .uniform_work_group_size: 1
    .uses_dynamic_stack: false
    .vgpr_count:     22
    .vgpr_spill_count: 0
    .wavefront_size: 64
  - .agpr_count:     0
    .args:
      - .offset:         0
        .size:           4
        .value_kind:     by_value
      - .offset:         4
        .size:           4
        .value_kind:     by_value
      - .offset:         8
        .size:           16
        .value_kind:     by_value
      - .offset:         24
        .size:           8
        .value_kind:     by_value
      - .address_space:  global
        .offset:         32
        .size:           8
        .value_kind:     global_buffer
      - .offset:         40
        .size:           8
        .value_kind:     by_value
      - .offset:         48
        .size:           8
        .value_kind:     by_value
      - .offset:         56
        .size:           8
        .value_kind:     by_value
      - .address_space:  global
        .offset:         64
        .size:           8
        .value_kind:     global_buffer
      - .offset:         72
        .size:           8
        .value_kind:     by_value
      - .offset:         80
        .size:           8
        .value_kind:     by_value
      - .offset:         88
        .size:           8
        .value_kind:     by_value
      - .offset:         96
        .size:           16
        .value_kind:     by_value
      - .offset:         112
        .size:           8
        .value_kind:     by_value
      - .address_space:  global
        .offset:         120
        .size:           8
        .value_kind:     global_buffer
      - .offset:         128
        .size:           8
        .value_kind:     by_value
      - .offset:         136
        .size:           8
        .value_kind:     by_value
      - .offset:         144
        .size:           8
        .value_kind:     by_value
      - .offset:         152
        .size:           4
        .value_kind:     by_value
    .group_segment_fixed_size: 1024
    .kernarg_segment_align: 8
    .kernarg_segment_size: 156
    .language:       OpenCL C
    .language_version:
      - 2
      - 0
    .max_flat_workgroup_size: 256
    .name:           _ZL32rocblas_gemvt_warp_reduce_kernelILb0ELi256ElPK19rocblas_complex_numIdES1_KPS1_EviiT3_lPKT2_lT1_lS9_lSA_lS6_lPT4_lSA_li
    .private_segment_fixed_size: 0
    .sgpr_count:     46
    .sgpr_spill_count: 0
    .symbol:         _ZL32rocblas_gemvt_warp_reduce_kernelILb0ELi256ElPK19rocblas_complex_numIdES1_KPS1_EviiT3_lPKT2_lT1_lS9_lSA_lS6_lPT4_lSA_li.kd
    .uniform_work_group_size: 1
    .uses_dynamic_stack: false
    .vgpr_count:     22
    .vgpr_spill_count: 0
    .wavefront_size: 64
  - .agpr_count:     0
    .args:
      - .offset:         0
        .size:           4
        .value_kind:     by_value
      - .offset:         4
        .size:           4
        .value_kind:     by_value
      - .address_space:  global
        .offset:         8
        .size:           8
        .value_kind:     global_buffer
      - .offset:         16
        .size:           8
        .value_kind:     by_value
      - .address_space:  global
        .offset:         24
        .size:           8
        .value_kind:     global_buffer
      - .offset:         32
        .size:           8
        .value_kind:     by_value
      - .offset:         40
        .size:           4
        .value_kind:     by_value
      - .offset:         48
        .size:           8
        .value_kind:     by_value
      - .address_space:  global
        .offset:         56
        .size:           8
        .value_kind:     global_buffer
      - .offset:         64
        .size:           8
        .value_kind:     by_value
      - .offset:         72
        .size:           4
        .value_kind:     by_value
      - .offset:         80
        .size:           8
        .value_kind:     by_value
      - .address_space:  global
        .offset:         88
        .size:           8
        .value_kind:     global_buffer
      - .offset:         96
        .size:           8
        .value_kind:     by_value
      - .address_space:  global
        .offset:         104
        .size:           8
        .value_kind:     global_buffer
      - .offset:         112
        .size:           8
        .value_kind:     by_value
      - .offset:         120
        .size:           4
        .value_kind:     by_value
      - .offset:         128
        .size:           8
        .value_kind:     by_value
      - .offset:         136
        .size:           4
        .value_kind:     by_value
    .group_segment_fixed_size: 4096
    .kernarg_segment_align: 8
    .kernarg_segment_size: 140
    .language:       OpenCL C
    .language_version:
      - 2
      - 0
    .max_flat_workgroup_size: 256
    .name:           _ZL20rocblas_gemvt_kernelILb0ELi256EPK19rocblas_complex_numIdES3_KPS1_EviiT2_lPKT1_lilS9_lilS6_lPT3_lili
    .private_segment_fixed_size: 0
    .sgpr_count:     38
    .sgpr_spill_count: 0
    .symbol:         _ZL20rocblas_gemvt_kernelILb0ELi256EPK19rocblas_complex_numIdES3_KPS1_EviiT2_lPKT1_lilS9_lilS6_lPT3_lili.kd
    .uniform_work_group_size: 1
    .uses_dynamic_stack: false
    .vgpr_count:     22
    .vgpr_spill_count: 0
    .wavefront_size: 64
  - .agpr_count:     0
    .args:
      - .offset:         0
        .size:           4
        .value_kind:     by_value
      - .offset:         4
        .size:           4
        .value_kind:     by_value
      - .offset:         8
        .size:           16
        .value_kind:     by_value
      - .offset:         24
        .size:           8
        .value_kind:     by_value
      - .address_space:  global
        .offset:         32
        .size:           8
        .value_kind:     global_buffer
      - .offset:         40
        .size:           8
        .value_kind:     by_value
      - .offset:         48
        .size:           4
        .value_kind:     by_value
      - .offset:         56
        .size:           8
        .value_kind:     by_value
      - .address_space:  global
        .offset:         64
        .size:           8
        .value_kind:     global_buffer
      - .offset:         72
        .size:           8
        .value_kind:     by_value
      - .offset:         80
        .size:           4
        .value_kind:     by_value
      - .offset:         88
        .size:           8
        .value_kind:     by_value
      - .offset:         96
        .size:           16
        .value_kind:     by_value
      - .offset:         112
        .size:           8
        .value_kind:     by_value
      - .address_space:  global
        .offset:         120
        .size:           8
        .value_kind:     global_buffer
      - .offset:         128
        .size:           8
        .value_kind:     by_value
      - .offset:         136
        .size:           4
        .value_kind:     by_value
      - .offset:         144
        .size:           8
        .value_kind:     by_value
      - .offset:         152
        .size:           4
        .value_kind:     by_value
    .group_segment_fixed_size: 4096
    .kernarg_segment_align: 8
    .kernarg_segment_size: 156
    .language:       OpenCL C
    .language_version:
      - 2
      - 0
    .max_flat_workgroup_size: 256
    .name:           _ZL20rocblas_gemvt_kernelILb0ELi256EPK19rocblas_complex_numIdES1_KPS1_EviiT2_lPKT1_lilS9_lilS6_lPT3_lili
    .private_segment_fixed_size: 0
    .sgpr_count:     38
    .sgpr_spill_count: 0
    .symbol:         _ZL20rocblas_gemvt_kernelILb0ELi256EPK19rocblas_complex_numIdES1_KPS1_EviiT2_lPKT1_lilS9_lilS6_lPT3_lili.kd
    .uniform_work_group_size: 1
    .uses_dynamic_stack: false
    .vgpr_count:     22
    .vgpr_spill_count: 0
    .wavefront_size: 64
  - .agpr_count:     0
    .args:
      - .offset:         0
        .size:           4
        .value_kind:     by_value
      - .offset:         4
        .size:           4
        .value_kind:     by_value
      - .address_space:  global
        .offset:         8
        .size:           8
        .value_kind:     global_buffer
      - .offset:         16
        .size:           8
        .value_kind:     by_value
      - .address_space:  global
        .offset:         24
        .size:           8
        .value_kind:     global_buffer
      - .offset:         32
        .size:           8
        .value_kind:     by_value
      - .offset:         40
        .size:           4
        .value_kind:     by_value
      - .offset:         48
        .size:           8
        .value_kind:     by_value
      - .address_space:  global
        .offset:         56
        .size:           8
        .value_kind:     global_buffer
      - .offset:         64
        .size:           8
        .value_kind:     by_value
      - .offset:         72
        .size:           4
        .value_kind:     by_value
      - .offset:         80
        .size:           8
        .value_kind:     by_value
      - .address_space:  global
        .offset:         88
        .size:           8
        .value_kind:     global_buffer
      - .offset:         96
        .size:           8
        .value_kind:     by_value
      - .address_space:  global
        .offset:         104
        .size:           8
        .value_kind:     global_buffer
      - .offset:         112
        .size:           8
        .value_kind:     by_value
      - .offset:         120
        .size:           4
        .value_kind:     by_value
      - .offset:         128
        .size:           8
        .value_kind:     by_value
      - .offset:         136
        .size:           4
        .value_kind:     by_value
    .group_segment_fixed_size: 1024
    .kernarg_segment_align: 8
    .kernarg_segment_size: 140
    .language:       OpenCL C
    .language_version:
      - 2
      - 0
    .max_flat_workgroup_size: 1024
    .name:           _ZL32rocblas_gemvt_warp_reduce_kernelILb0ELi1024EiPK19rocblas_complex_numIdES3_KPS1_EviiT3_lPKT2_lT1_lS9_lSA_lS6_lPT4_lSA_li
    .private_segment_fixed_size: 0
    .sgpr_count:     38
    .sgpr_spill_count: 0
    .symbol:         _ZL32rocblas_gemvt_warp_reduce_kernelILb0ELi1024EiPK19rocblas_complex_numIdES3_KPS1_EviiT3_lPKT2_lT1_lS9_lSA_lS6_lPT4_lSA_li.kd
    .uniform_work_group_size: 1
    .uses_dynamic_stack: false
    .vgpr_count:     22
    .vgpr_spill_count: 0
    .wavefront_size: 64
  - .agpr_count:     0
    .args:
      - .offset:         0
        .size:           4
        .value_kind:     by_value
      - .offset:         4
        .size:           4
        .value_kind:     by_value
      - .address_space:  global
        .offset:         8
        .size:           8
        .value_kind:     global_buffer
      - .offset:         16
        .size:           8
        .value_kind:     by_value
      - .address_space:  global
        .offset:         24
        .size:           8
        .value_kind:     global_buffer
      - .offset:         32
        .size:           8
        .value_kind:     by_value
      - .offset:         40
        .size:           8
        .value_kind:     by_value
      - .offset:         48
        .size:           8
        .value_kind:     by_value
      - .address_space:  global
        .offset:         56
        .size:           8
        .value_kind:     global_buffer
      - .offset:         64
        .size:           8
        .value_kind:     by_value
      - .offset:         72
        .size:           8
        .value_kind:     by_value
      - .offset:         80
        .size:           8
        .value_kind:     by_value
      - .address_space:  global
        .offset:         88
        .size:           8
        .value_kind:     global_buffer
      - .offset:         96
        .size:           8
        .value_kind:     by_value
      - .address_space:  global
        .offset:         104
        .size:           8
        .value_kind:     global_buffer
      - .offset:         112
        .size:           8
        .value_kind:     by_value
      - .offset:         120
        .size:           8
        .value_kind:     by_value
      - .offset:         128
        .size:           8
        .value_kind:     by_value
      - .offset:         136
        .size:           4
        .value_kind:     by_value
    .group_segment_fixed_size: 1024
    .kernarg_segment_align: 8
    .kernarg_segment_size: 140
    .language:       OpenCL C
    .language_version:
      - 2
      - 0
    .max_flat_workgroup_size: 1024
    .name:           _ZL32rocblas_gemvt_warp_reduce_kernelILb0ELi1024ElPK19rocblas_complex_numIdES3_KPS1_EviiT3_lPKT2_lT1_lS9_lSA_lS6_lPT4_lSA_li
    .private_segment_fixed_size: 0
    .sgpr_count:     46
    .sgpr_spill_count: 0
    .symbol:         _ZL32rocblas_gemvt_warp_reduce_kernelILb0ELi1024ElPK19rocblas_complex_numIdES3_KPS1_EviiT3_lPKT2_lT1_lS9_lSA_lS6_lPT4_lSA_li.kd
    .uniform_work_group_size: 1
    .uses_dynamic_stack: false
    .vgpr_count:     22
    .vgpr_spill_count: 0
    .wavefront_size: 64
  - .agpr_count:     0
    .args:
      - .offset:         0
        .size:           4
        .value_kind:     by_value
      - .offset:         4
        .size:           4
        .value_kind:     by_value
      - .offset:         8
        .size:           16
        .value_kind:     by_value
      - .offset:         24
        .size:           8
        .value_kind:     by_value
      - .address_space:  global
        .offset:         32
        .size:           8
        .value_kind:     global_buffer
      - .offset:         40
        .size:           8
        .value_kind:     by_value
      - .offset:         48
        .size:           4
        .value_kind:     by_value
      - .offset:         56
        .size:           8
        .value_kind:     by_value
      - .address_space:  global
        .offset:         64
        .size:           8
        .value_kind:     global_buffer
      - .offset:         72
        .size:           8
        .value_kind:     by_value
      - .offset:         80
        .size:           4
        .value_kind:     by_value
      - .offset:         88
        .size:           8
        .value_kind:     by_value
      - .offset:         96
        .size:           16
        .value_kind:     by_value
      - .offset:         112
        .size:           8
        .value_kind:     by_value
      - .address_space:  global
        .offset:         120
        .size:           8
        .value_kind:     global_buffer
      - .offset:         128
        .size:           8
        .value_kind:     by_value
      - .offset:         136
        .size:           4
        .value_kind:     by_value
      - .offset:         144
        .size:           8
        .value_kind:     by_value
      - .offset:         152
        .size:           4
        .value_kind:     by_value
    .group_segment_fixed_size: 1024
    .kernarg_segment_align: 8
    .kernarg_segment_size: 156
    .language:       OpenCL C
    .language_version:
      - 2
      - 0
    .max_flat_workgroup_size: 1024
    .name:           _ZL32rocblas_gemvt_warp_reduce_kernelILb0ELi1024EiPK19rocblas_complex_numIdES1_KPS1_EviiT3_lPKT2_lT1_lS9_lSA_lS6_lPT4_lSA_li
    .private_segment_fixed_size: 0
    .sgpr_count:     38
    .sgpr_spill_count: 0
    .symbol:         _ZL32rocblas_gemvt_warp_reduce_kernelILb0ELi1024EiPK19rocblas_complex_numIdES1_KPS1_EviiT3_lPKT2_lT1_lS9_lSA_lS6_lPT4_lSA_li.kd
    .uniform_work_group_size: 1
    .uses_dynamic_stack: false
    .vgpr_count:     22
    .vgpr_spill_count: 0
    .wavefront_size: 64
  - .agpr_count:     0
    .args:
      - .offset:         0
        .size:           4
        .value_kind:     by_value
      - .offset:         4
        .size:           4
        .value_kind:     by_value
      - .offset:         8
        .size:           16
        .value_kind:     by_value
      - .offset:         24
        .size:           8
        .value_kind:     by_value
      - .address_space:  global
        .offset:         32
        .size:           8
        .value_kind:     global_buffer
      - .offset:         40
        .size:           8
        .value_kind:     by_value
      - .offset:         48
        .size:           8
        .value_kind:     by_value
      - .offset:         56
        .size:           8
        .value_kind:     by_value
      - .address_space:  global
        .offset:         64
        .size:           8
        .value_kind:     global_buffer
      - .offset:         72
        .size:           8
        .value_kind:     by_value
      - .offset:         80
        .size:           8
        .value_kind:     by_value
      - .offset:         88
        .size:           8
        .value_kind:     by_value
      - .offset:         96
        .size:           16
        .value_kind:     by_value
      - .offset:         112
        .size:           8
        .value_kind:     by_value
      - .address_space:  global
        .offset:         120
        .size:           8
        .value_kind:     global_buffer
      - .offset:         128
        .size:           8
        .value_kind:     by_value
      - .offset:         136
        .size:           8
        .value_kind:     by_value
      - .offset:         144
        .size:           8
        .value_kind:     by_value
      - .offset:         152
        .size:           4
        .value_kind:     by_value
    .group_segment_fixed_size: 1024
    .kernarg_segment_align: 8
    .kernarg_segment_size: 156
    .language:       OpenCL C
    .language_version:
      - 2
      - 0
    .max_flat_workgroup_size: 1024
    .name:           _ZL32rocblas_gemvt_warp_reduce_kernelILb0ELi1024ElPK19rocblas_complex_numIdES1_KPS1_EviiT3_lPKT2_lT1_lS9_lSA_lS6_lPT4_lSA_li
    .private_segment_fixed_size: 0
    .sgpr_count:     46
    .sgpr_spill_count: 0
    .symbol:         _ZL32rocblas_gemvt_warp_reduce_kernelILb0ELi1024ElPK19rocblas_complex_numIdES1_KPS1_EviiT3_lPKT2_lT1_lS9_lSA_lS6_lPT4_lSA_li.kd
    .uniform_work_group_size: 1
    .uses_dynamic_stack: false
    .vgpr_count:     22
    .vgpr_spill_count: 0
    .wavefront_size: 64
  - .agpr_count:     0
    .args:
      - .offset:         0
        .size:           4
        .value_kind:     by_value
      - .offset:         4
        .size:           4
        .value_kind:     by_value
      - .address_space:  global
        .offset:         8
        .size:           8
        .value_kind:     global_buffer
      - .offset:         16
        .size:           8
        .value_kind:     by_value
      - .address_space:  global
        .offset:         24
        .size:           8
        .value_kind:     global_buffer
      - .offset:         32
        .size:           8
        .value_kind:     by_value
      - .offset:         40
        .size:           4
        .value_kind:     by_value
      - .offset:         48
        .size:           8
        .value_kind:     by_value
      - .address_space:  global
        .offset:         56
        .size:           8
        .value_kind:     global_buffer
      - .offset:         64
        .size:           8
        .value_kind:     by_value
      - .offset:         72
        .size:           4
        .value_kind:     by_value
      - .offset:         80
        .size:           8
        .value_kind:     by_value
      - .address_space:  global
        .offset:         88
        .size:           8
        .value_kind:     global_buffer
      - .offset:         96
        .size:           8
        .value_kind:     by_value
      - .address_space:  global
        .offset:         104
        .size:           8
        .value_kind:     global_buffer
      - .offset:         112
        .size:           8
        .value_kind:     by_value
      - .offset:         120
        .size:           4
        .value_kind:     by_value
      - .offset:         128
        .size:           8
        .value_kind:     by_value
    .group_segment_fixed_size: 1024
    .kernarg_segment_align: 8
    .kernarg_segment_size: 136
    .language:       OpenCL C
    .language_version:
      - 2
      - 0
    .max_flat_workgroup_size: 256
    .name:           _ZL22rocblas_gemvtsm_kernelILb1ELi256EPK19rocblas_complex_numIdES3_KPS1_EviiT2_lPKT1_lilS9_lilS6_lPT3_lil
    .private_segment_fixed_size: 0
    .sgpr_count:     37
    .sgpr_spill_count: 0
    .symbol:         _ZL22rocblas_gemvtsm_kernelILb1ELi256EPK19rocblas_complex_numIdES3_KPS1_EviiT2_lPKT1_lilS9_lilS6_lPT3_lil.kd
    .uniform_work_group_size: 1
    .uses_dynamic_stack: false
    .vgpr_count:     64
    .vgpr_spill_count: 0
    .wavefront_size: 64
  - .agpr_count:     0
    .args:
      - .offset:         0
        .size:           4
        .value_kind:     by_value
      - .offset:         4
        .size:           4
        .value_kind:     by_value
      - .offset:         8
        .size:           16
        .value_kind:     by_value
      - .offset:         24
        .size:           8
        .value_kind:     by_value
      - .address_space:  global
        .offset:         32
        .size:           8
        .value_kind:     global_buffer
      - .offset:         40
        .size:           8
        .value_kind:     by_value
      - .offset:         48
        .size:           4
        .value_kind:     by_value
      - .offset:         56
        .size:           8
        .value_kind:     by_value
      - .address_space:  global
        .offset:         64
        .size:           8
        .value_kind:     global_buffer
      - .offset:         72
        .size:           8
        .value_kind:     by_value
      - .offset:         80
        .size:           4
        .value_kind:     by_value
      - .offset:         88
        .size:           8
        .value_kind:     by_value
      - .offset:         96
        .size:           16
        .value_kind:     by_value
      - .offset:         112
        .size:           8
        .value_kind:     by_value
      - .address_space:  global
        .offset:         120
        .size:           8
        .value_kind:     global_buffer
      - .offset:         128
        .size:           8
        .value_kind:     by_value
      - .offset:         136
        .size:           4
        .value_kind:     by_value
      - .offset:         144
        .size:           8
        .value_kind:     by_value
    .group_segment_fixed_size: 1024
    .kernarg_segment_align: 8
    .kernarg_segment_size: 152
    .language:       OpenCL C
    .language_version:
      - 2
      - 0
    .max_flat_workgroup_size: 256
    .name:           _ZL22rocblas_gemvtsm_kernelILb1ELi256EPK19rocblas_complex_numIdES1_KPS1_EviiT2_lPKT1_lilS9_lilS6_lPT3_lil
    .private_segment_fixed_size: 0
    .sgpr_count:     37
    .sgpr_spill_count: 0
    .symbol:         _ZL22rocblas_gemvtsm_kernelILb1ELi256EPK19rocblas_complex_numIdES1_KPS1_EviiT2_lPKT1_lilS9_lilS6_lPT3_lil.kd
    .uniform_work_group_size: 1
    .uses_dynamic_stack: false
    .vgpr_count:     64
    .vgpr_spill_count: 0
    .wavefront_size: 64
  - .agpr_count:     0
    .args:
      - .offset:         0
        .size:           4
        .value_kind:     by_value
      - .offset:         4
        .size:           4
        .value_kind:     by_value
      - .address_space:  global
        .offset:         8
        .size:           8
        .value_kind:     global_buffer
      - .offset:         16
        .size:           8
        .value_kind:     by_value
      - .address_space:  global
        .offset:         24
        .size:           8
        .value_kind:     global_buffer
      - .offset:         32
        .size:           8
        .value_kind:     by_value
      - .offset:         40
        .size:           4
        .value_kind:     by_value
      - .offset:         48
        .size:           8
        .value_kind:     by_value
      - .address_space:  global
        .offset:         56
        .size:           8
        .value_kind:     global_buffer
      - .offset:         64
        .size:           8
        .value_kind:     by_value
      - .offset:         72
        .size:           4
        .value_kind:     by_value
      - .offset:         80
        .size:           8
        .value_kind:     by_value
      - .address_space:  global
        .offset:         88
        .size:           8
        .value_kind:     global_buffer
      - .offset:         96
        .size:           4
        .value_kind:     by_value
      - .offset:         104
        .size:           4
        .value_kind:     hidden_block_count_x
      - .offset:         108
        .size:           4
        .value_kind:     hidden_block_count_y
      - .offset:         112
        .size:           4
        .value_kind:     hidden_block_count_z
      - .offset:         116
        .size:           2
        .value_kind:     hidden_group_size_x
      - .offset:         118
        .size:           2
        .value_kind:     hidden_group_size_y
      - .offset:         120
        .size:           2
        .value_kind:     hidden_group_size_z
      - .offset:         122
        .size:           2
        .value_kind:     hidden_remainder_x
      - .offset:         124
        .size:           2
        .value_kind:     hidden_remainder_y
      - .offset:         126
        .size:           2
        .value_kind:     hidden_remainder_z
      - .offset:         144
        .size:           8
        .value_kind:     hidden_global_offset_x
      - .offset:         152
        .size:           8
        .value_kind:     hidden_global_offset_y
      - .offset:         160
        .size:           8
        .value_kind:     hidden_global_offset_z
      - .offset:         168
        .size:           2
        .value_kind:     hidden_grid_dims
    .group_segment_fixed_size: 1024
    .kernarg_segment_align: 8
    .kernarg_segment_size: 360
    .language:       OpenCL C
    .language_version:
      - 2
      - 0
    .max_flat_workgroup_size: 256
    .name:           _ZL23rocblas_gemvt_sn_kernelILb1ELi256ELi4EiPK19rocblas_complex_numIdES3_S1_EviiT4_lPKT3_lilS7_lilPT5_i
    .private_segment_fixed_size: 80
    .sgpr_count:     56
    .sgpr_spill_count: 0
    .symbol:         _ZL23rocblas_gemvt_sn_kernelILb1ELi256ELi4EiPK19rocblas_complex_numIdES3_S1_EviiT4_lPKT3_lilS7_lilPT5_i.kd
    .uniform_work_group_size: 1
    .uses_dynamic_stack: false
    .vgpr_count:     70
    .vgpr_spill_count: 0
    .wavefront_size: 64
  - .agpr_count:     0
    .args:
      - .offset:         0
        .size:           4
        .value_kind:     by_value
      - .offset:         4
        .size:           4
        .value_kind:     by_value
      - .address_space:  global
        .offset:         8
        .size:           8
        .value_kind:     global_buffer
      - .offset:         16
        .size:           8
        .value_kind:     by_value
      - .address_space:  global
        .offset:         24
        .size:           8
        .value_kind:     global_buffer
      - .offset:         32
        .size:           8
        .value_kind:     by_value
      - .offset:         40
        .size:           4
        .value_kind:     by_value
      - .offset:         48
        .size:           8
        .value_kind:     by_value
      - .address_space:  global
        .offset:         56
        .size:           8
        .value_kind:     global_buffer
      - .offset:         64
        .size:           8
        .value_kind:     by_value
      - .offset:         72
        .size:           4
        .value_kind:     by_value
      - .offset:         80
        .size:           8
        .value_kind:     by_value
      - .address_space:  global
        .offset:         88
        .size:           8
        .value_kind:     global_buffer
      - .offset:         96
        .size:           4
        .value_kind:     by_value
      - .offset:         104
        .size:           4
        .value_kind:     hidden_block_count_x
      - .offset:         108
        .size:           4
        .value_kind:     hidden_block_count_y
      - .offset:         112
        .size:           4
        .value_kind:     hidden_block_count_z
      - .offset:         116
        .size:           2
        .value_kind:     hidden_group_size_x
      - .offset:         118
        .size:           2
        .value_kind:     hidden_group_size_y
      - .offset:         120
        .size:           2
        .value_kind:     hidden_group_size_z
      - .offset:         122
        .size:           2
        .value_kind:     hidden_remainder_x
      - .offset:         124
        .size:           2
        .value_kind:     hidden_remainder_y
      - .offset:         126
        .size:           2
        .value_kind:     hidden_remainder_z
      - .offset:         144
        .size:           8
        .value_kind:     hidden_global_offset_x
      - .offset:         152
        .size:           8
        .value_kind:     hidden_global_offset_y
      - .offset:         160
        .size:           8
        .value_kind:     hidden_global_offset_z
      - .offset:         168
        .size:           2
        .value_kind:     hidden_grid_dims
    .group_segment_fixed_size: 1024
    .kernarg_segment_align: 8
    .kernarg_segment_size: 360
    .language:       OpenCL C
    .language_version:
      - 2
      - 0
    .max_flat_workgroup_size: 256
    .name:           _ZL23rocblas_gemvt_sn_kernelILb1ELi256ELi4ElPK19rocblas_complex_numIdES3_S1_EviiT4_lPKT3_lilS7_lilPT5_i
    .private_segment_fixed_size: 80
    .sgpr_count:     55
    .sgpr_spill_count: 0
    .symbol:         _ZL23rocblas_gemvt_sn_kernelILb1ELi256ELi4ElPK19rocblas_complex_numIdES3_S1_EviiT4_lPKT3_lilS7_lilPT5_i.kd
    .uniform_work_group_size: 1
    .uses_dynamic_stack: false
    .vgpr_count:     78
    .vgpr_spill_count: 0
    .wavefront_size: 64
  - .agpr_count:     0
    .args:
      - .offset:         0
        .size:           4
        .value_kind:     by_value
      - .offset:         4
        .size:           4
        .value_kind:     by_value
      - .offset:         8
        .size:           16
        .value_kind:     by_value
      - .offset:         24
        .size:           8
        .value_kind:     by_value
      - .address_space:  global
        .offset:         32
        .size:           8
        .value_kind:     global_buffer
      - .offset:         40
        .size:           8
        .value_kind:     by_value
      - .offset:         48
        .size:           4
        .value_kind:     by_value
      - .offset:         56
        .size:           8
        .value_kind:     by_value
      - .address_space:  global
        .offset:         64
        .size:           8
        .value_kind:     global_buffer
      - .offset:         72
        .size:           8
        .value_kind:     by_value
      - .offset:         80
        .size:           4
        .value_kind:     by_value
      - .offset:         88
        .size:           8
        .value_kind:     by_value
      - .address_space:  global
        .offset:         96
        .size:           8
        .value_kind:     global_buffer
      - .offset:         104
        .size:           4
        .value_kind:     by_value
      - .offset:         112
        .size:           4
        .value_kind:     hidden_block_count_x
      - .offset:         116
        .size:           4
        .value_kind:     hidden_block_count_y
      - .offset:         120
        .size:           4
        .value_kind:     hidden_block_count_z
      - .offset:         124
        .size:           2
        .value_kind:     hidden_group_size_x
      - .offset:         126
        .size:           2
        .value_kind:     hidden_group_size_y
      - .offset:         128
        .size:           2
        .value_kind:     hidden_group_size_z
      - .offset:         130
        .size:           2
        .value_kind:     hidden_remainder_x
      - .offset:         132
        .size:           2
        .value_kind:     hidden_remainder_y
      - .offset:         134
        .size:           2
        .value_kind:     hidden_remainder_z
      - .offset:         152
        .size:           8
        .value_kind:     hidden_global_offset_x
      - .offset:         160
        .size:           8
        .value_kind:     hidden_global_offset_y
      - .offset:         168
        .size:           8
        .value_kind:     hidden_global_offset_z
      - .offset:         176
        .size:           2
        .value_kind:     hidden_grid_dims
    .group_segment_fixed_size: 1024
    .kernarg_segment_align: 8
    .kernarg_segment_size: 368
    .language:       OpenCL C
    .language_version:
      - 2
      - 0
    .max_flat_workgroup_size: 256
    .name:           _ZL23rocblas_gemvt_sn_kernelILb1ELi256ELi4EiPK19rocblas_complex_numIdES1_S1_EviiT4_lPKT3_lilS7_lilPT5_i
    .private_segment_fixed_size: 80
    .sgpr_count:     56
    .sgpr_spill_count: 0
    .symbol:         _ZL23rocblas_gemvt_sn_kernelILb1ELi256ELi4EiPK19rocblas_complex_numIdES1_S1_EviiT4_lPKT3_lilS7_lilPT5_i.kd
    .uniform_work_group_size: 1
    .uses_dynamic_stack: false
    .vgpr_count:     74
    .vgpr_spill_count: 0
    .wavefront_size: 64
  - .agpr_count:     0
    .args:
      - .offset:         0
        .size:           4
        .value_kind:     by_value
      - .offset:         4
        .size:           4
        .value_kind:     by_value
      - .offset:         8
        .size:           16
        .value_kind:     by_value
      - .offset:         24
        .size:           8
        .value_kind:     by_value
      - .address_space:  global
        .offset:         32
        .size:           8
        .value_kind:     global_buffer
      - .offset:         40
        .size:           8
        .value_kind:     by_value
      - .offset:         48
        .size:           4
        .value_kind:     by_value
      - .offset:         56
        .size:           8
        .value_kind:     by_value
      - .address_space:  global
        .offset:         64
        .size:           8
        .value_kind:     global_buffer
      - .offset:         72
        .size:           8
        .value_kind:     by_value
      - .offset:         80
        .size:           4
        .value_kind:     by_value
      - .offset:         88
        .size:           8
        .value_kind:     by_value
      - .address_space:  global
        .offset:         96
        .size:           8
        .value_kind:     global_buffer
      - .offset:         104
        .size:           4
        .value_kind:     by_value
      - .offset:         112
        .size:           4
        .value_kind:     hidden_block_count_x
      - .offset:         116
        .size:           4
        .value_kind:     hidden_block_count_y
      - .offset:         120
        .size:           4
        .value_kind:     hidden_block_count_z
      - .offset:         124
        .size:           2
        .value_kind:     hidden_group_size_x
      - .offset:         126
        .size:           2
        .value_kind:     hidden_group_size_y
      - .offset:         128
        .size:           2
        .value_kind:     hidden_group_size_z
      - .offset:         130
        .size:           2
        .value_kind:     hidden_remainder_x
      - .offset:         132
        .size:           2
        .value_kind:     hidden_remainder_y
      - .offset:         134
        .size:           2
        .value_kind:     hidden_remainder_z
      - .offset:         152
        .size:           8
        .value_kind:     hidden_global_offset_x
      - .offset:         160
        .size:           8
        .value_kind:     hidden_global_offset_y
      - .offset:         168
        .size:           8
        .value_kind:     hidden_global_offset_z
      - .offset:         176
        .size:           2
        .value_kind:     hidden_grid_dims
    .group_segment_fixed_size: 1024
    .kernarg_segment_align: 8
    .kernarg_segment_size: 368
    .language:       OpenCL C
    .language_version:
      - 2
      - 0
    .max_flat_workgroup_size: 256
    .name:           _ZL23rocblas_gemvt_sn_kernelILb1ELi256ELi4ElPK19rocblas_complex_numIdES1_S1_EviiT4_lPKT3_lilS7_lilPT5_i
    .private_segment_fixed_size: 80
    .sgpr_count:     55
    .sgpr_spill_count: 0
    .symbol:         _ZL23rocblas_gemvt_sn_kernelILb1ELi256ELi4ElPK19rocblas_complex_numIdES1_S1_EviiT4_lPKT3_lilS7_lilPT5_i.kd
    .uniform_work_group_size: 1
    .uses_dynamic_stack: false
    .vgpr_count:     74
    .vgpr_spill_count: 0
    .wavefront_size: 64
  - .agpr_count:     0
    .args:
      - .offset:         0
        .size:           4
        .value_kind:     by_value
      - .offset:         4
        .size:           4
        .value_kind:     by_value
      - .address_space:  global
        .offset:         8
        .size:           8
        .value_kind:     global_buffer
      - .offset:         16
        .size:           8
        .value_kind:     by_value
      - .address_space:  global
        .offset:         24
        .size:           8
        .value_kind:     global_buffer
      - .offset:         32
        .size:           8
        .value_kind:     by_value
      - .offset:         40
        .size:           4
        .value_kind:     by_value
      - .offset:         48
        .size:           8
        .value_kind:     by_value
      - .address_space:  global
        .offset:         56
        .size:           8
        .value_kind:     global_buffer
      - .offset:         64
        .size:           8
        .value_kind:     by_value
      - .offset:         72
        .size:           4
        .value_kind:     by_value
      - .offset:         80
        .size:           8
        .value_kind:     by_value
      - .address_space:  global
        .offset:         88
        .size:           8
        .value_kind:     global_buffer
      - .offset:         96
        .size:           8
        .value_kind:     by_value
      - .address_space:  global
        .offset:         104
        .size:           8
        .value_kind:     global_buffer
      - .offset:         112
        .size:           8
        .value_kind:     by_value
      - .offset:         120
        .size:           4
        .value_kind:     by_value
      - .offset:         128
        .size:           8
        .value_kind:     by_value
      - .offset:         136
        .size:           4
        .value_kind:     by_value
    .group_segment_fixed_size: 4096
    .kernarg_segment_align: 8
    .kernarg_segment_size: 140
    .language:       OpenCL C
    .language_version:
      - 2
      - 0
    .max_flat_workgroup_size: 256
    .name:           _ZL20rocblas_gemvt_kernelILb1ELi256EPK19rocblas_complex_numIdES3_KPS1_EviiT2_lPKT1_lilS9_lilS6_lPT3_lili
    .private_segment_fixed_size: 0
    .sgpr_count:     38
    .sgpr_spill_count: 0
    .symbol:         _ZL20rocblas_gemvt_kernelILb1ELi256EPK19rocblas_complex_numIdES3_KPS1_EviiT2_lPKT1_lilS9_lilS6_lPT3_lili.kd
    .uniform_work_group_size: 1
    .uses_dynamic_stack: false
    .vgpr_count:     22
    .vgpr_spill_count: 0
    .wavefront_size: 64
  - .agpr_count:     0
    .args:
      - .offset:         0
        .size:           4
        .value_kind:     by_value
      - .offset:         4
        .size:           4
        .value_kind:     by_value
      - .offset:         8
        .size:           16
        .value_kind:     by_value
      - .offset:         24
        .size:           8
        .value_kind:     by_value
      - .address_space:  global
        .offset:         32
        .size:           8
        .value_kind:     global_buffer
      - .offset:         40
        .size:           8
        .value_kind:     by_value
      - .offset:         48
        .size:           4
        .value_kind:     by_value
      - .offset:         56
        .size:           8
        .value_kind:     by_value
      - .address_space:  global
        .offset:         64
        .size:           8
        .value_kind:     global_buffer
      - .offset:         72
        .size:           8
        .value_kind:     by_value
      - .offset:         80
        .size:           4
        .value_kind:     by_value
      - .offset:         88
        .size:           8
        .value_kind:     by_value
      - .offset:         96
        .size:           16
        .value_kind:     by_value
      - .offset:         112
        .size:           8
        .value_kind:     by_value
      - .address_space:  global
        .offset:         120
        .size:           8
        .value_kind:     global_buffer
      - .offset:         128
        .size:           8
        .value_kind:     by_value
      - .offset:         136
        .size:           4
        .value_kind:     by_value
      - .offset:         144
        .size:           8
        .value_kind:     by_value
      - .offset:         152
        .size:           4
        .value_kind:     by_value
    .group_segment_fixed_size: 4096
    .kernarg_segment_align: 8
    .kernarg_segment_size: 156
    .language:       OpenCL C
    .language_version:
      - 2
      - 0
    .max_flat_workgroup_size: 256
    .name:           _ZL20rocblas_gemvt_kernelILb1ELi256EPK19rocblas_complex_numIdES1_KPS1_EviiT2_lPKT1_lilS9_lilS6_lPT3_lili
    .private_segment_fixed_size: 0
    .sgpr_count:     38
    .sgpr_spill_count: 0
    .symbol:         _ZL20rocblas_gemvt_kernelILb1ELi256EPK19rocblas_complex_numIdES1_KPS1_EviiT2_lPKT1_lilS9_lilS6_lPT3_lili.kd
    .uniform_work_group_size: 1
    .uses_dynamic_stack: false
    .vgpr_count:     22
    .vgpr_spill_count: 0
    .wavefront_size: 64
  - .agpr_count:     0
    .args:
      - .offset:         0
        .size:           4
        .value_kind:     by_value
      - .offset:         4
        .size:           4
        .value_kind:     by_value
      - .address_space:  global
        .offset:         8
        .size:           8
        .value_kind:     global_buffer
      - .offset:         16
        .size:           8
        .value_kind:     by_value
      - .address_space:  global
        .offset:         24
        .size:           8
        .value_kind:     global_buffer
      - .offset:         32
        .size:           8
        .value_kind:     by_value
      - .offset:         40
        .size:           4
        .value_kind:     by_value
      - .offset:         48
        .size:           8
        .value_kind:     by_value
      - .address_space:  global
        .offset:         56
        .size:           8
        .value_kind:     global_buffer
      - .offset:         64
        .size:           8
        .value_kind:     by_value
      - .offset:         72
        .size:           4
        .value_kind:     by_value
      - .offset:         80
        .size:           8
        .value_kind:     by_value
      - .address_space:  global
        .offset:         88
        .size:           8
        .value_kind:     global_buffer
      - .offset:         96
        .size:           8
        .value_kind:     by_value
      - .address_space:  global
        .offset:         104
        .size:           8
        .value_kind:     global_buffer
      - .offset:         112
        .size:           8
        .value_kind:     by_value
      - .offset:         120
        .size:           4
        .value_kind:     by_value
      - .offset:         128
        .size:           8
        .value_kind:     by_value
      - .offset:         136
        .size:           4
        .value_kind:     by_value
    .group_segment_fixed_size: 1024
    .kernarg_segment_align: 8
    .kernarg_segment_size: 140
    .language:       OpenCL C
    .language_version:
      - 2
      - 0
    .max_flat_workgroup_size: 1024
    .name:           _ZL32rocblas_gemvt_warp_reduce_kernelILb1ELi1024EiPK19rocblas_complex_numIdES3_KPS1_EviiT3_lPKT2_lT1_lS9_lSA_lS6_lPT4_lSA_li
    .private_segment_fixed_size: 0
    .sgpr_count:     38
    .sgpr_spill_count: 0
    .symbol:         _ZL32rocblas_gemvt_warp_reduce_kernelILb1ELi1024EiPK19rocblas_complex_numIdES3_KPS1_EviiT3_lPKT2_lT1_lS9_lSA_lS6_lPT4_lSA_li.kd
    .uniform_work_group_size: 1
    .uses_dynamic_stack: false
    .vgpr_count:     22
    .vgpr_spill_count: 0
    .wavefront_size: 64
  - .agpr_count:     0
    .args:
      - .offset:         0
        .size:           4
        .value_kind:     by_value
      - .offset:         4
        .size:           4
        .value_kind:     by_value
      - .address_space:  global
        .offset:         8
        .size:           8
        .value_kind:     global_buffer
      - .offset:         16
        .size:           8
        .value_kind:     by_value
      - .address_space:  global
        .offset:         24
        .size:           8
        .value_kind:     global_buffer
      - .offset:         32
        .size:           8
        .value_kind:     by_value
      - .offset:         40
        .size:           8
        .value_kind:     by_value
      - .offset:         48
        .size:           8
        .value_kind:     by_value
      - .address_space:  global
        .offset:         56
        .size:           8
        .value_kind:     global_buffer
      - .offset:         64
        .size:           8
        .value_kind:     by_value
      - .offset:         72
        .size:           8
        .value_kind:     by_value
      - .offset:         80
        .size:           8
        .value_kind:     by_value
      - .address_space:  global
        .offset:         88
        .size:           8
        .value_kind:     global_buffer
      - .offset:         96
        .size:           8
        .value_kind:     by_value
      - .address_space:  global
        .offset:         104
        .size:           8
        .value_kind:     global_buffer
      - .offset:         112
        .size:           8
        .value_kind:     by_value
      - .offset:         120
        .size:           8
        .value_kind:     by_value
      - .offset:         128
        .size:           8
        .value_kind:     by_value
      - .offset:         136
        .size:           4
        .value_kind:     by_value
    .group_segment_fixed_size: 1024
    .kernarg_segment_align: 8
    .kernarg_segment_size: 140
    .language:       OpenCL C
    .language_version:
      - 2
      - 0
    .max_flat_workgroup_size: 1024
    .name:           _ZL32rocblas_gemvt_warp_reduce_kernelILb1ELi1024ElPK19rocblas_complex_numIdES3_KPS1_EviiT3_lPKT2_lT1_lS9_lSA_lS6_lPT4_lSA_li
    .private_segment_fixed_size: 0
    .sgpr_count:     46
    .sgpr_spill_count: 0
    .symbol:         _ZL32rocblas_gemvt_warp_reduce_kernelILb1ELi1024ElPK19rocblas_complex_numIdES3_KPS1_EviiT3_lPKT2_lT1_lS9_lSA_lS6_lPT4_lSA_li.kd
    .uniform_work_group_size: 1
    .uses_dynamic_stack: false
    .vgpr_count:     22
    .vgpr_spill_count: 0
    .wavefront_size: 64
  - .agpr_count:     0
    .args:
      - .offset:         0
        .size:           4
        .value_kind:     by_value
      - .offset:         4
        .size:           4
        .value_kind:     by_value
      - .offset:         8
        .size:           16
        .value_kind:     by_value
      - .offset:         24
        .size:           8
        .value_kind:     by_value
      - .address_space:  global
        .offset:         32
        .size:           8
        .value_kind:     global_buffer
      - .offset:         40
        .size:           8
        .value_kind:     by_value
      - .offset:         48
        .size:           4
        .value_kind:     by_value
      - .offset:         56
        .size:           8
        .value_kind:     by_value
      - .address_space:  global
        .offset:         64
        .size:           8
        .value_kind:     global_buffer
      - .offset:         72
        .size:           8
        .value_kind:     by_value
      - .offset:         80
        .size:           4
        .value_kind:     by_value
      - .offset:         88
        .size:           8
        .value_kind:     by_value
      - .offset:         96
        .size:           16
        .value_kind:     by_value
      - .offset:         112
        .size:           8
        .value_kind:     by_value
      - .address_space:  global
        .offset:         120
        .size:           8
        .value_kind:     global_buffer
      - .offset:         128
        .size:           8
        .value_kind:     by_value
      - .offset:         136
        .size:           4
        .value_kind:     by_value
      - .offset:         144
        .size:           8
        .value_kind:     by_value
      - .offset:         152
        .size:           4
        .value_kind:     by_value
    .group_segment_fixed_size: 1024
    .kernarg_segment_align: 8
    .kernarg_segment_size: 156
    .language:       OpenCL C
    .language_version:
      - 2
      - 0
    .max_flat_workgroup_size: 1024
    .name:           _ZL32rocblas_gemvt_warp_reduce_kernelILb1ELi1024EiPK19rocblas_complex_numIdES1_KPS1_EviiT3_lPKT2_lT1_lS9_lSA_lS6_lPT4_lSA_li
    .private_segment_fixed_size: 0
    .sgpr_count:     38
    .sgpr_spill_count: 0
    .symbol:         _ZL32rocblas_gemvt_warp_reduce_kernelILb1ELi1024EiPK19rocblas_complex_numIdES1_KPS1_EviiT3_lPKT2_lT1_lS9_lSA_lS6_lPT4_lSA_li.kd
    .uniform_work_group_size: 1
    .uses_dynamic_stack: false
    .vgpr_count:     22
    .vgpr_spill_count: 0
    .wavefront_size: 64
  - .agpr_count:     0
    .args:
      - .offset:         0
        .size:           4
        .value_kind:     by_value
      - .offset:         4
        .size:           4
        .value_kind:     by_value
      - .offset:         8
        .size:           16
        .value_kind:     by_value
      - .offset:         24
        .size:           8
        .value_kind:     by_value
      - .address_space:  global
        .offset:         32
        .size:           8
        .value_kind:     global_buffer
      - .offset:         40
        .size:           8
        .value_kind:     by_value
      - .offset:         48
        .size:           8
        .value_kind:     by_value
      - .offset:         56
        .size:           8
        .value_kind:     by_value
      - .address_space:  global
        .offset:         64
        .size:           8
        .value_kind:     global_buffer
      - .offset:         72
        .size:           8
        .value_kind:     by_value
      - .offset:         80
        .size:           8
        .value_kind:     by_value
      - .offset:         88
        .size:           8
        .value_kind:     by_value
      - .offset:         96
        .size:           16
        .value_kind:     by_value
      - .offset:         112
        .size:           8
        .value_kind:     by_value
      - .address_space:  global
        .offset:         120
        .size:           8
        .value_kind:     global_buffer
      - .offset:         128
        .size:           8
        .value_kind:     by_value
      - .offset:         136
        .size:           8
        .value_kind:     by_value
      - .offset:         144
        .size:           8
        .value_kind:     by_value
      - .offset:         152
        .size:           4
        .value_kind:     by_value
    .group_segment_fixed_size: 1024
    .kernarg_segment_align: 8
    .kernarg_segment_size: 156
    .language:       OpenCL C
    .language_version:
      - 2
      - 0
    .max_flat_workgroup_size: 1024
    .name:           _ZL32rocblas_gemvt_warp_reduce_kernelILb1ELi1024ElPK19rocblas_complex_numIdES1_KPS1_EviiT3_lPKT2_lT1_lS9_lSA_lS6_lPT4_lSA_li
    .private_segment_fixed_size: 0
    .sgpr_count:     46
    .sgpr_spill_count: 0
    .symbol:         _ZL32rocblas_gemvt_warp_reduce_kernelILb1ELi1024ElPK19rocblas_complex_numIdES1_KPS1_EviiT3_lPKT2_lT1_lS9_lSA_lS6_lPT4_lSA_li.kd
    .uniform_work_group_size: 1
    .uses_dynamic_stack: false
    .vgpr_count:     22
    .vgpr_spill_count: 0
    .wavefront_size: 64
  - .agpr_count:     0
    .args:
      - .offset:         0
        .size:           4
        .value_kind:     by_value
      - .offset:         4
        .size:           4
        .value_kind:     by_value
      - .address_space:  global
        .offset:         8
        .size:           8
        .value_kind:     global_buffer
      - .offset:         16
        .size:           8
        .value_kind:     by_value
      - .address_space:  global
        .offset:         24
        .size:           8
        .value_kind:     global_buffer
      - .offset:         32
        .size:           8
        .value_kind:     by_value
      - .offset:         40
        .size:           4
        .value_kind:     by_value
      - .offset:         48
        .size:           8
        .value_kind:     by_value
      - .address_space:  global
        .offset:         56
        .size:           8
        .value_kind:     global_buffer
      - .offset:         64
        .size:           8
        .value_kind:     by_value
      - .offset:         72
        .size:           4
        .value_kind:     by_value
      - .offset:         80
        .size:           8
        .value_kind:     by_value
      - .address_space:  global
        .offset:         88
        .size:           8
        .value_kind:     global_buffer
      - .offset:         96
        .size:           8
        .value_kind:     by_value
      - .address_space:  global
        .offset:         104
        .size:           8
        .value_kind:     global_buffer
      - .offset:         112
        .size:           8
        .value_kind:     by_value
      - .offset:         120
        .size:           4
        .value_kind:     by_value
      - .offset:         128
        .size:           8
        .value_kind:     by_value
      - .offset:         136
        .size:           4
        .value_kind:     by_value
      - .offset:         144
        .size:           4
        .value_kind:     hidden_block_count_x
      - .offset:         148
        .size:           4
        .value_kind:     hidden_block_count_y
      - .offset:         152
        .size:           4
        .value_kind:     hidden_block_count_z
      - .offset:         156
        .size:           2
        .value_kind:     hidden_group_size_x
      - .offset:         158
        .size:           2
        .value_kind:     hidden_group_size_y
      - .offset:         160
        .size:           2
        .value_kind:     hidden_group_size_z
      - .offset:         162
        .size:           2
        .value_kind:     hidden_remainder_x
      - .offset:         164
        .size:           2
        .value_kind:     hidden_remainder_y
      - .offset:         166
        .size:           2
        .value_kind:     hidden_remainder_z
      - .offset:         184
        .size:           8
        .value_kind:     hidden_global_offset_x
      - .offset:         192
        .size:           8
        .value_kind:     hidden_global_offset_y
      - .offset:         200
        .size:           8
        .value_kind:     hidden_global_offset_z
      - .offset:         208
        .size:           2
        .value_kind:     hidden_grid_dims
    .group_segment_fixed_size: 3072
    .kernarg_segment_align: 8
    .kernarg_segment_size: 400
    .language:       OpenCL C
    .language_version:
      - 2
      - 0
    .max_flat_workgroup_size: 768
    .name:           _ZL34rocblas_gemvn_sm_mn_batched_kernelILi32ELi24EDF16_PKfDF16_EviiT2_lPKT1_lilS5_lilS2_lPT3_lili
    .private_segment_fixed_size: 0
    .sgpr_count:     76
    .sgpr_spill_count: 0
    .symbol:         _ZL34rocblas_gemvn_sm_mn_batched_kernelILi32ELi24EDF16_PKfDF16_EviiT2_lPKT1_lilS5_lilS2_lPT3_lili.kd
    .uniform_work_group_size: 1
    .uses_dynamic_stack: false
    .vgpr_count:     42
    .vgpr_spill_count: 0
    .wavefront_size: 64
  - .agpr_count:     0
    .args:
      - .offset:         0
        .size:           4
        .value_kind:     by_value
      - .offset:         4
        .size:           4
        .value_kind:     by_value
      - .offset:         8
        .size:           4
        .value_kind:     by_value
      - .offset:         16
        .size:           8
        .value_kind:     by_value
      - .address_space:  global
        .offset:         24
        .size:           8
        .value_kind:     global_buffer
      - .offset:         32
        .size:           8
        .value_kind:     by_value
      - .offset:         40
        .size:           4
        .value_kind:     by_value
      - .offset:         48
        .size:           8
        .value_kind:     by_value
      - .address_space:  global
        .offset:         56
        .size:           8
        .value_kind:     global_buffer
      - .offset:         64
        .size:           8
        .value_kind:     by_value
      - .offset:         72
        .size:           4
        .value_kind:     by_value
      - .offset:         80
        .size:           8
        .value_kind:     by_value
      - .offset:         88
        .size:           4
        .value_kind:     by_value
      - .offset:         96
        .size:           8
        .value_kind:     by_value
      - .address_space:  global
        .offset:         104
        .size:           8
        .value_kind:     global_buffer
      - .offset:         112
        .size:           8
        .value_kind:     by_value
      - .offset:         120
        .size:           4
        .value_kind:     by_value
      - .offset:         128
        .size:           8
        .value_kind:     by_value
      - .offset:         136
        .size:           4
        .value_kind:     by_value
      - .offset:         144
        .size:           4
        .value_kind:     hidden_block_count_x
      - .offset:         148
        .size:           4
        .value_kind:     hidden_block_count_y
      - .offset:         152
        .size:           4
        .value_kind:     hidden_block_count_z
      - .offset:         156
        .size:           2
        .value_kind:     hidden_group_size_x
      - .offset:         158
        .size:           2
        .value_kind:     hidden_group_size_y
      - .offset:         160
        .size:           2
        .value_kind:     hidden_group_size_z
      - .offset:         162
        .size:           2
        .value_kind:     hidden_remainder_x
      - .offset:         164
        .size:           2
        .value_kind:     hidden_remainder_y
      - .offset:         166
        .size:           2
        .value_kind:     hidden_remainder_z
      - .offset:         184
        .size:           8
        .value_kind:     hidden_global_offset_x
      - .offset:         192
        .size:           8
        .value_kind:     hidden_global_offset_y
      - .offset:         200
        .size:           8
        .value_kind:     hidden_global_offset_z
      - .offset:         208
        .size:           2
        .value_kind:     hidden_grid_dims
    .group_segment_fixed_size: 3072
    .kernarg_segment_align: 8
    .kernarg_segment_size: 400
    .language:       OpenCL C
    .language_version:
      - 2
      - 0
    .max_flat_workgroup_size: 768
    .name:           _ZL34rocblas_gemvn_sm_mn_batched_kernelILi32ELi24EDF16_fDF16_EviiT2_lPKT1_lilS3_lilS0_lPT3_lili
    .private_segment_fixed_size: 0
    .sgpr_count:     76
    .sgpr_spill_count: 0
    .symbol:         _ZL34rocblas_gemvn_sm_mn_batched_kernelILi32ELi24EDF16_fDF16_EviiT2_lPKT1_lilS3_lilS0_lPT3_lili.kd
    .uniform_work_group_size: 1
    .uses_dynamic_stack: false
    .vgpr_count:     42
    .vgpr_spill_count: 0
    .wavefront_size: 64
  - .agpr_count:     0
    .args:
      - .offset:         0
        .size:           4
        .value_kind:     by_value
      - .offset:         4
        .size:           4
        .value_kind:     by_value
      - .address_space:  global
        .offset:         8
        .size:           8
        .value_kind:     global_buffer
      - .offset:         16
        .size:           8
        .value_kind:     by_value
      - .address_space:  global
        .offset:         24
        .size:           8
        .value_kind:     global_buffer
      - .offset:         32
        .size:           8
        .value_kind:     by_value
      - .offset:         40
        .size:           4
        .value_kind:     by_value
      - .offset:         48
        .size:           8
        .value_kind:     by_value
      - .address_space:  global
        .offset:         56
        .size:           8
        .value_kind:     global_buffer
      - .offset:         64
        .size:           8
        .value_kind:     by_value
      - .offset:         72
        .size:           4
        .value_kind:     by_value
      - .offset:         80
        .size:           8
        .value_kind:     by_value
      - .address_space:  global
        .offset:         88
        .size:           8
        .value_kind:     global_buffer
      - .offset:         96
        .size:           8
        .value_kind:     by_value
      - .address_space:  global
        .offset:         104
        .size:           8
        .value_kind:     global_buffer
      - .offset:         112
        .size:           8
        .value_kind:     by_value
      - .offset:         120
        .size:           4
        .value_kind:     by_value
      - .offset:         128
        .size:           8
        .value_kind:     by_value
      - .offset:         136
        .size:           4
        .value_kind:     by_value
      - .offset:         144
        .size:           4
        .value_kind:     hidden_block_count_x
      - .offset:         148
        .size:           4
        .value_kind:     hidden_block_count_y
      - .offset:         152
        .size:           4
        .value_kind:     hidden_block_count_z
      - .offset:         156
        .size:           2
        .value_kind:     hidden_group_size_x
      - .offset:         158
        .size:           2
        .value_kind:     hidden_group_size_y
      - .offset:         160
        .size:           2
        .value_kind:     hidden_group_size_z
      - .offset:         162
        .size:           2
        .value_kind:     hidden_remainder_x
      - .offset:         164
        .size:           2
        .value_kind:     hidden_remainder_y
      - .offset:         166
        .size:           2
        .value_kind:     hidden_remainder_z
      - .offset:         184
        .size:           8
        .value_kind:     hidden_global_offset_x
      - .offset:         192
        .size:           8
        .value_kind:     hidden_global_offset_y
      - .offset:         200
        .size:           8
        .value_kind:     hidden_global_offset_z
      - .offset:         208
        .size:           2
        .value_kind:     hidden_grid_dims
    .group_segment_fixed_size: 4096
    .kernarg_segment_align: 8
    .kernarg_segment_size: 400
    .language:       OpenCL C
    .language_version:
      - 2
      - 0
    .max_flat_workgroup_size: 256
    .name:           _ZL20rocblas_gemvn_kernelILi64ELi4EiDF16_PKfDF16_EviiT3_lPKT2_lT1_lS5_lS6_lS2_lPT4_lS6_li
    .private_segment_fixed_size: 0
    .sgpr_count:     45
    .sgpr_spill_count: 0
    .symbol:         _ZL20rocblas_gemvn_kernelILi64ELi4EiDF16_PKfDF16_EviiT3_lPKT2_lT1_lS5_lS6_lS2_lPT4_lS6_li.kd
    .uniform_work_group_size: 1
    .uses_dynamic_stack: false
    .vgpr_count:     49
    .vgpr_spill_count: 0
    .wavefront_size: 64
  - .agpr_count:     0
    .args:
      - .offset:         0
        .size:           4
        .value_kind:     by_value
      - .offset:         4
        .size:           4
        .value_kind:     by_value
      - .address_space:  global
        .offset:         8
        .size:           8
        .value_kind:     global_buffer
      - .offset:         16
        .size:           8
        .value_kind:     by_value
      - .address_space:  global
        .offset:         24
        .size:           8
        .value_kind:     global_buffer
      - .offset:         32
        .size:           8
        .value_kind:     by_value
      - .offset:         40
        .size:           8
        .value_kind:     by_value
      - .offset:         48
        .size:           8
        .value_kind:     by_value
      - .address_space:  global
        .offset:         56
        .size:           8
        .value_kind:     global_buffer
      - .offset:         64
        .size:           8
        .value_kind:     by_value
      - .offset:         72
        .size:           8
        .value_kind:     by_value
      - .offset:         80
        .size:           8
        .value_kind:     by_value
      - .address_space:  global
        .offset:         88
        .size:           8
        .value_kind:     global_buffer
      - .offset:         96
        .size:           8
        .value_kind:     by_value
      - .address_space:  global
        .offset:         104
        .size:           8
        .value_kind:     global_buffer
      - .offset:         112
        .size:           8
        .value_kind:     by_value
      - .offset:         120
        .size:           8
        .value_kind:     by_value
      - .offset:         128
        .size:           8
        .value_kind:     by_value
      - .offset:         136
        .size:           4
        .value_kind:     by_value
      - .offset:         144
        .size:           4
        .value_kind:     hidden_block_count_x
      - .offset:         148
        .size:           4
        .value_kind:     hidden_block_count_y
      - .offset:         152
        .size:           4
        .value_kind:     hidden_block_count_z
      - .offset:         156
        .size:           2
        .value_kind:     hidden_group_size_x
      - .offset:         158
        .size:           2
        .value_kind:     hidden_group_size_y
      - .offset:         160
        .size:           2
        .value_kind:     hidden_group_size_z
      - .offset:         162
        .size:           2
        .value_kind:     hidden_remainder_x
      - .offset:         164
        .size:           2
        .value_kind:     hidden_remainder_y
      - .offset:         166
        .size:           2
        .value_kind:     hidden_remainder_z
      - .offset:         184
        .size:           8
        .value_kind:     hidden_global_offset_x
      - .offset:         192
        .size:           8
        .value_kind:     hidden_global_offset_y
      - .offset:         200
        .size:           8
        .value_kind:     hidden_global_offset_z
      - .offset:         208
        .size:           2
        .value_kind:     hidden_grid_dims
    .group_segment_fixed_size: 4096
    .kernarg_segment_align: 8
    .kernarg_segment_size: 400
    .language:       OpenCL C
    .language_version:
      - 2
      - 0
    .max_flat_workgroup_size: 256
    .name:           _ZL20rocblas_gemvn_kernelILi64ELi4ElDF16_PKfDF16_EviiT3_lPKT2_lT1_lS5_lS6_lS2_lPT4_lS6_li
    .private_segment_fixed_size: 0
    .sgpr_count:     59
    .sgpr_spill_count: 0
    .symbol:         _ZL20rocblas_gemvn_kernelILi64ELi4ElDF16_PKfDF16_EviiT3_lPKT2_lT1_lS5_lS6_lS2_lPT4_lS6_li.kd
    .uniform_work_group_size: 1
    .uses_dynamic_stack: false
    .vgpr_count:     55
    .vgpr_spill_count: 0
    .wavefront_size: 64
  - .agpr_count:     0
    .args:
      - .offset:         0
        .size:           4
        .value_kind:     by_value
      - .offset:         4
        .size:           4
        .value_kind:     by_value
      - .offset:         8
        .size:           4
        .value_kind:     by_value
      - .offset:         16
        .size:           8
        .value_kind:     by_value
      - .address_space:  global
        .offset:         24
        .size:           8
        .value_kind:     global_buffer
      - .offset:         32
        .size:           8
        .value_kind:     by_value
      - .offset:         40
        .size:           4
        .value_kind:     by_value
      - .offset:         48
        .size:           8
        .value_kind:     by_value
      - .address_space:  global
        .offset:         56
        .size:           8
        .value_kind:     global_buffer
      - .offset:         64
        .size:           8
        .value_kind:     by_value
      - .offset:         72
        .size:           4
        .value_kind:     by_value
      - .offset:         80
        .size:           8
        .value_kind:     by_value
      - .offset:         88
        .size:           4
        .value_kind:     by_value
      - .offset:         96
        .size:           8
        .value_kind:     by_value
      - .address_space:  global
        .offset:         104
        .size:           8
        .value_kind:     global_buffer
      - .offset:         112
        .size:           8
        .value_kind:     by_value
      - .offset:         120
        .size:           4
        .value_kind:     by_value
      - .offset:         128
        .size:           8
        .value_kind:     by_value
      - .offset:         136
        .size:           4
        .value_kind:     by_value
      - .offset:         144
        .size:           4
        .value_kind:     hidden_block_count_x
      - .offset:         148
        .size:           4
        .value_kind:     hidden_block_count_y
      - .offset:         152
        .size:           4
        .value_kind:     hidden_block_count_z
      - .offset:         156
        .size:           2
        .value_kind:     hidden_group_size_x
      - .offset:         158
        .size:           2
        .value_kind:     hidden_group_size_y
      - .offset:         160
        .size:           2
        .value_kind:     hidden_group_size_z
      - .offset:         162
        .size:           2
        .value_kind:     hidden_remainder_x
      - .offset:         164
        .size:           2
        .value_kind:     hidden_remainder_y
      - .offset:         166
        .size:           2
        .value_kind:     hidden_remainder_z
      - .offset:         184
        .size:           8
        .value_kind:     hidden_global_offset_x
      - .offset:         192
        .size:           8
        .value_kind:     hidden_global_offset_y
      - .offset:         200
        .size:           8
        .value_kind:     hidden_global_offset_z
      - .offset:         208
        .size:           2
        .value_kind:     hidden_grid_dims
    .group_segment_fixed_size: 4096
    .kernarg_segment_align: 8
    .kernarg_segment_size: 400
    .language:       OpenCL C
    .language_version:
      - 2
      - 0
    .max_flat_workgroup_size: 256
    .name:           _ZL20rocblas_gemvn_kernelILi64ELi4EiDF16_fDF16_EviiT3_lPKT2_lT1_lS3_lS4_lS0_lPT4_lS4_li
    .private_segment_fixed_size: 0
    .sgpr_count:     45
    .sgpr_spill_count: 0
    .symbol:         _ZL20rocblas_gemvn_kernelILi64ELi4EiDF16_fDF16_EviiT3_lPKT2_lT1_lS3_lS4_lS0_lPT4_lS4_li.kd
    .uniform_work_group_size: 1
    .uses_dynamic_stack: false
    .vgpr_count:     49
    .vgpr_spill_count: 0
    .wavefront_size: 64
  - .agpr_count:     0
    .args:
      - .offset:         0
        .size:           4
        .value_kind:     by_value
      - .offset:         4
        .size:           4
        .value_kind:     by_value
      - .offset:         8
        .size:           4
        .value_kind:     by_value
      - .offset:         16
        .size:           8
        .value_kind:     by_value
      - .address_space:  global
        .offset:         24
        .size:           8
        .value_kind:     global_buffer
      - .offset:         32
        .size:           8
        .value_kind:     by_value
      - .offset:         40
        .size:           8
        .value_kind:     by_value
      - .offset:         48
        .size:           8
        .value_kind:     by_value
      - .address_space:  global
        .offset:         56
        .size:           8
        .value_kind:     global_buffer
      - .offset:         64
        .size:           8
        .value_kind:     by_value
      - .offset:         72
        .size:           8
        .value_kind:     by_value
      - .offset:         80
        .size:           8
        .value_kind:     by_value
      - .offset:         88
        .size:           4
        .value_kind:     by_value
      - .offset:         96
        .size:           8
        .value_kind:     by_value
      - .address_space:  global
        .offset:         104
        .size:           8
        .value_kind:     global_buffer
      - .offset:         112
        .size:           8
        .value_kind:     by_value
      - .offset:         120
        .size:           8
        .value_kind:     by_value
      - .offset:         128
        .size:           8
        .value_kind:     by_value
      - .offset:         136
        .size:           4
        .value_kind:     by_value
      - .offset:         144
        .size:           4
        .value_kind:     hidden_block_count_x
      - .offset:         148
        .size:           4
        .value_kind:     hidden_block_count_y
      - .offset:         152
        .size:           4
        .value_kind:     hidden_block_count_z
      - .offset:         156
        .size:           2
        .value_kind:     hidden_group_size_x
      - .offset:         158
        .size:           2
        .value_kind:     hidden_group_size_y
      - .offset:         160
        .size:           2
        .value_kind:     hidden_group_size_z
      - .offset:         162
        .size:           2
        .value_kind:     hidden_remainder_x
      - .offset:         164
        .size:           2
        .value_kind:     hidden_remainder_y
      - .offset:         166
        .size:           2
        .value_kind:     hidden_remainder_z
      - .offset:         184
        .size:           8
        .value_kind:     hidden_global_offset_x
      - .offset:         192
        .size:           8
        .value_kind:     hidden_global_offset_y
      - .offset:         200
        .size:           8
        .value_kind:     hidden_global_offset_z
      - .offset:         208
        .size:           2
        .value_kind:     hidden_grid_dims
    .group_segment_fixed_size: 4096
    .kernarg_segment_align: 8
    .kernarg_segment_size: 400
    .language:       OpenCL C
    .language_version:
      - 2
      - 0
    .max_flat_workgroup_size: 256
    .name:           _ZL20rocblas_gemvn_kernelILi64ELi4ElDF16_fDF16_EviiT3_lPKT2_lT1_lS3_lS4_lS0_lPT4_lS4_li
    .private_segment_fixed_size: 0
    .sgpr_count:     59
    .sgpr_spill_count: 0
    .symbol:         _ZL20rocblas_gemvn_kernelILi64ELi4ElDF16_fDF16_EviiT3_lPKT2_lT1_lS3_lS4_lS0_lPT4_lS4_li.kd
    .uniform_work_group_size: 1
    .uses_dynamic_stack: false
    .vgpr_count:     55
    .vgpr_spill_count: 0
    .wavefront_size: 64
  - .agpr_count:     0
    .args:
      - .offset:         0
        .size:           4
        .value_kind:     by_value
      - .offset:         4
        .size:           4
        .value_kind:     by_value
      - .address_space:  global
        .offset:         8
        .size:           8
        .value_kind:     global_buffer
      - .offset:         16
        .size:           8
        .value_kind:     by_value
      - .address_space:  global
        .offset:         24
        .size:           8
        .value_kind:     global_buffer
      - .offset:         32
        .size:           8
        .value_kind:     by_value
      - .offset:         40
        .size:           4
        .value_kind:     by_value
      - .offset:         48
        .size:           8
        .value_kind:     by_value
      - .address_space:  global
        .offset:         56
        .size:           8
        .value_kind:     global_buffer
      - .offset:         64
        .size:           8
        .value_kind:     by_value
      - .offset:         72
        .size:           4
        .value_kind:     by_value
      - .offset:         80
        .size:           8
        .value_kind:     by_value
      - .address_space:  global
        .offset:         88
        .size:           8
        .value_kind:     global_buffer
      - .offset:         96
        .size:           8
        .value_kind:     by_value
      - .address_space:  global
        .offset:         104
        .size:           8
        .value_kind:     global_buffer
      - .offset:         112
        .size:           8
        .value_kind:     by_value
      - .offset:         120
        .size:           4
        .value_kind:     by_value
      - .offset:         128
        .size:           8
        .value_kind:     by_value
      - .offset:         136
        .size:           4
        .value_kind:     by_value
      - .offset:         144
        .size:           4
        .value_kind:     hidden_block_count_x
      - .offset:         148
        .size:           4
        .value_kind:     hidden_block_count_y
      - .offset:         152
        .size:           4
        .value_kind:     hidden_block_count_z
      - .offset:         156
        .size:           2
        .value_kind:     hidden_group_size_x
      - .offset:         158
        .size:           2
        .value_kind:     hidden_group_size_y
      - .offset:         160
        .size:           2
        .value_kind:     hidden_group_size_z
      - .offset:         162
        .size:           2
        .value_kind:     hidden_remainder_x
      - .offset:         164
        .size:           2
        .value_kind:     hidden_remainder_y
      - .offset:         166
        .size:           2
        .value_kind:     hidden_remainder_z
      - .offset:         184
        .size:           8
        .value_kind:     hidden_global_offset_x
      - .offset:         192
        .size:           8
        .value_kind:     hidden_global_offset_y
      - .offset:         200
        .size:           8
        .value_kind:     hidden_global_offset_z
      - .offset:         208
        .size:           2
        .value_kind:     hidden_grid_dims
    .group_segment_fixed_size: 8192
    .kernarg_segment_align: 8
    .kernarg_segment_size: 400
    .language:       OpenCL C
    .language_version:
      - 2
      - 0
    .max_flat_workgroup_size: 512
    .name:           _ZL20rocblas_gemvn_kernelILi32ELi16EiDF16_PKfDF16_EviiT3_lPKT2_lT1_lS5_lS6_lS2_lPT4_lS6_li
    .private_segment_fixed_size: 0
    .sgpr_count:     45
    .sgpr_spill_count: 0
    .symbol:         _ZL20rocblas_gemvn_kernelILi32ELi16EiDF16_PKfDF16_EviiT3_lPKT2_lT1_lS5_lS6_lS2_lPT4_lS6_li.kd
    .uniform_work_group_size: 1
    .uses_dynamic_stack: false
    .vgpr_count:     49
    .vgpr_spill_count: 0
    .wavefront_size: 64
  - .agpr_count:     0
    .args:
      - .offset:         0
        .size:           4
        .value_kind:     by_value
      - .offset:         4
        .size:           4
        .value_kind:     by_value
      - .address_space:  global
        .offset:         8
        .size:           8
        .value_kind:     global_buffer
      - .offset:         16
        .size:           8
        .value_kind:     by_value
      - .address_space:  global
        .offset:         24
        .size:           8
        .value_kind:     global_buffer
      - .offset:         32
        .size:           8
        .value_kind:     by_value
      - .offset:         40
        .size:           8
        .value_kind:     by_value
      - .offset:         48
        .size:           8
        .value_kind:     by_value
      - .address_space:  global
        .offset:         56
        .size:           8
        .value_kind:     global_buffer
      - .offset:         64
        .size:           8
        .value_kind:     by_value
      - .offset:         72
        .size:           8
        .value_kind:     by_value
      - .offset:         80
        .size:           8
        .value_kind:     by_value
      - .address_space:  global
        .offset:         88
        .size:           8
        .value_kind:     global_buffer
      - .offset:         96
        .size:           8
        .value_kind:     by_value
      - .address_space:  global
        .offset:         104
        .size:           8
        .value_kind:     global_buffer
      - .offset:         112
        .size:           8
        .value_kind:     by_value
      - .offset:         120
        .size:           8
        .value_kind:     by_value
      - .offset:         128
        .size:           8
        .value_kind:     by_value
      - .offset:         136
        .size:           4
        .value_kind:     by_value
      - .offset:         144
        .size:           4
        .value_kind:     hidden_block_count_x
      - .offset:         148
        .size:           4
        .value_kind:     hidden_block_count_y
      - .offset:         152
        .size:           4
        .value_kind:     hidden_block_count_z
      - .offset:         156
        .size:           2
        .value_kind:     hidden_group_size_x
      - .offset:         158
        .size:           2
        .value_kind:     hidden_group_size_y
      - .offset:         160
        .size:           2
        .value_kind:     hidden_group_size_z
      - .offset:         162
        .size:           2
        .value_kind:     hidden_remainder_x
      - .offset:         164
        .size:           2
        .value_kind:     hidden_remainder_y
      - .offset:         166
        .size:           2
        .value_kind:     hidden_remainder_z
      - .offset:         184
        .size:           8
        .value_kind:     hidden_global_offset_x
      - .offset:         192
        .size:           8
        .value_kind:     hidden_global_offset_y
      - .offset:         200
        .size:           8
        .value_kind:     hidden_global_offset_z
      - .offset:         208
        .size:           2
        .value_kind:     hidden_grid_dims
    .group_segment_fixed_size: 8192
    .kernarg_segment_align: 8
    .kernarg_segment_size: 400
    .language:       OpenCL C
    .language_version:
      - 2
      - 0
    .max_flat_workgroup_size: 512
    .name:           _ZL20rocblas_gemvn_kernelILi32ELi16ElDF16_PKfDF16_EviiT3_lPKT2_lT1_lS5_lS6_lS2_lPT4_lS6_li
    .private_segment_fixed_size: 0
    .sgpr_count:     59
    .sgpr_spill_count: 0
    .symbol:         _ZL20rocblas_gemvn_kernelILi32ELi16ElDF16_PKfDF16_EviiT3_lPKT2_lT1_lS5_lS6_lS2_lPT4_lS6_li.kd
    .uniform_work_group_size: 1
    .uses_dynamic_stack: false
    .vgpr_count:     55
    .vgpr_spill_count: 0
    .wavefront_size: 64
  - .agpr_count:     0
    .args:
      - .offset:         0
        .size:           4
        .value_kind:     by_value
      - .offset:         4
        .size:           4
        .value_kind:     by_value
      - .offset:         8
        .size:           4
        .value_kind:     by_value
      - .offset:         16
        .size:           8
        .value_kind:     by_value
      - .address_space:  global
        .offset:         24
        .size:           8
        .value_kind:     global_buffer
      - .offset:         32
        .size:           8
        .value_kind:     by_value
      - .offset:         40
        .size:           4
        .value_kind:     by_value
      - .offset:         48
        .size:           8
        .value_kind:     by_value
      - .address_space:  global
        .offset:         56
        .size:           8
        .value_kind:     global_buffer
      - .offset:         64
        .size:           8
        .value_kind:     by_value
      - .offset:         72
        .size:           4
        .value_kind:     by_value
      - .offset:         80
        .size:           8
        .value_kind:     by_value
      - .offset:         88
        .size:           4
        .value_kind:     by_value
      - .offset:         96
        .size:           8
        .value_kind:     by_value
      - .address_space:  global
        .offset:         104
        .size:           8
        .value_kind:     global_buffer
      - .offset:         112
        .size:           8
        .value_kind:     by_value
      - .offset:         120
        .size:           4
        .value_kind:     by_value
      - .offset:         128
        .size:           8
        .value_kind:     by_value
      - .offset:         136
        .size:           4
        .value_kind:     by_value
      - .offset:         144
        .size:           4
        .value_kind:     hidden_block_count_x
      - .offset:         148
        .size:           4
        .value_kind:     hidden_block_count_y
      - .offset:         152
        .size:           4
        .value_kind:     hidden_block_count_z
      - .offset:         156
        .size:           2
        .value_kind:     hidden_group_size_x
      - .offset:         158
        .size:           2
        .value_kind:     hidden_group_size_y
      - .offset:         160
        .size:           2
        .value_kind:     hidden_group_size_z
      - .offset:         162
        .size:           2
        .value_kind:     hidden_remainder_x
      - .offset:         164
        .size:           2
        .value_kind:     hidden_remainder_y
      - .offset:         166
        .size:           2
        .value_kind:     hidden_remainder_z
      - .offset:         184
        .size:           8
        .value_kind:     hidden_global_offset_x
      - .offset:         192
        .size:           8
        .value_kind:     hidden_global_offset_y
      - .offset:         200
        .size:           8
        .value_kind:     hidden_global_offset_z
      - .offset:         208
        .size:           2
        .value_kind:     hidden_grid_dims
    .group_segment_fixed_size: 8192
    .kernarg_segment_align: 8
    .kernarg_segment_size: 400
    .language:       OpenCL C
    .language_version:
      - 2
      - 0
    .max_flat_workgroup_size: 512
    .name:           _ZL20rocblas_gemvn_kernelILi32ELi16EiDF16_fDF16_EviiT3_lPKT2_lT1_lS3_lS4_lS0_lPT4_lS4_li
    .private_segment_fixed_size: 0
    .sgpr_count:     45
    .sgpr_spill_count: 0
    .symbol:         _ZL20rocblas_gemvn_kernelILi32ELi16EiDF16_fDF16_EviiT3_lPKT2_lT1_lS3_lS4_lS0_lPT4_lS4_li.kd
    .uniform_work_group_size: 1
    .uses_dynamic_stack: false
    .vgpr_count:     49
    .vgpr_spill_count: 0
    .wavefront_size: 64
  - .agpr_count:     0
    .args:
      - .offset:         0
        .size:           4
        .value_kind:     by_value
      - .offset:         4
        .size:           4
        .value_kind:     by_value
      - .offset:         8
        .size:           4
        .value_kind:     by_value
      - .offset:         16
        .size:           8
        .value_kind:     by_value
      - .address_space:  global
        .offset:         24
        .size:           8
        .value_kind:     global_buffer
      - .offset:         32
        .size:           8
        .value_kind:     by_value
      - .offset:         40
        .size:           8
        .value_kind:     by_value
      - .offset:         48
        .size:           8
        .value_kind:     by_value
      - .address_space:  global
        .offset:         56
        .size:           8
        .value_kind:     global_buffer
      - .offset:         64
        .size:           8
        .value_kind:     by_value
      - .offset:         72
        .size:           8
        .value_kind:     by_value
      - .offset:         80
        .size:           8
        .value_kind:     by_value
      - .offset:         88
        .size:           4
        .value_kind:     by_value
      - .offset:         96
        .size:           8
        .value_kind:     by_value
      - .address_space:  global
        .offset:         104
        .size:           8
        .value_kind:     global_buffer
      - .offset:         112
        .size:           8
        .value_kind:     by_value
      - .offset:         120
        .size:           8
        .value_kind:     by_value
      - .offset:         128
        .size:           8
        .value_kind:     by_value
      - .offset:         136
        .size:           4
        .value_kind:     by_value
      - .offset:         144
        .size:           4
        .value_kind:     hidden_block_count_x
      - .offset:         148
        .size:           4
        .value_kind:     hidden_block_count_y
      - .offset:         152
        .size:           4
        .value_kind:     hidden_block_count_z
      - .offset:         156
        .size:           2
        .value_kind:     hidden_group_size_x
      - .offset:         158
        .size:           2
        .value_kind:     hidden_group_size_y
      - .offset:         160
        .size:           2
        .value_kind:     hidden_group_size_z
      - .offset:         162
        .size:           2
        .value_kind:     hidden_remainder_x
      - .offset:         164
        .size:           2
        .value_kind:     hidden_remainder_y
      - .offset:         166
        .size:           2
        .value_kind:     hidden_remainder_z
      - .offset:         184
        .size:           8
        .value_kind:     hidden_global_offset_x
      - .offset:         192
        .size:           8
        .value_kind:     hidden_global_offset_y
      - .offset:         200
        .size:           8
        .value_kind:     hidden_global_offset_z
      - .offset:         208
        .size:           2
        .value_kind:     hidden_grid_dims
    .group_segment_fixed_size: 8192
    .kernarg_segment_align: 8
    .kernarg_segment_size: 400
    .language:       OpenCL C
    .language_version:
      - 2
      - 0
    .max_flat_workgroup_size: 512
    .name:           _ZL20rocblas_gemvn_kernelILi32ELi16ElDF16_fDF16_EviiT3_lPKT2_lT1_lS3_lS4_lS0_lPT4_lS4_li
    .private_segment_fixed_size: 0
    .sgpr_count:     59
    .sgpr_spill_count: 0
    .symbol:         _ZL20rocblas_gemvn_kernelILi32ELi16ElDF16_fDF16_EviiT3_lPKT2_lT1_lS3_lS4_lS0_lPT4_lS4_li.kd
    .uniform_work_group_size: 1
    .uses_dynamic_stack: false
    .vgpr_count:     55
    .vgpr_spill_count: 0
    .wavefront_size: 64
  - .agpr_count:     0
    .args:
      - .offset:         0
        .size:           4
        .value_kind:     by_value
      - .offset:         4
        .size:           4
        .value_kind:     by_value
      - .address_space:  global
        .offset:         8
        .size:           8
        .value_kind:     global_buffer
      - .offset:         16
        .size:           8
        .value_kind:     by_value
      - .address_space:  global
        .offset:         24
        .size:           8
        .value_kind:     global_buffer
      - .offset:         32
        .size:           8
        .value_kind:     by_value
      - .offset:         40
        .size:           4
        .value_kind:     by_value
      - .offset:         48
        .size:           8
        .value_kind:     by_value
      - .address_space:  global
        .offset:         56
        .size:           8
        .value_kind:     global_buffer
      - .offset:         64
        .size:           8
        .value_kind:     by_value
      - .offset:         72
        .size:           4
        .value_kind:     by_value
      - .offset:         80
        .size:           8
        .value_kind:     by_value
      - .address_space:  global
        .offset:         88
        .size:           8
        .value_kind:     global_buffer
      - .offset:         96
        .size:           8
        .value_kind:     by_value
      - .address_space:  global
        .offset:         104
        .size:           8
        .value_kind:     global_buffer
      - .offset:         112
        .size:           8
        .value_kind:     by_value
      - .offset:         120
        .size:           4
        .value_kind:     by_value
      - .offset:         128
        .size:           8
        .value_kind:     by_value
      - .offset:         136
        .size:           4
        .value_kind:     by_value
      - .offset:         144
        .size:           4
        .value_kind:     hidden_block_count_x
      - .offset:         148
        .size:           4
        .value_kind:     hidden_block_count_y
      - .offset:         152
        .size:           4
        .value_kind:     hidden_block_count_z
      - .offset:         156
        .size:           2
        .value_kind:     hidden_group_size_x
      - .offset:         158
        .size:           2
        .value_kind:     hidden_group_size_y
      - .offset:         160
        .size:           2
        .value_kind:     hidden_group_size_z
      - .offset:         162
        .size:           2
        .value_kind:     hidden_remainder_x
      - .offset:         164
        .size:           2
        .value_kind:     hidden_remainder_y
      - .offset:         166
        .size:           2
        .value_kind:     hidden_remainder_z
      - .offset:         184
        .size:           8
        .value_kind:     hidden_global_offset_x
      - .offset:         192
        .size:           8
        .value_kind:     hidden_global_offset_y
      - .offset:         200
        .size:           8
        .value_kind:     hidden_global_offset_z
      - .offset:         208
        .size:           2
        .value_kind:     hidden_grid_dims
    .group_segment_fixed_size: 16384
    .kernarg_segment_align: 8
    .kernarg_segment_size: 400
    .language:       OpenCL C
    .language_version:
      - 2
      - 0
    .max_flat_workgroup_size: 1024
    .name:           _ZL20rocblas_gemvn_kernelILi64ELi16EiDF16_PKfDF16_EviiT3_lPKT2_lT1_lS5_lS6_lS2_lPT4_lS6_li
    .private_segment_fixed_size: 0
    .sgpr_count:     45
    .sgpr_spill_count: 0
    .symbol:         _ZL20rocblas_gemvn_kernelILi64ELi16EiDF16_PKfDF16_EviiT3_lPKT2_lT1_lS5_lS6_lS2_lPT4_lS6_li.kd
    .uniform_work_group_size: 1
    .uses_dynamic_stack: false
    .vgpr_count:     49
    .vgpr_spill_count: 0
    .wavefront_size: 64
  - .agpr_count:     0
    .args:
      - .offset:         0
        .size:           4
        .value_kind:     by_value
      - .offset:         4
        .size:           4
        .value_kind:     by_value
      - .address_space:  global
        .offset:         8
        .size:           8
        .value_kind:     global_buffer
      - .offset:         16
        .size:           8
        .value_kind:     by_value
      - .address_space:  global
        .offset:         24
        .size:           8
        .value_kind:     global_buffer
      - .offset:         32
        .size:           8
        .value_kind:     by_value
      - .offset:         40
        .size:           8
        .value_kind:     by_value
      - .offset:         48
        .size:           8
        .value_kind:     by_value
      - .address_space:  global
        .offset:         56
        .size:           8
        .value_kind:     global_buffer
      - .offset:         64
        .size:           8
        .value_kind:     by_value
      - .offset:         72
        .size:           8
        .value_kind:     by_value
      - .offset:         80
        .size:           8
        .value_kind:     by_value
      - .address_space:  global
        .offset:         88
        .size:           8
        .value_kind:     global_buffer
      - .offset:         96
        .size:           8
        .value_kind:     by_value
      - .address_space:  global
        .offset:         104
        .size:           8
        .value_kind:     global_buffer
      - .offset:         112
        .size:           8
        .value_kind:     by_value
      - .offset:         120
        .size:           8
        .value_kind:     by_value
      - .offset:         128
        .size:           8
        .value_kind:     by_value
      - .offset:         136
        .size:           4
        .value_kind:     by_value
      - .offset:         144
        .size:           4
        .value_kind:     hidden_block_count_x
      - .offset:         148
        .size:           4
        .value_kind:     hidden_block_count_y
      - .offset:         152
        .size:           4
        .value_kind:     hidden_block_count_z
      - .offset:         156
        .size:           2
        .value_kind:     hidden_group_size_x
      - .offset:         158
        .size:           2
        .value_kind:     hidden_group_size_y
      - .offset:         160
        .size:           2
        .value_kind:     hidden_group_size_z
      - .offset:         162
        .size:           2
        .value_kind:     hidden_remainder_x
      - .offset:         164
        .size:           2
        .value_kind:     hidden_remainder_y
      - .offset:         166
        .size:           2
        .value_kind:     hidden_remainder_z
      - .offset:         184
        .size:           8
        .value_kind:     hidden_global_offset_x
      - .offset:         192
        .size:           8
        .value_kind:     hidden_global_offset_y
      - .offset:         200
        .size:           8
        .value_kind:     hidden_global_offset_z
      - .offset:         208
        .size:           2
        .value_kind:     hidden_grid_dims
    .group_segment_fixed_size: 16384
    .kernarg_segment_align: 8
    .kernarg_segment_size: 400
    .language:       OpenCL C
    .language_version:
      - 2
      - 0
    .max_flat_workgroup_size: 1024
    .name:           _ZL20rocblas_gemvn_kernelILi64ELi16ElDF16_PKfDF16_EviiT3_lPKT2_lT1_lS5_lS6_lS2_lPT4_lS6_li
    .private_segment_fixed_size: 0
    .sgpr_count:     59
    .sgpr_spill_count: 0
    .symbol:         _ZL20rocblas_gemvn_kernelILi64ELi16ElDF16_PKfDF16_EviiT3_lPKT2_lT1_lS5_lS6_lS2_lPT4_lS6_li.kd
    .uniform_work_group_size: 1
    .uses_dynamic_stack: false
    .vgpr_count:     55
    .vgpr_spill_count: 0
    .wavefront_size: 64
  - .agpr_count:     0
    .args:
      - .offset:         0
        .size:           4
        .value_kind:     by_value
      - .offset:         4
        .size:           4
        .value_kind:     by_value
      - .offset:         8
        .size:           4
        .value_kind:     by_value
      - .offset:         16
        .size:           8
        .value_kind:     by_value
      - .address_space:  global
        .offset:         24
        .size:           8
        .value_kind:     global_buffer
      - .offset:         32
        .size:           8
        .value_kind:     by_value
      - .offset:         40
        .size:           4
        .value_kind:     by_value
      - .offset:         48
        .size:           8
        .value_kind:     by_value
      - .address_space:  global
        .offset:         56
        .size:           8
        .value_kind:     global_buffer
      - .offset:         64
        .size:           8
        .value_kind:     by_value
      - .offset:         72
        .size:           4
        .value_kind:     by_value
      - .offset:         80
        .size:           8
        .value_kind:     by_value
      - .offset:         88
        .size:           4
        .value_kind:     by_value
      - .offset:         96
        .size:           8
        .value_kind:     by_value
      - .address_space:  global
        .offset:         104
        .size:           8
        .value_kind:     global_buffer
      - .offset:         112
        .size:           8
        .value_kind:     by_value
      - .offset:         120
        .size:           4
        .value_kind:     by_value
      - .offset:         128
        .size:           8
        .value_kind:     by_value
      - .offset:         136
        .size:           4
        .value_kind:     by_value
      - .offset:         144
        .size:           4
        .value_kind:     hidden_block_count_x
      - .offset:         148
        .size:           4
        .value_kind:     hidden_block_count_y
      - .offset:         152
        .size:           4
        .value_kind:     hidden_block_count_z
      - .offset:         156
        .size:           2
        .value_kind:     hidden_group_size_x
      - .offset:         158
        .size:           2
        .value_kind:     hidden_group_size_y
      - .offset:         160
        .size:           2
        .value_kind:     hidden_group_size_z
      - .offset:         162
        .size:           2
        .value_kind:     hidden_remainder_x
      - .offset:         164
        .size:           2
        .value_kind:     hidden_remainder_y
      - .offset:         166
        .size:           2
        .value_kind:     hidden_remainder_z
      - .offset:         184
        .size:           8
        .value_kind:     hidden_global_offset_x
      - .offset:         192
        .size:           8
        .value_kind:     hidden_global_offset_y
      - .offset:         200
        .size:           8
        .value_kind:     hidden_global_offset_z
      - .offset:         208
        .size:           2
        .value_kind:     hidden_grid_dims
    .group_segment_fixed_size: 16384
    .kernarg_segment_align: 8
    .kernarg_segment_size: 400
    .language:       OpenCL C
    .language_version:
      - 2
      - 0
    .max_flat_workgroup_size: 1024
    .name:           _ZL20rocblas_gemvn_kernelILi64ELi16EiDF16_fDF16_EviiT3_lPKT2_lT1_lS3_lS4_lS0_lPT4_lS4_li
    .private_segment_fixed_size: 0
    .sgpr_count:     45
    .sgpr_spill_count: 0
    .symbol:         _ZL20rocblas_gemvn_kernelILi64ELi16EiDF16_fDF16_EviiT3_lPKT2_lT1_lS3_lS4_lS0_lPT4_lS4_li.kd
    .uniform_work_group_size: 1
    .uses_dynamic_stack: false
    .vgpr_count:     49
    .vgpr_spill_count: 0
    .wavefront_size: 64
  - .agpr_count:     0
    .args:
      - .offset:         0
        .size:           4
        .value_kind:     by_value
      - .offset:         4
        .size:           4
        .value_kind:     by_value
      - .offset:         8
        .size:           4
        .value_kind:     by_value
      - .offset:         16
        .size:           8
        .value_kind:     by_value
      - .address_space:  global
        .offset:         24
        .size:           8
        .value_kind:     global_buffer
      - .offset:         32
        .size:           8
        .value_kind:     by_value
      - .offset:         40
        .size:           8
        .value_kind:     by_value
      - .offset:         48
        .size:           8
        .value_kind:     by_value
      - .address_space:  global
        .offset:         56
        .size:           8
        .value_kind:     global_buffer
      - .offset:         64
        .size:           8
        .value_kind:     by_value
      - .offset:         72
        .size:           8
        .value_kind:     by_value
      - .offset:         80
        .size:           8
        .value_kind:     by_value
      - .offset:         88
        .size:           4
        .value_kind:     by_value
      - .offset:         96
        .size:           8
        .value_kind:     by_value
      - .address_space:  global
        .offset:         104
        .size:           8
        .value_kind:     global_buffer
      - .offset:         112
        .size:           8
        .value_kind:     by_value
      - .offset:         120
        .size:           8
        .value_kind:     by_value
      - .offset:         128
        .size:           8
        .value_kind:     by_value
      - .offset:         136
        .size:           4
        .value_kind:     by_value
      - .offset:         144
        .size:           4
        .value_kind:     hidden_block_count_x
      - .offset:         148
        .size:           4
        .value_kind:     hidden_block_count_y
      - .offset:         152
        .size:           4
        .value_kind:     hidden_block_count_z
      - .offset:         156
        .size:           2
        .value_kind:     hidden_group_size_x
      - .offset:         158
        .size:           2
        .value_kind:     hidden_group_size_y
      - .offset:         160
        .size:           2
        .value_kind:     hidden_group_size_z
      - .offset:         162
        .size:           2
        .value_kind:     hidden_remainder_x
      - .offset:         164
        .size:           2
        .value_kind:     hidden_remainder_y
      - .offset:         166
        .size:           2
        .value_kind:     hidden_remainder_z
      - .offset:         184
        .size:           8
        .value_kind:     hidden_global_offset_x
      - .offset:         192
        .size:           8
        .value_kind:     hidden_global_offset_y
      - .offset:         200
        .size:           8
        .value_kind:     hidden_global_offset_z
      - .offset:         208
        .size:           2
        .value_kind:     hidden_grid_dims
    .group_segment_fixed_size: 16384
    .kernarg_segment_align: 8
    .kernarg_segment_size: 400
    .language:       OpenCL C
    .language_version:
      - 2
      - 0
    .max_flat_workgroup_size: 1024
    .name:           _ZL20rocblas_gemvn_kernelILi64ELi16ElDF16_fDF16_EviiT3_lPKT2_lT1_lS3_lS4_lS0_lPT4_lS4_li
    .private_segment_fixed_size: 0
    .sgpr_count:     59
    .sgpr_spill_count: 0
    .symbol:         _ZL20rocblas_gemvn_kernelILi64ELi16ElDF16_fDF16_EviiT3_lPKT2_lT1_lS3_lS4_lS0_lPT4_lS4_li.kd
    .uniform_work_group_size: 1
    .uses_dynamic_stack: false
    .vgpr_count:     55
    .vgpr_spill_count: 0
    .wavefront_size: 64
  - .agpr_count:     0
    .args:
      - .offset:         0
        .size:           4
        .value_kind:     by_value
      - .offset:         4
        .size:           4
        .value_kind:     by_value
      - .address_space:  global
        .offset:         8
        .size:           8
        .value_kind:     global_buffer
      - .offset:         16
        .size:           8
        .value_kind:     by_value
      - .address_space:  global
        .offset:         24
        .size:           8
        .value_kind:     global_buffer
      - .offset:         32
        .size:           8
        .value_kind:     by_value
      - .offset:         40
        .size:           4
        .value_kind:     by_value
      - .offset:         48
        .size:           8
        .value_kind:     by_value
      - .address_space:  global
        .offset:         56
        .size:           8
        .value_kind:     global_buffer
      - .offset:         64
        .size:           8
        .value_kind:     by_value
      - .offset:         72
        .size:           4
        .value_kind:     by_value
      - .offset:         80
        .size:           8
        .value_kind:     by_value
      - .address_space:  global
        .offset:         88
        .size:           8
        .value_kind:     global_buffer
      - .offset:         96
        .size:           8
        .value_kind:     by_value
      - .address_space:  global
        .offset:         104
        .size:           8
        .value_kind:     global_buffer
      - .offset:         112
        .size:           8
        .value_kind:     by_value
      - .offset:         120
        .size:           4
        .value_kind:     by_value
      - .offset:         128
        .size:           8
        .value_kind:     by_value
    .group_segment_fixed_size: 256
    .kernarg_segment_align: 8
    .kernarg_segment_size: 136
    .language:       OpenCL C
    .language_version:
      - 2
      - 0
    .max_flat_workgroup_size: 256
    .name:           _ZL22rocblas_gemvtsm_kernelILb0ELi256EDF16_PKfDF16_EviiT2_lPKT1_lilS5_lilS2_lPT3_lil
    .private_segment_fixed_size: 0
    .sgpr_count:     35
    .sgpr_spill_count: 0
    .symbol:         _ZL22rocblas_gemvtsm_kernelILb0ELi256EDF16_PKfDF16_EviiT2_lPKT1_lilS5_lilS2_lPT3_lil.kd
    .uniform_work_group_size: 1
    .uses_dynamic_stack: false
    .vgpr_count:     22
    .vgpr_spill_count: 0
    .wavefront_size: 64
  - .agpr_count:     0
    .args:
      - .offset:         0
        .size:           4
        .value_kind:     by_value
      - .offset:         4
        .size:           4
        .value_kind:     by_value
      - .offset:         8
        .size:           4
        .value_kind:     by_value
      - .offset:         16
        .size:           8
        .value_kind:     by_value
      - .address_space:  global
        .offset:         24
        .size:           8
        .value_kind:     global_buffer
      - .offset:         32
        .size:           8
        .value_kind:     by_value
      - .offset:         40
        .size:           4
        .value_kind:     by_value
      - .offset:         48
        .size:           8
        .value_kind:     by_value
      - .address_space:  global
        .offset:         56
        .size:           8
        .value_kind:     global_buffer
      - .offset:         64
        .size:           8
        .value_kind:     by_value
      - .offset:         72
        .size:           4
        .value_kind:     by_value
      - .offset:         80
        .size:           8
        .value_kind:     by_value
      - .offset:         88
        .size:           4
        .value_kind:     by_value
      - .offset:         96
        .size:           8
        .value_kind:     by_value
      - .address_space:  global
        .offset:         104
        .size:           8
        .value_kind:     global_buffer
      - .offset:         112
        .size:           8
        .value_kind:     by_value
      - .offset:         120
        .size:           4
        .value_kind:     by_value
      - .offset:         128
        .size:           8
        .value_kind:     by_value
    .group_segment_fixed_size: 256
    .kernarg_segment_align: 8
    .kernarg_segment_size: 136
    .language:       OpenCL C
    .language_version:
      - 2
      - 0
    .max_flat_workgroup_size: 256
    .name:           _ZL22rocblas_gemvtsm_kernelILb0ELi256EDF16_fDF16_EviiT2_lPKT1_lilS3_lilS0_lPT3_lil
    .private_segment_fixed_size: 0
    .sgpr_count:     38
    .sgpr_spill_count: 0
    .symbol:         _ZL22rocblas_gemvtsm_kernelILb0ELi256EDF16_fDF16_EviiT2_lPKT1_lilS3_lilS0_lPT3_lil.kd
    .uniform_work_group_size: 1
    .uses_dynamic_stack: false
    .vgpr_count:     22
    .vgpr_spill_count: 0
    .wavefront_size: 64
  - .agpr_count:     0
    .args:
      - .offset:         0
        .size:           4
        .value_kind:     by_value
      - .offset:         4
        .size:           4
        .value_kind:     by_value
      - .address_space:  global
        .offset:         8
        .size:           8
        .value_kind:     global_buffer
      - .offset:         16
        .size:           8
        .value_kind:     by_value
      - .address_space:  global
        .offset:         24
        .size:           8
        .value_kind:     global_buffer
      - .offset:         32
        .size:           8
        .value_kind:     by_value
      - .offset:         40
        .size:           4
        .value_kind:     by_value
      - .offset:         48
        .size:           8
        .value_kind:     by_value
      - .address_space:  global
        .offset:         56
        .size:           8
        .value_kind:     global_buffer
      - .offset:         64
        .size:           8
        .value_kind:     by_value
      - .offset:         72
        .size:           4
        .value_kind:     by_value
      - .offset:         80
        .size:           8
        .value_kind:     by_value
      - .address_space:  global
        .offset:         88
        .size:           8
        .value_kind:     global_buffer
      - .offset:         96
        .size:           4
        .value_kind:     by_value
      - .offset:         104
        .size:           4
        .value_kind:     hidden_block_count_x
      - .offset:         108
        .size:           4
        .value_kind:     hidden_block_count_y
      - .offset:         112
        .size:           4
        .value_kind:     hidden_block_count_z
      - .offset:         116
        .size:           2
        .value_kind:     hidden_group_size_x
      - .offset:         118
        .size:           2
        .value_kind:     hidden_group_size_y
      - .offset:         120
        .size:           2
        .value_kind:     hidden_group_size_z
      - .offset:         122
        .size:           2
        .value_kind:     hidden_remainder_x
      - .offset:         124
        .size:           2
        .value_kind:     hidden_remainder_y
      - .offset:         126
        .size:           2
        .value_kind:     hidden_remainder_z
      - .offset:         144
        .size:           8
        .value_kind:     hidden_global_offset_x
      - .offset:         152
        .size:           8
        .value_kind:     hidden_global_offset_y
      - .offset:         160
        .size:           8
        .value_kind:     hidden_global_offset_z
      - .offset:         168
        .size:           2
        .value_kind:     hidden_grid_dims
    .group_segment_fixed_size: 256
    .kernarg_segment_align: 8
    .kernarg_segment_size: 360
    .language:       OpenCL C
    .language_version:
      - 2
      - 0
    .max_flat_workgroup_size: 256
    .name:           _ZL23rocblas_gemvt_sn_kernelILb0ELi256ELi4EiDF16_PKffEviiT4_lPKT3_lilS5_lilPT5_i
    .private_segment_fixed_size: 0
    .sgpr_count:     66
    .sgpr_spill_count: 0
    .symbol:         _ZL23rocblas_gemvt_sn_kernelILb0ELi256ELi4EiDF16_PKffEviiT4_lPKT3_lilS5_lilPT5_i.kd
    .uniform_work_group_size: 1
    .uses_dynamic_stack: false
    .vgpr_count:     49
    .vgpr_spill_count: 0
    .wavefront_size: 64
  - .agpr_count:     0
    .args:
      - .offset:         0
        .size:           4
        .value_kind:     by_value
      - .offset:         4
        .size:           4
        .value_kind:     by_value
      - .address_space:  global
        .offset:         8
        .size:           8
        .value_kind:     global_buffer
      - .offset:         16
        .size:           8
        .value_kind:     by_value
      - .address_space:  global
        .offset:         24
        .size:           8
        .value_kind:     global_buffer
      - .offset:         32
        .size:           8
        .value_kind:     by_value
      - .offset:         40
        .size:           4
        .value_kind:     by_value
      - .offset:         48
        .size:           8
        .value_kind:     by_value
      - .address_space:  global
        .offset:         56
        .size:           8
        .value_kind:     global_buffer
      - .offset:         64
        .size:           8
        .value_kind:     by_value
      - .offset:         72
        .size:           4
        .value_kind:     by_value
      - .offset:         80
        .size:           8
        .value_kind:     by_value
      - .address_space:  global
        .offset:         88
        .size:           8
        .value_kind:     global_buffer
      - .offset:         96
        .size:           4
        .value_kind:     by_value
      - .offset:         104
        .size:           4
        .value_kind:     hidden_block_count_x
      - .offset:         108
        .size:           4
        .value_kind:     hidden_block_count_y
      - .offset:         112
        .size:           4
        .value_kind:     hidden_block_count_z
      - .offset:         116
        .size:           2
        .value_kind:     hidden_group_size_x
      - .offset:         118
        .size:           2
        .value_kind:     hidden_group_size_y
      - .offset:         120
        .size:           2
        .value_kind:     hidden_group_size_z
      - .offset:         122
        .size:           2
        .value_kind:     hidden_remainder_x
      - .offset:         124
        .size:           2
        .value_kind:     hidden_remainder_y
      - .offset:         126
        .size:           2
        .value_kind:     hidden_remainder_z
      - .offset:         144
        .size:           8
        .value_kind:     hidden_global_offset_x
      - .offset:         152
        .size:           8
        .value_kind:     hidden_global_offset_y
      - .offset:         160
        .size:           8
        .value_kind:     hidden_global_offset_z
      - .offset:         168
        .size:           2
        .value_kind:     hidden_grid_dims
    .group_segment_fixed_size: 256
    .kernarg_segment_align: 8
    .kernarg_segment_size: 360
    .language:       OpenCL C
    .language_version:
      - 2
      - 0
    .max_flat_workgroup_size: 256
    .name:           _ZL23rocblas_gemvt_sn_kernelILb0ELi256ELi4ElDF16_PKffEviiT4_lPKT3_lilS5_lilPT5_i
    .private_segment_fixed_size: 0
    .sgpr_count:     75
    .sgpr_spill_count: 0
    .symbol:         _ZL23rocblas_gemvt_sn_kernelILb0ELi256ELi4ElDF16_PKffEviiT4_lPKT3_lilS5_lilPT5_i.kd
    .uniform_work_group_size: 1
    .uses_dynamic_stack: false
    .vgpr_count:     53
    .vgpr_spill_count: 0
    .wavefront_size: 64
  - .agpr_count:     0
    .args:
      - .offset:         0
        .size:           4
        .value_kind:     by_value
      - .address_space:  global
        .offset:         8
        .size:           8
        .value_kind:     global_buffer
      - .offset:         16
        .size:           8
        .value_kind:     by_value
      - .address_space:  global
        .offset:         24
        .size:           8
        .value_kind:     global_buffer
      - .offset:         32
        .size:           8
        .value_kind:     by_value
      - .offset:         40
        .size:           4
        .value_kind:     by_value
      - .offset:         48
        .size:           8
        .value_kind:     by_value
      - .actual_access:  read_only
        .address_space:  global
        .offset:         56
        .size:           8
        .value_kind:     global_buffer
      - .offset:         64
        .size:           4
        .value_kind:     by_value
      - .offset:         72
        .size:           4
        .value_kind:     hidden_block_count_x
      - .offset:         76
        .size:           4
        .value_kind:     hidden_block_count_y
      - .offset:         80
        .size:           4
        .value_kind:     hidden_block_count_z
      - .offset:         84
        .size:           2
        .value_kind:     hidden_group_size_x
      - .offset:         86
        .size:           2
        .value_kind:     hidden_group_size_y
      - .offset:         88
        .size:           2
        .value_kind:     hidden_group_size_z
      - .offset:         90
        .size:           2
        .value_kind:     hidden_remainder_x
      - .offset:         92
        .size:           2
        .value_kind:     hidden_remainder_y
      - .offset:         94
        .size:           2
        .value_kind:     hidden_remainder_z
      - .offset:         112
        .size:           8
        .value_kind:     hidden_global_offset_x
      - .offset:         120
        .size:           8
        .value_kind:     hidden_global_offset_y
      - .offset:         128
        .size:           8
        .value_kind:     hidden_global_offset_z
      - .offset:         136
        .size:           2
        .value_kind:     hidden_grid_dims
    .group_segment_fixed_size: 256
    .kernarg_segment_align: 8
    .kernarg_segment_size: 328
    .language:       OpenCL C
    .language_version:
      - 2
      - 0
    .max_flat_workgroup_size: 256
    .name:           _ZL23rocblas_gemvt_sn_reduceILi256ELi8EfPKfDF16_EviT2_lPT3_lilPT1_i
    .private_segment_fixed_size: 0
    .sgpr_count:     28
    .sgpr_spill_count: 0
    .symbol:         _ZL23rocblas_gemvt_sn_reduceILi256ELi8EfPKfDF16_EviT2_lPT3_lilPT1_i.kd
    .uniform_work_group_size: 1
    .uses_dynamic_stack: false
    .vgpr_count:     14
    .vgpr_spill_count: 0
    .wavefront_size: 64
  - .agpr_count:     0
    .args:
      - .offset:         0
        .size:           4
        .value_kind:     by_value
      - .offset:         4
        .size:           4
        .value_kind:     by_value
      - .offset:         8
        .size:           4
        .value_kind:     by_value
      - .offset:         16
        .size:           8
        .value_kind:     by_value
      - .address_space:  global
        .offset:         24
        .size:           8
        .value_kind:     global_buffer
      - .offset:         32
        .size:           8
        .value_kind:     by_value
      - .offset:         40
        .size:           4
        .value_kind:     by_value
      - .offset:         48
        .size:           8
        .value_kind:     by_value
      - .address_space:  global
        .offset:         56
        .size:           8
        .value_kind:     global_buffer
      - .offset:         64
        .size:           8
        .value_kind:     by_value
      - .offset:         72
        .size:           4
        .value_kind:     by_value
      - .offset:         80
        .size:           8
        .value_kind:     by_value
      - .address_space:  global
        .offset:         88
        .size:           8
        .value_kind:     global_buffer
      - .offset:         96
        .size:           4
        .value_kind:     by_value
      - .offset:         104
        .size:           4
        .value_kind:     hidden_block_count_x
      - .offset:         108
        .size:           4
        .value_kind:     hidden_block_count_y
      - .offset:         112
        .size:           4
        .value_kind:     hidden_block_count_z
      - .offset:         116
        .size:           2
        .value_kind:     hidden_group_size_x
      - .offset:         118
        .size:           2
        .value_kind:     hidden_group_size_y
      - .offset:         120
        .size:           2
        .value_kind:     hidden_group_size_z
      - .offset:         122
        .size:           2
        .value_kind:     hidden_remainder_x
      - .offset:         124
        .size:           2
        .value_kind:     hidden_remainder_y
      - .offset:         126
        .size:           2
        .value_kind:     hidden_remainder_z
      - .offset:         144
        .size:           8
        .value_kind:     hidden_global_offset_x
      - .offset:         152
        .size:           8
        .value_kind:     hidden_global_offset_y
      - .offset:         160
        .size:           8
        .value_kind:     hidden_global_offset_z
      - .offset:         168
        .size:           2
        .value_kind:     hidden_grid_dims
    .group_segment_fixed_size: 256
    .kernarg_segment_align: 8
    .kernarg_segment_size: 360
    .language:       OpenCL C
    .language_version:
      - 2
      - 0
    .max_flat_workgroup_size: 256
    .name:           _ZL23rocblas_gemvt_sn_kernelILb0ELi256ELi4EiDF16_ffEviiT4_lPKT3_lilS3_lilPT5_i
    .private_segment_fixed_size: 0
    .sgpr_count:     67
    .sgpr_spill_count: 0
    .symbol:         _ZL23rocblas_gemvt_sn_kernelILb0ELi256ELi4EiDF16_ffEviiT4_lPKT3_lilS3_lilPT5_i.kd
    .uniform_work_group_size: 1
    .uses_dynamic_stack: false
    .vgpr_count:     49
    .vgpr_spill_count: 0
    .wavefront_size: 64
  - .agpr_count:     0
    .args:
      - .offset:         0
        .size:           4
        .value_kind:     by_value
      - .offset:         4
        .size:           4
        .value_kind:     by_value
      - .offset:         8
        .size:           4
        .value_kind:     by_value
      - .offset:         16
        .size:           8
        .value_kind:     by_value
      - .address_space:  global
        .offset:         24
        .size:           8
        .value_kind:     global_buffer
      - .offset:         32
        .size:           8
        .value_kind:     by_value
      - .offset:         40
        .size:           4
        .value_kind:     by_value
      - .offset:         48
        .size:           8
        .value_kind:     by_value
      - .address_space:  global
        .offset:         56
        .size:           8
        .value_kind:     global_buffer
      - .offset:         64
        .size:           8
        .value_kind:     by_value
      - .offset:         72
        .size:           4
        .value_kind:     by_value
      - .offset:         80
        .size:           8
        .value_kind:     by_value
      - .address_space:  global
        .offset:         88
        .size:           8
        .value_kind:     global_buffer
      - .offset:         96
        .size:           4
        .value_kind:     by_value
      - .offset:         104
        .size:           4
        .value_kind:     hidden_block_count_x
      - .offset:         108
        .size:           4
        .value_kind:     hidden_block_count_y
      - .offset:         112
        .size:           4
        .value_kind:     hidden_block_count_z
      - .offset:         116
        .size:           2
        .value_kind:     hidden_group_size_x
      - .offset:         118
        .size:           2
        .value_kind:     hidden_group_size_y
      - .offset:         120
        .size:           2
        .value_kind:     hidden_group_size_z
      - .offset:         122
        .size:           2
        .value_kind:     hidden_remainder_x
      - .offset:         124
        .size:           2
        .value_kind:     hidden_remainder_y
      - .offset:         126
        .size:           2
        .value_kind:     hidden_remainder_z
      - .offset:         144
        .size:           8
        .value_kind:     hidden_global_offset_x
      - .offset:         152
        .size:           8
        .value_kind:     hidden_global_offset_y
      - .offset:         160
        .size:           8
        .value_kind:     hidden_global_offset_z
      - .offset:         168
        .size:           2
        .value_kind:     hidden_grid_dims
    .group_segment_fixed_size: 256
    .kernarg_segment_align: 8
    .kernarg_segment_size: 360
    .language:       OpenCL C
    .language_version:
      - 2
      - 0
    .max_flat_workgroup_size: 256
    .name:           _ZL23rocblas_gemvt_sn_kernelILb0ELi256ELi4ElDF16_ffEviiT4_lPKT3_lilS3_lilPT5_i
    .private_segment_fixed_size: 0
    .sgpr_count:     75
    .sgpr_spill_count: 0
    .symbol:         _ZL23rocblas_gemvt_sn_kernelILb0ELi256ELi4ElDF16_ffEviiT4_lPKT3_lilS3_lilPT5_i.kd
    .uniform_work_group_size: 1
    .uses_dynamic_stack: false
    .vgpr_count:     53
    .vgpr_spill_count: 0
    .wavefront_size: 64
  - .agpr_count:     0
    .args:
      - .offset:         0
        .size:           4
        .value_kind:     by_value
      - .offset:         4
        .size:           4
        .value_kind:     by_value
      - .offset:         8
        .size:           8
        .value_kind:     by_value
      - .address_space:  global
        .offset:         16
        .size:           8
        .value_kind:     global_buffer
      - .offset:         24
        .size:           8
        .value_kind:     by_value
      - .offset:         32
        .size:           4
        .value_kind:     by_value
      - .offset:         40
        .size:           8
        .value_kind:     by_value
      - .actual_access:  read_only
        .address_space:  global
        .offset:         48
        .size:           8
        .value_kind:     global_buffer
      - .offset:         56
        .size:           4
        .value_kind:     by_value
      - .offset:         64
        .size:           4
        .value_kind:     hidden_block_count_x
      - .offset:         68
        .size:           4
        .value_kind:     hidden_block_count_y
      - .offset:         72
        .size:           4
        .value_kind:     hidden_block_count_z
      - .offset:         76
        .size:           2
        .value_kind:     hidden_group_size_x
      - .offset:         78
        .size:           2
        .value_kind:     hidden_group_size_y
      - .offset:         80
        .size:           2
        .value_kind:     hidden_group_size_z
      - .offset:         82
        .size:           2
        .value_kind:     hidden_remainder_x
      - .offset:         84
        .size:           2
        .value_kind:     hidden_remainder_y
      - .offset:         86
        .size:           2
        .value_kind:     hidden_remainder_z
      - .offset:         104
        .size:           8
        .value_kind:     hidden_global_offset_x
      - .offset:         112
        .size:           8
        .value_kind:     hidden_global_offset_y
      - .offset:         120
        .size:           8
        .value_kind:     hidden_global_offset_z
      - .offset:         128
        .size:           2
        .value_kind:     hidden_grid_dims
    .group_segment_fixed_size: 256
    .kernarg_segment_align: 8
    .kernarg_segment_size: 320
    .language:       OpenCL C
    .language_version:
      - 2
      - 0
    .max_flat_workgroup_size: 256
    .name:           _ZL23rocblas_gemvt_sn_reduceILi256ELi8EffDF16_EviT2_lPT3_lilPT1_i
    .private_segment_fixed_size: 0
    .sgpr_count:     24
    .sgpr_spill_count: 0
    .symbol:         _ZL23rocblas_gemvt_sn_reduceILi256ELi8EffDF16_EviT2_lPT3_lilPT1_i.kd
    .uniform_work_group_size: 1
    .uses_dynamic_stack: false
    .vgpr_count:     14
    .vgpr_spill_count: 0
    .wavefront_size: 64
  - .agpr_count:     0
    .args:
      - .offset:         0
        .size:           4
        .value_kind:     by_value
      - .offset:         4
        .size:           4
        .value_kind:     by_value
      - .address_space:  global
        .offset:         8
        .size:           8
        .value_kind:     global_buffer
      - .offset:         16
        .size:           8
        .value_kind:     by_value
      - .address_space:  global
        .offset:         24
        .size:           8
        .value_kind:     global_buffer
      - .offset:         32
        .size:           8
        .value_kind:     by_value
      - .offset:         40
        .size:           4
        .value_kind:     by_value
      - .offset:         48
        .size:           8
        .value_kind:     by_value
      - .address_space:  global
        .offset:         56
        .size:           8
        .value_kind:     global_buffer
      - .offset:         64
        .size:           8
        .value_kind:     by_value
      - .offset:         72
        .size:           4
        .value_kind:     by_value
      - .offset:         80
        .size:           8
        .value_kind:     by_value
      - .address_space:  global
        .offset:         88
        .size:           8
        .value_kind:     global_buffer
      - .offset:         96
        .size:           8
        .value_kind:     by_value
      - .address_space:  global
        .offset:         104
        .size:           8
        .value_kind:     global_buffer
      - .offset:         112
        .size:           8
        .value_kind:     by_value
      - .offset:         120
        .size:           4
        .value_kind:     by_value
      - .offset:         128
        .size:           8
        .value_kind:     by_value
      - .offset:         136
        .size:           4
        .value_kind:     by_value
    .group_segment_fixed_size: 256
    .kernarg_segment_align: 8
    .kernarg_segment_size: 140
    .language:       OpenCL C
    .language_version:
      - 2
      - 0
    .max_flat_workgroup_size: 256
    .name:           _ZL32rocblas_gemvt_warp_reduce_kernelILb0ELi256EiDF16_PKfDF16_EviiT3_lPKT2_lT1_lS5_lS6_lS2_lPT4_lS6_li
    .private_segment_fixed_size: 0
    .sgpr_count:     32
    .sgpr_spill_count: 0
    .symbol:         _ZL32rocblas_gemvt_warp_reduce_kernelILb0ELi256EiDF16_PKfDF16_EviiT3_lPKT2_lT1_lS5_lS6_lS2_lPT4_lS6_li.kd
    .uniform_work_group_size: 1
    .uses_dynamic_stack: false
    .vgpr_count:     12
    .vgpr_spill_count: 0
    .wavefront_size: 64
  - .agpr_count:     0
    .args:
      - .offset:         0
        .size:           4
        .value_kind:     by_value
      - .offset:         4
        .size:           4
        .value_kind:     by_value
      - .address_space:  global
        .offset:         8
        .size:           8
        .value_kind:     global_buffer
      - .offset:         16
        .size:           8
        .value_kind:     by_value
      - .address_space:  global
        .offset:         24
        .size:           8
        .value_kind:     global_buffer
      - .offset:         32
        .size:           8
        .value_kind:     by_value
      - .offset:         40
        .size:           8
        .value_kind:     by_value
      - .offset:         48
        .size:           8
        .value_kind:     by_value
      - .address_space:  global
        .offset:         56
        .size:           8
        .value_kind:     global_buffer
      - .offset:         64
        .size:           8
        .value_kind:     by_value
      - .offset:         72
        .size:           8
        .value_kind:     by_value
      - .offset:         80
        .size:           8
        .value_kind:     by_value
      - .address_space:  global
        .offset:         88
        .size:           8
        .value_kind:     global_buffer
      - .offset:         96
        .size:           8
        .value_kind:     by_value
      - .address_space:  global
        .offset:         104
        .size:           8
        .value_kind:     global_buffer
      - .offset:         112
        .size:           8
        .value_kind:     by_value
      - .offset:         120
        .size:           8
        .value_kind:     by_value
      - .offset:         128
        .size:           8
        .value_kind:     by_value
      - .offset:         136
        .size:           4
        .value_kind:     by_value
    .group_segment_fixed_size: 256
    .kernarg_segment_align: 8
    .kernarg_segment_size: 140
    .language:       OpenCL C
    .language_version:
      - 2
      - 0
    .max_flat_workgroup_size: 256
    .name:           _ZL32rocblas_gemvt_warp_reduce_kernelILb0ELi256ElDF16_PKfDF16_EviiT3_lPKT2_lT1_lS5_lS6_lS2_lPT4_lS6_li
    .private_segment_fixed_size: 0
    .sgpr_count:     58
    .sgpr_spill_count: 0
    .symbol:         _ZL32rocblas_gemvt_warp_reduce_kernelILb0ELi256ElDF16_PKfDF16_EviiT3_lPKT2_lT1_lS5_lS6_lS2_lPT4_lS6_li.kd
    .uniform_work_group_size: 1
    .uses_dynamic_stack: false
    .vgpr_count:     11
    .vgpr_spill_count: 0
    .wavefront_size: 64
  - .agpr_count:     0
    .args:
      - .offset:         0
        .size:           4
        .value_kind:     by_value
      - .offset:         4
        .size:           4
        .value_kind:     by_value
      - .offset:         8
        .size:           4
        .value_kind:     by_value
      - .offset:         16
        .size:           8
        .value_kind:     by_value
      - .address_space:  global
        .offset:         24
        .size:           8
        .value_kind:     global_buffer
      - .offset:         32
        .size:           8
        .value_kind:     by_value
      - .offset:         40
        .size:           4
        .value_kind:     by_value
      - .offset:         48
        .size:           8
        .value_kind:     by_value
      - .address_space:  global
        .offset:         56
        .size:           8
        .value_kind:     global_buffer
      - .offset:         64
        .size:           8
        .value_kind:     by_value
      - .offset:         72
        .size:           4
        .value_kind:     by_value
      - .offset:         80
        .size:           8
        .value_kind:     by_value
      - .offset:         88
        .size:           4
        .value_kind:     by_value
      - .offset:         96
        .size:           8
        .value_kind:     by_value
      - .address_space:  global
        .offset:         104
        .size:           8
        .value_kind:     global_buffer
      - .offset:         112
        .size:           8
        .value_kind:     by_value
      - .offset:         120
        .size:           4
        .value_kind:     by_value
      - .offset:         128
        .size:           8
        .value_kind:     by_value
      - .offset:         136
        .size:           4
        .value_kind:     by_value
    .group_segment_fixed_size: 256
    .kernarg_segment_align: 8
    .kernarg_segment_size: 140
    .language:       OpenCL C
    .language_version:
      - 2
      - 0
    .max_flat_workgroup_size: 256
    .name:           _ZL32rocblas_gemvt_warp_reduce_kernelILb0ELi256EiDF16_fDF16_EviiT3_lPKT2_lT1_lS3_lS4_lS0_lPT4_lS4_li
    .private_segment_fixed_size: 0
    .sgpr_count:     32
    .sgpr_spill_count: 0
    .symbol:         _ZL32rocblas_gemvt_warp_reduce_kernelILb0ELi256EiDF16_fDF16_EviiT3_lPKT2_lT1_lS3_lS4_lS0_lPT4_lS4_li.kd
    .uniform_work_group_size: 1
    .uses_dynamic_stack: false
    .vgpr_count:     12
    .vgpr_spill_count: 0
    .wavefront_size: 64
  - .agpr_count:     0
    .args:
      - .offset:         0
        .size:           4
        .value_kind:     by_value
      - .offset:         4
        .size:           4
        .value_kind:     by_value
      - .offset:         8
        .size:           4
        .value_kind:     by_value
      - .offset:         16
        .size:           8
        .value_kind:     by_value
      - .address_space:  global
        .offset:         24
        .size:           8
        .value_kind:     global_buffer
      - .offset:         32
        .size:           8
        .value_kind:     by_value
      - .offset:         40
        .size:           8
        .value_kind:     by_value
      - .offset:         48
        .size:           8
        .value_kind:     by_value
      - .address_space:  global
        .offset:         56
        .size:           8
        .value_kind:     global_buffer
      - .offset:         64
        .size:           8
        .value_kind:     by_value
      - .offset:         72
        .size:           8
        .value_kind:     by_value
      - .offset:         80
        .size:           8
        .value_kind:     by_value
      - .offset:         88
        .size:           4
        .value_kind:     by_value
      - .offset:         96
        .size:           8
        .value_kind:     by_value
      - .address_space:  global
        .offset:         104
        .size:           8
        .value_kind:     global_buffer
      - .offset:         112
        .size:           8
        .value_kind:     by_value
      - .offset:         120
        .size:           8
        .value_kind:     by_value
      - .offset:         128
        .size:           8
        .value_kind:     by_value
      - .offset:         136
        .size:           4
        .value_kind:     by_value
    .group_segment_fixed_size: 256
    .kernarg_segment_align: 8
    .kernarg_segment_size: 140
    .language:       OpenCL C
    .language_version:
      - 2
      - 0
    .max_flat_workgroup_size: 256
    .name:           _ZL32rocblas_gemvt_warp_reduce_kernelILb0ELi256ElDF16_fDF16_EviiT3_lPKT2_lT1_lS3_lS4_lS0_lPT4_lS4_li
    .private_segment_fixed_size: 0
    .sgpr_count:     35
    .sgpr_spill_count: 0
    .symbol:         _ZL32rocblas_gemvt_warp_reduce_kernelILb0ELi256ElDF16_fDF16_EviiT3_lPKT2_lT1_lS3_lS4_lS0_lPT4_lS4_li.kd
    .uniform_work_group_size: 1
    .uses_dynamic_stack: false
    .vgpr_count:     11
    .vgpr_spill_count: 0
    .wavefront_size: 64
  - .agpr_count:     0
    .args:
      - .offset:         0
        .size:           4
        .value_kind:     by_value
      - .offset:         4
        .size:           4
        .value_kind:     by_value
      - .address_space:  global
        .offset:         8
        .size:           8
        .value_kind:     global_buffer
      - .offset:         16
        .size:           8
        .value_kind:     by_value
      - .address_space:  global
        .offset:         24
        .size:           8
        .value_kind:     global_buffer
      - .offset:         32
        .size:           8
        .value_kind:     by_value
      - .offset:         40
        .size:           4
        .value_kind:     by_value
      - .offset:         48
        .size:           8
        .value_kind:     by_value
      - .address_space:  global
        .offset:         56
        .size:           8
        .value_kind:     global_buffer
      - .offset:         64
        .size:           8
        .value_kind:     by_value
      - .offset:         72
        .size:           4
        .value_kind:     by_value
      - .offset:         80
        .size:           8
        .value_kind:     by_value
      - .address_space:  global
        .offset:         88
        .size:           8
        .value_kind:     global_buffer
      - .offset:         96
        .size:           8
        .value_kind:     by_value
      - .address_space:  global
        .offset:         104
        .size:           8
        .value_kind:     global_buffer
      - .offset:         112
        .size:           8
        .value_kind:     by_value
      - .offset:         120
        .size:           4
        .value_kind:     by_value
      - .offset:         128
        .size:           8
        .value_kind:     by_value
      - .offset:         136
        .size:           4
        .value_kind:     by_value
    .group_segment_fixed_size: 1024
    .kernarg_segment_align: 8
    .kernarg_segment_size: 140
    .language:       OpenCL C
    .language_version:
      - 2
      - 0
    .max_flat_workgroup_size: 256
    .name:           _ZL20rocblas_gemvt_kernelILb0ELi256EDF16_PKfDF16_EviiT2_lPKT1_lilS5_lilS2_lPT3_lili
    .private_segment_fixed_size: 0
    .sgpr_count:     32
    .sgpr_spill_count: 0
    .symbol:         _ZL20rocblas_gemvt_kernelILb0ELi256EDF16_PKfDF16_EviiT2_lPKT1_lilS5_lilS2_lPT3_lili.kd
    .uniform_work_group_size: 1
    .uses_dynamic_stack: false
    .vgpr_count:     10
    .vgpr_spill_count: 0
    .wavefront_size: 64
  - .agpr_count:     0
    .args:
      - .offset:         0
        .size:           4
        .value_kind:     by_value
      - .offset:         4
        .size:           4
        .value_kind:     by_value
      - .offset:         8
        .size:           4
        .value_kind:     by_value
      - .offset:         16
        .size:           8
        .value_kind:     by_value
      - .address_space:  global
        .offset:         24
        .size:           8
        .value_kind:     global_buffer
      - .offset:         32
        .size:           8
        .value_kind:     by_value
      - .offset:         40
        .size:           4
        .value_kind:     by_value
      - .offset:         48
        .size:           8
        .value_kind:     by_value
      - .address_space:  global
        .offset:         56
        .size:           8
        .value_kind:     global_buffer
      - .offset:         64
        .size:           8
        .value_kind:     by_value
      - .offset:         72
        .size:           4
        .value_kind:     by_value
      - .offset:         80
        .size:           8
        .value_kind:     by_value
      - .offset:         88
        .size:           4
        .value_kind:     by_value
      - .offset:         96
        .size:           8
        .value_kind:     by_value
      - .address_space:  global
        .offset:         104
        .size:           8
        .value_kind:     global_buffer
      - .offset:         112
        .size:           8
        .value_kind:     by_value
      - .offset:         120
        .size:           4
        .value_kind:     by_value
      - .offset:         128
        .size:           8
        .value_kind:     by_value
      - .offset:         136
        .size:           4
        .value_kind:     by_value
    .group_segment_fixed_size: 1024
    .kernarg_segment_align: 8
    .kernarg_segment_size: 140
    .language:       OpenCL C
    .language_version:
      - 2
      - 0
    .max_flat_workgroup_size: 256
    .name:           _ZL20rocblas_gemvt_kernelILb0ELi256EDF16_fDF16_EviiT2_lPKT1_lilS3_lilS0_lPT3_lili
    .private_segment_fixed_size: 0
    .sgpr_count:     34
    .sgpr_spill_count: 0
    .symbol:         _ZL20rocblas_gemvt_kernelILb0ELi256EDF16_fDF16_EviiT2_lPKT1_lilS3_lilS0_lPT3_lili.kd
    .uniform_work_group_size: 1
    .uses_dynamic_stack: false
    .vgpr_count:     10
    .vgpr_spill_count: 0
    .wavefront_size: 64
  - .agpr_count:     0
    .args:
      - .offset:         0
        .size:           4
        .value_kind:     by_value
      - .offset:         4
        .size:           4
        .value_kind:     by_value
      - .address_space:  global
        .offset:         8
        .size:           8
        .value_kind:     global_buffer
      - .offset:         16
        .size:           8
        .value_kind:     by_value
      - .address_space:  global
        .offset:         24
        .size:           8
        .value_kind:     global_buffer
      - .offset:         32
        .size:           8
        .value_kind:     by_value
      - .offset:         40
        .size:           4
        .value_kind:     by_value
      - .offset:         48
        .size:           8
        .value_kind:     by_value
      - .address_space:  global
        .offset:         56
        .size:           8
        .value_kind:     global_buffer
      - .offset:         64
        .size:           8
        .value_kind:     by_value
      - .offset:         72
        .size:           4
        .value_kind:     by_value
      - .offset:         80
        .size:           8
        .value_kind:     by_value
      - .address_space:  global
        .offset:         88
        .size:           8
        .value_kind:     global_buffer
      - .offset:         96
        .size:           8
        .value_kind:     by_value
      - .address_space:  global
        .offset:         104
        .size:           8
        .value_kind:     global_buffer
      - .offset:         112
        .size:           8
        .value_kind:     by_value
      - .offset:         120
        .size:           4
        .value_kind:     by_value
      - .offset:         128
        .size:           8
        .value_kind:     by_value
      - .offset:         136
        .size:           4
        .value_kind:     by_value
    .group_segment_fixed_size: 256
    .kernarg_segment_align: 8
    .kernarg_segment_size: 140
    .language:       OpenCL C
    .language_version:
      - 2
      - 0
    .max_flat_workgroup_size: 1024
    .name:           _ZL32rocblas_gemvt_warp_reduce_kernelILb0ELi1024EiDF16_PKfDF16_EviiT3_lPKT2_lT1_lS5_lS6_lS2_lPT4_lS6_li
    .private_segment_fixed_size: 0
    .sgpr_count:     32
    .sgpr_spill_count: 0
    .symbol:         _ZL32rocblas_gemvt_warp_reduce_kernelILb0ELi1024EiDF16_PKfDF16_EviiT3_lPKT2_lT1_lS5_lS6_lS2_lPT4_lS6_li.kd
    .uniform_work_group_size: 1
    .uses_dynamic_stack: false
    .vgpr_count:     12
    .vgpr_spill_count: 0
    .wavefront_size: 64
  - .agpr_count:     0
    .args:
      - .offset:         0
        .size:           4
        .value_kind:     by_value
      - .offset:         4
        .size:           4
        .value_kind:     by_value
      - .address_space:  global
        .offset:         8
        .size:           8
        .value_kind:     global_buffer
      - .offset:         16
        .size:           8
        .value_kind:     by_value
      - .address_space:  global
        .offset:         24
        .size:           8
        .value_kind:     global_buffer
      - .offset:         32
        .size:           8
        .value_kind:     by_value
      - .offset:         40
        .size:           8
        .value_kind:     by_value
      - .offset:         48
        .size:           8
        .value_kind:     by_value
      - .address_space:  global
        .offset:         56
        .size:           8
        .value_kind:     global_buffer
      - .offset:         64
        .size:           8
        .value_kind:     by_value
      - .offset:         72
        .size:           8
        .value_kind:     by_value
      - .offset:         80
        .size:           8
        .value_kind:     by_value
      - .address_space:  global
        .offset:         88
        .size:           8
        .value_kind:     global_buffer
      - .offset:         96
        .size:           8
        .value_kind:     by_value
      - .address_space:  global
        .offset:         104
        .size:           8
        .value_kind:     global_buffer
      - .offset:         112
        .size:           8
        .value_kind:     by_value
      - .offset:         120
        .size:           8
        .value_kind:     by_value
      - .offset:         128
        .size:           8
        .value_kind:     by_value
      - .offset:         136
        .size:           4
        .value_kind:     by_value
    .group_segment_fixed_size: 256
    .kernarg_segment_align: 8
    .kernarg_segment_size: 140
    .language:       OpenCL C
    .language_version:
      - 2
      - 0
    .max_flat_workgroup_size: 1024
    .name:           _ZL32rocblas_gemvt_warp_reduce_kernelILb0ELi1024ElDF16_PKfDF16_EviiT3_lPKT2_lT1_lS5_lS6_lS2_lPT4_lS6_li
    .private_segment_fixed_size: 0
    .sgpr_count:     58
    .sgpr_spill_count: 0
    .symbol:         _ZL32rocblas_gemvt_warp_reduce_kernelILb0ELi1024ElDF16_PKfDF16_EviiT3_lPKT2_lT1_lS5_lS6_lS2_lPT4_lS6_li.kd
    .uniform_work_group_size: 1
    .uses_dynamic_stack: false
    .vgpr_count:     11
    .vgpr_spill_count: 0
    .wavefront_size: 64
  - .agpr_count:     0
    .args:
      - .offset:         0
        .size:           4
        .value_kind:     by_value
      - .offset:         4
        .size:           4
        .value_kind:     by_value
      - .offset:         8
        .size:           4
        .value_kind:     by_value
      - .offset:         16
        .size:           8
        .value_kind:     by_value
      - .address_space:  global
        .offset:         24
        .size:           8
        .value_kind:     global_buffer
      - .offset:         32
        .size:           8
        .value_kind:     by_value
      - .offset:         40
        .size:           4
        .value_kind:     by_value
      - .offset:         48
        .size:           8
        .value_kind:     by_value
      - .address_space:  global
        .offset:         56
        .size:           8
        .value_kind:     global_buffer
      - .offset:         64
        .size:           8
        .value_kind:     by_value
      - .offset:         72
        .size:           4
        .value_kind:     by_value
      - .offset:         80
        .size:           8
        .value_kind:     by_value
      - .offset:         88
        .size:           4
        .value_kind:     by_value
      - .offset:         96
        .size:           8
        .value_kind:     by_value
      - .address_space:  global
        .offset:         104
        .size:           8
        .value_kind:     global_buffer
      - .offset:         112
        .size:           8
        .value_kind:     by_value
      - .offset:         120
        .size:           4
        .value_kind:     by_value
      - .offset:         128
        .size:           8
        .value_kind:     by_value
      - .offset:         136
        .size:           4
        .value_kind:     by_value
    .group_segment_fixed_size: 256
    .kernarg_segment_align: 8
    .kernarg_segment_size: 140
    .language:       OpenCL C
    .language_version:
      - 2
      - 0
    .max_flat_workgroup_size: 1024
    .name:           _ZL32rocblas_gemvt_warp_reduce_kernelILb0ELi1024EiDF16_fDF16_EviiT3_lPKT2_lT1_lS3_lS4_lS0_lPT4_lS4_li
    .private_segment_fixed_size: 0
    .sgpr_count:     32
    .sgpr_spill_count: 0
    .symbol:         _ZL32rocblas_gemvt_warp_reduce_kernelILb0ELi1024EiDF16_fDF16_EviiT3_lPKT2_lT1_lS3_lS4_lS0_lPT4_lS4_li.kd
    .uniform_work_group_size: 1
    .uses_dynamic_stack: false
    .vgpr_count:     12
    .vgpr_spill_count: 0
    .wavefront_size: 64
  - .agpr_count:     0
    .args:
      - .offset:         0
        .size:           4
        .value_kind:     by_value
      - .offset:         4
        .size:           4
        .value_kind:     by_value
      - .offset:         8
        .size:           4
        .value_kind:     by_value
      - .offset:         16
        .size:           8
        .value_kind:     by_value
      - .address_space:  global
        .offset:         24
        .size:           8
        .value_kind:     global_buffer
      - .offset:         32
        .size:           8
        .value_kind:     by_value
      - .offset:         40
        .size:           8
        .value_kind:     by_value
      - .offset:         48
        .size:           8
        .value_kind:     by_value
      - .address_space:  global
        .offset:         56
        .size:           8
        .value_kind:     global_buffer
      - .offset:         64
        .size:           8
        .value_kind:     by_value
      - .offset:         72
        .size:           8
        .value_kind:     by_value
      - .offset:         80
        .size:           8
        .value_kind:     by_value
      - .offset:         88
        .size:           4
        .value_kind:     by_value
      - .offset:         96
        .size:           8
        .value_kind:     by_value
      - .address_space:  global
        .offset:         104
        .size:           8
        .value_kind:     global_buffer
      - .offset:         112
        .size:           8
        .value_kind:     by_value
      - .offset:         120
        .size:           8
        .value_kind:     by_value
      - .offset:         128
        .size:           8
        .value_kind:     by_value
      - .offset:         136
        .size:           4
        .value_kind:     by_value
    .group_segment_fixed_size: 256
    .kernarg_segment_align: 8
    .kernarg_segment_size: 140
    .language:       OpenCL C
    .language_version:
      - 2
      - 0
    .max_flat_workgroup_size: 1024
    .name:           _ZL32rocblas_gemvt_warp_reduce_kernelILb0ELi1024ElDF16_fDF16_EviiT3_lPKT2_lT1_lS3_lS4_lS0_lPT4_lS4_li
    .private_segment_fixed_size: 0
    .sgpr_count:     35
    .sgpr_spill_count: 0
    .symbol:         _ZL32rocblas_gemvt_warp_reduce_kernelILb0ELi1024ElDF16_fDF16_EviiT3_lPKT2_lT1_lS3_lS4_lS0_lPT4_lS4_li.kd
    .uniform_work_group_size: 1
    .uses_dynamic_stack: false
    .vgpr_count:     11
    .vgpr_spill_count: 0
    .wavefront_size: 64
  - .agpr_count:     0
    .args:
      - .offset:         0
        .size:           4
        .value_kind:     by_value
      - .offset:         4
        .size:           4
        .value_kind:     by_value
      - .address_space:  global
        .offset:         8
        .size:           8
        .value_kind:     global_buffer
      - .offset:         16
        .size:           8
        .value_kind:     by_value
      - .address_space:  global
        .offset:         24
        .size:           8
        .value_kind:     global_buffer
      - .offset:         32
        .size:           8
        .value_kind:     by_value
      - .offset:         40
        .size:           4
        .value_kind:     by_value
      - .offset:         48
        .size:           8
        .value_kind:     by_value
      - .address_space:  global
        .offset:         56
        .size:           8
        .value_kind:     global_buffer
      - .offset:         64
        .size:           8
        .value_kind:     by_value
      - .offset:         72
        .size:           4
        .value_kind:     by_value
      - .offset:         80
        .size:           8
        .value_kind:     by_value
      - .address_space:  global
        .offset:         88
        .size:           8
        .value_kind:     global_buffer
      - .offset:         96
        .size:           8
        .value_kind:     by_value
      - .address_space:  global
        .offset:         104
        .size:           8
        .value_kind:     global_buffer
      - .offset:         112
        .size:           8
        .value_kind:     by_value
      - .offset:         120
        .size:           4
        .value_kind:     by_value
      - .offset:         128
        .size:           8
        .value_kind:     by_value
    .group_segment_fixed_size: 256
    .kernarg_segment_align: 8
    .kernarg_segment_size: 136
    .language:       OpenCL C
    .language_version:
      - 2
      - 0
    .max_flat_workgroup_size: 256
    .name:           _ZL22rocblas_gemvtsm_kernelILb1ELi256EDF16_PKfDF16_EviiT2_lPKT1_lilS5_lilS2_lPT3_lil
    .private_segment_fixed_size: 0
    .sgpr_count:     35
    .sgpr_spill_count: 0
    .symbol:         _ZL22rocblas_gemvtsm_kernelILb1ELi256EDF16_PKfDF16_EviiT2_lPKT1_lilS5_lilS2_lPT3_lil.kd
    .uniform_work_group_size: 1
    .uses_dynamic_stack: false
    .vgpr_count:     22
    .vgpr_spill_count: 0
    .wavefront_size: 64
  - .agpr_count:     0
    .args:
      - .offset:         0
        .size:           4
        .value_kind:     by_value
      - .offset:         4
        .size:           4
        .value_kind:     by_value
      - .offset:         8
        .size:           4
        .value_kind:     by_value
      - .offset:         16
        .size:           8
        .value_kind:     by_value
      - .address_space:  global
        .offset:         24
        .size:           8
        .value_kind:     global_buffer
      - .offset:         32
        .size:           8
        .value_kind:     by_value
      - .offset:         40
        .size:           4
        .value_kind:     by_value
      - .offset:         48
        .size:           8
        .value_kind:     by_value
      - .address_space:  global
        .offset:         56
        .size:           8
        .value_kind:     global_buffer
      - .offset:         64
        .size:           8
        .value_kind:     by_value
      - .offset:         72
        .size:           4
        .value_kind:     by_value
      - .offset:         80
        .size:           8
        .value_kind:     by_value
      - .offset:         88
        .size:           4
        .value_kind:     by_value
      - .offset:         96
        .size:           8
        .value_kind:     by_value
      - .address_space:  global
        .offset:         104
        .size:           8
        .value_kind:     global_buffer
      - .offset:         112
        .size:           8
        .value_kind:     by_value
      - .offset:         120
        .size:           4
        .value_kind:     by_value
      - .offset:         128
        .size:           8
        .value_kind:     by_value
    .group_segment_fixed_size: 256
    .kernarg_segment_align: 8
    .kernarg_segment_size: 136
    .language:       OpenCL C
    .language_version:
      - 2
      - 0
    .max_flat_workgroup_size: 256
    .name:           _ZL22rocblas_gemvtsm_kernelILb1ELi256EDF16_fDF16_EviiT2_lPKT1_lilS3_lilS0_lPT3_lil
    .private_segment_fixed_size: 0
    .sgpr_count:     38
    .sgpr_spill_count: 0
    .symbol:         _ZL22rocblas_gemvtsm_kernelILb1ELi256EDF16_fDF16_EviiT2_lPKT1_lilS3_lilS0_lPT3_lil.kd
    .uniform_work_group_size: 1
    .uses_dynamic_stack: false
    .vgpr_count:     22
    .vgpr_spill_count: 0
    .wavefront_size: 64
  - .agpr_count:     0
    .args:
      - .offset:         0
        .size:           4
        .value_kind:     by_value
      - .offset:         4
        .size:           4
        .value_kind:     by_value
      - .address_space:  global
        .offset:         8
        .size:           8
        .value_kind:     global_buffer
      - .offset:         16
        .size:           8
        .value_kind:     by_value
      - .address_space:  global
        .offset:         24
        .size:           8
        .value_kind:     global_buffer
      - .offset:         32
        .size:           8
        .value_kind:     by_value
      - .offset:         40
        .size:           4
        .value_kind:     by_value
      - .offset:         48
        .size:           8
        .value_kind:     by_value
      - .address_space:  global
        .offset:         56
        .size:           8
        .value_kind:     global_buffer
      - .offset:         64
        .size:           8
        .value_kind:     by_value
      - .offset:         72
        .size:           4
        .value_kind:     by_value
      - .offset:         80
        .size:           8
        .value_kind:     by_value
      - .address_space:  global
        .offset:         88
        .size:           8
        .value_kind:     global_buffer
      - .offset:         96
        .size:           4
        .value_kind:     by_value
      - .offset:         104
        .size:           4
        .value_kind:     hidden_block_count_x
      - .offset:         108
        .size:           4
        .value_kind:     hidden_block_count_y
      - .offset:         112
        .size:           4
        .value_kind:     hidden_block_count_z
      - .offset:         116
        .size:           2
        .value_kind:     hidden_group_size_x
      - .offset:         118
        .size:           2
        .value_kind:     hidden_group_size_y
      - .offset:         120
        .size:           2
        .value_kind:     hidden_group_size_z
      - .offset:         122
        .size:           2
        .value_kind:     hidden_remainder_x
      - .offset:         124
        .size:           2
        .value_kind:     hidden_remainder_y
      - .offset:         126
        .size:           2
        .value_kind:     hidden_remainder_z
      - .offset:         144
        .size:           8
        .value_kind:     hidden_global_offset_x
      - .offset:         152
        .size:           8
        .value_kind:     hidden_global_offset_y
      - .offset:         160
        .size:           8
        .value_kind:     hidden_global_offset_z
      - .offset:         168
        .size:           2
        .value_kind:     hidden_grid_dims
    .group_segment_fixed_size: 256
    .kernarg_segment_align: 8
    .kernarg_segment_size: 360
    .language:       OpenCL C
    .language_version:
      - 2
      - 0
    .max_flat_workgroup_size: 256
    .name:           _ZL23rocblas_gemvt_sn_kernelILb1ELi256ELi4EiDF16_PKffEviiT4_lPKT3_lilS5_lilPT5_i
    .private_segment_fixed_size: 0
    .sgpr_count:     66
    .sgpr_spill_count: 0
    .symbol:         _ZL23rocblas_gemvt_sn_kernelILb1ELi256ELi4EiDF16_PKffEviiT4_lPKT3_lilS5_lilPT5_i.kd
    .uniform_work_group_size: 1
    .uses_dynamic_stack: false
    .vgpr_count:     49
    .vgpr_spill_count: 0
    .wavefront_size: 64
  - .agpr_count:     0
    .args:
      - .offset:         0
        .size:           4
        .value_kind:     by_value
      - .offset:         4
        .size:           4
        .value_kind:     by_value
      - .address_space:  global
        .offset:         8
        .size:           8
        .value_kind:     global_buffer
      - .offset:         16
        .size:           8
        .value_kind:     by_value
      - .address_space:  global
        .offset:         24
        .size:           8
        .value_kind:     global_buffer
      - .offset:         32
        .size:           8
        .value_kind:     by_value
      - .offset:         40
        .size:           4
        .value_kind:     by_value
      - .offset:         48
        .size:           8
        .value_kind:     by_value
      - .address_space:  global
        .offset:         56
        .size:           8
        .value_kind:     global_buffer
      - .offset:         64
        .size:           8
        .value_kind:     by_value
      - .offset:         72
        .size:           4
        .value_kind:     by_value
      - .offset:         80
        .size:           8
        .value_kind:     by_value
      - .address_space:  global
        .offset:         88
        .size:           8
        .value_kind:     global_buffer
      - .offset:         96
        .size:           4
        .value_kind:     by_value
      - .offset:         104
        .size:           4
        .value_kind:     hidden_block_count_x
      - .offset:         108
        .size:           4
        .value_kind:     hidden_block_count_y
      - .offset:         112
        .size:           4
        .value_kind:     hidden_block_count_z
      - .offset:         116
        .size:           2
        .value_kind:     hidden_group_size_x
      - .offset:         118
        .size:           2
        .value_kind:     hidden_group_size_y
      - .offset:         120
        .size:           2
        .value_kind:     hidden_group_size_z
      - .offset:         122
        .size:           2
        .value_kind:     hidden_remainder_x
      - .offset:         124
        .size:           2
        .value_kind:     hidden_remainder_y
      - .offset:         126
        .size:           2
        .value_kind:     hidden_remainder_z
      - .offset:         144
        .size:           8
        .value_kind:     hidden_global_offset_x
      - .offset:         152
        .size:           8
        .value_kind:     hidden_global_offset_y
      - .offset:         160
        .size:           8
        .value_kind:     hidden_global_offset_z
      - .offset:         168
        .size:           2
        .value_kind:     hidden_grid_dims
    .group_segment_fixed_size: 256
    .kernarg_segment_align: 8
    .kernarg_segment_size: 360
    .language:       OpenCL C
    .language_version:
      - 2
      - 0
    .max_flat_workgroup_size: 256
    .name:           _ZL23rocblas_gemvt_sn_kernelILb1ELi256ELi4ElDF16_PKffEviiT4_lPKT3_lilS5_lilPT5_i
    .private_segment_fixed_size: 0
    .sgpr_count:     75
    .sgpr_spill_count: 0
    .symbol:         _ZL23rocblas_gemvt_sn_kernelILb1ELi256ELi4ElDF16_PKffEviiT4_lPKT3_lilS5_lilPT5_i.kd
    .uniform_work_group_size: 1
    .uses_dynamic_stack: false
    .vgpr_count:     53
    .vgpr_spill_count: 0
    .wavefront_size: 64
  - .agpr_count:     0
    .args:
      - .offset:         0
        .size:           4
        .value_kind:     by_value
      - .offset:         4
        .size:           4
        .value_kind:     by_value
      - .offset:         8
        .size:           4
        .value_kind:     by_value
      - .offset:         16
        .size:           8
        .value_kind:     by_value
      - .address_space:  global
        .offset:         24
        .size:           8
        .value_kind:     global_buffer
      - .offset:         32
        .size:           8
        .value_kind:     by_value
      - .offset:         40
        .size:           4
        .value_kind:     by_value
      - .offset:         48
        .size:           8
        .value_kind:     by_value
      - .address_space:  global
        .offset:         56
        .size:           8
        .value_kind:     global_buffer
      - .offset:         64
        .size:           8
        .value_kind:     by_value
      - .offset:         72
        .size:           4
        .value_kind:     by_value
      - .offset:         80
        .size:           8
        .value_kind:     by_value
      - .address_space:  global
        .offset:         88
        .size:           8
        .value_kind:     global_buffer
      - .offset:         96
        .size:           4
        .value_kind:     by_value
      - .offset:         104
        .size:           4
        .value_kind:     hidden_block_count_x
      - .offset:         108
        .size:           4
        .value_kind:     hidden_block_count_y
      - .offset:         112
        .size:           4
        .value_kind:     hidden_block_count_z
      - .offset:         116
        .size:           2
        .value_kind:     hidden_group_size_x
      - .offset:         118
        .size:           2
        .value_kind:     hidden_group_size_y
      - .offset:         120
        .size:           2
        .value_kind:     hidden_group_size_z
      - .offset:         122
        .size:           2
        .value_kind:     hidden_remainder_x
      - .offset:         124
        .size:           2
        .value_kind:     hidden_remainder_y
      - .offset:         126
        .size:           2
        .value_kind:     hidden_remainder_z
      - .offset:         144
        .size:           8
        .value_kind:     hidden_global_offset_x
      - .offset:         152
        .size:           8
        .value_kind:     hidden_global_offset_y
      - .offset:         160
        .size:           8
        .value_kind:     hidden_global_offset_z
      - .offset:         168
        .size:           2
        .value_kind:     hidden_grid_dims
    .group_segment_fixed_size: 256
    .kernarg_segment_align: 8
    .kernarg_segment_size: 360
    .language:       OpenCL C
    .language_version:
      - 2
      - 0
    .max_flat_workgroup_size: 256
    .name:           _ZL23rocblas_gemvt_sn_kernelILb1ELi256ELi4EiDF16_ffEviiT4_lPKT3_lilS3_lilPT5_i
    .private_segment_fixed_size: 0
    .sgpr_count:     67
    .sgpr_spill_count: 0
    .symbol:         _ZL23rocblas_gemvt_sn_kernelILb1ELi256ELi4EiDF16_ffEviiT4_lPKT3_lilS3_lilPT5_i.kd
    .uniform_work_group_size: 1
    .uses_dynamic_stack: false
    .vgpr_count:     49
    .vgpr_spill_count: 0
    .wavefront_size: 64
  - .agpr_count:     0
    .args:
      - .offset:         0
        .size:           4
        .value_kind:     by_value
      - .offset:         4
        .size:           4
        .value_kind:     by_value
      - .offset:         8
        .size:           4
        .value_kind:     by_value
      - .offset:         16
        .size:           8
        .value_kind:     by_value
      - .address_space:  global
        .offset:         24
        .size:           8
        .value_kind:     global_buffer
      - .offset:         32
        .size:           8
        .value_kind:     by_value
      - .offset:         40
        .size:           4
        .value_kind:     by_value
      - .offset:         48
        .size:           8
        .value_kind:     by_value
      - .address_space:  global
        .offset:         56
        .size:           8
        .value_kind:     global_buffer
      - .offset:         64
        .size:           8
        .value_kind:     by_value
      - .offset:         72
        .size:           4
        .value_kind:     by_value
      - .offset:         80
        .size:           8
        .value_kind:     by_value
      - .address_space:  global
        .offset:         88
        .size:           8
        .value_kind:     global_buffer
      - .offset:         96
        .size:           4
        .value_kind:     by_value
      - .offset:         104
        .size:           4
        .value_kind:     hidden_block_count_x
      - .offset:         108
        .size:           4
        .value_kind:     hidden_block_count_y
      - .offset:         112
        .size:           4
        .value_kind:     hidden_block_count_z
      - .offset:         116
        .size:           2
        .value_kind:     hidden_group_size_x
      - .offset:         118
        .size:           2
        .value_kind:     hidden_group_size_y
      - .offset:         120
        .size:           2
        .value_kind:     hidden_group_size_z
      - .offset:         122
        .size:           2
        .value_kind:     hidden_remainder_x
      - .offset:         124
        .size:           2
        .value_kind:     hidden_remainder_y
      - .offset:         126
        .size:           2
        .value_kind:     hidden_remainder_z
      - .offset:         144
        .size:           8
        .value_kind:     hidden_global_offset_x
      - .offset:         152
        .size:           8
        .value_kind:     hidden_global_offset_y
      - .offset:         160
        .size:           8
        .value_kind:     hidden_global_offset_z
      - .offset:         168
        .size:           2
        .value_kind:     hidden_grid_dims
    .group_segment_fixed_size: 256
    .kernarg_segment_align: 8
    .kernarg_segment_size: 360
    .language:       OpenCL C
    .language_version:
      - 2
      - 0
    .max_flat_workgroup_size: 256
    .name:           _ZL23rocblas_gemvt_sn_kernelILb1ELi256ELi4ElDF16_ffEviiT4_lPKT3_lilS3_lilPT5_i
    .private_segment_fixed_size: 0
    .sgpr_count:     75
    .sgpr_spill_count: 0
    .symbol:         _ZL23rocblas_gemvt_sn_kernelILb1ELi256ELi4ElDF16_ffEviiT4_lPKT3_lilS3_lilPT5_i.kd
    .uniform_work_group_size: 1
    .uses_dynamic_stack: false
    .vgpr_count:     53
    .vgpr_spill_count: 0
    .wavefront_size: 64
  - .agpr_count:     0
    .args:
      - .offset:         0
        .size:           4
        .value_kind:     by_value
      - .offset:         4
        .size:           4
        .value_kind:     by_value
      - .address_space:  global
        .offset:         8
        .size:           8
        .value_kind:     global_buffer
      - .offset:         16
        .size:           8
        .value_kind:     by_value
      - .address_space:  global
        .offset:         24
        .size:           8
        .value_kind:     global_buffer
      - .offset:         32
        .size:           8
        .value_kind:     by_value
      - .offset:         40
        .size:           4
        .value_kind:     by_value
      - .offset:         48
        .size:           8
        .value_kind:     by_value
      - .address_space:  global
        .offset:         56
        .size:           8
        .value_kind:     global_buffer
      - .offset:         64
        .size:           8
        .value_kind:     by_value
      - .offset:         72
        .size:           4
        .value_kind:     by_value
      - .offset:         80
        .size:           8
        .value_kind:     by_value
      - .address_space:  global
        .offset:         88
        .size:           8
        .value_kind:     global_buffer
      - .offset:         96
        .size:           8
        .value_kind:     by_value
      - .address_space:  global
        .offset:         104
        .size:           8
        .value_kind:     global_buffer
      - .offset:         112
        .size:           8
        .value_kind:     by_value
      - .offset:         120
        .size:           4
        .value_kind:     by_value
      - .offset:         128
        .size:           8
        .value_kind:     by_value
      - .offset:         136
        .size:           4
        .value_kind:     by_value
    .group_segment_fixed_size: 1024
    .kernarg_segment_align: 8
    .kernarg_segment_size: 140
    .language:       OpenCL C
    .language_version:
      - 2
      - 0
    .max_flat_workgroup_size: 256
    .name:           _ZL20rocblas_gemvt_kernelILb1ELi256EDF16_PKfDF16_EviiT2_lPKT1_lilS5_lilS2_lPT3_lili
    .private_segment_fixed_size: 0
    .sgpr_count:     32
    .sgpr_spill_count: 0
    .symbol:         _ZL20rocblas_gemvt_kernelILb1ELi256EDF16_PKfDF16_EviiT2_lPKT1_lilS5_lilS2_lPT3_lili.kd
    .uniform_work_group_size: 1
    .uses_dynamic_stack: false
    .vgpr_count:     10
    .vgpr_spill_count: 0
    .wavefront_size: 64
  - .agpr_count:     0
    .args:
      - .offset:         0
        .size:           4
        .value_kind:     by_value
      - .offset:         4
        .size:           4
        .value_kind:     by_value
      - .offset:         8
        .size:           4
        .value_kind:     by_value
      - .offset:         16
        .size:           8
        .value_kind:     by_value
      - .address_space:  global
        .offset:         24
        .size:           8
        .value_kind:     global_buffer
      - .offset:         32
        .size:           8
        .value_kind:     by_value
      - .offset:         40
        .size:           4
        .value_kind:     by_value
      - .offset:         48
        .size:           8
        .value_kind:     by_value
      - .address_space:  global
        .offset:         56
        .size:           8
        .value_kind:     global_buffer
      - .offset:         64
        .size:           8
        .value_kind:     by_value
      - .offset:         72
        .size:           4
        .value_kind:     by_value
      - .offset:         80
        .size:           8
        .value_kind:     by_value
      - .offset:         88
        .size:           4
        .value_kind:     by_value
      - .offset:         96
        .size:           8
        .value_kind:     by_value
      - .address_space:  global
        .offset:         104
        .size:           8
        .value_kind:     global_buffer
      - .offset:         112
        .size:           8
        .value_kind:     by_value
      - .offset:         120
        .size:           4
        .value_kind:     by_value
      - .offset:         128
        .size:           8
        .value_kind:     by_value
      - .offset:         136
        .size:           4
        .value_kind:     by_value
    .group_segment_fixed_size: 1024
    .kernarg_segment_align: 8
    .kernarg_segment_size: 140
    .language:       OpenCL C
    .language_version:
      - 2
      - 0
    .max_flat_workgroup_size: 256
    .name:           _ZL20rocblas_gemvt_kernelILb1ELi256EDF16_fDF16_EviiT2_lPKT1_lilS3_lilS0_lPT3_lili
    .private_segment_fixed_size: 0
    .sgpr_count:     34
    .sgpr_spill_count: 0
    .symbol:         _ZL20rocblas_gemvt_kernelILb1ELi256EDF16_fDF16_EviiT2_lPKT1_lilS3_lilS0_lPT3_lili.kd
    .uniform_work_group_size: 1
    .uses_dynamic_stack: false
    .vgpr_count:     10
    .vgpr_spill_count: 0
    .wavefront_size: 64
  - .agpr_count:     0
    .args:
      - .offset:         0
        .size:           4
        .value_kind:     by_value
      - .offset:         4
        .size:           4
        .value_kind:     by_value
      - .address_space:  global
        .offset:         8
        .size:           8
        .value_kind:     global_buffer
      - .offset:         16
        .size:           8
        .value_kind:     by_value
      - .address_space:  global
        .offset:         24
        .size:           8
        .value_kind:     global_buffer
      - .offset:         32
        .size:           8
        .value_kind:     by_value
      - .offset:         40
        .size:           4
        .value_kind:     by_value
      - .offset:         48
        .size:           8
        .value_kind:     by_value
      - .address_space:  global
        .offset:         56
        .size:           8
        .value_kind:     global_buffer
      - .offset:         64
        .size:           8
        .value_kind:     by_value
      - .offset:         72
        .size:           4
        .value_kind:     by_value
      - .offset:         80
        .size:           8
        .value_kind:     by_value
      - .address_space:  global
        .offset:         88
        .size:           8
        .value_kind:     global_buffer
      - .offset:         96
        .size:           8
        .value_kind:     by_value
      - .address_space:  global
        .offset:         104
        .size:           8
        .value_kind:     global_buffer
      - .offset:         112
        .size:           8
        .value_kind:     by_value
      - .offset:         120
        .size:           4
        .value_kind:     by_value
      - .offset:         128
        .size:           8
        .value_kind:     by_value
      - .offset:         136
        .size:           4
        .value_kind:     by_value
    .group_segment_fixed_size: 256
    .kernarg_segment_align: 8
    .kernarg_segment_size: 140
    .language:       OpenCL C
    .language_version:
      - 2
      - 0
    .max_flat_workgroup_size: 1024
    .name:           _ZL32rocblas_gemvt_warp_reduce_kernelILb1ELi1024EiDF16_PKfDF16_EviiT3_lPKT2_lT1_lS5_lS6_lS2_lPT4_lS6_li
    .private_segment_fixed_size: 0
    .sgpr_count:     32
    .sgpr_spill_count: 0
    .symbol:         _ZL32rocblas_gemvt_warp_reduce_kernelILb1ELi1024EiDF16_PKfDF16_EviiT3_lPKT2_lT1_lS5_lS6_lS2_lPT4_lS6_li.kd
    .uniform_work_group_size: 1
    .uses_dynamic_stack: false
    .vgpr_count:     12
    .vgpr_spill_count: 0
    .wavefront_size: 64
  - .agpr_count:     0
    .args:
      - .offset:         0
        .size:           4
        .value_kind:     by_value
      - .offset:         4
        .size:           4
        .value_kind:     by_value
      - .address_space:  global
        .offset:         8
        .size:           8
        .value_kind:     global_buffer
      - .offset:         16
        .size:           8
        .value_kind:     by_value
      - .address_space:  global
        .offset:         24
        .size:           8
        .value_kind:     global_buffer
      - .offset:         32
        .size:           8
        .value_kind:     by_value
      - .offset:         40
        .size:           8
        .value_kind:     by_value
      - .offset:         48
        .size:           8
        .value_kind:     by_value
      - .address_space:  global
        .offset:         56
        .size:           8
        .value_kind:     global_buffer
      - .offset:         64
        .size:           8
        .value_kind:     by_value
      - .offset:         72
        .size:           8
        .value_kind:     by_value
      - .offset:         80
        .size:           8
        .value_kind:     by_value
      - .address_space:  global
        .offset:         88
        .size:           8
        .value_kind:     global_buffer
      - .offset:         96
        .size:           8
        .value_kind:     by_value
      - .address_space:  global
        .offset:         104
        .size:           8
        .value_kind:     global_buffer
      - .offset:         112
        .size:           8
        .value_kind:     by_value
      - .offset:         120
        .size:           8
        .value_kind:     by_value
      - .offset:         128
        .size:           8
        .value_kind:     by_value
      - .offset:         136
        .size:           4
        .value_kind:     by_value
    .group_segment_fixed_size: 256
    .kernarg_segment_align: 8
    .kernarg_segment_size: 140
    .language:       OpenCL C
    .language_version:
      - 2
      - 0
    .max_flat_workgroup_size: 1024
    .name:           _ZL32rocblas_gemvt_warp_reduce_kernelILb1ELi1024ElDF16_PKfDF16_EviiT3_lPKT2_lT1_lS5_lS6_lS2_lPT4_lS6_li
    .private_segment_fixed_size: 0
    .sgpr_count:     58
    .sgpr_spill_count: 0
    .symbol:         _ZL32rocblas_gemvt_warp_reduce_kernelILb1ELi1024ElDF16_PKfDF16_EviiT3_lPKT2_lT1_lS5_lS6_lS2_lPT4_lS6_li.kd
    .uniform_work_group_size: 1
    .uses_dynamic_stack: false
    .vgpr_count:     11
    .vgpr_spill_count: 0
    .wavefront_size: 64
  - .agpr_count:     0
    .args:
      - .offset:         0
        .size:           4
        .value_kind:     by_value
      - .offset:         4
        .size:           4
        .value_kind:     by_value
      - .offset:         8
        .size:           4
        .value_kind:     by_value
      - .offset:         16
        .size:           8
        .value_kind:     by_value
      - .address_space:  global
        .offset:         24
        .size:           8
        .value_kind:     global_buffer
      - .offset:         32
        .size:           8
        .value_kind:     by_value
      - .offset:         40
        .size:           4
        .value_kind:     by_value
      - .offset:         48
        .size:           8
        .value_kind:     by_value
      - .address_space:  global
        .offset:         56
        .size:           8
        .value_kind:     global_buffer
      - .offset:         64
        .size:           8
        .value_kind:     by_value
      - .offset:         72
        .size:           4
        .value_kind:     by_value
      - .offset:         80
        .size:           8
        .value_kind:     by_value
      - .offset:         88
        .size:           4
        .value_kind:     by_value
      - .offset:         96
        .size:           8
        .value_kind:     by_value
      - .address_space:  global
        .offset:         104
        .size:           8
        .value_kind:     global_buffer
      - .offset:         112
        .size:           8
        .value_kind:     by_value
      - .offset:         120
        .size:           4
        .value_kind:     by_value
      - .offset:         128
        .size:           8
        .value_kind:     by_value
      - .offset:         136
        .size:           4
        .value_kind:     by_value
    .group_segment_fixed_size: 256
    .kernarg_segment_align: 8
    .kernarg_segment_size: 140
    .language:       OpenCL C
    .language_version:
      - 2
      - 0
    .max_flat_workgroup_size: 1024
    .name:           _ZL32rocblas_gemvt_warp_reduce_kernelILb1ELi1024EiDF16_fDF16_EviiT3_lPKT2_lT1_lS3_lS4_lS0_lPT4_lS4_li
    .private_segment_fixed_size: 0
    .sgpr_count:     32
    .sgpr_spill_count: 0
    .symbol:         _ZL32rocblas_gemvt_warp_reduce_kernelILb1ELi1024EiDF16_fDF16_EviiT3_lPKT2_lT1_lS3_lS4_lS0_lPT4_lS4_li.kd
    .uniform_work_group_size: 1
    .uses_dynamic_stack: false
    .vgpr_count:     12
    .vgpr_spill_count: 0
    .wavefront_size: 64
  - .agpr_count:     0
    .args:
      - .offset:         0
        .size:           4
        .value_kind:     by_value
      - .offset:         4
        .size:           4
        .value_kind:     by_value
      - .offset:         8
        .size:           4
        .value_kind:     by_value
      - .offset:         16
        .size:           8
        .value_kind:     by_value
      - .address_space:  global
        .offset:         24
        .size:           8
        .value_kind:     global_buffer
      - .offset:         32
        .size:           8
        .value_kind:     by_value
      - .offset:         40
        .size:           8
        .value_kind:     by_value
      - .offset:         48
        .size:           8
        .value_kind:     by_value
      - .address_space:  global
        .offset:         56
        .size:           8
        .value_kind:     global_buffer
      - .offset:         64
        .size:           8
        .value_kind:     by_value
      - .offset:         72
        .size:           8
        .value_kind:     by_value
      - .offset:         80
        .size:           8
        .value_kind:     by_value
      - .offset:         88
        .size:           4
        .value_kind:     by_value
      - .offset:         96
        .size:           8
        .value_kind:     by_value
      - .address_space:  global
        .offset:         104
        .size:           8
        .value_kind:     global_buffer
      - .offset:         112
        .size:           8
        .value_kind:     by_value
      - .offset:         120
        .size:           8
        .value_kind:     by_value
      - .offset:         128
        .size:           8
        .value_kind:     by_value
      - .offset:         136
        .size:           4
        .value_kind:     by_value
    .group_segment_fixed_size: 256
    .kernarg_segment_align: 8
    .kernarg_segment_size: 140
    .language:       OpenCL C
    .language_version:
      - 2
      - 0
    .max_flat_workgroup_size: 1024
    .name:           _ZL32rocblas_gemvt_warp_reduce_kernelILb1ELi1024ElDF16_fDF16_EviiT3_lPKT2_lT1_lS3_lS4_lS0_lPT4_lS4_li
    .private_segment_fixed_size: 0
    .sgpr_count:     35
    .sgpr_spill_count: 0
    .symbol:         _ZL32rocblas_gemvt_warp_reduce_kernelILb1ELi1024ElDF16_fDF16_EviiT3_lPKT2_lT1_lS3_lS4_lS0_lPT4_lS4_li.kd
    .uniform_work_group_size: 1
    .uses_dynamic_stack: false
    .vgpr_count:     11
    .vgpr_spill_count: 0
    .wavefront_size: 64
  - .agpr_count:     0
    .args:
      - .offset:         0
        .size:           4
        .value_kind:     by_value
      - .offset:         4
        .size:           4
        .value_kind:     by_value
      - .address_space:  global
        .offset:         8
        .size:           8
        .value_kind:     global_buffer
      - .offset:         16
        .size:           8
        .value_kind:     by_value
      - .address_space:  global
        .offset:         24
        .size:           8
        .value_kind:     global_buffer
      - .offset:         32
        .size:           8
        .value_kind:     by_value
      - .offset:         40
        .size:           4
        .value_kind:     by_value
      - .offset:         48
        .size:           8
        .value_kind:     by_value
      - .address_space:  global
        .offset:         56
        .size:           8
        .value_kind:     global_buffer
      - .offset:         64
        .size:           8
        .value_kind:     by_value
      - .offset:         72
        .size:           4
        .value_kind:     by_value
      - .offset:         80
        .size:           8
        .value_kind:     by_value
      - .address_space:  global
        .offset:         88
        .size:           8
        .value_kind:     global_buffer
      - .offset:         96
        .size:           8
        .value_kind:     by_value
      - .address_space:  global
        .offset:         104
        .size:           8
        .value_kind:     global_buffer
      - .offset:         112
        .size:           8
        .value_kind:     by_value
      - .offset:         120
        .size:           4
        .value_kind:     by_value
      - .offset:         128
        .size:           8
        .value_kind:     by_value
      - .offset:         136
        .size:           4
        .value_kind:     by_value
      - .offset:         144
        .size:           4
        .value_kind:     hidden_block_count_x
      - .offset:         148
        .size:           4
        .value_kind:     hidden_block_count_y
      - .offset:         152
        .size:           4
        .value_kind:     hidden_block_count_z
      - .offset:         156
        .size:           2
        .value_kind:     hidden_group_size_x
      - .offset:         158
        .size:           2
        .value_kind:     hidden_group_size_y
      - .offset:         160
        .size:           2
        .value_kind:     hidden_group_size_z
      - .offset:         162
        .size:           2
        .value_kind:     hidden_remainder_x
      - .offset:         164
        .size:           2
        .value_kind:     hidden_remainder_y
      - .offset:         166
        .size:           2
        .value_kind:     hidden_remainder_z
      - .offset:         184
        .size:           8
        .value_kind:     hidden_global_offset_x
      - .offset:         192
        .size:           8
        .value_kind:     hidden_global_offset_y
      - .offset:         200
        .size:           8
        .value_kind:     hidden_global_offset_z
      - .offset:         208
        .size:           2
        .value_kind:     hidden_grid_dims
    .group_segment_fixed_size: 3072
    .kernarg_segment_align: 8
    .kernarg_segment_size: 400
    .language:       OpenCL C
    .language_version:
      - 2
      - 0
    .max_flat_workgroup_size: 768
    .name:           _ZL34rocblas_gemvn_sm_mn_batched_kernelILi32ELi24EPKDF16_PKfKPDF16_EviiT2_lPKT1_lilS9_lilS6_lPT3_lili
    .private_segment_fixed_size: 0
    .sgpr_count:     76
    .sgpr_spill_count: 0
    .symbol:         _ZL34rocblas_gemvn_sm_mn_batched_kernelILi32ELi24EPKDF16_PKfKPDF16_EviiT2_lPKT1_lilS9_lilS6_lPT3_lili.kd
    .uniform_work_group_size: 1
    .uses_dynamic_stack: false
    .vgpr_count:     42
    .vgpr_spill_count: 0
    .wavefront_size: 64
  - .agpr_count:     0
    .args:
      - .offset:         0
        .size:           4
        .value_kind:     by_value
      - .offset:         4
        .size:           4
        .value_kind:     by_value
      - .offset:         8
        .size:           4
        .value_kind:     by_value
      - .offset:         16
        .size:           8
        .value_kind:     by_value
      - .address_space:  global
        .offset:         24
        .size:           8
        .value_kind:     global_buffer
      - .offset:         32
        .size:           8
        .value_kind:     by_value
      - .offset:         40
        .size:           4
        .value_kind:     by_value
      - .offset:         48
        .size:           8
        .value_kind:     by_value
      - .address_space:  global
        .offset:         56
        .size:           8
        .value_kind:     global_buffer
      - .offset:         64
        .size:           8
        .value_kind:     by_value
      - .offset:         72
        .size:           4
        .value_kind:     by_value
      - .offset:         80
        .size:           8
        .value_kind:     by_value
      - .offset:         88
        .size:           4
        .value_kind:     by_value
      - .offset:         96
        .size:           8
        .value_kind:     by_value
      - .address_space:  global
        .offset:         104
        .size:           8
        .value_kind:     global_buffer
      - .offset:         112
        .size:           8
        .value_kind:     by_value
      - .offset:         120
        .size:           4
        .value_kind:     by_value
      - .offset:         128
        .size:           8
        .value_kind:     by_value
      - .offset:         136
        .size:           4
        .value_kind:     by_value
      - .offset:         144
        .size:           4
        .value_kind:     hidden_block_count_x
      - .offset:         148
        .size:           4
        .value_kind:     hidden_block_count_y
      - .offset:         152
        .size:           4
        .value_kind:     hidden_block_count_z
      - .offset:         156
        .size:           2
        .value_kind:     hidden_group_size_x
      - .offset:         158
        .size:           2
        .value_kind:     hidden_group_size_y
      - .offset:         160
        .size:           2
        .value_kind:     hidden_group_size_z
      - .offset:         162
        .size:           2
        .value_kind:     hidden_remainder_x
      - .offset:         164
        .size:           2
        .value_kind:     hidden_remainder_y
      - .offset:         166
        .size:           2
        .value_kind:     hidden_remainder_z
      - .offset:         184
        .size:           8
        .value_kind:     hidden_global_offset_x
      - .offset:         192
        .size:           8
        .value_kind:     hidden_global_offset_y
      - .offset:         200
        .size:           8
        .value_kind:     hidden_global_offset_z
      - .offset:         208
        .size:           2
        .value_kind:     hidden_grid_dims
    .group_segment_fixed_size: 3072
    .kernarg_segment_align: 8
    .kernarg_segment_size: 400
    .language:       OpenCL C
    .language_version:
      - 2
      - 0
    .max_flat_workgroup_size: 768
    .name:           _ZL34rocblas_gemvn_sm_mn_batched_kernelILi32ELi24EPKDF16_fKPDF16_EviiT2_lPKT1_lilS7_lilS4_lPT3_lili
    .private_segment_fixed_size: 0
    .sgpr_count:     76
    .sgpr_spill_count: 0
    .symbol:         _ZL34rocblas_gemvn_sm_mn_batched_kernelILi32ELi24EPKDF16_fKPDF16_EviiT2_lPKT1_lilS7_lilS4_lPT3_lili.kd
    .uniform_work_group_size: 1
    .uses_dynamic_stack: false
    .vgpr_count:     42
    .vgpr_spill_count: 0
    .wavefront_size: 64
  - .agpr_count:     0
    .args:
      - .offset:         0
        .size:           4
        .value_kind:     by_value
      - .offset:         4
        .size:           4
        .value_kind:     by_value
      - .address_space:  global
        .offset:         8
        .size:           8
        .value_kind:     global_buffer
      - .offset:         16
        .size:           8
        .value_kind:     by_value
      - .address_space:  global
        .offset:         24
        .size:           8
        .value_kind:     global_buffer
      - .offset:         32
        .size:           8
        .value_kind:     by_value
      - .offset:         40
        .size:           4
        .value_kind:     by_value
      - .offset:         48
        .size:           8
        .value_kind:     by_value
      - .address_space:  global
        .offset:         56
        .size:           8
        .value_kind:     global_buffer
      - .offset:         64
        .size:           8
        .value_kind:     by_value
      - .offset:         72
        .size:           4
        .value_kind:     by_value
      - .offset:         80
        .size:           8
        .value_kind:     by_value
      - .address_space:  global
        .offset:         88
        .size:           8
        .value_kind:     global_buffer
      - .offset:         96
        .size:           8
        .value_kind:     by_value
      - .address_space:  global
        .offset:         104
        .size:           8
        .value_kind:     global_buffer
      - .offset:         112
        .size:           8
        .value_kind:     by_value
      - .offset:         120
        .size:           4
        .value_kind:     by_value
      - .offset:         128
        .size:           8
        .value_kind:     by_value
      - .offset:         136
        .size:           4
        .value_kind:     by_value
      - .offset:         144
        .size:           4
        .value_kind:     hidden_block_count_x
      - .offset:         148
        .size:           4
        .value_kind:     hidden_block_count_y
      - .offset:         152
        .size:           4
        .value_kind:     hidden_block_count_z
      - .offset:         156
        .size:           2
        .value_kind:     hidden_group_size_x
      - .offset:         158
        .size:           2
        .value_kind:     hidden_group_size_y
      - .offset:         160
        .size:           2
        .value_kind:     hidden_group_size_z
      - .offset:         162
        .size:           2
        .value_kind:     hidden_remainder_x
      - .offset:         164
        .size:           2
        .value_kind:     hidden_remainder_y
      - .offset:         166
        .size:           2
        .value_kind:     hidden_remainder_z
      - .offset:         184
        .size:           8
        .value_kind:     hidden_global_offset_x
      - .offset:         192
        .size:           8
        .value_kind:     hidden_global_offset_y
      - .offset:         200
        .size:           8
        .value_kind:     hidden_global_offset_z
      - .offset:         208
        .size:           2
        .value_kind:     hidden_grid_dims
    .group_segment_fixed_size: 4096
    .kernarg_segment_align: 8
    .kernarg_segment_size: 400
    .language:       OpenCL C
    .language_version:
      - 2
      - 0
    .max_flat_workgroup_size: 256
    .name:           _ZL20rocblas_gemvn_kernelILi64ELi4EiPKDF16_PKfKPDF16_EviiT3_lPKT2_lT1_lS9_lSA_lS6_lPT4_lSA_li
    .private_segment_fixed_size: 0
    .sgpr_count:     45
    .sgpr_spill_count: 0
    .symbol:         _ZL20rocblas_gemvn_kernelILi64ELi4EiPKDF16_PKfKPDF16_EviiT3_lPKT2_lT1_lS9_lSA_lS6_lPT4_lSA_li.kd
    .uniform_work_group_size: 1
    .uses_dynamic_stack: false
    .vgpr_count:     49
    .vgpr_spill_count: 0
    .wavefront_size: 64
  - .agpr_count:     0
    .args:
      - .offset:         0
        .size:           4
        .value_kind:     by_value
      - .offset:         4
        .size:           4
        .value_kind:     by_value
      - .address_space:  global
        .offset:         8
        .size:           8
        .value_kind:     global_buffer
      - .offset:         16
        .size:           8
        .value_kind:     by_value
      - .address_space:  global
        .offset:         24
        .size:           8
        .value_kind:     global_buffer
      - .offset:         32
        .size:           8
        .value_kind:     by_value
      - .offset:         40
        .size:           8
        .value_kind:     by_value
      - .offset:         48
        .size:           8
        .value_kind:     by_value
      - .address_space:  global
        .offset:         56
        .size:           8
        .value_kind:     global_buffer
      - .offset:         64
        .size:           8
        .value_kind:     by_value
      - .offset:         72
        .size:           8
        .value_kind:     by_value
      - .offset:         80
        .size:           8
        .value_kind:     by_value
      - .address_space:  global
        .offset:         88
        .size:           8
        .value_kind:     global_buffer
      - .offset:         96
        .size:           8
        .value_kind:     by_value
      - .address_space:  global
        .offset:         104
        .size:           8
        .value_kind:     global_buffer
      - .offset:         112
        .size:           8
        .value_kind:     by_value
      - .offset:         120
        .size:           8
        .value_kind:     by_value
      - .offset:         128
        .size:           8
        .value_kind:     by_value
      - .offset:         136
        .size:           4
        .value_kind:     by_value
      - .offset:         144
        .size:           4
        .value_kind:     hidden_block_count_x
      - .offset:         148
        .size:           4
        .value_kind:     hidden_block_count_y
      - .offset:         152
        .size:           4
        .value_kind:     hidden_block_count_z
      - .offset:         156
        .size:           2
        .value_kind:     hidden_group_size_x
      - .offset:         158
        .size:           2
        .value_kind:     hidden_group_size_y
      - .offset:         160
        .size:           2
        .value_kind:     hidden_group_size_z
      - .offset:         162
        .size:           2
        .value_kind:     hidden_remainder_x
      - .offset:         164
        .size:           2
        .value_kind:     hidden_remainder_y
      - .offset:         166
        .size:           2
        .value_kind:     hidden_remainder_z
      - .offset:         184
        .size:           8
        .value_kind:     hidden_global_offset_x
      - .offset:         192
        .size:           8
        .value_kind:     hidden_global_offset_y
      - .offset:         200
        .size:           8
        .value_kind:     hidden_global_offset_z
      - .offset:         208
        .size:           2
        .value_kind:     hidden_grid_dims
    .group_segment_fixed_size: 4096
    .kernarg_segment_align: 8
    .kernarg_segment_size: 400
    .language:       OpenCL C
    .language_version:
      - 2
      - 0
    .max_flat_workgroup_size: 256
    .name:           _ZL20rocblas_gemvn_kernelILi64ELi4ElPKDF16_PKfKPDF16_EviiT3_lPKT2_lT1_lS9_lSA_lS6_lPT4_lSA_li
    .private_segment_fixed_size: 0
    .sgpr_count:     51
    .sgpr_spill_count: 0
    .symbol:         _ZL20rocblas_gemvn_kernelILi64ELi4ElPKDF16_PKfKPDF16_EviiT3_lPKT2_lT1_lS9_lSA_lS6_lPT4_lSA_li.kd
    .uniform_work_group_size: 1
    .uses_dynamic_stack: false
    .vgpr_count:     59
    .vgpr_spill_count: 0
    .wavefront_size: 64
  - .agpr_count:     0
    .args:
      - .offset:         0
        .size:           4
        .value_kind:     by_value
      - .offset:         4
        .size:           4
        .value_kind:     by_value
      - .offset:         8
        .size:           4
        .value_kind:     by_value
      - .offset:         16
        .size:           8
        .value_kind:     by_value
      - .address_space:  global
        .offset:         24
        .size:           8
        .value_kind:     global_buffer
      - .offset:         32
        .size:           8
        .value_kind:     by_value
      - .offset:         40
        .size:           4
        .value_kind:     by_value
      - .offset:         48
        .size:           8
        .value_kind:     by_value
      - .address_space:  global
        .offset:         56
        .size:           8
        .value_kind:     global_buffer
      - .offset:         64
        .size:           8
        .value_kind:     by_value
      - .offset:         72
        .size:           4
        .value_kind:     by_value
      - .offset:         80
        .size:           8
        .value_kind:     by_value
      - .offset:         88
        .size:           4
        .value_kind:     by_value
      - .offset:         96
        .size:           8
        .value_kind:     by_value
      - .address_space:  global
        .offset:         104
        .size:           8
        .value_kind:     global_buffer
      - .offset:         112
        .size:           8
        .value_kind:     by_value
      - .offset:         120
        .size:           4
        .value_kind:     by_value
      - .offset:         128
        .size:           8
        .value_kind:     by_value
      - .offset:         136
        .size:           4
        .value_kind:     by_value
      - .offset:         144
        .size:           4
        .value_kind:     hidden_block_count_x
      - .offset:         148
        .size:           4
        .value_kind:     hidden_block_count_y
      - .offset:         152
        .size:           4
        .value_kind:     hidden_block_count_z
      - .offset:         156
        .size:           2
        .value_kind:     hidden_group_size_x
      - .offset:         158
        .size:           2
        .value_kind:     hidden_group_size_y
      - .offset:         160
        .size:           2
        .value_kind:     hidden_group_size_z
      - .offset:         162
        .size:           2
        .value_kind:     hidden_remainder_x
      - .offset:         164
        .size:           2
        .value_kind:     hidden_remainder_y
      - .offset:         166
        .size:           2
        .value_kind:     hidden_remainder_z
      - .offset:         184
        .size:           8
        .value_kind:     hidden_global_offset_x
      - .offset:         192
        .size:           8
        .value_kind:     hidden_global_offset_y
      - .offset:         200
        .size:           8
        .value_kind:     hidden_global_offset_z
      - .offset:         208
        .size:           2
        .value_kind:     hidden_grid_dims
    .group_segment_fixed_size: 4096
    .kernarg_segment_align: 8
    .kernarg_segment_size: 400
    .language:       OpenCL C
    .language_version:
      - 2
      - 0
    .max_flat_workgroup_size: 256
    .name:           _ZL20rocblas_gemvn_kernelILi64ELi4EiPKDF16_fKPDF16_EviiT3_lPKT2_lT1_lS7_lS8_lS4_lPT4_lS8_li
    .private_segment_fixed_size: 0
    .sgpr_count:     45
    .sgpr_spill_count: 0
    .symbol:         _ZL20rocblas_gemvn_kernelILi64ELi4EiPKDF16_fKPDF16_EviiT3_lPKT2_lT1_lS7_lS8_lS4_lPT4_lS8_li.kd
    .uniform_work_group_size: 1
    .uses_dynamic_stack: false
    .vgpr_count:     49
    .vgpr_spill_count: 0
    .wavefront_size: 64
  - .agpr_count:     0
    .args:
      - .offset:         0
        .size:           4
        .value_kind:     by_value
      - .offset:         4
        .size:           4
        .value_kind:     by_value
      - .offset:         8
        .size:           4
        .value_kind:     by_value
      - .offset:         16
        .size:           8
        .value_kind:     by_value
      - .address_space:  global
        .offset:         24
        .size:           8
        .value_kind:     global_buffer
      - .offset:         32
        .size:           8
        .value_kind:     by_value
      - .offset:         40
        .size:           8
        .value_kind:     by_value
      - .offset:         48
        .size:           8
        .value_kind:     by_value
      - .address_space:  global
        .offset:         56
        .size:           8
        .value_kind:     global_buffer
      - .offset:         64
        .size:           8
        .value_kind:     by_value
      - .offset:         72
        .size:           8
        .value_kind:     by_value
      - .offset:         80
        .size:           8
        .value_kind:     by_value
      - .offset:         88
        .size:           4
        .value_kind:     by_value
      - .offset:         96
        .size:           8
        .value_kind:     by_value
      - .address_space:  global
        .offset:         104
        .size:           8
        .value_kind:     global_buffer
      - .offset:         112
        .size:           8
        .value_kind:     by_value
      - .offset:         120
        .size:           8
        .value_kind:     by_value
      - .offset:         128
        .size:           8
        .value_kind:     by_value
      - .offset:         136
        .size:           4
        .value_kind:     by_value
      - .offset:         144
        .size:           4
        .value_kind:     hidden_block_count_x
      - .offset:         148
        .size:           4
        .value_kind:     hidden_block_count_y
      - .offset:         152
        .size:           4
        .value_kind:     hidden_block_count_z
      - .offset:         156
        .size:           2
        .value_kind:     hidden_group_size_x
      - .offset:         158
        .size:           2
        .value_kind:     hidden_group_size_y
      - .offset:         160
        .size:           2
        .value_kind:     hidden_group_size_z
      - .offset:         162
        .size:           2
        .value_kind:     hidden_remainder_x
      - .offset:         164
        .size:           2
        .value_kind:     hidden_remainder_y
      - .offset:         166
        .size:           2
        .value_kind:     hidden_remainder_z
      - .offset:         184
        .size:           8
        .value_kind:     hidden_global_offset_x
      - .offset:         192
        .size:           8
        .value_kind:     hidden_global_offset_y
      - .offset:         200
        .size:           8
        .value_kind:     hidden_global_offset_z
      - .offset:         208
        .size:           2
        .value_kind:     hidden_grid_dims
    .group_segment_fixed_size: 4096
    .kernarg_segment_align: 8
    .kernarg_segment_size: 400
    .language:       OpenCL C
    .language_version:
      - 2
      - 0
    .max_flat_workgroup_size: 256
    .name:           _ZL20rocblas_gemvn_kernelILi64ELi4ElPKDF16_fKPDF16_EviiT3_lPKT2_lT1_lS7_lS8_lS4_lPT4_lS8_li
    .private_segment_fixed_size: 0
    .sgpr_count:     51
    .sgpr_spill_count: 0
    .symbol:         _ZL20rocblas_gemvn_kernelILi64ELi4ElPKDF16_fKPDF16_EviiT3_lPKT2_lT1_lS7_lS8_lS4_lPT4_lS8_li.kd
    .uniform_work_group_size: 1
    .uses_dynamic_stack: false
    .vgpr_count:     59
    .vgpr_spill_count: 0
    .wavefront_size: 64
  - .agpr_count:     0
    .args:
      - .offset:         0
        .size:           4
        .value_kind:     by_value
      - .offset:         4
        .size:           4
        .value_kind:     by_value
      - .address_space:  global
        .offset:         8
        .size:           8
        .value_kind:     global_buffer
      - .offset:         16
        .size:           8
        .value_kind:     by_value
      - .address_space:  global
        .offset:         24
        .size:           8
        .value_kind:     global_buffer
      - .offset:         32
        .size:           8
        .value_kind:     by_value
      - .offset:         40
        .size:           4
        .value_kind:     by_value
      - .offset:         48
        .size:           8
        .value_kind:     by_value
      - .address_space:  global
        .offset:         56
        .size:           8
        .value_kind:     global_buffer
      - .offset:         64
        .size:           8
        .value_kind:     by_value
      - .offset:         72
        .size:           4
        .value_kind:     by_value
      - .offset:         80
        .size:           8
        .value_kind:     by_value
      - .address_space:  global
        .offset:         88
        .size:           8
        .value_kind:     global_buffer
      - .offset:         96
        .size:           8
        .value_kind:     by_value
      - .address_space:  global
        .offset:         104
        .size:           8
        .value_kind:     global_buffer
      - .offset:         112
        .size:           8
        .value_kind:     by_value
      - .offset:         120
        .size:           4
        .value_kind:     by_value
      - .offset:         128
        .size:           8
        .value_kind:     by_value
      - .offset:         136
        .size:           4
        .value_kind:     by_value
      - .offset:         144
        .size:           4
        .value_kind:     hidden_block_count_x
      - .offset:         148
        .size:           4
        .value_kind:     hidden_block_count_y
      - .offset:         152
        .size:           4
        .value_kind:     hidden_block_count_z
      - .offset:         156
        .size:           2
        .value_kind:     hidden_group_size_x
      - .offset:         158
        .size:           2
        .value_kind:     hidden_group_size_y
      - .offset:         160
        .size:           2
        .value_kind:     hidden_group_size_z
      - .offset:         162
        .size:           2
        .value_kind:     hidden_remainder_x
      - .offset:         164
        .size:           2
        .value_kind:     hidden_remainder_y
      - .offset:         166
        .size:           2
        .value_kind:     hidden_remainder_z
      - .offset:         184
        .size:           8
        .value_kind:     hidden_global_offset_x
      - .offset:         192
        .size:           8
        .value_kind:     hidden_global_offset_y
      - .offset:         200
        .size:           8
        .value_kind:     hidden_global_offset_z
      - .offset:         208
        .size:           2
        .value_kind:     hidden_grid_dims
    .group_segment_fixed_size: 8192
    .kernarg_segment_align: 8
    .kernarg_segment_size: 400
    .language:       OpenCL C
    .language_version:
      - 2
      - 0
    .max_flat_workgroup_size: 512
    .name:           _ZL20rocblas_gemvn_kernelILi32ELi16EiPKDF16_PKfKPDF16_EviiT3_lPKT2_lT1_lS9_lSA_lS6_lPT4_lSA_li
    .private_segment_fixed_size: 0
    .sgpr_count:     45
    .sgpr_spill_count: 0
    .symbol:         _ZL20rocblas_gemvn_kernelILi32ELi16EiPKDF16_PKfKPDF16_EviiT3_lPKT2_lT1_lS9_lSA_lS6_lPT4_lSA_li.kd
    .uniform_work_group_size: 1
    .uses_dynamic_stack: false
    .vgpr_count:     49
    .vgpr_spill_count: 0
    .wavefront_size: 64
  - .agpr_count:     0
    .args:
      - .offset:         0
        .size:           4
        .value_kind:     by_value
      - .offset:         4
        .size:           4
        .value_kind:     by_value
      - .address_space:  global
        .offset:         8
        .size:           8
        .value_kind:     global_buffer
      - .offset:         16
        .size:           8
        .value_kind:     by_value
      - .address_space:  global
        .offset:         24
        .size:           8
        .value_kind:     global_buffer
      - .offset:         32
        .size:           8
        .value_kind:     by_value
      - .offset:         40
        .size:           8
        .value_kind:     by_value
      - .offset:         48
        .size:           8
        .value_kind:     by_value
      - .address_space:  global
        .offset:         56
        .size:           8
        .value_kind:     global_buffer
      - .offset:         64
        .size:           8
        .value_kind:     by_value
      - .offset:         72
        .size:           8
        .value_kind:     by_value
      - .offset:         80
        .size:           8
        .value_kind:     by_value
      - .address_space:  global
        .offset:         88
        .size:           8
        .value_kind:     global_buffer
      - .offset:         96
        .size:           8
        .value_kind:     by_value
      - .address_space:  global
        .offset:         104
        .size:           8
        .value_kind:     global_buffer
      - .offset:         112
        .size:           8
        .value_kind:     by_value
      - .offset:         120
        .size:           8
        .value_kind:     by_value
      - .offset:         128
        .size:           8
        .value_kind:     by_value
      - .offset:         136
        .size:           4
        .value_kind:     by_value
      - .offset:         144
        .size:           4
        .value_kind:     hidden_block_count_x
      - .offset:         148
        .size:           4
        .value_kind:     hidden_block_count_y
      - .offset:         152
        .size:           4
        .value_kind:     hidden_block_count_z
      - .offset:         156
        .size:           2
        .value_kind:     hidden_group_size_x
      - .offset:         158
        .size:           2
        .value_kind:     hidden_group_size_y
      - .offset:         160
        .size:           2
        .value_kind:     hidden_group_size_z
      - .offset:         162
        .size:           2
        .value_kind:     hidden_remainder_x
      - .offset:         164
        .size:           2
        .value_kind:     hidden_remainder_y
      - .offset:         166
        .size:           2
        .value_kind:     hidden_remainder_z
      - .offset:         184
        .size:           8
        .value_kind:     hidden_global_offset_x
      - .offset:         192
        .size:           8
        .value_kind:     hidden_global_offset_y
      - .offset:         200
        .size:           8
        .value_kind:     hidden_global_offset_z
      - .offset:         208
        .size:           2
        .value_kind:     hidden_grid_dims
    .group_segment_fixed_size: 8192
    .kernarg_segment_align: 8
    .kernarg_segment_size: 400
    .language:       OpenCL C
    .language_version:
      - 2
      - 0
    .max_flat_workgroup_size: 512
    .name:           _ZL20rocblas_gemvn_kernelILi32ELi16ElPKDF16_PKfKPDF16_EviiT3_lPKT2_lT1_lS9_lSA_lS6_lPT4_lSA_li
    .private_segment_fixed_size: 0
    .sgpr_count:     51
    .sgpr_spill_count: 0
    .symbol:         _ZL20rocblas_gemvn_kernelILi32ELi16ElPKDF16_PKfKPDF16_EviiT3_lPKT2_lT1_lS9_lSA_lS6_lPT4_lSA_li.kd
    .uniform_work_group_size: 1
    .uses_dynamic_stack: false
    .vgpr_count:     59
    .vgpr_spill_count: 0
    .wavefront_size: 64
  - .agpr_count:     0
    .args:
      - .offset:         0
        .size:           4
        .value_kind:     by_value
      - .offset:         4
        .size:           4
        .value_kind:     by_value
      - .offset:         8
        .size:           4
        .value_kind:     by_value
      - .offset:         16
        .size:           8
        .value_kind:     by_value
      - .address_space:  global
        .offset:         24
        .size:           8
        .value_kind:     global_buffer
      - .offset:         32
        .size:           8
        .value_kind:     by_value
      - .offset:         40
        .size:           4
        .value_kind:     by_value
      - .offset:         48
        .size:           8
        .value_kind:     by_value
      - .address_space:  global
        .offset:         56
        .size:           8
        .value_kind:     global_buffer
      - .offset:         64
        .size:           8
        .value_kind:     by_value
      - .offset:         72
        .size:           4
        .value_kind:     by_value
      - .offset:         80
        .size:           8
        .value_kind:     by_value
      - .offset:         88
        .size:           4
        .value_kind:     by_value
      - .offset:         96
        .size:           8
        .value_kind:     by_value
      - .address_space:  global
        .offset:         104
        .size:           8
        .value_kind:     global_buffer
      - .offset:         112
        .size:           8
        .value_kind:     by_value
      - .offset:         120
        .size:           4
        .value_kind:     by_value
      - .offset:         128
        .size:           8
        .value_kind:     by_value
      - .offset:         136
        .size:           4
        .value_kind:     by_value
      - .offset:         144
        .size:           4
        .value_kind:     hidden_block_count_x
      - .offset:         148
        .size:           4
        .value_kind:     hidden_block_count_y
      - .offset:         152
        .size:           4
        .value_kind:     hidden_block_count_z
      - .offset:         156
        .size:           2
        .value_kind:     hidden_group_size_x
      - .offset:         158
        .size:           2
        .value_kind:     hidden_group_size_y
      - .offset:         160
        .size:           2
        .value_kind:     hidden_group_size_z
      - .offset:         162
        .size:           2
        .value_kind:     hidden_remainder_x
      - .offset:         164
        .size:           2
        .value_kind:     hidden_remainder_y
      - .offset:         166
        .size:           2
        .value_kind:     hidden_remainder_z
      - .offset:         184
        .size:           8
        .value_kind:     hidden_global_offset_x
      - .offset:         192
        .size:           8
        .value_kind:     hidden_global_offset_y
      - .offset:         200
        .size:           8
        .value_kind:     hidden_global_offset_z
      - .offset:         208
        .size:           2
        .value_kind:     hidden_grid_dims
    .group_segment_fixed_size: 8192
    .kernarg_segment_align: 8
    .kernarg_segment_size: 400
    .language:       OpenCL C
    .language_version:
      - 2
      - 0
    .max_flat_workgroup_size: 512
    .name:           _ZL20rocblas_gemvn_kernelILi32ELi16EiPKDF16_fKPDF16_EviiT3_lPKT2_lT1_lS7_lS8_lS4_lPT4_lS8_li
    .private_segment_fixed_size: 0
    .sgpr_count:     45
    .sgpr_spill_count: 0
    .symbol:         _ZL20rocblas_gemvn_kernelILi32ELi16EiPKDF16_fKPDF16_EviiT3_lPKT2_lT1_lS7_lS8_lS4_lPT4_lS8_li.kd
    .uniform_work_group_size: 1
    .uses_dynamic_stack: false
    .vgpr_count:     49
    .vgpr_spill_count: 0
    .wavefront_size: 64
  - .agpr_count:     0
    .args:
      - .offset:         0
        .size:           4
        .value_kind:     by_value
      - .offset:         4
        .size:           4
        .value_kind:     by_value
      - .offset:         8
        .size:           4
        .value_kind:     by_value
      - .offset:         16
        .size:           8
        .value_kind:     by_value
      - .address_space:  global
        .offset:         24
        .size:           8
        .value_kind:     global_buffer
      - .offset:         32
        .size:           8
        .value_kind:     by_value
      - .offset:         40
        .size:           8
        .value_kind:     by_value
      - .offset:         48
        .size:           8
        .value_kind:     by_value
      - .address_space:  global
        .offset:         56
        .size:           8
        .value_kind:     global_buffer
      - .offset:         64
        .size:           8
        .value_kind:     by_value
      - .offset:         72
        .size:           8
        .value_kind:     by_value
      - .offset:         80
        .size:           8
        .value_kind:     by_value
      - .offset:         88
        .size:           4
        .value_kind:     by_value
      - .offset:         96
        .size:           8
        .value_kind:     by_value
      - .address_space:  global
        .offset:         104
        .size:           8
        .value_kind:     global_buffer
      - .offset:         112
        .size:           8
        .value_kind:     by_value
      - .offset:         120
        .size:           8
        .value_kind:     by_value
      - .offset:         128
        .size:           8
        .value_kind:     by_value
      - .offset:         136
        .size:           4
        .value_kind:     by_value
      - .offset:         144
        .size:           4
        .value_kind:     hidden_block_count_x
      - .offset:         148
        .size:           4
        .value_kind:     hidden_block_count_y
      - .offset:         152
        .size:           4
        .value_kind:     hidden_block_count_z
      - .offset:         156
        .size:           2
        .value_kind:     hidden_group_size_x
      - .offset:         158
        .size:           2
        .value_kind:     hidden_group_size_y
      - .offset:         160
        .size:           2
        .value_kind:     hidden_group_size_z
      - .offset:         162
        .size:           2
        .value_kind:     hidden_remainder_x
      - .offset:         164
        .size:           2
        .value_kind:     hidden_remainder_y
      - .offset:         166
        .size:           2
        .value_kind:     hidden_remainder_z
      - .offset:         184
        .size:           8
        .value_kind:     hidden_global_offset_x
      - .offset:         192
        .size:           8
        .value_kind:     hidden_global_offset_y
      - .offset:         200
        .size:           8
        .value_kind:     hidden_global_offset_z
      - .offset:         208
        .size:           2
        .value_kind:     hidden_grid_dims
    .group_segment_fixed_size: 8192
    .kernarg_segment_align: 8
    .kernarg_segment_size: 400
    .language:       OpenCL C
    .language_version:
      - 2
      - 0
    .max_flat_workgroup_size: 512
    .name:           _ZL20rocblas_gemvn_kernelILi32ELi16ElPKDF16_fKPDF16_EviiT3_lPKT2_lT1_lS7_lS8_lS4_lPT4_lS8_li
    .private_segment_fixed_size: 0
    .sgpr_count:     51
    .sgpr_spill_count: 0
    .symbol:         _ZL20rocblas_gemvn_kernelILi32ELi16ElPKDF16_fKPDF16_EviiT3_lPKT2_lT1_lS7_lS8_lS4_lPT4_lS8_li.kd
    .uniform_work_group_size: 1
    .uses_dynamic_stack: false
    .vgpr_count:     59
    .vgpr_spill_count: 0
    .wavefront_size: 64
  - .agpr_count:     0
    .args:
      - .offset:         0
        .size:           4
        .value_kind:     by_value
      - .offset:         4
        .size:           4
        .value_kind:     by_value
      - .address_space:  global
        .offset:         8
        .size:           8
        .value_kind:     global_buffer
      - .offset:         16
        .size:           8
        .value_kind:     by_value
      - .address_space:  global
        .offset:         24
        .size:           8
        .value_kind:     global_buffer
      - .offset:         32
        .size:           8
        .value_kind:     by_value
      - .offset:         40
        .size:           4
        .value_kind:     by_value
      - .offset:         48
        .size:           8
        .value_kind:     by_value
      - .address_space:  global
        .offset:         56
        .size:           8
        .value_kind:     global_buffer
      - .offset:         64
        .size:           8
        .value_kind:     by_value
      - .offset:         72
        .size:           4
        .value_kind:     by_value
      - .offset:         80
        .size:           8
        .value_kind:     by_value
      - .address_space:  global
        .offset:         88
        .size:           8
        .value_kind:     global_buffer
      - .offset:         96
        .size:           8
        .value_kind:     by_value
      - .address_space:  global
        .offset:         104
        .size:           8
        .value_kind:     global_buffer
      - .offset:         112
        .size:           8
        .value_kind:     by_value
      - .offset:         120
        .size:           4
        .value_kind:     by_value
      - .offset:         128
        .size:           8
        .value_kind:     by_value
      - .offset:         136
        .size:           4
        .value_kind:     by_value
      - .offset:         144
        .size:           4
        .value_kind:     hidden_block_count_x
      - .offset:         148
        .size:           4
        .value_kind:     hidden_block_count_y
      - .offset:         152
        .size:           4
        .value_kind:     hidden_block_count_z
      - .offset:         156
        .size:           2
        .value_kind:     hidden_group_size_x
      - .offset:         158
        .size:           2
        .value_kind:     hidden_group_size_y
      - .offset:         160
        .size:           2
        .value_kind:     hidden_group_size_z
      - .offset:         162
        .size:           2
        .value_kind:     hidden_remainder_x
      - .offset:         164
        .size:           2
        .value_kind:     hidden_remainder_y
      - .offset:         166
        .size:           2
        .value_kind:     hidden_remainder_z
      - .offset:         184
        .size:           8
        .value_kind:     hidden_global_offset_x
      - .offset:         192
        .size:           8
        .value_kind:     hidden_global_offset_y
      - .offset:         200
        .size:           8
        .value_kind:     hidden_global_offset_z
      - .offset:         208
        .size:           2
        .value_kind:     hidden_grid_dims
    .group_segment_fixed_size: 16384
    .kernarg_segment_align: 8
    .kernarg_segment_size: 400
    .language:       OpenCL C
    .language_version:
      - 2
      - 0
    .max_flat_workgroup_size: 1024
    .name:           _ZL20rocblas_gemvn_kernelILi64ELi16EiPKDF16_PKfKPDF16_EviiT3_lPKT2_lT1_lS9_lSA_lS6_lPT4_lSA_li
    .private_segment_fixed_size: 0
    .sgpr_count:     45
    .sgpr_spill_count: 0
    .symbol:         _ZL20rocblas_gemvn_kernelILi64ELi16EiPKDF16_PKfKPDF16_EviiT3_lPKT2_lT1_lS9_lSA_lS6_lPT4_lSA_li.kd
    .uniform_work_group_size: 1
    .uses_dynamic_stack: false
    .vgpr_count:     49
    .vgpr_spill_count: 0
    .wavefront_size: 64
  - .agpr_count:     0
    .args:
      - .offset:         0
        .size:           4
        .value_kind:     by_value
      - .offset:         4
        .size:           4
        .value_kind:     by_value
      - .address_space:  global
        .offset:         8
        .size:           8
        .value_kind:     global_buffer
      - .offset:         16
        .size:           8
        .value_kind:     by_value
      - .address_space:  global
        .offset:         24
        .size:           8
        .value_kind:     global_buffer
      - .offset:         32
        .size:           8
        .value_kind:     by_value
      - .offset:         40
        .size:           8
        .value_kind:     by_value
      - .offset:         48
        .size:           8
        .value_kind:     by_value
      - .address_space:  global
        .offset:         56
        .size:           8
        .value_kind:     global_buffer
      - .offset:         64
        .size:           8
        .value_kind:     by_value
      - .offset:         72
        .size:           8
        .value_kind:     by_value
      - .offset:         80
        .size:           8
        .value_kind:     by_value
      - .address_space:  global
        .offset:         88
        .size:           8
        .value_kind:     global_buffer
      - .offset:         96
        .size:           8
        .value_kind:     by_value
      - .address_space:  global
        .offset:         104
        .size:           8
        .value_kind:     global_buffer
      - .offset:         112
        .size:           8
        .value_kind:     by_value
      - .offset:         120
        .size:           8
        .value_kind:     by_value
      - .offset:         128
        .size:           8
        .value_kind:     by_value
      - .offset:         136
        .size:           4
        .value_kind:     by_value
      - .offset:         144
        .size:           4
        .value_kind:     hidden_block_count_x
      - .offset:         148
        .size:           4
        .value_kind:     hidden_block_count_y
      - .offset:         152
        .size:           4
        .value_kind:     hidden_block_count_z
      - .offset:         156
        .size:           2
        .value_kind:     hidden_group_size_x
      - .offset:         158
        .size:           2
        .value_kind:     hidden_group_size_y
      - .offset:         160
        .size:           2
        .value_kind:     hidden_group_size_z
      - .offset:         162
        .size:           2
        .value_kind:     hidden_remainder_x
      - .offset:         164
        .size:           2
        .value_kind:     hidden_remainder_y
      - .offset:         166
        .size:           2
        .value_kind:     hidden_remainder_z
      - .offset:         184
        .size:           8
        .value_kind:     hidden_global_offset_x
      - .offset:         192
        .size:           8
        .value_kind:     hidden_global_offset_y
      - .offset:         200
        .size:           8
        .value_kind:     hidden_global_offset_z
      - .offset:         208
        .size:           2
        .value_kind:     hidden_grid_dims
    .group_segment_fixed_size: 16384
    .kernarg_segment_align: 8
    .kernarg_segment_size: 400
    .language:       OpenCL C
    .language_version:
      - 2
      - 0
    .max_flat_workgroup_size: 1024
    .name:           _ZL20rocblas_gemvn_kernelILi64ELi16ElPKDF16_PKfKPDF16_EviiT3_lPKT2_lT1_lS9_lSA_lS6_lPT4_lSA_li
    .private_segment_fixed_size: 0
    .sgpr_count:     51
    .sgpr_spill_count: 0
    .symbol:         _ZL20rocblas_gemvn_kernelILi64ELi16ElPKDF16_PKfKPDF16_EviiT3_lPKT2_lT1_lS9_lSA_lS6_lPT4_lSA_li.kd
    .uniform_work_group_size: 1
    .uses_dynamic_stack: false
    .vgpr_count:     59
    .vgpr_spill_count: 0
    .wavefront_size: 64
  - .agpr_count:     0
    .args:
      - .offset:         0
        .size:           4
        .value_kind:     by_value
      - .offset:         4
        .size:           4
        .value_kind:     by_value
      - .offset:         8
        .size:           4
        .value_kind:     by_value
      - .offset:         16
        .size:           8
        .value_kind:     by_value
      - .address_space:  global
        .offset:         24
        .size:           8
        .value_kind:     global_buffer
      - .offset:         32
        .size:           8
        .value_kind:     by_value
      - .offset:         40
        .size:           4
        .value_kind:     by_value
      - .offset:         48
        .size:           8
        .value_kind:     by_value
      - .address_space:  global
        .offset:         56
        .size:           8
        .value_kind:     global_buffer
      - .offset:         64
        .size:           8
        .value_kind:     by_value
      - .offset:         72
        .size:           4
        .value_kind:     by_value
      - .offset:         80
        .size:           8
        .value_kind:     by_value
      - .offset:         88
        .size:           4
        .value_kind:     by_value
      - .offset:         96
        .size:           8
        .value_kind:     by_value
      - .address_space:  global
        .offset:         104
        .size:           8
        .value_kind:     global_buffer
      - .offset:         112
        .size:           8
        .value_kind:     by_value
      - .offset:         120
        .size:           4
        .value_kind:     by_value
      - .offset:         128
        .size:           8
        .value_kind:     by_value
      - .offset:         136
        .size:           4
        .value_kind:     by_value
      - .offset:         144
        .size:           4
        .value_kind:     hidden_block_count_x
      - .offset:         148
        .size:           4
        .value_kind:     hidden_block_count_y
      - .offset:         152
        .size:           4
        .value_kind:     hidden_block_count_z
      - .offset:         156
        .size:           2
        .value_kind:     hidden_group_size_x
      - .offset:         158
        .size:           2
        .value_kind:     hidden_group_size_y
      - .offset:         160
        .size:           2
        .value_kind:     hidden_group_size_z
      - .offset:         162
        .size:           2
        .value_kind:     hidden_remainder_x
      - .offset:         164
        .size:           2
        .value_kind:     hidden_remainder_y
      - .offset:         166
        .size:           2
        .value_kind:     hidden_remainder_z
      - .offset:         184
        .size:           8
        .value_kind:     hidden_global_offset_x
      - .offset:         192
        .size:           8
        .value_kind:     hidden_global_offset_y
      - .offset:         200
        .size:           8
        .value_kind:     hidden_global_offset_z
      - .offset:         208
        .size:           2
        .value_kind:     hidden_grid_dims
    .group_segment_fixed_size: 16384
    .kernarg_segment_align: 8
    .kernarg_segment_size: 400
    .language:       OpenCL C
    .language_version:
      - 2
      - 0
    .max_flat_workgroup_size: 1024
    .name:           _ZL20rocblas_gemvn_kernelILi64ELi16EiPKDF16_fKPDF16_EviiT3_lPKT2_lT1_lS7_lS8_lS4_lPT4_lS8_li
    .private_segment_fixed_size: 0
    .sgpr_count:     45
    .sgpr_spill_count: 0
    .symbol:         _ZL20rocblas_gemvn_kernelILi64ELi16EiPKDF16_fKPDF16_EviiT3_lPKT2_lT1_lS7_lS8_lS4_lPT4_lS8_li.kd
    .uniform_work_group_size: 1
    .uses_dynamic_stack: false
    .vgpr_count:     49
    .vgpr_spill_count: 0
    .wavefront_size: 64
  - .agpr_count:     0
    .args:
      - .offset:         0
        .size:           4
        .value_kind:     by_value
      - .offset:         4
        .size:           4
        .value_kind:     by_value
      - .offset:         8
        .size:           4
        .value_kind:     by_value
      - .offset:         16
        .size:           8
        .value_kind:     by_value
      - .address_space:  global
        .offset:         24
        .size:           8
        .value_kind:     global_buffer
      - .offset:         32
        .size:           8
        .value_kind:     by_value
      - .offset:         40
        .size:           8
        .value_kind:     by_value
      - .offset:         48
        .size:           8
        .value_kind:     by_value
      - .address_space:  global
        .offset:         56
        .size:           8
        .value_kind:     global_buffer
      - .offset:         64
        .size:           8
        .value_kind:     by_value
      - .offset:         72
        .size:           8
        .value_kind:     by_value
      - .offset:         80
        .size:           8
        .value_kind:     by_value
      - .offset:         88
        .size:           4
        .value_kind:     by_value
      - .offset:         96
        .size:           8
        .value_kind:     by_value
      - .address_space:  global
        .offset:         104
        .size:           8
        .value_kind:     global_buffer
      - .offset:         112
        .size:           8
        .value_kind:     by_value
      - .offset:         120
        .size:           8
        .value_kind:     by_value
      - .offset:         128
        .size:           8
        .value_kind:     by_value
      - .offset:         136
        .size:           4
        .value_kind:     by_value
      - .offset:         144
        .size:           4
        .value_kind:     hidden_block_count_x
      - .offset:         148
        .size:           4
        .value_kind:     hidden_block_count_y
      - .offset:         152
        .size:           4
        .value_kind:     hidden_block_count_z
      - .offset:         156
        .size:           2
        .value_kind:     hidden_group_size_x
      - .offset:         158
        .size:           2
        .value_kind:     hidden_group_size_y
      - .offset:         160
        .size:           2
        .value_kind:     hidden_group_size_z
      - .offset:         162
        .size:           2
        .value_kind:     hidden_remainder_x
      - .offset:         164
        .size:           2
        .value_kind:     hidden_remainder_y
      - .offset:         166
        .size:           2
        .value_kind:     hidden_remainder_z
      - .offset:         184
        .size:           8
        .value_kind:     hidden_global_offset_x
      - .offset:         192
        .size:           8
        .value_kind:     hidden_global_offset_y
      - .offset:         200
        .size:           8
        .value_kind:     hidden_global_offset_z
      - .offset:         208
        .size:           2
        .value_kind:     hidden_grid_dims
    .group_segment_fixed_size: 16384
    .kernarg_segment_align: 8
    .kernarg_segment_size: 400
    .language:       OpenCL C
    .language_version:
      - 2
      - 0
    .max_flat_workgroup_size: 1024
    .name:           _ZL20rocblas_gemvn_kernelILi64ELi16ElPKDF16_fKPDF16_EviiT3_lPKT2_lT1_lS7_lS8_lS4_lPT4_lS8_li
    .private_segment_fixed_size: 0
    .sgpr_count:     51
    .sgpr_spill_count: 0
    .symbol:         _ZL20rocblas_gemvn_kernelILi64ELi16ElPKDF16_fKPDF16_EviiT3_lPKT2_lT1_lS7_lS8_lS4_lPT4_lS8_li.kd
    .uniform_work_group_size: 1
    .uses_dynamic_stack: false
    .vgpr_count:     59
    .vgpr_spill_count: 0
    .wavefront_size: 64
  - .agpr_count:     0
    .args:
      - .offset:         0
        .size:           4
        .value_kind:     by_value
      - .offset:         4
        .size:           4
        .value_kind:     by_value
      - .address_space:  global
        .offset:         8
        .size:           8
        .value_kind:     global_buffer
      - .offset:         16
        .size:           8
        .value_kind:     by_value
      - .address_space:  global
        .offset:         24
        .size:           8
        .value_kind:     global_buffer
      - .offset:         32
        .size:           8
        .value_kind:     by_value
      - .offset:         40
        .size:           4
        .value_kind:     by_value
      - .offset:         48
        .size:           8
        .value_kind:     by_value
      - .address_space:  global
        .offset:         56
        .size:           8
        .value_kind:     global_buffer
      - .offset:         64
        .size:           8
        .value_kind:     by_value
      - .offset:         72
        .size:           4
        .value_kind:     by_value
      - .offset:         80
        .size:           8
        .value_kind:     by_value
      - .address_space:  global
        .offset:         88
        .size:           8
        .value_kind:     global_buffer
      - .offset:         96
        .size:           8
        .value_kind:     by_value
      - .address_space:  global
        .offset:         104
        .size:           8
        .value_kind:     global_buffer
      - .offset:         112
        .size:           8
        .value_kind:     by_value
      - .offset:         120
        .size:           4
        .value_kind:     by_value
      - .offset:         128
        .size:           8
        .value_kind:     by_value
    .group_segment_fixed_size: 256
    .kernarg_segment_align: 8
    .kernarg_segment_size: 136
    .language:       OpenCL C
    .language_version:
      - 2
      - 0
    .max_flat_workgroup_size: 256
    .name:           _ZL22rocblas_gemvtsm_kernelILb0ELi256EPKDF16_PKfKPDF16_EviiT2_lPKT1_lilS9_lilS6_lPT3_lil
    .private_segment_fixed_size: 0
    .sgpr_count:     32
    .sgpr_spill_count: 0
    .symbol:         _ZL22rocblas_gemvtsm_kernelILb0ELi256EPKDF16_PKfKPDF16_EviiT2_lPKT1_lilS9_lilS6_lPT3_lil.kd
    .uniform_work_group_size: 1
    .uses_dynamic_stack: false
    .vgpr_count:     20
    .vgpr_spill_count: 0
    .wavefront_size: 64
  - .agpr_count:     0
    .args:
      - .offset:         0
        .size:           4
        .value_kind:     by_value
      - .offset:         4
        .size:           4
        .value_kind:     by_value
      - .offset:         8
        .size:           4
        .value_kind:     by_value
      - .offset:         16
        .size:           8
        .value_kind:     by_value
      - .address_space:  global
        .offset:         24
        .size:           8
        .value_kind:     global_buffer
      - .offset:         32
        .size:           8
        .value_kind:     by_value
      - .offset:         40
        .size:           4
        .value_kind:     by_value
      - .offset:         48
        .size:           8
        .value_kind:     by_value
      - .address_space:  global
        .offset:         56
        .size:           8
        .value_kind:     global_buffer
      - .offset:         64
        .size:           8
        .value_kind:     by_value
      - .offset:         72
        .size:           4
        .value_kind:     by_value
      - .offset:         80
        .size:           8
        .value_kind:     by_value
      - .offset:         88
        .size:           4
        .value_kind:     by_value
      - .offset:         96
        .size:           8
        .value_kind:     by_value
      - .address_space:  global
        .offset:         104
        .size:           8
        .value_kind:     global_buffer
      - .offset:         112
        .size:           8
        .value_kind:     by_value
      - .offset:         120
        .size:           4
        .value_kind:     by_value
      - .offset:         128
        .size:           8
        .value_kind:     by_value
    .group_segment_fixed_size: 256
    .kernarg_segment_align: 8
    .kernarg_segment_size: 136
    .language:       OpenCL C
    .language_version:
      - 2
      - 0
    .max_flat_workgroup_size: 256
    .name:           _ZL22rocblas_gemvtsm_kernelILb0ELi256EPKDF16_fKPDF16_EviiT2_lPKT1_lilS7_lilS4_lPT3_lil
    .private_segment_fixed_size: 0
    .sgpr_count:     32
    .sgpr_spill_count: 0
    .symbol:         _ZL22rocblas_gemvtsm_kernelILb0ELi256EPKDF16_fKPDF16_EviiT2_lPKT1_lilS7_lilS4_lPT3_lil.kd
    .uniform_work_group_size: 1
    .uses_dynamic_stack: false
    .vgpr_count:     20
    .vgpr_spill_count: 0
    .wavefront_size: 64
  - .agpr_count:     0
    .args:
      - .offset:         0
        .size:           4
        .value_kind:     by_value
      - .offset:         4
        .size:           4
        .value_kind:     by_value
      - .address_space:  global
        .offset:         8
        .size:           8
        .value_kind:     global_buffer
      - .offset:         16
        .size:           8
        .value_kind:     by_value
      - .address_space:  global
        .offset:         24
        .size:           8
        .value_kind:     global_buffer
      - .offset:         32
        .size:           8
        .value_kind:     by_value
      - .offset:         40
        .size:           4
        .value_kind:     by_value
      - .offset:         48
        .size:           8
        .value_kind:     by_value
      - .address_space:  global
        .offset:         56
        .size:           8
        .value_kind:     global_buffer
      - .offset:         64
        .size:           8
        .value_kind:     by_value
      - .offset:         72
        .size:           4
        .value_kind:     by_value
      - .offset:         80
        .size:           8
        .value_kind:     by_value
      - .address_space:  global
        .offset:         88
        .size:           8
        .value_kind:     global_buffer
      - .offset:         96
        .size:           4
        .value_kind:     by_value
      - .offset:         104
        .size:           4
        .value_kind:     hidden_block_count_x
      - .offset:         108
        .size:           4
        .value_kind:     hidden_block_count_y
      - .offset:         112
        .size:           4
        .value_kind:     hidden_block_count_z
      - .offset:         116
        .size:           2
        .value_kind:     hidden_group_size_x
      - .offset:         118
        .size:           2
        .value_kind:     hidden_group_size_y
      - .offset:         120
        .size:           2
        .value_kind:     hidden_group_size_z
      - .offset:         122
        .size:           2
        .value_kind:     hidden_remainder_x
      - .offset:         124
        .size:           2
        .value_kind:     hidden_remainder_y
      - .offset:         126
        .size:           2
        .value_kind:     hidden_remainder_z
      - .offset:         144
        .size:           8
        .value_kind:     hidden_global_offset_x
      - .offset:         152
        .size:           8
        .value_kind:     hidden_global_offset_y
      - .offset:         160
        .size:           8
        .value_kind:     hidden_global_offset_z
      - .offset:         168
        .size:           2
        .value_kind:     hidden_grid_dims
    .group_segment_fixed_size: 256
    .kernarg_segment_align: 8
    .kernarg_segment_size: 360
    .language:       OpenCL C
    .language_version:
      - 2
      - 0
    .max_flat_workgroup_size: 256
    .name:           _ZL23rocblas_gemvt_sn_kernelILb0ELi256ELi4EiPKDF16_PKffEviiT4_lPKT3_lilS7_lilPT5_i
    .private_segment_fixed_size: 0
    .sgpr_count:     60
    .sgpr_spill_count: 0
    .symbol:         _ZL23rocblas_gemvt_sn_kernelILb0ELi256ELi4EiPKDF16_PKffEviiT4_lPKT3_lilS7_lilPT5_i.kd
    .uniform_work_group_size: 1
    .uses_dynamic_stack: false
    .vgpr_count:     46
    .vgpr_spill_count: 0
    .wavefront_size: 64
  - .agpr_count:     0
    .args:
      - .offset:         0
        .size:           4
        .value_kind:     by_value
      - .offset:         4
        .size:           4
        .value_kind:     by_value
      - .address_space:  global
        .offset:         8
        .size:           8
        .value_kind:     global_buffer
      - .offset:         16
        .size:           8
        .value_kind:     by_value
      - .address_space:  global
        .offset:         24
        .size:           8
        .value_kind:     global_buffer
      - .offset:         32
        .size:           8
        .value_kind:     by_value
      - .offset:         40
        .size:           4
        .value_kind:     by_value
      - .offset:         48
        .size:           8
        .value_kind:     by_value
      - .address_space:  global
        .offset:         56
        .size:           8
        .value_kind:     global_buffer
      - .offset:         64
        .size:           8
        .value_kind:     by_value
      - .offset:         72
        .size:           4
        .value_kind:     by_value
      - .offset:         80
        .size:           8
        .value_kind:     by_value
      - .address_space:  global
        .offset:         88
        .size:           8
        .value_kind:     global_buffer
      - .offset:         96
        .size:           4
        .value_kind:     by_value
      - .offset:         104
        .size:           4
        .value_kind:     hidden_block_count_x
      - .offset:         108
        .size:           4
        .value_kind:     hidden_block_count_y
      - .offset:         112
        .size:           4
        .value_kind:     hidden_block_count_z
      - .offset:         116
        .size:           2
        .value_kind:     hidden_group_size_x
      - .offset:         118
        .size:           2
        .value_kind:     hidden_group_size_y
      - .offset:         120
        .size:           2
        .value_kind:     hidden_group_size_z
      - .offset:         122
        .size:           2
        .value_kind:     hidden_remainder_x
      - .offset:         124
        .size:           2
        .value_kind:     hidden_remainder_y
      - .offset:         126
        .size:           2
        .value_kind:     hidden_remainder_z
      - .offset:         144
        .size:           8
        .value_kind:     hidden_global_offset_x
      - .offset:         152
        .size:           8
        .value_kind:     hidden_global_offset_y
      - .offset:         160
        .size:           8
        .value_kind:     hidden_global_offset_z
      - .offset:         168
        .size:           2
        .value_kind:     hidden_grid_dims
    .group_segment_fixed_size: 256
    .kernarg_segment_align: 8
    .kernarg_segment_size: 360
    .language:       OpenCL C
    .language_version:
      - 2
      - 0
    .max_flat_workgroup_size: 256
    .name:           _ZL23rocblas_gemvt_sn_kernelILb0ELi256ELi4ElPKDF16_PKffEviiT4_lPKT3_lilS7_lilPT5_i
    .private_segment_fixed_size: 0
    .sgpr_count:     65
    .sgpr_spill_count: 0
    .symbol:         _ZL23rocblas_gemvt_sn_kernelILb0ELi256ELi4ElPKDF16_PKffEviiT4_lPKT3_lilS7_lilPT5_i.kd
    .uniform_work_group_size: 1
    .uses_dynamic_stack: false
    .vgpr_count:     52
    .vgpr_spill_count: 0
    .wavefront_size: 64
  - .agpr_count:     0
    .args:
      - .offset:         0
        .size:           4
        .value_kind:     by_value
      - .address_space:  global
        .offset:         8
        .size:           8
        .value_kind:     global_buffer
      - .offset:         16
        .size:           8
        .value_kind:     by_value
      - .address_space:  global
        .offset:         24
        .size:           8
        .value_kind:     global_buffer
      - .offset:         32
        .size:           8
        .value_kind:     by_value
      - .offset:         40
        .size:           4
        .value_kind:     by_value
      - .offset:         48
        .size:           8
        .value_kind:     by_value
      - .actual_access:  read_only
        .address_space:  global
        .offset:         56
        .size:           8
        .value_kind:     global_buffer
      - .offset:         64
        .size:           4
        .value_kind:     by_value
      - .offset:         72
        .size:           4
        .value_kind:     hidden_block_count_x
      - .offset:         76
        .size:           4
        .value_kind:     hidden_block_count_y
      - .offset:         80
        .size:           4
        .value_kind:     hidden_block_count_z
      - .offset:         84
        .size:           2
        .value_kind:     hidden_group_size_x
      - .offset:         86
        .size:           2
        .value_kind:     hidden_group_size_y
      - .offset:         88
        .size:           2
        .value_kind:     hidden_group_size_z
      - .offset:         90
        .size:           2
        .value_kind:     hidden_remainder_x
      - .offset:         92
        .size:           2
        .value_kind:     hidden_remainder_y
      - .offset:         94
        .size:           2
        .value_kind:     hidden_remainder_z
      - .offset:         112
        .size:           8
        .value_kind:     hidden_global_offset_x
      - .offset:         120
        .size:           8
        .value_kind:     hidden_global_offset_y
      - .offset:         128
        .size:           8
        .value_kind:     hidden_global_offset_z
      - .offset:         136
        .size:           2
        .value_kind:     hidden_grid_dims
    .group_segment_fixed_size: 256
    .kernarg_segment_align: 8
    .kernarg_segment_size: 328
    .language:       OpenCL C
    .language_version:
      - 2
      - 0
    .max_flat_workgroup_size: 256
    .name:           _ZL23rocblas_gemvt_sn_reduceILi256ELi8EfPKfKPDF16_EviT2_lPT3_lilPT1_i
    .private_segment_fixed_size: 0
    .sgpr_count:     27
    .sgpr_spill_count: 0
    .symbol:         _ZL23rocblas_gemvt_sn_reduceILi256ELi8EfPKfKPDF16_EviT2_lPT3_lilPT1_i.kd
    .uniform_work_group_size: 1
    .uses_dynamic_stack: false
    .vgpr_count:     14
    .vgpr_spill_count: 0
    .wavefront_size: 64
  - .agpr_count:     0
    .args:
      - .offset:         0
        .size:           4
        .value_kind:     by_value
      - .offset:         4
        .size:           4
        .value_kind:     by_value
      - .offset:         8
        .size:           4
        .value_kind:     by_value
      - .offset:         16
        .size:           8
        .value_kind:     by_value
      - .address_space:  global
        .offset:         24
        .size:           8
        .value_kind:     global_buffer
      - .offset:         32
        .size:           8
        .value_kind:     by_value
      - .offset:         40
        .size:           4
        .value_kind:     by_value
      - .offset:         48
        .size:           8
        .value_kind:     by_value
      - .address_space:  global
        .offset:         56
        .size:           8
        .value_kind:     global_buffer
      - .offset:         64
        .size:           8
        .value_kind:     by_value
      - .offset:         72
        .size:           4
        .value_kind:     by_value
      - .offset:         80
        .size:           8
        .value_kind:     by_value
      - .address_space:  global
        .offset:         88
        .size:           8
        .value_kind:     global_buffer
      - .offset:         96
        .size:           4
        .value_kind:     by_value
      - .offset:         104
        .size:           4
        .value_kind:     hidden_block_count_x
      - .offset:         108
        .size:           4
        .value_kind:     hidden_block_count_y
      - .offset:         112
        .size:           4
        .value_kind:     hidden_block_count_z
      - .offset:         116
        .size:           2
        .value_kind:     hidden_group_size_x
      - .offset:         118
        .size:           2
        .value_kind:     hidden_group_size_y
      - .offset:         120
        .size:           2
        .value_kind:     hidden_group_size_z
      - .offset:         122
        .size:           2
        .value_kind:     hidden_remainder_x
      - .offset:         124
        .size:           2
        .value_kind:     hidden_remainder_y
      - .offset:         126
        .size:           2
        .value_kind:     hidden_remainder_z
      - .offset:         144
        .size:           8
        .value_kind:     hidden_global_offset_x
      - .offset:         152
        .size:           8
        .value_kind:     hidden_global_offset_y
      - .offset:         160
        .size:           8
        .value_kind:     hidden_global_offset_z
      - .offset:         168
        .size:           2
        .value_kind:     hidden_grid_dims
    .group_segment_fixed_size: 256
    .kernarg_segment_align: 8
    .kernarg_segment_size: 360
    .language:       OpenCL C
    .language_version:
      - 2
      - 0
    .max_flat_workgroup_size: 256
    .name:           _ZL23rocblas_gemvt_sn_kernelILb0ELi256ELi4EiPKDF16_ffEviiT4_lPKT3_lilS5_lilPT5_i
    .private_segment_fixed_size: 0
    .sgpr_count:     60
    .sgpr_spill_count: 0
    .symbol:         _ZL23rocblas_gemvt_sn_kernelILb0ELi256ELi4EiPKDF16_ffEviiT4_lPKT3_lilS5_lilPT5_i.kd
    .uniform_work_group_size: 1
    .uses_dynamic_stack: false
    .vgpr_count:     46
    .vgpr_spill_count: 0
    .wavefront_size: 64
  - .agpr_count:     0
    .args:
      - .offset:         0
        .size:           4
        .value_kind:     by_value
      - .offset:         4
        .size:           4
        .value_kind:     by_value
      - .offset:         8
        .size:           4
        .value_kind:     by_value
      - .offset:         16
        .size:           8
        .value_kind:     by_value
      - .address_space:  global
        .offset:         24
        .size:           8
        .value_kind:     global_buffer
      - .offset:         32
        .size:           8
        .value_kind:     by_value
      - .offset:         40
        .size:           4
        .value_kind:     by_value
      - .offset:         48
        .size:           8
        .value_kind:     by_value
      - .address_space:  global
        .offset:         56
        .size:           8
        .value_kind:     global_buffer
      - .offset:         64
        .size:           8
        .value_kind:     by_value
      - .offset:         72
        .size:           4
        .value_kind:     by_value
      - .offset:         80
        .size:           8
        .value_kind:     by_value
      - .address_space:  global
        .offset:         88
        .size:           8
        .value_kind:     global_buffer
      - .offset:         96
        .size:           4
        .value_kind:     by_value
      - .offset:         104
        .size:           4
        .value_kind:     hidden_block_count_x
      - .offset:         108
        .size:           4
        .value_kind:     hidden_block_count_y
      - .offset:         112
        .size:           4
        .value_kind:     hidden_block_count_z
      - .offset:         116
        .size:           2
        .value_kind:     hidden_group_size_x
      - .offset:         118
        .size:           2
        .value_kind:     hidden_group_size_y
      - .offset:         120
        .size:           2
        .value_kind:     hidden_group_size_z
      - .offset:         122
        .size:           2
        .value_kind:     hidden_remainder_x
      - .offset:         124
        .size:           2
        .value_kind:     hidden_remainder_y
      - .offset:         126
        .size:           2
        .value_kind:     hidden_remainder_z
      - .offset:         144
        .size:           8
        .value_kind:     hidden_global_offset_x
      - .offset:         152
        .size:           8
        .value_kind:     hidden_global_offset_y
      - .offset:         160
        .size:           8
        .value_kind:     hidden_global_offset_z
      - .offset:         168
        .size:           2
        .value_kind:     hidden_grid_dims
    .group_segment_fixed_size: 256
    .kernarg_segment_align: 8
    .kernarg_segment_size: 360
    .language:       OpenCL C
    .language_version:
      - 2
      - 0
    .max_flat_workgroup_size: 256
    .name:           _ZL23rocblas_gemvt_sn_kernelILb0ELi256ELi4ElPKDF16_ffEviiT4_lPKT3_lilS5_lilPT5_i
    .private_segment_fixed_size: 0
    .sgpr_count:     65
    .sgpr_spill_count: 0
    .symbol:         _ZL23rocblas_gemvt_sn_kernelILb0ELi256ELi4ElPKDF16_ffEviiT4_lPKT3_lilS5_lilPT5_i.kd
    .uniform_work_group_size: 1
    .uses_dynamic_stack: false
    .vgpr_count:     52
    .vgpr_spill_count: 0
    .wavefront_size: 64
  - .agpr_count:     0
    .args:
      - .offset:         0
        .size:           4
        .value_kind:     by_value
      - .offset:         4
        .size:           4
        .value_kind:     by_value
      - .offset:         8
        .size:           8
        .value_kind:     by_value
      - .address_space:  global
        .offset:         16
        .size:           8
        .value_kind:     global_buffer
      - .offset:         24
        .size:           8
        .value_kind:     by_value
      - .offset:         32
        .size:           4
        .value_kind:     by_value
      - .offset:         40
        .size:           8
        .value_kind:     by_value
      - .actual_access:  read_only
        .address_space:  global
        .offset:         48
        .size:           8
        .value_kind:     global_buffer
      - .offset:         56
        .size:           4
        .value_kind:     by_value
      - .offset:         64
        .size:           4
        .value_kind:     hidden_block_count_x
      - .offset:         68
        .size:           4
        .value_kind:     hidden_block_count_y
      - .offset:         72
        .size:           4
        .value_kind:     hidden_block_count_z
      - .offset:         76
        .size:           2
        .value_kind:     hidden_group_size_x
      - .offset:         78
        .size:           2
        .value_kind:     hidden_group_size_y
      - .offset:         80
        .size:           2
        .value_kind:     hidden_group_size_z
      - .offset:         82
        .size:           2
        .value_kind:     hidden_remainder_x
      - .offset:         84
        .size:           2
        .value_kind:     hidden_remainder_y
      - .offset:         86
        .size:           2
        .value_kind:     hidden_remainder_z
      - .offset:         104
        .size:           8
        .value_kind:     hidden_global_offset_x
      - .offset:         112
        .size:           8
        .value_kind:     hidden_global_offset_y
      - .offset:         120
        .size:           8
        .value_kind:     hidden_global_offset_z
      - .offset:         128
        .size:           2
        .value_kind:     hidden_grid_dims
    .group_segment_fixed_size: 256
    .kernarg_segment_align: 8
    .kernarg_segment_size: 320
    .language:       OpenCL C
    .language_version:
      - 2
      - 0
    .max_flat_workgroup_size: 256
    .name:           _ZL23rocblas_gemvt_sn_reduceILi256ELi8EffKPDF16_EviT2_lPT3_lilPT1_i
    .private_segment_fixed_size: 0
    .sgpr_count:     27
    .sgpr_spill_count: 0
    .symbol:         _ZL23rocblas_gemvt_sn_reduceILi256ELi8EffKPDF16_EviT2_lPT3_lilPT1_i.kd
    .uniform_work_group_size: 1
    .uses_dynamic_stack: false
    .vgpr_count:     14
    .vgpr_spill_count: 0
    .wavefront_size: 64
  - .agpr_count:     0
    .args:
      - .offset:         0
        .size:           4
        .value_kind:     by_value
      - .offset:         4
        .size:           4
        .value_kind:     by_value
      - .address_space:  global
        .offset:         8
        .size:           8
        .value_kind:     global_buffer
      - .offset:         16
        .size:           8
        .value_kind:     by_value
      - .address_space:  global
        .offset:         24
        .size:           8
        .value_kind:     global_buffer
      - .offset:         32
        .size:           8
        .value_kind:     by_value
      - .offset:         40
        .size:           4
        .value_kind:     by_value
      - .offset:         48
        .size:           8
        .value_kind:     by_value
      - .address_space:  global
        .offset:         56
        .size:           8
        .value_kind:     global_buffer
      - .offset:         64
        .size:           8
        .value_kind:     by_value
      - .offset:         72
        .size:           4
        .value_kind:     by_value
      - .offset:         80
        .size:           8
        .value_kind:     by_value
      - .address_space:  global
        .offset:         88
        .size:           8
        .value_kind:     global_buffer
      - .offset:         96
        .size:           8
        .value_kind:     by_value
      - .address_space:  global
        .offset:         104
        .size:           8
        .value_kind:     global_buffer
      - .offset:         112
        .size:           8
        .value_kind:     by_value
      - .offset:         120
        .size:           4
        .value_kind:     by_value
      - .offset:         128
        .size:           8
        .value_kind:     by_value
      - .offset:         136
        .size:           4
        .value_kind:     by_value
    .group_segment_fixed_size: 256
    .kernarg_segment_align: 8
    .kernarg_segment_size: 140
    .language:       OpenCL C
    .language_version:
      - 2
      - 0
    .max_flat_workgroup_size: 256
    .name:           _ZL32rocblas_gemvt_warp_reduce_kernelILb0ELi256EiPKDF16_PKfKPDF16_EviiT3_lPKT2_lT1_lS9_lSA_lS6_lPT4_lSA_li
    .private_segment_fixed_size: 0
    .sgpr_count:     29
    .sgpr_spill_count: 0
    .symbol:         _ZL32rocblas_gemvt_warp_reduce_kernelILb0ELi256EiPKDF16_PKfKPDF16_EviiT3_lPKT2_lT1_lS9_lSA_lS6_lPT4_lSA_li.kd
    .uniform_work_group_size: 1
    .uses_dynamic_stack: false
    .vgpr_count:     12
    .vgpr_spill_count: 0
    .wavefront_size: 64
  - .agpr_count:     0
    .args:
      - .offset:         0
        .size:           4
        .value_kind:     by_value
      - .offset:         4
        .size:           4
        .value_kind:     by_value
      - .address_space:  global
        .offset:         8
        .size:           8
        .value_kind:     global_buffer
      - .offset:         16
        .size:           8
        .value_kind:     by_value
      - .address_space:  global
        .offset:         24
        .size:           8
        .value_kind:     global_buffer
      - .offset:         32
        .size:           8
        .value_kind:     by_value
      - .offset:         40
        .size:           8
        .value_kind:     by_value
      - .offset:         48
        .size:           8
        .value_kind:     by_value
      - .address_space:  global
        .offset:         56
        .size:           8
        .value_kind:     global_buffer
      - .offset:         64
        .size:           8
        .value_kind:     by_value
      - .offset:         72
        .size:           8
        .value_kind:     by_value
      - .offset:         80
        .size:           8
        .value_kind:     by_value
      - .address_space:  global
        .offset:         88
        .size:           8
        .value_kind:     global_buffer
      - .offset:         96
        .size:           8
        .value_kind:     by_value
      - .address_space:  global
        .offset:         104
        .size:           8
        .value_kind:     global_buffer
      - .offset:         112
        .size:           8
        .value_kind:     by_value
      - .offset:         120
        .size:           8
        .value_kind:     by_value
      - .offset:         128
        .size:           8
        .value_kind:     by_value
      - .offset:         136
        .size:           4
        .value_kind:     by_value
    .group_segment_fixed_size: 256
    .kernarg_segment_align: 8
    .kernarg_segment_size: 140
    .language:       OpenCL C
    .language_version:
      - 2
      - 0
    .max_flat_workgroup_size: 256
    .name:           _ZL32rocblas_gemvt_warp_reduce_kernelILb0ELi256ElPKDF16_PKfKPDF16_EviiT3_lPKT2_lT1_lS9_lSA_lS6_lPT4_lSA_li
    .private_segment_fixed_size: 0
    .sgpr_count:     37
    .sgpr_spill_count: 0
    .symbol:         _ZL32rocblas_gemvt_warp_reduce_kernelILb0ELi256ElPKDF16_PKfKPDF16_EviiT3_lPKT2_lT1_lS9_lSA_lS6_lPT4_lSA_li.kd
    .uniform_work_group_size: 1
    .uses_dynamic_stack: false
    .vgpr_count:     11
    .vgpr_spill_count: 0
    .wavefront_size: 64
  - .agpr_count:     0
    .args:
      - .offset:         0
        .size:           4
        .value_kind:     by_value
      - .offset:         4
        .size:           4
        .value_kind:     by_value
      - .offset:         8
        .size:           4
        .value_kind:     by_value
      - .offset:         16
        .size:           8
        .value_kind:     by_value
      - .address_space:  global
        .offset:         24
        .size:           8
        .value_kind:     global_buffer
      - .offset:         32
        .size:           8
        .value_kind:     by_value
      - .offset:         40
        .size:           4
        .value_kind:     by_value
      - .offset:         48
        .size:           8
        .value_kind:     by_value
      - .address_space:  global
        .offset:         56
        .size:           8
        .value_kind:     global_buffer
      - .offset:         64
        .size:           8
        .value_kind:     by_value
      - .offset:         72
        .size:           4
        .value_kind:     by_value
      - .offset:         80
        .size:           8
        .value_kind:     by_value
      - .offset:         88
        .size:           4
        .value_kind:     by_value
      - .offset:         96
        .size:           8
        .value_kind:     by_value
      - .address_space:  global
        .offset:         104
        .size:           8
        .value_kind:     global_buffer
      - .offset:         112
        .size:           8
        .value_kind:     by_value
      - .offset:         120
        .size:           4
        .value_kind:     by_value
      - .offset:         128
        .size:           8
        .value_kind:     by_value
      - .offset:         136
        .size:           4
        .value_kind:     by_value
    .group_segment_fixed_size: 256
    .kernarg_segment_align: 8
    .kernarg_segment_size: 140
    .language:       OpenCL C
    .language_version:
      - 2
      - 0
    .max_flat_workgroup_size: 256
    .name:           _ZL32rocblas_gemvt_warp_reduce_kernelILb0ELi256EiPKDF16_fKPDF16_EviiT3_lPKT2_lT1_lS7_lS8_lS4_lPT4_lS8_li
    .private_segment_fixed_size: 0
    .sgpr_count:     34
    .sgpr_spill_count: 0
    .symbol:         _ZL32rocblas_gemvt_warp_reduce_kernelILb0ELi256EiPKDF16_fKPDF16_EviiT3_lPKT2_lT1_lS7_lS8_lS4_lPT4_lS8_li.kd
    .uniform_work_group_size: 1
    .uses_dynamic_stack: false
    .vgpr_count:     12
    .vgpr_spill_count: 0
    .wavefront_size: 64
  - .agpr_count:     0
    .args:
      - .offset:         0
        .size:           4
        .value_kind:     by_value
      - .offset:         4
        .size:           4
        .value_kind:     by_value
      - .offset:         8
        .size:           4
        .value_kind:     by_value
      - .offset:         16
        .size:           8
        .value_kind:     by_value
      - .address_space:  global
        .offset:         24
        .size:           8
        .value_kind:     global_buffer
      - .offset:         32
        .size:           8
        .value_kind:     by_value
      - .offset:         40
        .size:           8
        .value_kind:     by_value
      - .offset:         48
        .size:           8
        .value_kind:     by_value
      - .address_space:  global
        .offset:         56
        .size:           8
        .value_kind:     global_buffer
      - .offset:         64
        .size:           8
        .value_kind:     by_value
      - .offset:         72
        .size:           8
        .value_kind:     by_value
      - .offset:         80
        .size:           8
        .value_kind:     by_value
      - .offset:         88
        .size:           4
        .value_kind:     by_value
      - .offset:         96
        .size:           8
        .value_kind:     by_value
      - .address_space:  global
        .offset:         104
        .size:           8
        .value_kind:     global_buffer
      - .offset:         112
        .size:           8
        .value_kind:     by_value
      - .offset:         120
        .size:           8
        .value_kind:     by_value
      - .offset:         128
        .size:           8
        .value_kind:     by_value
      - .offset:         136
        .size:           4
        .value_kind:     by_value
    .group_segment_fixed_size: 256
    .kernarg_segment_align: 8
    .kernarg_segment_size: 140
    .language:       OpenCL C
    .language_version:
      - 2
      - 0
    .max_flat_workgroup_size: 256
    .name:           _ZL32rocblas_gemvt_warp_reduce_kernelILb0ELi256ElPKDF16_fKPDF16_EviiT3_lPKT2_lT1_lS7_lS8_lS4_lPT4_lS8_li
    .private_segment_fixed_size: 0
    .sgpr_count:     38
    .sgpr_spill_count: 0
    .symbol:         _ZL32rocblas_gemvt_warp_reduce_kernelILb0ELi256ElPKDF16_fKPDF16_EviiT3_lPKT2_lT1_lS7_lS8_lS4_lPT4_lS8_li.kd
    .uniform_work_group_size: 1
    .uses_dynamic_stack: false
    .vgpr_count:     11
    .vgpr_spill_count: 0
    .wavefront_size: 64
  - .agpr_count:     0
    .args:
      - .offset:         0
        .size:           4
        .value_kind:     by_value
      - .offset:         4
        .size:           4
        .value_kind:     by_value
      - .address_space:  global
        .offset:         8
        .size:           8
        .value_kind:     global_buffer
      - .offset:         16
        .size:           8
        .value_kind:     by_value
      - .address_space:  global
        .offset:         24
        .size:           8
        .value_kind:     global_buffer
      - .offset:         32
        .size:           8
        .value_kind:     by_value
      - .offset:         40
        .size:           4
        .value_kind:     by_value
      - .offset:         48
        .size:           8
        .value_kind:     by_value
      - .address_space:  global
        .offset:         56
        .size:           8
        .value_kind:     global_buffer
      - .offset:         64
        .size:           8
        .value_kind:     by_value
      - .offset:         72
        .size:           4
        .value_kind:     by_value
      - .offset:         80
        .size:           8
        .value_kind:     by_value
      - .address_space:  global
        .offset:         88
        .size:           8
        .value_kind:     global_buffer
      - .offset:         96
        .size:           8
        .value_kind:     by_value
      - .address_space:  global
        .offset:         104
        .size:           8
        .value_kind:     global_buffer
      - .offset:         112
        .size:           8
        .value_kind:     by_value
      - .offset:         120
        .size:           4
        .value_kind:     by_value
      - .offset:         128
        .size:           8
        .value_kind:     by_value
      - .offset:         136
        .size:           4
        .value_kind:     by_value
    .group_segment_fixed_size: 1024
    .kernarg_segment_align: 8
    .kernarg_segment_size: 140
    .language:       OpenCL C
    .language_version:
      - 2
      - 0
    .max_flat_workgroup_size: 256
    .name:           _ZL20rocblas_gemvt_kernelILb0ELi256EPKDF16_PKfKPDF16_EviiT2_lPKT1_lilS9_lilS6_lPT3_lili
    .private_segment_fixed_size: 0
    .sgpr_count:     29
    .sgpr_spill_count: 0
    .symbol:         _ZL20rocblas_gemvt_kernelILb0ELi256EPKDF16_PKfKPDF16_EviiT2_lPKT1_lilS9_lilS6_lPT3_lili.kd
    .uniform_work_group_size: 1
    .uses_dynamic_stack: false
    .vgpr_count:     10
    .vgpr_spill_count: 0
    .wavefront_size: 64
  - .agpr_count:     0
    .args:
      - .offset:         0
        .size:           4
        .value_kind:     by_value
      - .offset:         4
        .size:           4
        .value_kind:     by_value
      - .offset:         8
        .size:           4
        .value_kind:     by_value
      - .offset:         16
        .size:           8
        .value_kind:     by_value
      - .address_space:  global
        .offset:         24
        .size:           8
        .value_kind:     global_buffer
      - .offset:         32
        .size:           8
        .value_kind:     by_value
      - .offset:         40
        .size:           4
        .value_kind:     by_value
      - .offset:         48
        .size:           8
        .value_kind:     by_value
      - .address_space:  global
        .offset:         56
        .size:           8
        .value_kind:     global_buffer
      - .offset:         64
        .size:           8
        .value_kind:     by_value
      - .offset:         72
        .size:           4
        .value_kind:     by_value
      - .offset:         80
        .size:           8
        .value_kind:     by_value
      - .offset:         88
        .size:           4
        .value_kind:     by_value
      - .offset:         96
        .size:           8
        .value_kind:     by_value
      - .address_space:  global
        .offset:         104
        .size:           8
        .value_kind:     global_buffer
      - .offset:         112
        .size:           8
        .value_kind:     by_value
      - .offset:         120
        .size:           4
        .value_kind:     by_value
      - .offset:         128
        .size:           8
        .value_kind:     by_value
      - .offset:         136
        .size:           4
        .value_kind:     by_value
    .group_segment_fixed_size: 1024
    .kernarg_segment_align: 8
    .kernarg_segment_size: 140
    .language:       OpenCL C
    .language_version:
      - 2
      - 0
    .max_flat_workgroup_size: 256
    .name:           _ZL20rocblas_gemvt_kernelILb0ELi256EPKDF16_fKPDF16_EviiT2_lPKT1_lilS7_lilS4_lPT3_lili
    .private_segment_fixed_size: 0
    .sgpr_count:     34
    .sgpr_spill_count: 0
    .symbol:         _ZL20rocblas_gemvt_kernelILb0ELi256EPKDF16_fKPDF16_EviiT2_lPKT1_lilS7_lilS4_lPT3_lili.kd
    .uniform_work_group_size: 1
    .uses_dynamic_stack: false
    .vgpr_count:     10
    .vgpr_spill_count: 0
    .wavefront_size: 64
  - .agpr_count:     0
    .args:
      - .offset:         0
        .size:           4
        .value_kind:     by_value
      - .offset:         4
        .size:           4
        .value_kind:     by_value
      - .address_space:  global
        .offset:         8
        .size:           8
        .value_kind:     global_buffer
      - .offset:         16
        .size:           8
        .value_kind:     by_value
      - .address_space:  global
        .offset:         24
        .size:           8
        .value_kind:     global_buffer
      - .offset:         32
        .size:           8
        .value_kind:     by_value
      - .offset:         40
        .size:           4
        .value_kind:     by_value
      - .offset:         48
        .size:           8
        .value_kind:     by_value
      - .address_space:  global
        .offset:         56
        .size:           8
        .value_kind:     global_buffer
      - .offset:         64
        .size:           8
        .value_kind:     by_value
      - .offset:         72
        .size:           4
        .value_kind:     by_value
      - .offset:         80
        .size:           8
        .value_kind:     by_value
      - .address_space:  global
        .offset:         88
        .size:           8
        .value_kind:     global_buffer
      - .offset:         96
        .size:           8
        .value_kind:     by_value
      - .address_space:  global
        .offset:         104
        .size:           8
        .value_kind:     global_buffer
      - .offset:         112
        .size:           8
        .value_kind:     by_value
      - .offset:         120
        .size:           4
        .value_kind:     by_value
      - .offset:         128
        .size:           8
        .value_kind:     by_value
      - .offset:         136
        .size:           4
        .value_kind:     by_value
    .group_segment_fixed_size: 256
    .kernarg_segment_align: 8
    .kernarg_segment_size: 140
    .language:       OpenCL C
    .language_version:
      - 2
      - 0
    .max_flat_workgroup_size: 1024
    .name:           _ZL32rocblas_gemvt_warp_reduce_kernelILb0ELi1024EiPKDF16_PKfKPDF16_EviiT3_lPKT2_lT1_lS9_lSA_lS6_lPT4_lSA_li
    .private_segment_fixed_size: 0
    .sgpr_count:     29
    .sgpr_spill_count: 0
    .symbol:         _ZL32rocblas_gemvt_warp_reduce_kernelILb0ELi1024EiPKDF16_PKfKPDF16_EviiT3_lPKT2_lT1_lS9_lSA_lS6_lPT4_lSA_li.kd
    .uniform_work_group_size: 1
    .uses_dynamic_stack: false
    .vgpr_count:     12
    .vgpr_spill_count: 0
    .wavefront_size: 64
  - .agpr_count:     0
    .args:
      - .offset:         0
        .size:           4
        .value_kind:     by_value
      - .offset:         4
        .size:           4
        .value_kind:     by_value
      - .address_space:  global
        .offset:         8
        .size:           8
        .value_kind:     global_buffer
      - .offset:         16
        .size:           8
        .value_kind:     by_value
      - .address_space:  global
        .offset:         24
        .size:           8
        .value_kind:     global_buffer
      - .offset:         32
        .size:           8
        .value_kind:     by_value
      - .offset:         40
        .size:           8
        .value_kind:     by_value
      - .offset:         48
        .size:           8
        .value_kind:     by_value
      - .address_space:  global
        .offset:         56
        .size:           8
        .value_kind:     global_buffer
      - .offset:         64
        .size:           8
        .value_kind:     by_value
      - .offset:         72
        .size:           8
        .value_kind:     by_value
      - .offset:         80
        .size:           8
        .value_kind:     by_value
      - .address_space:  global
        .offset:         88
        .size:           8
        .value_kind:     global_buffer
      - .offset:         96
        .size:           8
        .value_kind:     by_value
      - .address_space:  global
        .offset:         104
        .size:           8
        .value_kind:     global_buffer
      - .offset:         112
        .size:           8
        .value_kind:     by_value
      - .offset:         120
        .size:           8
        .value_kind:     by_value
      - .offset:         128
        .size:           8
        .value_kind:     by_value
      - .offset:         136
        .size:           4
        .value_kind:     by_value
    .group_segment_fixed_size: 256
    .kernarg_segment_align: 8
    .kernarg_segment_size: 140
    .language:       OpenCL C
    .language_version:
      - 2
      - 0
    .max_flat_workgroup_size: 1024
    .name:           _ZL32rocblas_gemvt_warp_reduce_kernelILb0ELi1024ElPKDF16_PKfKPDF16_EviiT3_lPKT2_lT1_lS9_lSA_lS6_lPT4_lSA_li
    .private_segment_fixed_size: 0
    .sgpr_count:     37
    .sgpr_spill_count: 0
    .symbol:         _ZL32rocblas_gemvt_warp_reduce_kernelILb0ELi1024ElPKDF16_PKfKPDF16_EviiT3_lPKT2_lT1_lS9_lSA_lS6_lPT4_lSA_li.kd
    .uniform_work_group_size: 1
    .uses_dynamic_stack: false
    .vgpr_count:     11
    .vgpr_spill_count: 0
    .wavefront_size: 64
  - .agpr_count:     0
    .args:
      - .offset:         0
        .size:           4
        .value_kind:     by_value
      - .offset:         4
        .size:           4
        .value_kind:     by_value
      - .offset:         8
        .size:           4
        .value_kind:     by_value
      - .offset:         16
        .size:           8
        .value_kind:     by_value
      - .address_space:  global
        .offset:         24
        .size:           8
        .value_kind:     global_buffer
      - .offset:         32
        .size:           8
        .value_kind:     by_value
      - .offset:         40
        .size:           4
        .value_kind:     by_value
      - .offset:         48
        .size:           8
        .value_kind:     by_value
      - .address_space:  global
        .offset:         56
        .size:           8
        .value_kind:     global_buffer
      - .offset:         64
        .size:           8
        .value_kind:     by_value
      - .offset:         72
        .size:           4
        .value_kind:     by_value
      - .offset:         80
        .size:           8
        .value_kind:     by_value
      - .offset:         88
        .size:           4
        .value_kind:     by_value
      - .offset:         96
        .size:           8
        .value_kind:     by_value
      - .address_space:  global
        .offset:         104
        .size:           8
        .value_kind:     global_buffer
      - .offset:         112
        .size:           8
        .value_kind:     by_value
      - .offset:         120
        .size:           4
        .value_kind:     by_value
      - .offset:         128
        .size:           8
        .value_kind:     by_value
      - .offset:         136
        .size:           4
        .value_kind:     by_value
    .group_segment_fixed_size: 256
    .kernarg_segment_align: 8
    .kernarg_segment_size: 140
    .language:       OpenCL C
    .language_version:
      - 2
      - 0
    .max_flat_workgroup_size: 1024
    .name:           _ZL32rocblas_gemvt_warp_reduce_kernelILb0ELi1024EiPKDF16_fKPDF16_EviiT3_lPKT2_lT1_lS7_lS8_lS4_lPT4_lS8_li
    .private_segment_fixed_size: 0
    .sgpr_count:     34
    .sgpr_spill_count: 0
    .symbol:         _ZL32rocblas_gemvt_warp_reduce_kernelILb0ELi1024EiPKDF16_fKPDF16_EviiT3_lPKT2_lT1_lS7_lS8_lS4_lPT4_lS8_li.kd
    .uniform_work_group_size: 1
    .uses_dynamic_stack: false
    .vgpr_count:     12
    .vgpr_spill_count: 0
    .wavefront_size: 64
  - .agpr_count:     0
    .args:
      - .offset:         0
        .size:           4
        .value_kind:     by_value
      - .offset:         4
        .size:           4
        .value_kind:     by_value
      - .offset:         8
        .size:           4
        .value_kind:     by_value
      - .offset:         16
        .size:           8
        .value_kind:     by_value
      - .address_space:  global
        .offset:         24
        .size:           8
        .value_kind:     global_buffer
      - .offset:         32
        .size:           8
        .value_kind:     by_value
      - .offset:         40
        .size:           8
        .value_kind:     by_value
      - .offset:         48
        .size:           8
        .value_kind:     by_value
      - .address_space:  global
        .offset:         56
        .size:           8
        .value_kind:     global_buffer
      - .offset:         64
        .size:           8
        .value_kind:     by_value
      - .offset:         72
        .size:           8
        .value_kind:     by_value
      - .offset:         80
        .size:           8
        .value_kind:     by_value
      - .offset:         88
        .size:           4
        .value_kind:     by_value
      - .offset:         96
        .size:           8
        .value_kind:     by_value
      - .address_space:  global
        .offset:         104
        .size:           8
        .value_kind:     global_buffer
      - .offset:         112
        .size:           8
        .value_kind:     by_value
      - .offset:         120
        .size:           8
        .value_kind:     by_value
      - .offset:         128
        .size:           8
        .value_kind:     by_value
      - .offset:         136
        .size:           4
        .value_kind:     by_value
    .group_segment_fixed_size: 256
    .kernarg_segment_align: 8
    .kernarg_segment_size: 140
    .language:       OpenCL C
    .language_version:
      - 2
      - 0
    .max_flat_workgroup_size: 1024
    .name:           _ZL32rocblas_gemvt_warp_reduce_kernelILb0ELi1024ElPKDF16_fKPDF16_EviiT3_lPKT2_lT1_lS7_lS8_lS4_lPT4_lS8_li
    .private_segment_fixed_size: 0
    .sgpr_count:     38
    .sgpr_spill_count: 0
    .symbol:         _ZL32rocblas_gemvt_warp_reduce_kernelILb0ELi1024ElPKDF16_fKPDF16_EviiT3_lPKT2_lT1_lS7_lS8_lS4_lPT4_lS8_li.kd
    .uniform_work_group_size: 1
    .uses_dynamic_stack: false
    .vgpr_count:     11
    .vgpr_spill_count: 0
    .wavefront_size: 64
  - .agpr_count:     0
    .args:
      - .offset:         0
        .size:           4
        .value_kind:     by_value
      - .offset:         4
        .size:           4
        .value_kind:     by_value
      - .address_space:  global
        .offset:         8
        .size:           8
        .value_kind:     global_buffer
      - .offset:         16
        .size:           8
        .value_kind:     by_value
      - .address_space:  global
        .offset:         24
        .size:           8
        .value_kind:     global_buffer
      - .offset:         32
        .size:           8
        .value_kind:     by_value
      - .offset:         40
        .size:           4
        .value_kind:     by_value
      - .offset:         48
        .size:           8
        .value_kind:     by_value
      - .address_space:  global
        .offset:         56
        .size:           8
        .value_kind:     global_buffer
      - .offset:         64
        .size:           8
        .value_kind:     by_value
      - .offset:         72
        .size:           4
        .value_kind:     by_value
      - .offset:         80
        .size:           8
        .value_kind:     by_value
      - .address_space:  global
        .offset:         88
        .size:           8
        .value_kind:     global_buffer
      - .offset:         96
        .size:           8
        .value_kind:     by_value
      - .address_space:  global
        .offset:         104
        .size:           8
        .value_kind:     global_buffer
      - .offset:         112
        .size:           8
        .value_kind:     by_value
      - .offset:         120
        .size:           4
        .value_kind:     by_value
      - .offset:         128
        .size:           8
        .value_kind:     by_value
    .group_segment_fixed_size: 256
    .kernarg_segment_align: 8
    .kernarg_segment_size: 136
    .language:       OpenCL C
    .language_version:
      - 2
      - 0
    .max_flat_workgroup_size: 256
    .name:           _ZL22rocblas_gemvtsm_kernelILb1ELi256EPKDF16_PKfKPDF16_EviiT2_lPKT1_lilS9_lilS6_lPT3_lil
    .private_segment_fixed_size: 0
    .sgpr_count:     32
    .sgpr_spill_count: 0
    .symbol:         _ZL22rocblas_gemvtsm_kernelILb1ELi256EPKDF16_PKfKPDF16_EviiT2_lPKT1_lilS9_lilS6_lPT3_lil.kd
    .uniform_work_group_size: 1
    .uses_dynamic_stack: false
    .vgpr_count:     20
    .vgpr_spill_count: 0
    .wavefront_size: 64
  - .agpr_count:     0
    .args:
      - .offset:         0
        .size:           4
        .value_kind:     by_value
      - .offset:         4
        .size:           4
        .value_kind:     by_value
      - .offset:         8
        .size:           4
        .value_kind:     by_value
      - .offset:         16
        .size:           8
        .value_kind:     by_value
      - .address_space:  global
        .offset:         24
        .size:           8
        .value_kind:     global_buffer
      - .offset:         32
        .size:           8
        .value_kind:     by_value
      - .offset:         40
        .size:           4
        .value_kind:     by_value
      - .offset:         48
        .size:           8
        .value_kind:     by_value
      - .address_space:  global
        .offset:         56
        .size:           8
        .value_kind:     global_buffer
      - .offset:         64
        .size:           8
        .value_kind:     by_value
      - .offset:         72
        .size:           4
        .value_kind:     by_value
      - .offset:         80
        .size:           8
        .value_kind:     by_value
      - .offset:         88
        .size:           4
        .value_kind:     by_value
      - .offset:         96
        .size:           8
        .value_kind:     by_value
      - .address_space:  global
        .offset:         104
        .size:           8
        .value_kind:     global_buffer
      - .offset:         112
        .size:           8
        .value_kind:     by_value
      - .offset:         120
        .size:           4
        .value_kind:     by_value
      - .offset:         128
        .size:           8
        .value_kind:     by_value
    .group_segment_fixed_size: 256
    .kernarg_segment_align: 8
    .kernarg_segment_size: 136
    .language:       OpenCL C
    .language_version:
      - 2
      - 0
    .max_flat_workgroup_size: 256
    .name:           _ZL22rocblas_gemvtsm_kernelILb1ELi256EPKDF16_fKPDF16_EviiT2_lPKT1_lilS7_lilS4_lPT3_lil
    .private_segment_fixed_size: 0
    .sgpr_count:     32
    .sgpr_spill_count: 0
    .symbol:         _ZL22rocblas_gemvtsm_kernelILb1ELi256EPKDF16_fKPDF16_EviiT2_lPKT1_lilS7_lilS4_lPT3_lil.kd
    .uniform_work_group_size: 1
    .uses_dynamic_stack: false
    .vgpr_count:     20
    .vgpr_spill_count: 0
    .wavefront_size: 64
  - .agpr_count:     0
    .args:
      - .offset:         0
        .size:           4
        .value_kind:     by_value
      - .offset:         4
        .size:           4
        .value_kind:     by_value
      - .address_space:  global
        .offset:         8
        .size:           8
        .value_kind:     global_buffer
      - .offset:         16
        .size:           8
        .value_kind:     by_value
      - .address_space:  global
        .offset:         24
        .size:           8
        .value_kind:     global_buffer
      - .offset:         32
        .size:           8
        .value_kind:     by_value
      - .offset:         40
        .size:           4
        .value_kind:     by_value
      - .offset:         48
        .size:           8
        .value_kind:     by_value
      - .address_space:  global
        .offset:         56
        .size:           8
        .value_kind:     global_buffer
      - .offset:         64
        .size:           8
        .value_kind:     by_value
      - .offset:         72
        .size:           4
        .value_kind:     by_value
      - .offset:         80
        .size:           8
        .value_kind:     by_value
      - .address_space:  global
        .offset:         88
        .size:           8
        .value_kind:     global_buffer
      - .offset:         96
        .size:           4
        .value_kind:     by_value
      - .offset:         104
        .size:           4
        .value_kind:     hidden_block_count_x
      - .offset:         108
        .size:           4
        .value_kind:     hidden_block_count_y
      - .offset:         112
        .size:           4
        .value_kind:     hidden_block_count_z
      - .offset:         116
        .size:           2
        .value_kind:     hidden_group_size_x
      - .offset:         118
        .size:           2
        .value_kind:     hidden_group_size_y
      - .offset:         120
        .size:           2
        .value_kind:     hidden_group_size_z
      - .offset:         122
        .size:           2
        .value_kind:     hidden_remainder_x
      - .offset:         124
        .size:           2
        .value_kind:     hidden_remainder_y
      - .offset:         126
        .size:           2
        .value_kind:     hidden_remainder_z
      - .offset:         144
        .size:           8
        .value_kind:     hidden_global_offset_x
      - .offset:         152
        .size:           8
        .value_kind:     hidden_global_offset_y
      - .offset:         160
        .size:           8
        .value_kind:     hidden_global_offset_z
      - .offset:         168
        .size:           2
        .value_kind:     hidden_grid_dims
    .group_segment_fixed_size: 256
    .kernarg_segment_align: 8
    .kernarg_segment_size: 360
    .language:       OpenCL C
    .language_version:
      - 2
      - 0
    .max_flat_workgroup_size: 256
    .name:           _ZL23rocblas_gemvt_sn_kernelILb1ELi256ELi4EiPKDF16_PKffEviiT4_lPKT3_lilS7_lilPT5_i
    .private_segment_fixed_size: 0
    .sgpr_count:     60
    .sgpr_spill_count: 0
    .symbol:         _ZL23rocblas_gemvt_sn_kernelILb1ELi256ELi4EiPKDF16_PKffEviiT4_lPKT3_lilS7_lilPT5_i.kd
    .uniform_work_group_size: 1
    .uses_dynamic_stack: false
    .vgpr_count:     46
    .vgpr_spill_count: 0
    .wavefront_size: 64
  - .agpr_count:     0
    .args:
      - .offset:         0
        .size:           4
        .value_kind:     by_value
      - .offset:         4
        .size:           4
        .value_kind:     by_value
      - .address_space:  global
        .offset:         8
        .size:           8
        .value_kind:     global_buffer
      - .offset:         16
        .size:           8
        .value_kind:     by_value
      - .address_space:  global
        .offset:         24
        .size:           8
        .value_kind:     global_buffer
      - .offset:         32
        .size:           8
        .value_kind:     by_value
      - .offset:         40
        .size:           4
        .value_kind:     by_value
      - .offset:         48
        .size:           8
        .value_kind:     by_value
      - .address_space:  global
        .offset:         56
        .size:           8
        .value_kind:     global_buffer
      - .offset:         64
        .size:           8
        .value_kind:     by_value
      - .offset:         72
        .size:           4
        .value_kind:     by_value
      - .offset:         80
        .size:           8
        .value_kind:     by_value
      - .address_space:  global
        .offset:         88
        .size:           8
        .value_kind:     global_buffer
      - .offset:         96
        .size:           4
        .value_kind:     by_value
      - .offset:         104
        .size:           4
        .value_kind:     hidden_block_count_x
      - .offset:         108
        .size:           4
        .value_kind:     hidden_block_count_y
      - .offset:         112
        .size:           4
        .value_kind:     hidden_block_count_z
      - .offset:         116
        .size:           2
        .value_kind:     hidden_group_size_x
      - .offset:         118
        .size:           2
        .value_kind:     hidden_group_size_y
      - .offset:         120
        .size:           2
        .value_kind:     hidden_group_size_z
      - .offset:         122
        .size:           2
        .value_kind:     hidden_remainder_x
      - .offset:         124
        .size:           2
        .value_kind:     hidden_remainder_y
      - .offset:         126
        .size:           2
        .value_kind:     hidden_remainder_z
      - .offset:         144
        .size:           8
        .value_kind:     hidden_global_offset_x
      - .offset:         152
        .size:           8
        .value_kind:     hidden_global_offset_y
      - .offset:         160
        .size:           8
        .value_kind:     hidden_global_offset_z
      - .offset:         168
        .size:           2
        .value_kind:     hidden_grid_dims
    .group_segment_fixed_size: 256
    .kernarg_segment_align: 8
    .kernarg_segment_size: 360
    .language:       OpenCL C
    .language_version:
      - 2
      - 0
    .max_flat_workgroup_size: 256
    .name:           _ZL23rocblas_gemvt_sn_kernelILb1ELi256ELi4ElPKDF16_PKffEviiT4_lPKT3_lilS7_lilPT5_i
    .private_segment_fixed_size: 0
    .sgpr_count:     65
    .sgpr_spill_count: 0
    .symbol:         _ZL23rocblas_gemvt_sn_kernelILb1ELi256ELi4ElPKDF16_PKffEviiT4_lPKT3_lilS7_lilPT5_i.kd
    .uniform_work_group_size: 1
    .uses_dynamic_stack: false
    .vgpr_count:     52
    .vgpr_spill_count: 0
    .wavefront_size: 64
  - .agpr_count:     0
    .args:
      - .offset:         0
        .size:           4
        .value_kind:     by_value
      - .offset:         4
        .size:           4
        .value_kind:     by_value
      - .offset:         8
        .size:           4
        .value_kind:     by_value
      - .offset:         16
        .size:           8
        .value_kind:     by_value
      - .address_space:  global
        .offset:         24
        .size:           8
        .value_kind:     global_buffer
      - .offset:         32
        .size:           8
        .value_kind:     by_value
      - .offset:         40
        .size:           4
        .value_kind:     by_value
      - .offset:         48
        .size:           8
        .value_kind:     by_value
      - .address_space:  global
        .offset:         56
        .size:           8
        .value_kind:     global_buffer
      - .offset:         64
        .size:           8
        .value_kind:     by_value
      - .offset:         72
        .size:           4
        .value_kind:     by_value
      - .offset:         80
        .size:           8
        .value_kind:     by_value
      - .address_space:  global
        .offset:         88
        .size:           8
        .value_kind:     global_buffer
      - .offset:         96
        .size:           4
        .value_kind:     by_value
      - .offset:         104
        .size:           4
        .value_kind:     hidden_block_count_x
      - .offset:         108
        .size:           4
        .value_kind:     hidden_block_count_y
      - .offset:         112
        .size:           4
        .value_kind:     hidden_block_count_z
      - .offset:         116
        .size:           2
        .value_kind:     hidden_group_size_x
      - .offset:         118
        .size:           2
        .value_kind:     hidden_group_size_y
      - .offset:         120
        .size:           2
        .value_kind:     hidden_group_size_z
      - .offset:         122
        .size:           2
        .value_kind:     hidden_remainder_x
      - .offset:         124
        .size:           2
        .value_kind:     hidden_remainder_y
      - .offset:         126
        .size:           2
        .value_kind:     hidden_remainder_z
      - .offset:         144
        .size:           8
        .value_kind:     hidden_global_offset_x
      - .offset:         152
        .size:           8
        .value_kind:     hidden_global_offset_y
      - .offset:         160
        .size:           8
        .value_kind:     hidden_global_offset_z
      - .offset:         168
        .size:           2
        .value_kind:     hidden_grid_dims
    .group_segment_fixed_size: 256
    .kernarg_segment_align: 8
    .kernarg_segment_size: 360
    .language:       OpenCL C
    .language_version:
      - 2
      - 0
    .max_flat_workgroup_size: 256
    .name:           _ZL23rocblas_gemvt_sn_kernelILb1ELi256ELi4EiPKDF16_ffEviiT4_lPKT3_lilS5_lilPT5_i
    .private_segment_fixed_size: 0
    .sgpr_count:     60
    .sgpr_spill_count: 0
    .symbol:         _ZL23rocblas_gemvt_sn_kernelILb1ELi256ELi4EiPKDF16_ffEviiT4_lPKT3_lilS5_lilPT5_i.kd
    .uniform_work_group_size: 1
    .uses_dynamic_stack: false
    .vgpr_count:     46
    .vgpr_spill_count: 0
    .wavefront_size: 64
  - .agpr_count:     0
    .args:
      - .offset:         0
        .size:           4
        .value_kind:     by_value
      - .offset:         4
        .size:           4
        .value_kind:     by_value
      - .offset:         8
        .size:           4
        .value_kind:     by_value
      - .offset:         16
        .size:           8
        .value_kind:     by_value
      - .address_space:  global
        .offset:         24
        .size:           8
        .value_kind:     global_buffer
      - .offset:         32
        .size:           8
        .value_kind:     by_value
      - .offset:         40
        .size:           4
        .value_kind:     by_value
      - .offset:         48
        .size:           8
        .value_kind:     by_value
      - .address_space:  global
        .offset:         56
        .size:           8
        .value_kind:     global_buffer
      - .offset:         64
        .size:           8
        .value_kind:     by_value
      - .offset:         72
        .size:           4
        .value_kind:     by_value
      - .offset:         80
        .size:           8
        .value_kind:     by_value
      - .address_space:  global
        .offset:         88
        .size:           8
        .value_kind:     global_buffer
      - .offset:         96
        .size:           4
        .value_kind:     by_value
      - .offset:         104
        .size:           4
        .value_kind:     hidden_block_count_x
      - .offset:         108
        .size:           4
        .value_kind:     hidden_block_count_y
      - .offset:         112
        .size:           4
        .value_kind:     hidden_block_count_z
      - .offset:         116
        .size:           2
        .value_kind:     hidden_group_size_x
      - .offset:         118
        .size:           2
        .value_kind:     hidden_group_size_y
      - .offset:         120
        .size:           2
        .value_kind:     hidden_group_size_z
      - .offset:         122
        .size:           2
        .value_kind:     hidden_remainder_x
      - .offset:         124
        .size:           2
        .value_kind:     hidden_remainder_y
      - .offset:         126
        .size:           2
        .value_kind:     hidden_remainder_z
      - .offset:         144
        .size:           8
        .value_kind:     hidden_global_offset_x
      - .offset:         152
        .size:           8
        .value_kind:     hidden_global_offset_y
      - .offset:         160
        .size:           8
        .value_kind:     hidden_global_offset_z
      - .offset:         168
        .size:           2
        .value_kind:     hidden_grid_dims
    .group_segment_fixed_size: 256
    .kernarg_segment_align: 8
    .kernarg_segment_size: 360
    .language:       OpenCL C
    .language_version:
      - 2
      - 0
    .max_flat_workgroup_size: 256
    .name:           _ZL23rocblas_gemvt_sn_kernelILb1ELi256ELi4ElPKDF16_ffEviiT4_lPKT3_lilS5_lilPT5_i
    .private_segment_fixed_size: 0
    .sgpr_count:     65
    .sgpr_spill_count: 0
    .symbol:         _ZL23rocblas_gemvt_sn_kernelILb1ELi256ELi4ElPKDF16_ffEviiT4_lPKT3_lilS5_lilPT5_i.kd
    .uniform_work_group_size: 1
    .uses_dynamic_stack: false
    .vgpr_count:     52
    .vgpr_spill_count: 0
    .wavefront_size: 64
  - .agpr_count:     0
    .args:
      - .offset:         0
        .size:           4
        .value_kind:     by_value
      - .offset:         4
        .size:           4
        .value_kind:     by_value
      - .address_space:  global
        .offset:         8
        .size:           8
        .value_kind:     global_buffer
      - .offset:         16
        .size:           8
        .value_kind:     by_value
      - .address_space:  global
        .offset:         24
        .size:           8
        .value_kind:     global_buffer
      - .offset:         32
        .size:           8
        .value_kind:     by_value
      - .offset:         40
        .size:           4
        .value_kind:     by_value
      - .offset:         48
        .size:           8
        .value_kind:     by_value
      - .address_space:  global
        .offset:         56
        .size:           8
        .value_kind:     global_buffer
      - .offset:         64
        .size:           8
        .value_kind:     by_value
      - .offset:         72
        .size:           4
        .value_kind:     by_value
      - .offset:         80
        .size:           8
        .value_kind:     by_value
      - .address_space:  global
        .offset:         88
        .size:           8
        .value_kind:     global_buffer
      - .offset:         96
        .size:           8
        .value_kind:     by_value
      - .address_space:  global
        .offset:         104
        .size:           8
        .value_kind:     global_buffer
      - .offset:         112
        .size:           8
        .value_kind:     by_value
      - .offset:         120
        .size:           4
        .value_kind:     by_value
      - .offset:         128
        .size:           8
        .value_kind:     by_value
      - .offset:         136
        .size:           4
        .value_kind:     by_value
    .group_segment_fixed_size: 1024
    .kernarg_segment_align: 8
    .kernarg_segment_size: 140
    .language:       OpenCL C
    .language_version:
      - 2
      - 0
    .max_flat_workgroup_size: 256
    .name:           _ZL20rocblas_gemvt_kernelILb1ELi256EPKDF16_PKfKPDF16_EviiT2_lPKT1_lilS9_lilS6_lPT3_lili
    .private_segment_fixed_size: 0
    .sgpr_count:     29
    .sgpr_spill_count: 0
    .symbol:         _ZL20rocblas_gemvt_kernelILb1ELi256EPKDF16_PKfKPDF16_EviiT2_lPKT1_lilS9_lilS6_lPT3_lili.kd
    .uniform_work_group_size: 1
    .uses_dynamic_stack: false
    .vgpr_count:     10
    .vgpr_spill_count: 0
    .wavefront_size: 64
  - .agpr_count:     0
    .args:
      - .offset:         0
        .size:           4
        .value_kind:     by_value
      - .offset:         4
        .size:           4
        .value_kind:     by_value
      - .offset:         8
        .size:           4
        .value_kind:     by_value
      - .offset:         16
        .size:           8
        .value_kind:     by_value
      - .address_space:  global
        .offset:         24
        .size:           8
        .value_kind:     global_buffer
      - .offset:         32
        .size:           8
        .value_kind:     by_value
      - .offset:         40
        .size:           4
        .value_kind:     by_value
      - .offset:         48
        .size:           8
        .value_kind:     by_value
      - .address_space:  global
        .offset:         56
        .size:           8
        .value_kind:     global_buffer
      - .offset:         64
        .size:           8
        .value_kind:     by_value
      - .offset:         72
        .size:           4
        .value_kind:     by_value
      - .offset:         80
        .size:           8
        .value_kind:     by_value
      - .offset:         88
        .size:           4
        .value_kind:     by_value
      - .offset:         96
        .size:           8
        .value_kind:     by_value
      - .address_space:  global
        .offset:         104
        .size:           8
        .value_kind:     global_buffer
      - .offset:         112
        .size:           8
        .value_kind:     by_value
      - .offset:         120
        .size:           4
        .value_kind:     by_value
      - .offset:         128
        .size:           8
        .value_kind:     by_value
      - .offset:         136
        .size:           4
        .value_kind:     by_value
    .group_segment_fixed_size: 1024
    .kernarg_segment_align: 8
    .kernarg_segment_size: 140
    .language:       OpenCL C
    .language_version:
      - 2
      - 0
    .max_flat_workgroup_size: 256
    .name:           _ZL20rocblas_gemvt_kernelILb1ELi256EPKDF16_fKPDF16_EviiT2_lPKT1_lilS7_lilS4_lPT3_lili
    .private_segment_fixed_size: 0
    .sgpr_count:     34
    .sgpr_spill_count: 0
    .symbol:         _ZL20rocblas_gemvt_kernelILb1ELi256EPKDF16_fKPDF16_EviiT2_lPKT1_lilS7_lilS4_lPT3_lili.kd
    .uniform_work_group_size: 1
    .uses_dynamic_stack: false
    .vgpr_count:     10
    .vgpr_spill_count: 0
    .wavefront_size: 64
  - .agpr_count:     0
    .args:
      - .offset:         0
        .size:           4
        .value_kind:     by_value
      - .offset:         4
        .size:           4
        .value_kind:     by_value
      - .address_space:  global
        .offset:         8
        .size:           8
        .value_kind:     global_buffer
      - .offset:         16
        .size:           8
        .value_kind:     by_value
      - .address_space:  global
        .offset:         24
        .size:           8
        .value_kind:     global_buffer
      - .offset:         32
        .size:           8
        .value_kind:     by_value
      - .offset:         40
        .size:           4
        .value_kind:     by_value
      - .offset:         48
        .size:           8
        .value_kind:     by_value
      - .address_space:  global
        .offset:         56
        .size:           8
        .value_kind:     global_buffer
      - .offset:         64
        .size:           8
        .value_kind:     by_value
      - .offset:         72
        .size:           4
        .value_kind:     by_value
      - .offset:         80
        .size:           8
        .value_kind:     by_value
      - .address_space:  global
        .offset:         88
        .size:           8
        .value_kind:     global_buffer
      - .offset:         96
        .size:           8
        .value_kind:     by_value
      - .address_space:  global
        .offset:         104
        .size:           8
        .value_kind:     global_buffer
      - .offset:         112
        .size:           8
        .value_kind:     by_value
      - .offset:         120
        .size:           4
        .value_kind:     by_value
      - .offset:         128
        .size:           8
        .value_kind:     by_value
      - .offset:         136
        .size:           4
        .value_kind:     by_value
    .group_segment_fixed_size: 256
    .kernarg_segment_align: 8
    .kernarg_segment_size: 140
    .language:       OpenCL C
    .language_version:
      - 2
      - 0
    .max_flat_workgroup_size: 1024
    .name:           _ZL32rocblas_gemvt_warp_reduce_kernelILb1ELi1024EiPKDF16_PKfKPDF16_EviiT3_lPKT2_lT1_lS9_lSA_lS6_lPT4_lSA_li
    .private_segment_fixed_size: 0
    .sgpr_count:     29
    .sgpr_spill_count: 0
    .symbol:         _ZL32rocblas_gemvt_warp_reduce_kernelILb1ELi1024EiPKDF16_PKfKPDF16_EviiT3_lPKT2_lT1_lS9_lSA_lS6_lPT4_lSA_li.kd
    .uniform_work_group_size: 1
    .uses_dynamic_stack: false
    .vgpr_count:     12
    .vgpr_spill_count: 0
    .wavefront_size: 64
  - .agpr_count:     0
    .args:
      - .offset:         0
        .size:           4
        .value_kind:     by_value
      - .offset:         4
        .size:           4
        .value_kind:     by_value
      - .address_space:  global
        .offset:         8
        .size:           8
        .value_kind:     global_buffer
      - .offset:         16
        .size:           8
        .value_kind:     by_value
      - .address_space:  global
        .offset:         24
        .size:           8
        .value_kind:     global_buffer
      - .offset:         32
        .size:           8
        .value_kind:     by_value
      - .offset:         40
        .size:           8
        .value_kind:     by_value
      - .offset:         48
        .size:           8
        .value_kind:     by_value
      - .address_space:  global
        .offset:         56
        .size:           8
        .value_kind:     global_buffer
      - .offset:         64
        .size:           8
        .value_kind:     by_value
      - .offset:         72
        .size:           8
        .value_kind:     by_value
      - .offset:         80
        .size:           8
        .value_kind:     by_value
      - .address_space:  global
        .offset:         88
        .size:           8
        .value_kind:     global_buffer
      - .offset:         96
        .size:           8
        .value_kind:     by_value
      - .address_space:  global
        .offset:         104
        .size:           8
        .value_kind:     global_buffer
      - .offset:         112
        .size:           8
        .value_kind:     by_value
      - .offset:         120
        .size:           8
        .value_kind:     by_value
      - .offset:         128
        .size:           8
        .value_kind:     by_value
      - .offset:         136
        .size:           4
        .value_kind:     by_value
    .group_segment_fixed_size: 256
    .kernarg_segment_align: 8
    .kernarg_segment_size: 140
    .language:       OpenCL C
    .language_version:
      - 2
      - 0
    .max_flat_workgroup_size: 1024
    .name:           _ZL32rocblas_gemvt_warp_reduce_kernelILb1ELi1024ElPKDF16_PKfKPDF16_EviiT3_lPKT2_lT1_lS9_lSA_lS6_lPT4_lSA_li
    .private_segment_fixed_size: 0
    .sgpr_count:     37
    .sgpr_spill_count: 0
    .symbol:         _ZL32rocblas_gemvt_warp_reduce_kernelILb1ELi1024ElPKDF16_PKfKPDF16_EviiT3_lPKT2_lT1_lS9_lSA_lS6_lPT4_lSA_li.kd
    .uniform_work_group_size: 1
    .uses_dynamic_stack: false
    .vgpr_count:     11
    .vgpr_spill_count: 0
    .wavefront_size: 64
  - .agpr_count:     0
    .args:
      - .offset:         0
        .size:           4
        .value_kind:     by_value
      - .offset:         4
        .size:           4
        .value_kind:     by_value
      - .offset:         8
        .size:           4
        .value_kind:     by_value
      - .offset:         16
        .size:           8
        .value_kind:     by_value
      - .address_space:  global
        .offset:         24
        .size:           8
        .value_kind:     global_buffer
      - .offset:         32
        .size:           8
        .value_kind:     by_value
      - .offset:         40
        .size:           4
        .value_kind:     by_value
      - .offset:         48
        .size:           8
        .value_kind:     by_value
      - .address_space:  global
        .offset:         56
        .size:           8
        .value_kind:     global_buffer
      - .offset:         64
        .size:           8
        .value_kind:     by_value
      - .offset:         72
        .size:           4
        .value_kind:     by_value
      - .offset:         80
        .size:           8
        .value_kind:     by_value
      - .offset:         88
        .size:           4
        .value_kind:     by_value
      - .offset:         96
        .size:           8
        .value_kind:     by_value
      - .address_space:  global
        .offset:         104
        .size:           8
        .value_kind:     global_buffer
      - .offset:         112
        .size:           8
        .value_kind:     by_value
      - .offset:         120
        .size:           4
        .value_kind:     by_value
      - .offset:         128
        .size:           8
        .value_kind:     by_value
      - .offset:         136
        .size:           4
        .value_kind:     by_value
    .group_segment_fixed_size: 256
    .kernarg_segment_align: 8
    .kernarg_segment_size: 140
    .language:       OpenCL C
    .language_version:
      - 2
      - 0
    .max_flat_workgroup_size: 1024
    .name:           _ZL32rocblas_gemvt_warp_reduce_kernelILb1ELi1024EiPKDF16_fKPDF16_EviiT3_lPKT2_lT1_lS7_lS8_lS4_lPT4_lS8_li
    .private_segment_fixed_size: 0
    .sgpr_count:     34
    .sgpr_spill_count: 0
    .symbol:         _ZL32rocblas_gemvt_warp_reduce_kernelILb1ELi1024EiPKDF16_fKPDF16_EviiT3_lPKT2_lT1_lS7_lS8_lS4_lPT4_lS8_li.kd
    .uniform_work_group_size: 1
    .uses_dynamic_stack: false
    .vgpr_count:     12
    .vgpr_spill_count: 0
    .wavefront_size: 64
  - .agpr_count:     0
    .args:
      - .offset:         0
        .size:           4
        .value_kind:     by_value
      - .offset:         4
        .size:           4
        .value_kind:     by_value
      - .offset:         8
        .size:           4
        .value_kind:     by_value
      - .offset:         16
        .size:           8
        .value_kind:     by_value
      - .address_space:  global
        .offset:         24
        .size:           8
        .value_kind:     global_buffer
      - .offset:         32
        .size:           8
        .value_kind:     by_value
      - .offset:         40
        .size:           8
        .value_kind:     by_value
      - .offset:         48
        .size:           8
        .value_kind:     by_value
      - .address_space:  global
        .offset:         56
        .size:           8
        .value_kind:     global_buffer
      - .offset:         64
        .size:           8
        .value_kind:     by_value
      - .offset:         72
        .size:           8
        .value_kind:     by_value
      - .offset:         80
        .size:           8
        .value_kind:     by_value
      - .offset:         88
        .size:           4
        .value_kind:     by_value
      - .offset:         96
        .size:           8
        .value_kind:     by_value
      - .address_space:  global
        .offset:         104
        .size:           8
        .value_kind:     global_buffer
      - .offset:         112
        .size:           8
        .value_kind:     by_value
      - .offset:         120
        .size:           8
        .value_kind:     by_value
      - .offset:         128
        .size:           8
        .value_kind:     by_value
      - .offset:         136
        .size:           4
        .value_kind:     by_value
    .group_segment_fixed_size: 256
    .kernarg_segment_align: 8
    .kernarg_segment_size: 140
    .language:       OpenCL C
    .language_version:
      - 2
      - 0
    .max_flat_workgroup_size: 1024
    .name:           _ZL32rocblas_gemvt_warp_reduce_kernelILb1ELi1024ElPKDF16_fKPDF16_EviiT3_lPKT2_lT1_lS7_lS8_lS4_lPT4_lS8_li
    .private_segment_fixed_size: 0
    .sgpr_count:     38
    .sgpr_spill_count: 0
    .symbol:         _ZL32rocblas_gemvt_warp_reduce_kernelILb1ELi1024ElPKDF16_fKPDF16_EviiT3_lPKT2_lT1_lS7_lS8_lS4_lPT4_lS8_li.kd
    .uniform_work_group_size: 1
    .uses_dynamic_stack: false
    .vgpr_count:     11
    .vgpr_spill_count: 0
    .wavefront_size: 64
  - .agpr_count:     0
    .args:
      - .offset:         0
        .size:           4
        .value_kind:     by_value
      - .offset:         4
        .size:           4
        .value_kind:     by_value
      - .address_space:  global
        .offset:         8
        .size:           8
        .value_kind:     global_buffer
      - .offset:         16
        .size:           8
        .value_kind:     by_value
      - .address_space:  global
        .offset:         24
        .size:           8
        .value_kind:     global_buffer
      - .offset:         32
        .size:           8
        .value_kind:     by_value
      - .offset:         40
        .size:           4
        .value_kind:     by_value
      - .offset:         48
        .size:           8
        .value_kind:     by_value
      - .address_space:  global
        .offset:         56
        .size:           8
        .value_kind:     global_buffer
      - .offset:         64
        .size:           8
        .value_kind:     by_value
      - .offset:         72
        .size:           4
        .value_kind:     by_value
      - .offset:         80
        .size:           8
        .value_kind:     by_value
      - .address_space:  global
        .offset:         88
        .size:           8
        .value_kind:     global_buffer
      - .offset:         96
        .size:           8
        .value_kind:     by_value
      - .address_space:  global
        .offset:         104
        .size:           8
        .value_kind:     global_buffer
      - .offset:         112
        .size:           8
        .value_kind:     by_value
      - .offset:         120
        .size:           4
        .value_kind:     by_value
      - .offset:         128
        .size:           8
        .value_kind:     by_value
      - .offset:         136
        .size:           4
        .value_kind:     by_value
      - .offset:         144
        .size:           4
        .value_kind:     hidden_block_count_x
      - .offset:         148
        .size:           4
        .value_kind:     hidden_block_count_y
      - .offset:         152
        .size:           4
        .value_kind:     hidden_block_count_z
      - .offset:         156
        .size:           2
        .value_kind:     hidden_group_size_x
      - .offset:         158
        .size:           2
        .value_kind:     hidden_group_size_y
      - .offset:         160
        .size:           2
        .value_kind:     hidden_group_size_z
      - .offset:         162
        .size:           2
        .value_kind:     hidden_remainder_x
      - .offset:         164
        .size:           2
        .value_kind:     hidden_remainder_y
      - .offset:         166
        .size:           2
        .value_kind:     hidden_remainder_z
      - .offset:         184
        .size:           8
        .value_kind:     hidden_global_offset_x
      - .offset:         192
        .size:           8
        .value_kind:     hidden_global_offset_y
      - .offset:         200
        .size:           8
        .value_kind:     hidden_global_offset_z
      - .offset:         208
        .size:           2
        .value_kind:     hidden_grid_dims
    .group_segment_fixed_size: 3072
    .kernarg_segment_align: 8
    .kernarg_segment_size: 400
    .language:       OpenCL C
    .language_version:
      - 2
      - 0
    .max_flat_workgroup_size: 768
    .name:           _ZL34rocblas_gemvn_sm_mn_batched_kernelILi32ELi24EDF16_PKffEviiT2_lPKT1_lilS5_lilS2_lPT3_lili
    .private_segment_fixed_size: 0
    .sgpr_count:     76
    .sgpr_spill_count: 0
    .symbol:         _ZL34rocblas_gemvn_sm_mn_batched_kernelILi32ELi24EDF16_PKffEviiT2_lPKT1_lilS5_lilS2_lPT3_lili.kd
    .uniform_work_group_size: 1
    .uses_dynamic_stack: false
    .vgpr_count:     42
    .vgpr_spill_count: 0
    .wavefront_size: 64
  - .agpr_count:     0
    .args:
      - .offset:         0
        .size:           4
        .value_kind:     by_value
      - .offset:         4
        .size:           4
        .value_kind:     by_value
      - .offset:         8
        .size:           4
        .value_kind:     by_value
      - .offset:         16
        .size:           8
        .value_kind:     by_value
      - .address_space:  global
        .offset:         24
        .size:           8
        .value_kind:     global_buffer
      - .offset:         32
        .size:           8
        .value_kind:     by_value
      - .offset:         40
        .size:           4
        .value_kind:     by_value
      - .offset:         48
        .size:           8
        .value_kind:     by_value
      - .address_space:  global
        .offset:         56
        .size:           8
        .value_kind:     global_buffer
      - .offset:         64
        .size:           8
        .value_kind:     by_value
      - .offset:         72
        .size:           4
        .value_kind:     by_value
      - .offset:         80
        .size:           8
        .value_kind:     by_value
      - .offset:         88
        .size:           4
        .value_kind:     by_value
      - .offset:         96
        .size:           8
        .value_kind:     by_value
      - .address_space:  global
        .offset:         104
        .size:           8
        .value_kind:     global_buffer
      - .offset:         112
        .size:           8
        .value_kind:     by_value
      - .offset:         120
        .size:           4
        .value_kind:     by_value
      - .offset:         128
        .size:           8
        .value_kind:     by_value
      - .offset:         136
        .size:           4
        .value_kind:     by_value
      - .offset:         144
        .size:           4
        .value_kind:     hidden_block_count_x
      - .offset:         148
        .size:           4
        .value_kind:     hidden_block_count_y
      - .offset:         152
        .size:           4
        .value_kind:     hidden_block_count_z
      - .offset:         156
        .size:           2
        .value_kind:     hidden_group_size_x
      - .offset:         158
        .size:           2
        .value_kind:     hidden_group_size_y
      - .offset:         160
        .size:           2
        .value_kind:     hidden_group_size_z
      - .offset:         162
        .size:           2
        .value_kind:     hidden_remainder_x
      - .offset:         164
        .size:           2
        .value_kind:     hidden_remainder_y
      - .offset:         166
        .size:           2
        .value_kind:     hidden_remainder_z
      - .offset:         184
        .size:           8
        .value_kind:     hidden_global_offset_x
      - .offset:         192
        .size:           8
        .value_kind:     hidden_global_offset_y
      - .offset:         200
        .size:           8
        .value_kind:     hidden_global_offset_z
      - .offset:         208
        .size:           2
        .value_kind:     hidden_grid_dims
    .group_segment_fixed_size: 3072
    .kernarg_segment_align: 8
    .kernarg_segment_size: 400
    .language:       OpenCL C
    .language_version:
      - 2
      - 0
    .max_flat_workgroup_size: 768
    .name:           _ZL34rocblas_gemvn_sm_mn_batched_kernelILi32ELi24EDF16_ffEviiT2_lPKT1_lilS3_lilS0_lPT3_lili
    .private_segment_fixed_size: 0
    .sgpr_count:     76
    .sgpr_spill_count: 0
    .symbol:         _ZL34rocblas_gemvn_sm_mn_batched_kernelILi32ELi24EDF16_ffEviiT2_lPKT1_lilS3_lilS0_lPT3_lili.kd
    .uniform_work_group_size: 1
    .uses_dynamic_stack: false
    .vgpr_count:     42
    .vgpr_spill_count: 0
    .wavefront_size: 64
  - .agpr_count:     0
    .args:
      - .offset:         0
        .size:           4
        .value_kind:     by_value
      - .offset:         4
        .size:           4
        .value_kind:     by_value
      - .address_space:  global
        .offset:         8
        .size:           8
        .value_kind:     global_buffer
      - .offset:         16
        .size:           8
        .value_kind:     by_value
      - .address_space:  global
        .offset:         24
        .size:           8
        .value_kind:     global_buffer
      - .offset:         32
        .size:           8
        .value_kind:     by_value
      - .offset:         40
        .size:           4
        .value_kind:     by_value
      - .offset:         48
        .size:           8
        .value_kind:     by_value
      - .address_space:  global
        .offset:         56
        .size:           8
        .value_kind:     global_buffer
      - .offset:         64
        .size:           8
        .value_kind:     by_value
      - .offset:         72
        .size:           4
        .value_kind:     by_value
      - .offset:         80
        .size:           8
        .value_kind:     by_value
      - .address_space:  global
        .offset:         88
        .size:           8
        .value_kind:     global_buffer
      - .offset:         96
        .size:           8
        .value_kind:     by_value
      - .address_space:  global
        .offset:         104
        .size:           8
        .value_kind:     global_buffer
      - .offset:         112
        .size:           8
        .value_kind:     by_value
      - .offset:         120
        .size:           4
        .value_kind:     by_value
      - .offset:         128
        .size:           8
        .value_kind:     by_value
      - .offset:         136
        .size:           4
        .value_kind:     by_value
      - .offset:         144
        .size:           4
        .value_kind:     hidden_block_count_x
      - .offset:         148
        .size:           4
        .value_kind:     hidden_block_count_y
      - .offset:         152
        .size:           4
        .value_kind:     hidden_block_count_z
      - .offset:         156
        .size:           2
        .value_kind:     hidden_group_size_x
      - .offset:         158
        .size:           2
        .value_kind:     hidden_group_size_y
      - .offset:         160
        .size:           2
        .value_kind:     hidden_group_size_z
      - .offset:         162
        .size:           2
        .value_kind:     hidden_remainder_x
      - .offset:         164
        .size:           2
        .value_kind:     hidden_remainder_y
      - .offset:         166
        .size:           2
        .value_kind:     hidden_remainder_z
      - .offset:         184
        .size:           8
        .value_kind:     hidden_global_offset_x
      - .offset:         192
        .size:           8
        .value_kind:     hidden_global_offset_y
      - .offset:         200
        .size:           8
        .value_kind:     hidden_global_offset_z
      - .offset:         208
        .size:           2
        .value_kind:     hidden_grid_dims
    .group_segment_fixed_size: 4096
    .kernarg_segment_align: 8
    .kernarg_segment_size: 400
    .language:       OpenCL C
    .language_version:
      - 2
      - 0
    .max_flat_workgroup_size: 256
    .name:           _ZL20rocblas_gemvn_kernelILi64ELi4EiDF16_PKffEviiT3_lPKT2_lT1_lS5_lS6_lS2_lPT4_lS6_li
    .private_segment_fixed_size: 0
    .sgpr_count:     45
    .sgpr_spill_count: 0
    .symbol:         _ZL20rocblas_gemvn_kernelILi64ELi4EiDF16_PKffEviiT3_lPKT2_lT1_lS5_lS6_lS2_lPT4_lS6_li.kd
    .uniform_work_group_size: 1
    .uses_dynamic_stack: false
    .vgpr_count:     49
    .vgpr_spill_count: 0
    .wavefront_size: 64
  - .agpr_count:     0
    .args:
      - .offset:         0
        .size:           4
        .value_kind:     by_value
      - .offset:         4
        .size:           4
        .value_kind:     by_value
      - .address_space:  global
        .offset:         8
        .size:           8
        .value_kind:     global_buffer
      - .offset:         16
        .size:           8
        .value_kind:     by_value
      - .address_space:  global
        .offset:         24
        .size:           8
        .value_kind:     global_buffer
      - .offset:         32
        .size:           8
        .value_kind:     by_value
      - .offset:         40
        .size:           8
        .value_kind:     by_value
      - .offset:         48
        .size:           8
        .value_kind:     by_value
      - .address_space:  global
        .offset:         56
        .size:           8
        .value_kind:     global_buffer
      - .offset:         64
        .size:           8
        .value_kind:     by_value
      - .offset:         72
        .size:           8
        .value_kind:     by_value
      - .offset:         80
        .size:           8
        .value_kind:     by_value
      - .address_space:  global
        .offset:         88
        .size:           8
        .value_kind:     global_buffer
      - .offset:         96
        .size:           8
        .value_kind:     by_value
      - .address_space:  global
        .offset:         104
        .size:           8
        .value_kind:     global_buffer
      - .offset:         112
        .size:           8
        .value_kind:     by_value
      - .offset:         120
        .size:           8
        .value_kind:     by_value
      - .offset:         128
        .size:           8
        .value_kind:     by_value
      - .offset:         136
        .size:           4
        .value_kind:     by_value
      - .offset:         144
        .size:           4
        .value_kind:     hidden_block_count_x
      - .offset:         148
        .size:           4
        .value_kind:     hidden_block_count_y
      - .offset:         152
        .size:           4
        .value_kind:     hidden_block_count_z
      - .offset:         156
        .size:           2
        .value_kind:     hidden_group_size_x
      - .offset:         158
        .size:           2
        .value_kind:     hidden_group_size_y
      - .offset:         160
        .size:           2
        .value_kind:     hidden_group_size_z
      - .offset:         162
        .size:           2
        .value_kind:     hidden_remainder_x
      - .offset:         164
        .size:           2
        .value_kind:     hidden_remainder_y
      - .offset:         166
        .size:           2
        .value_kind:     hidden_remainder_z
      - .offset:         184
        .size:           8
        .value_kind:     hidden_global_offset_x
      - .offset:         192
        .size:           8
        .value_kind:     hidden_global_offset_y
      - .offset:         200
        .size:           8
        .value_kind:     hidden_global_offset_z
      - .offset:         208
        .size:           2
        .value_kind:     hidden_grid_dims
    .group_segment_fixed_size: 4096
    .kernarg_segment_align: 8
    .kernarg_segment_size: 400
    .language:       OpenCL C
    .language_version:
      - 2
      - 0
    .max_flat_workgroup_size: 256
    .name:           _ZL20rocblas_gemvn_kernelILi64ELi4ElDF16_PKffEviiT3_lPKT2_lT1_lS5_lS6_lS2_lPT4_lS6_li
    .private_segment_fixed_size: 0
    .sgpr_count:     59
    .sgpr_spill_count: 0
    .symbol:         _ZL20rocblas_gemvn_kernelILi64ELi4ElDF16_PKffEviiT3_lPKT2_lT1_lS5_lS6_lS2_lPT4_lS6_li.kd
    .uniform_work_group_size: 1
    .uses_dynamic_stack: false
    .vgpr_count:     55
    .vgpr_spill_count: 0
    .wavefront_size: 64
  - .agpr_count:     0
    .args:
      - .offset:         0
        .size:           4
        .value_kind:     by_value
      - .offset:         4
        .size:           4
        .value_kind:     by_value
      - .offset:         8
        .size:           4
        .value_kind:     by_value
      - .offset:         16
        .size:           8
        .value_kind:     by_value
      - .address_space:  global
        .offset:         24
        .size:           8
        .value_kind:     global_buffer
      - .offset:         32
        .size:           8
        .value_kind:     by_value
      - .offset:         40
        .size:           4
        .value_kind:     by_value
      - .offset:         48
        .size:           8
        .value_kind:     by_value
      - .address_space:  global
        .offset:         56
        .size:           8
        .value_kind:     global_buffer
      - .offset:         64
        .size:           8
        .value_kind:     by_value
      - .offset:         72
        .size:           4
        .value_kind:     by_value
      - .offset:         80
        .size:           8
        .value_kind:     by_value
      - .offset:         88
        .size:           4
        .value_kind:     by_value
      - .offset:         96
        .size:           8
        .value_kind:     by_value
      - .address_space:  global
        .offset:         104
        .size:           8
        .value_kind:     global_buffer
      - .offset:         112
        .size:           8
        .value_kind:     by_value
      - .offset:         120
        .size:           4
        .value_kind:     by_value
      - .offset:         128
        .size:           8
        .value_kind:     by_value
      - .offset:         136
        .size:           4
        .value_kind:     by_value
      - .offset:         144
        .size:           4
        .value_kind:     hidden_block_count_x
      - .offset:         148
        .size:           4
        .value_kind:     hidden_block_count_y
      - .offset:         152
        .size:           4
        .value_kind:     hidden_block_count_z
      - .offset:         156
        .size:           2
        .value_kind:     hidden_group_size_x
      - .offset:         158
        .size:           2
        .value_kind:     hidden_group_size_y
      - .offset:         160
        .size:           2
        .value_kind:     hidden_group_size_z
      - .offset:         162
        .size:           2
        .value_kind:     hidden_remainder_x
      - .offset:         164
        .size:           2
        .value_kind:     hidden_remainder_y
      - .offset:         166
        .size:           2
        .value_kind:     hidden_remainder_z
      - .offset:         184
        .size:           8
        .value_kind:     hidden_global_offset_x
      - .offset:         192
        .size:           8
        .value_kind:     hidden_global_offset_y
      - .offset:         200
        .size:           8
        .value_kind:     hidden_global_offset_z
      - .offset:         208
        .size:           2
        .value_kind:     hidden_grid_dims
    .group_segment_fixed_size: 4096
    .kernarg_segment_align: 8
    .kernarg_segment_size: 400
    .language:       OpenCL C
    .language_version:
      - 2
      - 0
    .max_flat_workgroup_size: 256
    .name:           _ZL20rocblas_gemvn_kernelILi64ELi4EiDF16_ffEviiT3_lPKT2_lT1_lS3_lS4_lS0_lPT4_lS4_li
    .private_segment_fixed_size: 0
    .sgpr_count:     45
    .sgpr_spill_count: 0
    .symbol:         _ZL20rocblas_gemvn_kernelILi64ELi4EiDF16_ffEviiT3_lPKT2_lT1_lS3_lS4_lS0_lPT4_lS4_li.kd
    .uniform_work_group_size: 1
    .uses_dynamic_stack: false
    .vgpr_count:     49
    .vgpr_spill_count: 0
    .wavefront_size: 64
  - .agpr_count:     0
    .args:
      - .offset:         0
        .size:           4
        .value_kind:     by_value
      - .offset:         4
        .size:           4
        .value_kind:     by_value
      - .offset:         8
        .size:           4
        .value_kind:     by_value
      - .offset:         16
        .size:           8
        .value_kind:     by_value
      - .address_space:  global
        .offset:         24
        .size:           8
        .value_kind:     global_buffer
      - .offset:         32
        .size:           8
        .value_kind:     by_value
      - .offset:         40
        .size:           8
        .value_kind:     by_value
      - .offset:         48
        .size:           8
        .value_kind:     by_value
      - .address_space:  global
        .offset:         56
        .size:           8
        .value_kind:     global_buffer
      - .offset:         64
        .size:           8
        .value_kind:     by_value
      - .offset:         72
        .size:           8
        .value_kind:     by_value
      - .offset:         80
        .size:           8
        .value_kind:     by_value
      - .offset:         88
        .size:           4
        .value_kind:     by_value
      - .offset:         96
        .size:           8
        .value_kind:     by_value
      - .address_space:  global
        .offset:         104
        .size:           8
        .value_kind:     global_buffer
      - .offset:         112
        .size:           8
        .value_kind:     by_value
      - .offset:         120
        .size:           8
        .value_kind:     by_value
      - .offset:         128
        .size:           8
        .value_kind:     by_value
      - .offset:         136
        .size:           4
        .value_kind:     by_value
      - .offset:         144
        .size:           4
        .value_kind:     hidden_block_count_x
      - .offset:         148
        .size:           4
        .value_kind:     hidden_block_count_y
      - .offset:         152
        .size:           4
        .value_kind:     hidden_block_count_z
      - .offset:         156
        .size:           2
        .value_kind:     hidden_group_size_x
      - .offset:         158
        .size:           2
        .value_kind:     hidden_group_size_y
      - .offset:         160
        .size:           2
        .value_kind:     hidden_group_size_z
      - .offset:         162
        .size:           2
        .value_kind:     hidden_remainder_x
      - .offset:         164
        .size:           2
        .value_kind:     hidden_remainder_y
      - .offset:         166
        .size:           2
        .value_kind:     hidden_remainder_z
      - .offset:         184
        .size:           8
        .value_kind:     hidden_global_offset_x
      - .offset:         192
        .size:           8
        .value_kind:     hidden_global_offset_y
      - .offset:         200
        .size:           8
        .value_kind:     hidden_global_offset_z
      - .offset:         208
        .size:           2
        .value_kind:     hidden_grid_dims
    .group_segment_fixed_size: 4096
    .kernarg_segment_align: 8
    .kernarg_segment_size: 400
    .language:       OpenCL C
    .language_version:
      - 2
      - 0
    .max_flat_workgroup_size: 256
    .name:           _ZL20rocblas_gemvn_kernelILi64ELi4ElDF16_ffEviiT3_lPKT2_lT1_lS3_lS4_lS0_lPT4_lS4_li
    .private_segment_fixed_size: 0
    .sgpr_count:     59
    .sgpr_spill_count: 0
    .symbol:         _ZL20rocblas_gemvn_kernelILi64ELi4ElDF16_ffEviiT3_lPKT2_lT1_lS3_lS4_lS0_lPT4_lS4_li.kd
    .uniform_work_group_size: 1
    .uses_dynamic_stack: false
    .vgpr_count:     55
    .vgpr_spill_count: 0
    .wavefront_size: 64
  - .agpr_count:     0
    .args:
      - .offset:         0
        .size:           4
        .value_kind:     by_value
      - .offset:         4
        .size:           4
        .value_kind:     by_value
      - .address_space:  global
        .offset:         8
        .size:           8
        .value_kind:     global_buffer
      - .offset:         16
        .size:           8
        .value_kind:     by_value
      - .address_space:  global
        .offset:         24
        .size:           8
        .value_kind:     global_buffer
      - .offset:         32
        .size:           8
        .value_kind:     by_value
      - .offset:         40
        .size:           4
        .value_kind:     by_value
      - .offset:         48
        .size:           8
        .value_kind:     by_value
      - .address_space:  global
        .offset:         56
        .size:           8
        .value_kind:     global_buffer
      - .offset:         64
        .size:           8
        .value_kind:     by_value
      - .offset:         72
        .size:           4
        .value_kind:     by_value
      - .offset:         80
        .size:           8
        .value_kind:     by_value
      - .address_space:  global
        .offset:         88
        .size:           8
        .value_kind:     global_buffer
      - .offset:         96
        .size:           8
        .value_kind:     by_value
      - .address_space:  global
        .offset:         104
        .size:           8
        .value_kind:     global_buffer
      - .offset:         112
        .size:           8
        .value_kind:     by_value
      - .offset:         120
        .size:           4
        .value_kind:     by_value
      - .offset:         128
        .size:           8
        .value_kind:     by_value
      - .offset:         136
        .size:           4
        .value_kind:     by_value
      - .offset:         144
        .size:           4
        .value_kind:     hidden_block_count_x
      - .offset:         148
        .size:           4
        .value_kind:     hidden_block_count_y
      - .offset:         152
        .size:           4
        .value_kind:     hidden_block_count_z
      - .offset:         156
        .size:           2
        .value_kind:     hidden_group_size_x
      - .offset:         158
        .size:           2
        .value_kind:     hidden_group_size_y
      - .offset:         160
        .size:           2
        .value_kind:     hidden_group_size_z
      - .offset:         162
        .size:           2
        .value_kind:     hidden_remainder_x
      - .offset:         164
        .size:           2
        .value_kind:     hidden_remainder_y
      - .offset:         166
        .size:           2
        .value_kind:     hidden_remainder_z
      - .offset:         184
        .size:           8
        .value_kind:     hidden_global_offset_x
      - .offset:         192
        .size:           8
        .value_kind:     hidden_global_offset_y
      - .offset:         200
        .size:           8
        .value_kind:     hidden_global_offset_z
      - .offset:         208
        .size:           2
        .value_kind:     hidden_grid_dims
    .group_segment_fixed_size: 8192
    .kernarg_segment_align: 8
    .kernarg_segment_size: 400
    .language:       OpenCL C
    .language_version:
      - 2
      - 0
    .max_flat_workgroup_size: 512
    .name:           _ZL20rocblas_gemvn_kernelILi32ELi16EiDF16_PKffEviiT3_lPKT2_lT1_lS5_lS6_lS2_lPT4_lS6_li
    .private_segment_fixed_size: 0
    .sgpr_count:     45
    .sgpr_spill_count: 0
    .symbol:         _ZL20rocblas_gemvn_kernelILi32ELi16EiDF16_PKffEviiT3_lPKT2_lT1_lS5_lS6_lS2_lPT4_lS6_li.kd
    .uniform_work_group_size: 1
    .uses_dynamic_stack: false
    .vgpr_count:     49
    .vgpr_spill_count: 0
    .wavefront_size: 64
  - .agpr_count:     0
    .args:
      - .offset:         0
        .size:           4
        .value_kind:     by_value
      - .offset:         4
        .size:           4
        .value_kind:     by_value
      - .address_space:  global
        .offset:         8
        .size:           8
        .value_kind:     global_buffer
      - .offset:         16
        .size:           8
        .value_kind:     by_value
      - .address_space:  global
        .offset:         24
        .size:           8
        .value_kind:     global_buffer
      - .offset:         32
        .size:           8
        .value_kind:     by_value
      - .offset:         40
        .size:           8
        .value_kind:     by_value
      - .offset:         48
        .size:           8
        .value_kind:     by_value
      - .address_space:  global
        .offset:         56
        .size:           8
        .value_kind:     global_buffer
      - .offset:         64
        .size:           8
        .value_kind:     by_value
      - .offset:         72
        .size:           8
        .value_kind:     by_value
      - .offset:         80
        .size:           8
        .value_kind:     by_value
      - .address_space:  global
        .offset:         88
        .size:           8
        .value_kind:     global_buffer
      - .offset:         96
        .size:           8
        .value_kind:     by_value
      - .address_space:  global
        .offset:         104
        .size:           8
        .value_kind:     global_buffer
      - .offset:         112
        .size:           8
        .value_kind:     by_value
      - .offset:         120
        .size:           8
        .value_kind:     by_value
      - .offset:         128
        .size:           8
        .value_kind:     by_value
      - .offset:         136
        .size:           4
        .value_kind:     by_value
      - .offset:         144
        .size:           4
        .value_kind:     hidden_block_count_x
      - .offset:         148
        .size:           4
        .value_kind:     hidden_block_count_y
      - .offset:         152
        .size:           4
        .value_kind:     hidden_block_count_z
      - .offset:         156
        .size:           2
        .value_kind:     hidden_group_size_x
      - .offset:         158
        .size:           2
        .value_kind:     hidden_group_size_y
      - .offset:         160
        .size:           2
        .value_kind:     hidden_group_size_z
      - .offset:         162
        .size:           2
        .value_kind:     hidden_remainder_x
      - .offset:         164
        .size:           2
        .value_kind:     hidden_remainder_y
      - .offset:         166
        .size:           2
        .value_kind:     hidden_remainder_z
      - .offset:         184
        .size:           8
        .value_kind:     hidden_global_offset_x
      - .offset:         192
        .size:           8
        .value_kind:     hidden_global_offset_y
      - .offset:         200
        .size:           8
        .value_kind:     hidden_global_offset_z
      - .offset:         208
        .size:           2
        .value_kind:     hidden_grid_dims
    .group_segment_fixed_size: 8192
    .kernarg_segment_align: 8
    .kernarg_segment_size: 400
    .language:       OpenCL C
    .language_version:
      - 2
      - 0
    .max_flat_workgroup_size: 512
    .name:           _ZL20rocblas_gemvn_kernelILi32ELi16ElDF16_PKffEviiT3_lPKT2_lT1_lS5_lS6_lS2_lPT4_lS6_li
    .private_segment_fixed_size: 0
    .sgpr_count:     59
    .sgpr_spill_count: 0
    .symbol:         _ZL20rocblas_gemvn_kernelILi32ELi16ElDF16_PKffEviiT3_lPKT2_lT1_lS5_lS6_lS2_lPT4_lS6_li.kd
    .uniform_work_group_size: 1
    .uses_dynamic_stack: false
    .vgpr_count:     55
    .vgpr_spill_count: 0
    .wavefront_size: 64
  - .agpr_count:     0
    .args:
      - .offset:         0
        .size:           4
        .value_kind:     by_value
      - .offset:         4
        .size:           4
        .value_kind:     by_value
      - .offset:         8
        .size:           4
        .value_kind:     by_value
      - .offset:         16
        .size:           8
        .value_kind:     by_value
      - .address_space:  global
        .offset:         24
        .size:           8
        .value_kind:     global_buffer
      - .offset:         32
        .size:           8
        .value_kind:     by_value
      - .offset:         40
        .size:           4
        .value_kind:     by_value
      - .offset:         48
        .size:           8
        .value_kind:     by_value
      - .address_space:  global
        .offset:         56
        .size:           8
        .value_kind:     global_buffer
      - .offset:         64
        .size:           8
        .value_kind:     by_value
      - .offset:         72
        .size:           4
        .value_kind:     by_value
      - .offset:         80
        .size:           8
        .value_kind:     by_value
      - .offset:         88
        .size:           4
        .value_kind:     by_value
      - .offset:         96
        .size:           8
        .value_kind:     by_value
      - .address_space:  global
        .offset:         104
        .size:           8
        .value_kind:     global_buffer
      - .offset:         112
        .size:           8
        .value_kind:     by_value
      - .offset:         120
        .size:           4
        .value_kind:     by_value
      - .offset:         128
        .size:           8
        .value_kind:     by_value
      - .offset:         136
        .size:           4
        .value_kind:     by_value
      - .offset:         144
        .size:           4
        .value_kind:     hidden_block_count_x
      - .offset:         148
        .size:           4
        .value_kind:     hidden_block_count_y
      - .offset:         152
        .size:           4
        .value_kind:     hidden_block_count_z
      - .offset:         156
        .size:           2
        .value_kind:     hidden_group_size_x
      - .offset:         158
        .size:           2
        .value_kind:     hidden_group_size_y
      - .offset:         160
        .size:           2
        .value_kind:     hidden_group_size_z
      - .offset:         162
        .size:           2
        .value_kind:     hidden_remainder_x
      - .offset:         164
        .size:           2
        .value_kind:     hidden_remainder_y
      - .offset:         166
        .size:           2
        .value_kind:     hidden_remainder_z
      - .offset:         184
        .size:           8
        .value_kind:     hidden_global_offset_x
      - .offset:         192
        .size:           8
        .value_kind:     hidden_global_offset_y
      - .offset:         200
        .size:           8
        .value_kind:     hidden_global_offset_z
      - .offset:         208
        .size:           2
        .value_kind:     hidden_grid_dims
    .group_segment_fixed_size: 8192
    .kernarg_segment_align: 8
    .kernarg_segment_size: 400
    .language:       OpenCL C
    .language_version:
      - 2
      - 0
    .max_flat_workgroup_size: 512
    .name:           _ZL20rocblas_gemvn_kernelILi32ELi16EiDF16_ffEviiT3_lPKT2_lT1_lS3_lS4_lS0_lPT4_lS4_li
    .private_segment_fixed_size: 0
    .sgpr_count:     45
    .sgpr_spill_count: 0
    .symbol:         _ZL20rocblas_gemvn_kernelILi32ELi16EiDF16_ffEviiT3_lPKT2_lT1_lS3_lS4_lS0_lPT4_lS4_li.kd
    .uniform_work_group_size: 1
    .uses_dynamic_stack: false
    .vgpr_count:     49
    .vgpr_spill_count: 0
    .wavefront_size: 64
  - .agpr_count:     0
    .args:
      - .offset:         0
        .size:           4
        .value_kind:     by_value
      - .offset:         4
        .size:           4
        .value_kind:     by_value
      - .offset:         8
        .size:           4
        .value_kind:     by_value
      - .offset:         16
        .size:           8
        .value_kind:     by_value
      - .address_space:  global
        .offset:         24
        .size:           8
        .value_kind:     global_buffer
      - .offset:         32
        .size:           8
        .value_kind:     by_value
      - .offset:         40
        .size:           8
        .value_kind:     by_value
      - .offset:         48
        .size:           8
        .value_kind:     by_value
      - .address_space:  global
        .offset:         56
        .size:           8
        .value_kind:     global_buffer
      - .offset:         64
        .size:           8
        .value_kind:     by_value
      - .offset:         72
        .size:           8
        .value_kind:     by_value
      - .offset:         80
        .size:           8
        .value_kind:     by_value
      - .offset:         88
        .size:           4
        .value_kind:     by_value
      - .offset:         96
        .size:           8
        .value_kind:     by_value
      - .address_space:  global
        .offset:         104
        .size:           8
        .value_kind:     global_buffer
      - .offset:         112
        .size:           8
        .value_kind:     by_value
      - .offset:         120
        .size:           8
        .value_kind:     by_value
      - .offset:         128
        .size:           8
        .value_kind:     by_value
      - .offset:         136
        .size:           4
        .value_kind:     by_value
      - .offset:         144
        .size:           4
        .value_kind:     hidden_block_count_x
      - .offset:         148
        .size:           4
        .value_kind:     hidden_block_count_y
      - .offset:         152
        .size:           4
        .value_kind:     hidden_block_count_z
      - .offset:         156
        .size:           2
        .value_kind:     hidden_group_size_x
      - .offset:         158
        .size:           2
        .value_kind:     hidden_group_size_y
      - .offset:         160
        .size:           2
        .value_kind:     hidden_group_size_z
      - .offset:         162
        .size:           2
        .value_kind:     hidden_remainder_x
      - .offset:         164
        .size:           2
        .value_kind:     hidden_remainder_y
      - .offset:         166
        .size:           2
        .value_kind:     hidden_remainder_z
      - .offset:         184
        .size:           8
        .value_kind:     hidden_global_offset_x
      - .offset:         192
        .size:           8
        .value_kind:     hidden_global_offset_y
      - .offset:         200
        .size:           8
        .value_kind:     hidden_global_offset_z
      - .offset:         208
        .size:           2
        .value_kind:     hidden_grid_dims
    .group_segment_fixed_size: 8192
    .kernarg_segment_align: 8
    .kernarg_segment_size: 400
    .language:       OpenCL C
    .language_version:
      - 2
      - 0
    .max_flat_workgroup_size: 512
    .name:           _ZL20rocblas_gemvn_kernelILi32ELi16ElDF16_ffEviiT3_lPKT2_lT1_lS3_lS4_lS0_lPT4_lS4_li
    .private_segment_fixed_size: 0
    .sgpr_count:     59
    .sgpr_spill_count: 0
    .symbol:         _ZL20rocblas_gemvn_kernelILi32ELi16ElDF16_ffEviiT3_lPKT2_lT1_lS3_lS4_lS0_lPT4_lS4_li.kd
    .uniform_work_group_size: 1
    .uses_dynamic_stack: false
    .vgpr_count:     55
    .vgpr_spill_count: 0
    .wavefront_size: 64
  - .agpr_count:     0
    .args:
      - .offset:         0
        .size:           4
        .value_kind:     by_value
      - .offset:         4
        .size:           4
        .value_kind:     by_value
      - .address_space:  global
        .offset:         8
        .size:           8
        .value_kind:     global_buffer
      - .offset:         16
        .size:           8
        .value_kind:     by_value
      - .address_space:  global
        .offset:         24
        .size:           8
        .value_kind:     global_buffer
      - .offset:         32
        .size:           8
        .value_kind:     by_value
      - .offset:         40
        .size:           4
        .value_kind:     by_value
      - .offset:         48
        .size:           8
        .value_kind:     by_value
      - .address_space:  global
        .offset:         56
        .size:           8
        .value_kind:     global_buffer
      - .offset:         64
        .size:           8
        .value_kind:     by_value
      - .offset:         72
        .size:           4
        .value_kind:     by_value
      - .offset:         80
        .size:           8
        .value_kind:     by_value
      - .address_space:  global
        .offset:         88
        .size:           8
        .value_kind:     global_buffer
      - .offset:         96
        .size:           8
        .value_kind:     by_value
      - .address_space:  global
        .offset:         104
        .size:           8
        .value_kind:     global_buffer
      - .offset:         112
        .size:           8
        .value_kind:     by_value
      - .offset:         120
        .size:           4
        .value_kind:     by_value
      - .offset:         128
        .size:           8
        .value_kind:     by_value
      - .offset:         136
        .size:           4
        .value_kind:     by_value
      - .offset:         144
        .size:           4
        .value_kind:     hidden_block_count_x
      - .offset:         148
        .size:           4
        .value_kind:     hidden_block_count_y
      - .offset:         152
        .size:           4
        .value_kind:     hidden_block_count_z
      - .offset:         156
        .size:           2
        .value_kind:     hidden_group_size_x
      - .offset:         158
        .size:           2
        .value_kind:     hidden_group_size_y
      - .offset:         160
        .size:           2
        .value_kind:     hidden_group_size_z
      - .offset:         162
        .size:           2
        .value_kind:     hidden_remainder_x
      - .offset:         164
        .size:           2
        .value_kind:     hidden_remainder_y
      - .offset:         166
        .size:           2
        .value_kind:     hidden_remainder_z
      - .offset:         184
        .size:           8
        .value_kind:     hidden_global_offset_x
      - .offset:         192
        .size:           8
        .value_kind:     hidden_global_offset_y
      - .offset:         200
        .size:           8
        .value_kind:     hidden_global_offset_z
      - .offset:         208
        .size:           2
        .value_kind:     hidden_grid_dims
    .group_segment_fixed_size: 16384
    .kernarg_segment_align: 8
    .kernarg_segment_size: 400
    .language:       OpenCL C
    .language_version:
      - 2
      - 0
    .max_flat_workgroup_size: 1024
    .name:           _ZL20rocblas_gemvn_kernelILi64ELi16EiDF16_PKffEviiT3_lPKT2_lT1_lS5_lS6_lS2_lPT4_lS6_li
    .private_segment_fixed_size: 0
    .sgpr_count:     45
    .sgpr_spill_count: 0
    .symbol:         _ZL20rocblas_gemvn_kernelILi64ELi16EiDF16_PKffEviiT3_lPKT2_lT1_lS5_lS6_lS2_lPT4_lS6_li.kd
    .uniform_work_group_size: 1
    .uses_dynamic_stack: false
    .vgpr_count:     49
    .vgpr_spill_count: 0
    .wavefront_size: 64
  - .agpr_count:     0
    .args:
      - .offset:         0
        .size:           4
        .value_kind:     by_value
      - .offset:         4
        .size:           4
        .value_kind:     by_value
      - .address_space:  global
        .offset:         8
        .size:           8
        .value_kind:     global_buffer
      - .offset:         16
        .size:           8
        .value_kind:     by_value
      - .address_space:  global
        .offset:         24
        .size:           8
        .value_kind:     global_buffer
      - .offset:         32
        .size:           8
        .value_kind:     by_value
      - .offset:         40
        .size:           8
        .value_kind:     by_value
      - .offset:         48
        .size:           8
        .value_kind:     by_value
      - .address_space:  global
        .offset:         56
        .size:           8
        .value_kind:     global_buffer
      - .offset:         64
        .size:           8
        .value_kind:     by_value
      - .offset:         72
        .size:           8
        .value_kind:     by_value
      - .offset:         80
        .size:           8
        .value_kind:     by_value
      - .address_space:  global
        .offset:         88
        .size:           8
        .value_kind:     global_buffer
      - .offset:         96
        .size:           8
        .value_kind:     by_value
      - .address_space:  global
        .offset:         104
        .size:           8
        .value_kind:     global_buffer
      - .offset:         112
        .size:           8
        .value_kind:     by_value
      - .offset:         120
        .size:           8
        .value_kind:     by_value
      - .offset:         128
        .size:           8
        .value_kind:     by_value
      - .offset:         136
        .size:           4
        .value_kind:     by_value
      - .offset:         144
        .size:           4
        .value_kind:     hidden_block_count_x
      - .offset:         148
        .size:           4
        .value_kind:     hidden_block_count_y
      - .offset:         152
        .size:           4
        .value_kind:     hidden_block_count_z
      - .offset:         156
        .size:           2
        .value_kind:     hidden_group_size_x
      - .offset:         158
        .size:           2
        .value_kind:     hidden_group_size_y
      - .offset:         160
        .size:           2
        .value_kind:     hidden_group_size_z
      - .offset:         162
        .size:           2
        .value_kind:     hidden_remainder_x
      - .offset:         164
        .size:           2
        .value_kind:     hidden_remainder_y
      - .offset:         166
        .size:           2
        .value_kind:     hidden_remainder_z
      - .offset:         184
        .size:           8
        .value_kind:     hidden_global_offset_x
      - .offset:         192
        .size:           8
        .value_kind:     hidden_global_offset_y
      - .offset:         200
        .size:           8
        .value_kind:     hidden_global_offset_z
      - .offset:         208
        .size:           2
        .value_kind:     hidden_grid_dims
    .group_segment_fixed_size: 16384
    .kernarg_segment_align: 8
    .kernarg_segment_size: 400
    .language:       OpenCL C
    .language_version:
      - 2
      - 0
    .max_flat_workgroup_size: 1024
    .name:           _ZL20rocblas_gemvn_kernelILi64ELi16ElDF16_PKffEviiT3_lPKT2_lT1_lS5_lS6_lS2_lPT4_lS6_li
    .private_segment_fixed_size: 0
    .sgpr_count:     59
    .sgpr_spill_count: 0
    .symbol:         _ZL20rocblas_gemvn_kernelILi64ELi16ElDF16_PKffEviiT3_lPKT2_lT1_lS5_lS6_lS2_lPT4_lS6_li.kd
    .uniform_work_group_size: 1
    .uses_dynamic_stack: false
    .vgpr_count:     55
    .vgpr_spill_count: 0
    .wavefront_size: 64
  - .agpr_count:     0
    .args:
      - .offset:         0
        .size:           4
        .value_kind:     by_value
      - .offset:         4
        .size:           4
        .value_kind:     by_value
      - .offset:         8
        .size:           4
        .value_kind:     by_value
      - .offset:         16
        .size:           8
        .value_kind:     by_value
      - .address_space:  global
        .offset:         24
        .size:           8
        .value_kind:     global_buffer
      - .offset:         32
        .size:           8
        .value_kind:     by_value
      - .offset:         40
        .size:           4
        .value_kind:     by_value
      - .offset:         48
        .size:           8
        .value_kind:     by_value
      - .address_space:  global
        .offset:         56
        .size:           8
        .value_kind:     global_buffer
      - .offset:         64
        .size:           8
        .value_kind:     by_value
      - .offset:         72
        .size:           4
        .value_kind:     by_value
      - .offset:         80
        .size:           8
        .value_kind:     by_value
      - .offset:         88
        .size:           4
        .value_kind:     by_value
      - .offset:         96
        .size:           8
        .value_kind:     by_value
      - .address_space:  global
        .offset:         104
        .size:           8
        .value_kind:     global_buffer
      - .offset:         112
        .size:           8
        .value_kind:     by_value
      - .offset:         120
        .size:           4
        .value_kind:     by_value
      - .offset:         128
        .size:           8
        .value_kind:     by_value
      - .offset:         136
        .size:           4
        .value_kind:     by_value
      - .offset:         144
        .size:           4
        .value_kind:     hidden_block_count_x
      - .offset:         148
        .size:           4
        .value_kind:     hidden_block_count_y
      - .offset:         152
        .size:           4
        .value_kind:     hidden_block_count_z
      - .offset:         156
        .size:           2
        .value_kind:     hidden_group_size_x
      - .offset:         158
        .size:           2
        .value_kind:     hidden_group_size_y
      - .offset:         160
        .size:           2
        .value_kind:     hidden_group_size_z
      - .offset:         162
        .size:           2
        .value_kind:     hidden_remainder_x
      - .offset:         164
        .size:           2
        .value_kind:     hidden_remainder_y
      - .offset:         166
        .size:           2
        .value_kind:     hidden_remainder_z
      - .offset:         184
        .size:           8
        .value_kind:     hidden_global_offset_x
      - .offset:         192
        .size:           8
        .value_kind:     hidden_global_offset_y
      - .offset:         200
        .size:           8
        .value_kind:     hidden_global_offset_z
      - .offset:         208
        .size:           2
        .value_kind:     hidden_grid_dims
    .group_segment_fixed_size: 16384
    .kernarg_segment_align: 8
    .kernarg_segment_size: 400
    .language:       OpenCL C
    .language_version:
      - 2
      - 0
    .max_flat_workgroup_size: 1024
    .name:           _ZL20rocblas_gemvn_kernelILi64ELi16EiDF16_ffEviiT3_lPKT2_lT1_lS3_lS4_lS0_lPT4_lS4_li
    .private_segment_fixed_size: 0
    .sgpr_count:     45
    .sgpr_spill_count: 0
    .symbol:         _ZL20rocblas_gemvn_kernelILi64ELi16EiDF16_ffEviiT3_lPKT2_lT1_lS3_lS4_lS0_lPT4_lS4_li.kd
    .uniform_work_group_size: 1
    .uses_dynamic_stack: false
    .vgpr_count:     49
    .vgpr_spill_count: 0
    .wavefront_size: 64
  - .agpr_count:     0
    .args:
      - .offset:         0
        .size:           4
        .value_kind:     by_value
      - .offset:         4
        .size:           4
        .value_kind:     by_value
      - .offset:         8
        .size:           4
        .value_kind:     by_value
      - .offset:         16
        .size:           8
        .value_kind:     by_value
      - .address_space:  global
        .offset:         24
        .size:           8
        .value_kind:     global_buffer
      - .offset:         32
        .size:           8
        .value_kind:     by_value
      - .offset:         40
        .size:           8
        .value_kind:     by_value
      - .offset:         48
        .size:           8
        .value_kind:     by_value
      - .address_space:  global
        .offset:         56
        .size:           8
        .value_kind:     global_buffer
      - .offset:         64
        .size:           8
        .value_kind:     by_value
      - .offset:         72
        .size:           8
        .value_kind:     by_value
      - .offset:         80
        .size:           8
        .value_kind:     by_value
      - .offset:         88
        .size:           4
        .value_kind:     by_value
      - .offset:         96
        .size:           8
        .value_kind:     by_value
      - .address_space:  global
        .offset:         104
        .size:           8
        .value_kind:     global_buffer
      - .offset:         112
        .size:           8
        .value_kind:     by_value
      - .offset:         120
        .size:           8
        .value_kind:     by_value
      - .offset:         128
        .size:           8
        .value_kind:     by_value
      - .offset:         136
        .size:           4
        .value_kind:     by_value
      - .offset:         144
        .size:           4
        .value_kind:     hidden_block_count_x
      - .offset:         148
        .size:           4
        .value_kind:     hidden_block_count_y
      - .offset:         152
        .size:           4
        .value_kind:     hidden_block_count_z
      - .offset:         156
        .size:           2
        .value_kind:     hidden_group_size_x
      - .offset:         158
        .size:           2
        .value_kind:     hidden_group_size_y
      - .offset:         160
        .size:           2
        .value_kind:     hidden_group_size_z
      - .offset:         162
        .size:           2
        .value_kind:     hidden_remainder_x
      - .offset:         164
        .size:           2
        .value_kind:     hidden_remainder_y
      - .offset:         166
        .size:           2
        .value_kind:     hidden_remainder_z
      - .offset:         184
        .size:           8
        .value_kind:     hidden_global_offset_x
      - .offset:         192
        .size:           8
        .value_kind:     hidden_global_offset_y
      - .offset:         200
        .size:           8
        .value_kind:     hidden_global_offset_z
      - .offset:         208
        .size:           2
        .value_kind:     hidden_grid_dims
    .group_segment_fixed_size: 16384
    .kernarg_segment_align: 8
    .kernarg_segment_size: 400
    .language:       OpenCL C
    .language_version:
      - 2
      - 0
    .max_flat_workgroup_size: 1024
    .name:           _ZL20rocblas_gemvn_kernelILi64ELi16ElDF16_ffEviiT3_lPKT2_lT1_lS3_lS4_lS0_lPT4_lS4_li
    .private_segment_fixed_size: 0
    .sgpr_count:     59
    .sgpr_spill_count: 0
    .symbol:         _ZL20rocblas_gemvn_kernelILi64ELi16ElDF16_ffEviiT3_lPKT2_lT1_lS3_lS4_lS0_lPT4_lS4_li.kd
    .uniform_work_group_size: 1
    .uses_dynamic_stack: false
    .vgpr_count:     55
    .vgpr_spill_count: 0
    .wavefront_size: 64
  - .agpr_count:     0
    .args:
      - .offset:         0
        .size:           4
        .value_kind:     by_value
      - .offset:         4
        .size:           4
        .value_kind:     by_value
      - .address_space:  global
        .offset:         8
        .size:           8
        .value_kind:     global_buffer
      - .offset:         16
        .size:           8
        .value_kind:     by_value
      - .address_space:  global
        .offset:         24
        .size:           8
        .value_kind:     global_buffer
      - .offset:         32
        .size:           8
        .value_kind:     by_value
      - .offset:         40
        .size:           4
        .value_kind:     by_value
      - .offset:         48
        .size:           8
        .value_kind:     by_value
      - .address_space:  global
        .offset:         56
        .size:           8
        .value_kind:     global_buffer
      - .offset:         64
        .size:           8
        .value_kind:     by_value
      - .offset:         72
        .size:           4
        .value_kind:     by_value
      - .offset:         80
        .size:           8
        .value_kind:     by_value
      - .address_space:  global
        .offset:         88
        .size:           8
        .value_kind:     global_buffer
      - .offset:         96
        .size:           8
        .value_kind:     by_value
      - .address_space:  global
        .offset:         104
        .size:           8
        .value_kind:     global_buffer
      - .offset:         112
        .size:           8
        .value_kind:     by_value
      - .offset:         120
        .size:           4
        .value_kind:     by_value
      - .offset:         128
        .size:           8
        .value_kind:     by_value
    .group_segment_fixed_size: 256
    .kernarg_segment_align: 8
    .kernarg_segment_size: 136
    .language:       OpenCL C
    .language_version:
      - 2
      - 0
    .max_flat_workgroup_size: 256
    .name:           _ZL22rocblas_gemvtsm_kernelILb0ELi256EDF16_PKffEviiT2_lPKT1_lilS5_lilS2_lPT3_lil
    .private_segment_fixed_size: 0
    .sgpr_count:     35
    .sgpr_spill_count: 0
    .symbol:         _ZL22rocblas_gemvtsm_kernelILb0ELi256EDF16_PKffEviiT2_lPKT1_lilS5_lilS2_lPT3_lil.kd
    .uniform_work_group_size: 1
    .uses_dynamic_stack: false
    .vgpr_count:     22
    .vgpr_spill_count: 0
    .wavefront_size: 64
  - .agpr_count:     0
    .args:
      - .offset:         0
        .size:           4
        .value_kind:     by_value
      - .offset:         4
        .size:           4
        .value_kind:     by_value
      - .offset:         8
        .size:           4
        .value_kind:     by_value
      - .offset:         16
        .size:           8
        .value_kind:     by_value
      - .address_space:  global
        .offset:         24
        .size:           8
        .value_kind:     global_buffer
      - .offset:         32
        .size:           8
        .value_kind:     by_value
      - .offset:         40
        .size:           4
        .value_kind:     by_value
      - .offset:         48
        .size:           8
        .value_kind:     by_value
      - .address_space:  global
        .offset:         56
        .size:           8
        .value_kind:     global_buffer
      - .offset:         64
        .size:           8
        .value_kind:     by_value
      - .offset:         72
        .size:           4
        .value_kind:     by_value
      - .offset:         80
        .size:           8
        .value_kind:     by_value
      - .offset:         88
        .size:           4
        .value_kind:     by_value
      - .offset:         96
        .size:           8
        .value_kind:     by_value
      - .address_space:  global
        .offset:         104
        .size:           8
        .value_kind:     global_buffer
      - .offset:         112
        .size:           8
        .value_kind:     by_value
      - .offset:         120
        .size:           4
        .value_kind:     by_value
      - .offset:         128
        .size:           8
        .value_kind:     by_value
    .group_segment_fixed_size: 256
    .kernarg_segment_align: 8
    .kernarg_segment_size: 136
    .language:       OpenCL C
    .language_version:
      - 2
      - 0
    .max_flat_workgroup_size: 256
    .name:           _ZL22rocblas_gemvtsm_kernelILb0ELi256EDF16_ffEviiT2_lPKT1_lilS3_lilS0_lPT3_lil
    .private_segment_fixed_size: 0
    .sgpr_count:     38
    .sgpr_spill_count: 0
    .symbol:         _ZL22rocblas_gemvtsm_kernelILb0ELi256EDF16_ffEviiT2_lPKT1_lilS3_lilS0_lPT3_lil.kd
    .uniform_work_group_size: 1
    .uses_dynamic_stack: false
    .vgpr_count:     22
    .vgpr_spill_count: 0
    .wavefront_size: 64
  - .agpr_count:     0
    .args:
      - .offset:         0
        .size:           4
        .value_kind:     by_value
      - .address_space:  global
        .offset:         8
        .size:           8
        .value_kind:     global_buffer
      - .offset:         16
        .size:           8
        .value_kind:     by_value
      - .address_space:  global
        .offset:         24
        .size:           8
        .value_kind:     global_buffer
      - .offset:         32
        .size:           8
        .value_kind:     by_value
      - .offset:         40
        .size:           4
        .value_kind:     by_value
      - .offset:         48
        .size:           8
        .value_kind:     by_value
      - .actual_access:  read_only
        .address_space:  global
        .offset:         56
        .size:           8
        .value_kind:     global_buffer
      - .offset:         64
        .size:           4
        .value_kind:     by_value
      - .offset:         72
        .size:           4
        .value_kind:     hidden_block_count_x
      - .offset:         76
        .size:           4
        .value_kind:     hidden_block_count_y
      - .offset:         80
        .size:           4
        .value_kind:     hidden_block_count_z
      - .offset:         84
        .size:           2
        .value_kind:     hidden_group_size_x
      - .offset:         86
        .size:           2
        .value_kind:     hidden_group_size_y
      - .offset:         88
        .size:           2
        .value_kind:     hidden_group_size_z
      - .offset:         90
        .size:           2
        .value_kind:     hidden_remainder_x
      - .offset:         92
        .size:           2
        .value_kind:     hidden_remainder_y
      - .offset:         94
        .size:           2
        .value_kind:     hidden_remainder_z
      - .offset:         112
        .size:           8
        .value_kind:     hidden_global_offset_x
      - .offset:         120
        .size:           8
        .value_kind:     hidden_global_offset_y
      - .offset:         128
        .size:           8
        .value_kind:     hidden_global_offset_z
      - .offset:         136
        .size:           2
        .value_kind:     hidden_grid_dims
    .group_segment_fixed_size: 256
    .kernarg_segment_align: 8
    .kernarg_segment_size: 328
    .language:       OpenCL C
    .language_version:
      - 2
      - 0
    .max_flat_workgroup_size: 256
    .name:           _ZL23rocblas_gemvt_sn_reduceILi256ELi8EfPKffEviT2_lPT3_lilPT1_i
    .private_segment_fixed_size: 0
    .sgpr_count:     28
    .sgpr_spill_count: 0
    .symbol:         _ZL23rocblas_gemvt_sn_reduceILi256ELi8EfPKffEviT2_lPT3_lilPT1_i.kd
    .uniform_work_group_size: 1
    .uses_dynamic_stack: false
    .vgpr_count:     14
    .vgpr_spill_count: 0
    .wavefront_size: 64
  - .agpr_count:     0
    .args:
      - .offset:         0
        .size:           4
        .value_kind:     by_value
      - .offset:         4
        .size:           4
        .value_kind:     by_value
      - .offset:         8
        .size:           8
        .value_kind:     by_value
      - .address_space:  global
        .offset:         16
        .size:           8
        .value_kind:     global_buffer
      - .offset:         24
        .size:           8
        .value_kind:     by_value
      - .offset:         32
        .size:           4
        .value_kind:     by_value
      - .offset:         40
        .size:           8
        .value_kind:     by_value
      - .actual_access:  read_only
        .address_space:  global
        .offset:         48
        .size:           8
        .value_kind:     global_buffer
      - .offset:         56
        .size:           4
        .value_kind:     by_value
      - .offset:         64
        .size:           4
        .value_kind:     hidden_block_count_x
      - .offset:         68
        .size:           4
        .value_kind:     hidden_block_count_y
      - .offset:         72
        .size:           4
        .value_kind:     hidden_block_count_z
      - .offset:         76
        .size:           2
        .value_kind:     hidden_group_size_x
      - .offset:         78
        .size:           2
        .value_kind:     hidden_group_size_y
      - .offset:         80
        .size:           2
        .value_kind:     hidden_group_size_z
      - .offset:         82
        .size:           2
        .value_kind:     hidden_remainder_x
      - .offset:         84
        .size:           2
        .value_kind:     hidden_remainder_y
      - .offset:         86
        .size:           2
        .value_kind:     hidden_remainder_z
      - .offset:         104
        .size:           8
        .value_kind:     hidden_global_offset_x
      - .offset:         112
        .size:           8
        .value_kind:     hidden_global_offset_y
      - .offset:         120
        .size:           8
        .value_kind:     hidden_global_offset_z
      - .offset:         128
        .size:           2
        .value_kind:     hidden_grid_dims
    .group_segment_fixed_size: 256
    .kernarg_segment_align: 8
    .kernarg_segment_size: 320
    .language:       OpenCL C
    .language_version:
      - 2
      - 0
    .max_flat_workgroup_size: 256
    .name:           _ZL23rocblas_gemvt_sn_reduceILi256ELi8EfffEviT2_lPT3_lilPT1_i
    .private_segment_fixed_size: 0
    .sgpr_count:     24
    .sgpr_spill_count: 0
    .symbol:         _ZL23rocblas_gemvt_sn_reduceILi256ELi8EfffEviT2_lPT3_lilPT1_i.kd
    .uniform_work_group_size: 1
    .uses_dynamic_stack: false
    .vgpr_count:     14
    .vgpr_spill_count: 0
    .wavefront_size: 64
  - .agpr_count:     0
    .args:
      - .offset:         0
        .size:           4
        .value_kind:     by_value
      - .offset:         4
        .size:           4
        .value_kind:     by_value
      - .address_space:  global
        .offset:         8
        .size:           8
        .value_kind:     global_buffer
      - .offset:         16
        .size:           8
        .value_kind:     by_value
      - .address_space:  global
        .offset:         24
        .size:           8
        .value_kind:     global_buffer
      - .offset:         32
        .size:           8
        .value_kind:     by_value
      - .offset:         40
        .size:           4
        .value_kind:     by_value
      - .offset:         48
        .size:           8
        .value_kind:     by_value
      - .address_space:  global
        .offset:         56
        .size:           8
        .value_kind:     global_buffer
      - .offset:         64
        .size:           8
        .value_kind:     by_value
      - .offset:         72
        .size:           4
        .value_kind:     by_value
      - .offset:         80
        .size:           8
        .value_kind:     by_value
      - .address_space:  global
        .offset:         88
        .size:           8
        .value_kind:     global_buffer
      - .offset:         96
        .size:           8
        .value_kind:     by_value
      - .address_space:  global
        .offset:         104
        .size:           8
        .value_kind:     global_buffer
      - .offset:         112
        .size:           8
        .value_kind:     by_value
      - .offset:         120
        .size:           4
        .value_kind:     by_value
      - .offset:         128
        .size:           8
        .value_kind:     by_value
      - .offset:         136
        .size:           4
        .value_kind:     by_value
    .group_segment_fixed_size: 256
    .kernarg_segment_align: 8
    .kernarg_segment_size: 140
    .language:       OpenCL C
    .language_version:
      - 2
      - 0
    .max_flat_workgroup_size: 256
    .name:           _ZL32rocblas_gemvt_warp_reduce_kernelILb0ELi256EiDF16_PKffEviiT3_lPKT2_lT1_lS5_lS6_lS2_lPT4_lS6_li
    .private_segment_fixed_size: 0
    .sgpr_count:     32
    .sgpr_spill_count: 0
    .symbol:         _ZL32rocblas_gemvt_warp_reduce_kernelILb0ELi256EiDF16_PKffEviiT3_lPKT2_lT1_lS5_lS6_lS2_lPT4_lS6_li.kd
    .uniform_work_group_size: 1
    .uses_dynamic_stack: false
    .vgpr_count:     12
    .vgpr_spill_count: 0
    .wavefront_size: 64
  - .agpr_count:     0
    .args:
      - .offset:         0
        .size:           4
        .value_kind:     by_value
      - .offset:         4
        .size:           4
        .value_kind:     by_value
      - .address_space:  global
        .offset:         8
        .size:           8
        .value_kind:     global_buffer
      - .offset:         16
        .size:           8
        .value_kind:     by_value
      - .address_space:  global
        .offset:         24
        .size:           8
        .value_kind:     global_buffer
      - .offset:         32
        .size:           8
        .value_kind:     by_value
      - .offset:         40
        .size:           8
        .value_kind:     by_value
      - .offset:         48
        .size:           8
        .value_kind:     by_value
      - .address_space:  global
        .offset:         56
        .size:           8
        .value_kind:     global_buffer
      - .offset:         64
        .size:           8
        .value_kind:     by_value
      - .offset:         72
        .size:           8
        .value_kind:     by_value
      - .offset:         80
        .size:           8
        .value_kind:     by_value
      - .address_space:  global
        .offset:         88
        .size:           8
        .value_kind:     global_buffer
      - .offset:         96
        .size:           8
        .value_kind:     by_value
      - .address_space:  global
        .offset:         104
        .size:           8
        .value_kind:     global_buffer
      - .offset:         112
        .size:           8
        .value_kind:     by_value
      - .offset:         120
        .size:           8
        .value_kind:     by_value
      - .offset:         128
        .size:           8
        .value_kind:     by_value
      - .offset:         136
        .size:           4
        .value_kind:     by_value
    .group_segment_fixed_size: 256
    .kernarg_segment_align: 8
    .kernarg_segment_size: 140
    .language:       OpenCL C
    .language_version:
      - 2
      - 0
    .max_flat_workgroup_size: 256
    .name:           _ZL32rocblas_gemvt_warp_reduce_kernelILb0ELi256ElDF16_PKffEviiT3_lPKT2_lT1_lS5_lS6_lS2_lPT4_lS6_li
    .private_segment_fixed_size: 0
    .sgpr_count:     58
    .sgpr_spill_count: 0
    .symbol:         _ZL32rocblas_gemvt_warp_reduce_kernelILb0ELi256ElDF16_PKffEviiT3_lPKT2_lT1_lS5_lS6_lS2_lPT4_lS6_li.kd
    .uniform_work_group_size: 1
    .uses_dynamic_stack: false
    .vgpr_count:     11
    .vgpr_spill_count: 0
    .wavefront_size: 64
  - .agpr_count:     0
    .args:
      - .offset:         0
        .size:           4
        .value_kind:     by_value
      - .offset:         4
        .size:           4
        .value_kind:     by_value
      - .offset:         8
        .size:           4
        .value_kind:     by_value
      - .offset:         16
        .size:           8
        .value_kind:     by_value
      - .address_space:  global
        .offset:         24
        .size:           8
        .value_kind:     global_buffer
      - .offset:         32
        .size:           8
        .value_kind:     by_value
      - .offset:         40
        .size:           4
        .value_kind:     by_value
      - .offset:         48
        .size:           8
        .value_kind:     by_value
      - .address_space:  global
        .offset:         56
        .size:           8
        .value_kind:     global_buffer
      - .offset:         64
        .size:           8
        .value_kind:     by_value
      - .offset:         72
        .size:           4
        .value_kind:     by_value
      - .offset:         80
        .size:           8
        .value_kind:     by_value
      - .offset:         88
        .size:           4
        .value_kind:     by_value
      - .offset:         96
        .size:           8
        .value_kind:     by_value
      - .address_space:  global
        .offset:         104
        .size:           8
        .value_kind:     global_buffer
      - .offset:         112
        .size:           8
        .value_kind:     by_value
      - .offset:         120
        .size:           4
        .value_kind:     by_value
      - .offset:         128
        .size:           8
        .value_kind:     by_value
      - .offset:         136
        .size:           4
        .value_kind:     by_value
    .group_segment_fixed_size: 256
    .kernarg_segment_align: 8
    .kernarg_segment_size: 140
    .language:       OpenCL C
    .language_version:
      - 2
      - 0
    .max_flat_workgroup_size: 256
    .name:           _ZL32rocblas_gemvt_warp_reduce_kernelILb0ELi256EiDF16_ffEviiT3_lPKT2_lT1_lS3_lS4_lS0_lPT4_lS4_li
    .private_segment_fixed_size: 0
    .sgpr_count:     32
    .sgpr_spill_count: 0
    .symbol:         _ZL32rocblas_gemvt_warp_reduce_kernelILb0ELi256EiDF16_ffEviiT3_lPKT2_lT1_lS3_lS4_lS0_lPT4_lS4_li.kd
    .uniform_work_group_size: 1
    .uses_dynamic_stack: false
    .vgpr_count:     12
    .vgpr_spill_count: 0
    .wavefront_size: 64
  - .agpr_count:     0
    .args:
      - .offset:         0
        .size:           4
        .value_kind:     by_value
      - .offset:         4
        .size:           4
        .value_kind:     by_value
      - .offset:         8
        .size:           4
        .value_kind:     by_value
      - .offset:         16
        .size:           8
        .value_kind:     by_value
      - .address_space:  global
        .offset:         24
        .size:           8
        .value_kind:     global_buffer
      - .offset:         32
        .size:           8
        .value_kind:     by_value
      - .offset:         40
        .size:           8
        .value_kind:     by_value
      - .offset:         48
        .size:           8
        .value_kind:     by_value
      - .address_space:  global
        .offset:         56
        .size:           8
        .value_kind:     global_buffer
      - .offset:         64
        .size:           8
        .value_kind:     by_value
      - .offset:         72
        .size:           8
        .value_kind:     by_value
      - .offset:         80
        .size:           8
        .value_kind:     by_value
      - .offset:         88
        .size:           4
        .value_kind:     by_value
      - .offset:         96
        .size:           8
        .value_kind:     by_value
      - .address_space:  global
        .offset:         104
        .size:           8
        .value_kind:     global_buffer
      - .offset:         112
        .size:           8
        .value_kind:     by_value
      - .offset:         120
        .size:           8
        .value_kind:     by_value
      - .offset:         128
        .size:           8
        .value_kind:     by_value
      - .offset:         136
        .size:           4
        .value_kind:     by_value
    .group_segment_fixed_size: 256
    .kernarg_segment_align: 8
    .kernarg_segment_size: 140
    .language:       OpenCL C
    .language_version:
      - 2
      - 0
    .max_flat_workgroup_size: 256
    .name:           _ZL32rocblas_gemvt_warp_reduce_kernelILb0ELi256ElDF16_ffEviiT3_lPKT2_lT1_lS3_lS4_lS0_lPT4_lS4_li
    .private_segment_fixed_size: 0
    .sgpr_count:     35
    .sgpr_spill_count: 0
    .symbol:         _ZL32rocblas_gemvt_warp_reduce_kernelILb0ELi256ElDF16_ffEviiT3_lPKT2_lT1_lS3_lS4_lS0_lPT4_lS4_li.kd
    .uniform_work_group_size: 1
    .uses_dynamic_stack: false
    .vgpr_count:     11
    .vgpr_spill_count: 0
    .wavefront_size: 64
  - .agpr_count:     0
    .args:
      - .offset:         0
        .size:           4
        .value_kind:     by_value
      - .offset:         4
        .size:           4
        .value_kind:     by_value
      - .address_space:  global
        .offset:         8
        .size:           8
        .value_kind:     global_buffer
      - .offset:         16
        .size:           8
        .value_kind:     by_value
      - .address_space:  global
        .offset:         24
        .size:           8
        .value_kind:     global_buffer
      - .offset:         32
        .size:           8
        .value_kind:     by_value
      - .offset:         40
        .size:           4
        .value_kind:     by_value
      - .offset:         48
        .size:           8
        .value_kind:     by_value
      - .address_space:  global
        .offset:         56
        .size:           8
        .value_kind:     global_buffer
      - .offset:         64
        .size:           8
        .value_kind:     by_value
      - .offset:         72
        .size:           4
        .value_kind:     by_value
      - .offset:         80
        .size:           8
        .value_kind:     by_value
      - .address_space:  global
        .offset:         88
        .size:           8
        .value_kind:     global_buffer
      - .offset:         96
        .size:           8
        .value_kind:     by_value
      - .address_space:  global
        .offset:         104
        .size:           8
        .value_kind:     global_buffer
      - .offset:         112
        .size:           8
        .value_kind:     by_value
      - .offset:         120
        .size:           4
        .value_kind:     by_value
      - .offset:         128
        .size:           8
        .value_kind:     by_value
      - .offset:         136
        .size:           4
        .value_kind:     by_value
    .group_segment_fixed_size: 1024
    .kernarg_segment_align: 8
    .kernarg_segment_size: 140
    .language:       OpenCL C
    .language_version:
      - 2
      - 0
    .max_flat_workgroup_size: 256
    .name:           _ZL20rocblas_gemvt_kernelILb0ELi256EDF16_PKffEviiT2_lPKT1_lilS5_lilS2_lPT3_lili
    .private_segment_fixed_size: 0
    .sgpr_count:     32
    .sgpr_spill_count: 0
    .symbol:         _ZL20rocblas_gemvt_kernelILb0ELi256EDF16_PKffEviiT2_lPKT1_lilS5_lilS2_lPT3_lili.kd
    .uniform_work_group_size: 1
    .uses_dynamic_stack: false
    .vgpr_count:     10
    .vgpr_spill_count: 0
    .wavefront_size: 64
  - .agpr_count:     0
    .args:
      - .offset:         0
        .size:           4
        .value_kind:     by_value
      - .offset:         4
        .size:           4
        .value_kind:     by_value
      - .offset:         8
        .size:           4
        .value_kind:     by_value
      - .offset:         16
        .size:           8
        .value_kind:     by_value
      - .address_space:  global
        .offset:         24
        .size:           8
        .value_kind:     global_buffer
      - .offset:         32
        .size:           8
        .value_kind:     by_value
      - .offset:         40
        .size:           4
        .value_kind:     by_value
      - .offset:         48
        .size:           8
        .value_kind:     by_value
      - .address_space:  global
        .offset:         56
        .size:           8
        .value_kind:     global_buffer
      - .offset:         64
        .size:           8
        .value_kind:     by_value
      - .offset:         72
        .size:           4
        .value_kind:     by_value
      - .offset:         80
        .size:           8
        .value_kind:     by_value
      - .offset:         88
        .size:           4
        .value_kind:     by_value
      - .offset:         96
        .size:           8
        .value_kind:     by_value
      - .address_space:  global
        .offset:         104
        .size:           8
        .value_kind:     global_buffer
      - .offset:         112
        .size:           8
        .value_kind:     by_value
      - .offset:         120
        .size:           4
        .value_kind:     by_value
      - .offset:         128
        .size:           8
        .value_kind:     by_value
      - .offset:         136
        .size:           4
        .value_kind:     by_value
    .group_segment_fixed_size: 1024
    .kernarg_segment_align: 8
    .kernarg_segment_size: 140
    .language:       OpenCL C
    .language_version:
      - 2
      - 0
    .max_flat_workgroup_size: 256
    .name:           _ZL20rocblas_gemvt_kernelILb0ELi256EDF16_ffEviiT2_lPKT1_lilS3_lilS0_lPT3_lili
    .private_segment_fixed_size: 0
    .sgpr_count:     34
    .sgpr_spill_count: 0
    .symbol:         _ZL20rocblas_gemvt_kernelILb0ELi256EDF16_ffEviiT2_lPKT1_lilS3_lilS0_lPT3_lili.kd
    .uniform_work_group_size: 1
    .uses_dynamic_stack: false
    .vgpr_count:     10
    .vgpr_spill_count: 0
    .wavefront_size: 64
  - .agpr_count:     0
    .args:
      - .offset:         0
        .size:           4
        .value_kind:     by_value
      - .offset:         4
        .size:           4
        .value_kind:     by_value
      - .address_space:  global
        .offset:         8
        .size:           8
        .value_kind:     global_buffer
      - .offset:         16
        .size:           8
        .value_kind:     by_value
      - .address_space:  global
        .offset:         24
        .size:           8
        .value_kind:     global_buffer
      - .offset:         32
        .size:           8
        .value_kind:     by_value
      - .offset:         40
        .size:           4
        .value_kind:     by_value
      - .offset:         48
        .size:           8
        .value_kind:     by_value
      - .address_space:  global
        .offset:         56
        .size:           8
        .value_kind:     global_buffer
      - .offset:         64
        .size:           8
        .value_kind:     by_value
      - .offset:         72
        .size:           4
        .value_kind:     by_value
      - .offset:         80
        .size:           8
        .value_kind:     by_value
      - .address_space:  global
        .offset:         88
        .size:           8
        .value_kind:     global_buffer
      - .offset:         96
        .size:           8
        .value_kind:     by_value
      - .address_space:  global
        .offset:         104
        .size:           8
        .value_kind:     global_buffer
      - .offset:         112
        .size:           8
        .value_kind:     by_value
      - .offset:         120
        .size:           4
        .value_kind:     by_value
      - .offset:         128
        .size:           8
        .value_kind:     by_value
      - .offset:         136
        .size:           4
        .value_kind:     by_value
    .group_segment_fixed_size: 256
    .kernarg_segment_align: 8
    .kernarg_segment_size: 140
    .language:       OpenCL C
    .language_version:
      - 2
      - 0
    .max_flat_workgroup_size: 1024
    .name:           _ZL32rocblas_gemvt_warp_reduce_kernelILb0ELi1024EiDF16_PKffEviiT3_lPKT2_lT1_lS5_lS6_lS2_lPT4_lS6_li
    .private_segment_fixed_size: 0
    .sgpr_count:     32
    .sgpr_spill_count: 0
    .symbol:         _ZL32rocblas_gemvt_warp_reduce_kernelILb0ELi1024EiDF16_PKffEviiT3_lPKT2_lT1_lS5_lS6_lS2_lPT4_lS6_li.kd
    .uniform_work_group_size: 1
    .uses_dynamic_stack: false
    .vgpr_count:     12
    .vgpr_spill_count: 0
    .wavefront_size: 64
  - .agpr_count:     0
    .args:
      - .offset:         0
        .size:           4
        .value_kind:     by_value
      - .offset:         4
        .size:           4
        .value_kind:     by_value
      - .address_space:  global
        .offset:         8
        .size:           8
        .value_kind:     global_buffer
      - .offset:         16
        .size:           8
        .value_kind:     by_value
      - .address_space:  global
        .offset:         24
        .size:           8
        .value_kind:     global_buffer
      - .offset:         32
        .size:           8
        .value_kind:     by_value
      - .offset:         40
        .size:           8
        .value_kind:     by_value
      - .offset:         48
        .size:           8
        .value_kind:     by_value
      - .address_space:  global
        .offset:         56
        .size:           8
        .value_kind:     global_buffer
      - .offset:         64
        .size:           8
        .value_kind:     by_value
      - .offset:         72
        .size:           8
        .value_kind:     by_value
      - .offset:         80
        .size:           8
        .value_kind:     by_value
      - .address_space:  global
        .offset:         88
        .size:           8
        .value_kind:     global_buffer
      - .offset:         96
        .size:           8
        .value_kind:     by_value
      - .address_space:  global
        .offset:         104
        .size:           8
        .value_kind:     global_buffer
      - .offset:         112
        .size:           8
        .value_kind:     by_value
      - .offset:         120
        .size:           8
        .value_kind:     by_value
      - .offset:         128
        .size:           8
        .value_kind:     by_value
      - .offset:         136
        .size:           4
        .value_kind:     by_value
    .group_segment_fixed_size: 256
    .kernarg_segment_align: 8
    .kernarg_segment_size: 140
    .language:       OpenCL C
    .language_version:
      - 2
      - 0
    .max_flat_workgroup_size: 1024
    .name:           _ZL32rocblas_gemvt_warp_reduce_kernelILb0ELi1024ElDF16_PKffEviiT3_lPKT2_lT1_lS5_lS6_lS2_lPT4_lS6_li
    .private_segment_fixed_size: 0
    .sgpr_count:     58
    .sgpr_spill_count: 0
    .symbol:         _ZL32rocblas_gemvt_warp_reduce_kernelILb0ELi1024ElDF16_PKffEviiT3_lPKT2_lT1_lS5_lS6_lS2_lPT4_lS6_li.kd
    .uniform_work_group_size: 1
    .uses_dynamic_stack: false
    .vgpr_count:     11
    .vgpr_spill_count: 0
    .wavefront_size: 64
  - .agpr_count:     0
    .args:
      - .offset:         0
        .size:           4
        .value_kind:     by_value
      - .offset:         4
        .size:           4
        .value_kind:     by_value
      - .offset:         8
        .size:           4
        .value_kind:     by_value
      - .offset:         16
        .size:           8
        .value_kind:     by_value
      - .address_space:  global
        .offset:         24
        .size:           8
        .value_kind:     global_buffer
      - .offset:         32
        .size:           8
        .value_kind:     by_value
      - .offset:         40
        .size:           4
        .value_kind:     by_value
      - .offset:         48
        .size:           8
        .value_kind:     by_value
      - .address_space:  global
        .offset:         56
        .size:           8
        .value_kind:     global_buffer
      - .offset:         64
        .size:           8
        .value_kind:     by_value
      - .offset:         72
        .size:           4
        .value_kind:     by_value
      - .offset:         80
        .size:           8
        .value_kind:     by_value
      - .offset:         88
        .size:           4
        .value_kind:     by_value
      - .offset:         96
        .size:           8
        .value_kind:     by_value
      - .address_space:  global
        .offset:         104
        .size:           8
        .value_kind:     global_buffer
      - .offset:         112
        .size:           8
        .value_kind:     by_value
      - .offset:         120
        .size:           4
        .value_kind:     by_value
      - .offset:         128
        .size:           8
        .value_kind:     by_value
      - .offset:         136
        .size:           4
        .value_kind:     by_value
    .group_segment_fixed_size: 256
    .kernarg_segment_align: 8
    .kernarg_segment_size: 140
    .language:       OpenCL C
    .language_version:
      - 2
      - 0
    .max_flat_workgroup_size: 1024
    .name:           _ZL32rocblas_gemvt_warp_reduce_kernelILb0ELi1024EiDF16_ffEviiT3_lPKT2_lT1_lS3_lS4_lS0_lPT4_lS4_li
    .private_segment_fixed_size: 0
    .sgpr_count:     32
    .sgpr_spill_count: 0
    .symbol:         _ZL32rocblas_gemvt_warp_reduce_kernelILb0ELi1024EiDF16_ffEviiT3_lPKT2_lT1_lS3_lS4_lS0_lPT4_lS4_li.kd
    .uniform_work_group_size: 1
    .uses_dynamic_stack: false
    .vgpr_count:     12
    .vgpr_spill_count: 0
    .wavefront_size: 64
  - .agpr_count:     0
    .args:
      - .offset:         0
        .size:           4
        .value_kind:     by_value
      - .offset:         4
        .size:           4
        .value_kind:     by_value
      - .offset:         8
        .size:           4
        .value_kind:     by_value
      - .offset:         16
        .size:           8
        .value_kind:     by_value
      - .address_space:  global
        .offset:         24
        .size:           8
        .value_kind:     global_buffer
      - .offset:         32
        .size:           8
        .value_kind:     by_value
      - .offset:         40
        .size:           8
        .value_kind:     by_value
      - .offset:         48
        .size:           8
        .value_kind:     by_value
      - .address_space:  global
        .offset:         56
        .size:           8
        .value_kind:     global_buffer
      - .offset:         64
        .size:           8
        .value_kind:     by_value
      - .offset:         72
        .size:           8
        .value_kind:     by_value
      - .offset:         80
        .size:           8
        .value_kind:     by_value
      - .offset:         88
        .size:           4
        .value_kind:     by_value
      - .offset:         96
        .size:           8
        .value_kind:     by_value
      - .address_space:  global
        .offset:         104
        .size:           8
        .value_kind:     global_buffer
      - .offset:         112
        .size:           8
        .value_kind:     by_value
      - .offset:         120
        .size:           8
        .value_kind:     by_value
      - .offset:         128
        .size:           8
        .value_kind:     by_value
      - .offset:         136
        .size:           4
        .value_kind:     by_value
    .group_segment_fixed_size: 256
    .kernarg_segment_align: 8
    .kernarg_segment_size: 140
    .language:       OpenCL C
    .language_version:
      - 2
      - 0
    .max_flat_workgroup_size: 1024
    .name:           _ZL32rocblas_gemvt_warp_reduce_kernelILb0ELi1024ElDF16_ffEviiT3_lPKT2_lT1_lS3_lS4_lS0_lPT4_lS4_li
    .private_segment_fixed_size: 0
    .sgpr_count:     35
    .sgpr_spill_count: 0
    .symbol:         _ZL32rocblas_gemvt_warp_reduce_kernelILb0ELi1024ElDF16_ffEviiT3_lPKT2_lT1_lS3_lS4_lS0_lPT4_lS4_li.kd
    .uniform_work_group_size: 1
    .uses_dynamic_stack: false
    .vgpr_count:     11
    .vgpr_spill_count: 0
    .wavefront_size: 64
  - .agpr_count:     0
    .args:
      - .offset:         0
        .size:           4
        .value_kind:     by_value
      - .offset:         4
        .size:           4
        .value_kind:     by_value
      - .address_space:  global
        .offset:         8
        .size:           8
        .value_kind:     global_buffer
      - .offset:         16
        .size:           8
        .value_kind:     by_value
      - .address_space:  global
        .offset:         24
        .size:           8
        .value_kind:     global_buffer
      - .offset:         32
        .size:           8
        .value_kind:     by_value
      - .offset:         40
        .size:           4
        .value_kind:     by_value
      - .offset:         48
        .size:           8
        .value_kind:     by_value
      - .address_space:  global
        .offset:         56
        .size:           8
        .value_kind:     global_buffer
      - .offset:         64
        .size:           8
        .value_kind:     by_value
      - .offset:         72
        .size:           4
        .value_kind:     by_value
      - .offset:         80
        .size:           8
        .value_kind:     by_value
      - .address_space:  global
        .offset:         88
        .size:           8
        .value_kind:     global_buffer
      - .offset:         96
        .size:           8
        .value_kind:     by_value
      - .address_space:  global
        .offset:         104
        .size:           8
        .value_kind:     global_buffer
      - .offset:         112
        .size:           8
        .value_kind:     by_value
      - .offset:         120
        .size:           4
        .value_kind:     by_value
      - .offset:         128
        .size:           8
        .value_kind:     by_value
    .group_segment_fixed_size: 256
    .kernarg_segment_align: 8
    .kernarg_segment_size: 136
    .language:       OpenCL C
    .language_version:
      - 2
      - 0
    .max_flat_workgroup_size: 256
    .name:           _ZL22rocblas_gemvtsm_kernelILb1ELi256EDF16_PKffEviiT2_lPKT1_lilS5_lilS2_lPT3_lil
    .private_segment_fixed_size: 0
    .sgpr_count:     35
    .sgpr_spill_count: 0
    .symbol:         _ZL22rocblas_gemvtsm_kernelILb1ELi256EDF16_PKffEviiT2_lPKT1_lilS5_lilS2_lPT3_lil.kd
    .uniform_work_group_size: 1
    .uses_dynamic_stack: false
    .vgpr_count:     22
    .vgpr_spill_count: 0
    .wavefront_size: 64
  - .agpr_count:     0
    .args:
      - .offset:         0
        .size:           4
        .value_kind:     by_value
      - .offset:         4
        .size:           4
        .value_kind:     by_value
      - .offset:         8
        .size:           4
        .value_kind:     by_value
      - .offset:         16
        .size:           8
        .value_kind:     by_value
      - .address_space:  global
        .offset:         24
        .size:           8
        .value_kind:     global_buffer
      - .offset:         32
        .size:           8
        .value_kind:     by_value
      - .offset:         40
        .size:           4
        .value_kind:     by_value
      - .offset:         48
        .size:           8
        .value_kind:     by_value
      - .address_space:  global
        .offset:         56
        .size:           8
        .value_kind:     global_buffer
      - .offset:         64
        .size:           8
        .value_kind:     by_value
      - .offset:         72
        .size:           4
        .value_kind:     by_value
      - .offset:         80
        .size:           8
        .value_kind:     by_value
      - .offset:         88
        .size:           4
        .value_kind:     by_value
      - .offset:         96
        .size:           8
        .value_kind:     by_value
      - .address_space:  global
        .offset:         104
        .size:           8
        .value_kind:     global_buffer
      - .offset:         112
        .size:           8
        .value_kind:     by_value
      - .offset:         120
        .size:           4
        .value_kind:     by_value
      - .offset:         128
        .size:           8
        .value_kind:     by_value
    .group_segment_fixed_size: 256
    .kernarg_segment_align: 8
    .kernarg_segment_size: 136
    .language:       OpenCL C
    .language_version:
      - 2
      - 0
    .max_flat_workgroup_size: 256
    .name:           _ZL22rocblas_gemvtsm_kernelILb1ELi256EDF16_ffEviiT2_lPKT1_lilS3_lilS0_lPT3_lil
    .private_segment_fixed_size: 0
    .sgpr_count:     38
    .sgpr_spill_count: 0
    .symbol:         _ZL22rocblas_gemvtsm_kernelILb1ELi256EDF16_ffEviiT2_lPKT1_lilS3_lilS0_lPT3_lil.kd
    .uniform_work_group_size: 1
    .uses_dynamic_stack: false
    .vgpr_count:     22
    .vgpr_spill_count: 0
    .wavefront_size: 64
  - .agpr_count:     0
    .args:
      - .offset:         0
        .size:           4
        .value_kind:     by_value
      - .offset:         4
        .size:           4
        .value_kind:     by_value
      - .address_space:  global
        .offset:         8
        .size:           8
        .value_kind:     global_buffer
      - .offset:         16
        .size:           8
        .value_kind:     by_value
      - .address_space:  global
        .offset:         24
        .size:           8
        .value_kind:     global_buffer
      - .offset:         32
        .size:           8
        .value_kind:     by_value
      - .offset:         40
        .size:           4
        .value_kind:     by_value
      - .offset:         48
        .size:           8
        .value_kind:     by_value
      - .address_space:  global
        .offset:         56
        .size:           8
        .value_kind:     global_buffer
      - .offset:         64
        .size:           8
        .value_kind:     by_value
      - .offset:         72
        .size:           4
        .value_kind:     by_value
      - .offset:         80
        .size:           8
        .value_kind:     by_value
      - .address_space:  global
        .offset:         88
        .size:           8
        .value_kind:     global_buffer
      - .offset:         96
        .size:           8
        .value_kind:     by_value
      - .address_space:  global
        .offset:         104
        .size:           8
        .value_kind:     global_buffer
      - .offset:         112
        .size:           8
        .value_kind:     by_value
      - .offset:         120
        .size:           4
        .value_kind:     by_value
      - .offset:         128
        .size:           8
        .value_kind:     by_value
      - .offset:         136
        .size:           4
        .value_kind:     by_value
    .group_segment_fixed_size: 1024
    .kernarg_segment_align: 8
    .kernarg_segment_size: 140
    .language:       OpenCL C
    .language_version:
      - 2
      - 0
    .max_flat_workgroup_size: 256
    .name:           _ZL20rocblas_gemvt_kernelILb1ELi256EDF16_PKffEviiT2_lPKT1_lilS5_lilS2_lPT3_lili
    .private_segment_fixed_size: 0
    .sgpr_count:     32
    .sgpr_spill_count: 0
    .symbol:         _ZL20rocblas_gemvt_kernelILb1ELi256EDF16_PKffEviiT2_lPKT1_lilS5_lilS2_lPT3_lili.kd
    .uniform_work_group_size: 1
    .uses_dynamic_stack: false
    .vgpr_count:     10
    .vgpr_spill_count: 0
    .wavefront_size: 64
  - .agpr_count:     0
    .args:
      - .offset:         0
        .size:           4
        .value_kind:     by_value
      - .offset:         4
        .size:           4
        .value_kind:     by_value
      - .offset:         8
        .size:           4
        .value_kind:     by_value
      - .offset:         16
        .size:           8
        .value_kind:     by_value
      - .address_space:  global
        .offset:         24
        .size:           8
        .value_kind:     global_buffer
      - .offset:         32
        .size:           8
        .value_kind:     by_value
      - .offset:         40
        .size:           4
        .value_kind:     by_value
      - .offset:         48
        .size:           8
        .value_kind:     by_value
      - .address_space:  global
        .offset:         56
        .size:           8
        .value_kind:     global_buffer
      - .offset:         64
        .size:           8
        .value_kind:     by_value
      - .offset:         72
        .size:           4
        .value_kind:     by_value
      - .offset:         80
        .size:           8
        .value_kind:     by_value
      - .offset:         88
        .size:           4
        .value_kind:     by_value
      - .offset:         96
        .size:           8
        .value_kind:     by_value
      - .address_space:  global
        .offset:         104
        .size:           8
        .value_kind:     global_buffer
      - .offset:         112
        .size:           8
        .value_kind:     by_value
      - .offset:         120
        .size:           4
        .value_kind:     by_value
      - .offset:         128
        .size:           8
        .value_kind:     by_value
      - .offset:         136
        .size:           4
        .value_kind:     by_value
    .group_segment_fixed_size: 1024
    .kernarg_segment_align: 8
    .kernarg_segment_size: 140
    .language:       OpenCL C
    .language_version:
      - 2
      - 0
    .max_flat_workgroup_size: 256
    .name:           _ZL20rocblas_gemvt_kernelILb1ELi256EDF16_ffEviiT2_lPKT1_lilS3_lilS0_lPT3_lili
    .private_segment_fixed_size: 0
    .sgpr_count:     34
    .sgpr_spill_count: 0
    .symbol:         _ZL20rocblas_gemvt_kernelILb1ELi256EDF16_ffEviiT2_lPKT1_lilS3_lilS0_lPT3_lili.kd
    .uniform_work_group_size: 1
    .uses_dynamic_stack: false
    .vgpr_count:     10
    .vgpr_spill_count: 0
    .wavefront_size: 64
  - .agpr_count:     0
    .args:
      - .offset:         0
        .size:           4
        .value_kind:     by_value
      - .offset:         4
        .size:           4
        .value_kind:     by_value
      - .address_space:  global
        .offset:         8
        .size:           8
        .value_kind:     global_buffer
      - .offset:         16
        .size:           8
        .value_kind:     by_value
      - .address_space:  global
        .offset:         24
        .size:           8
        .value_kind:     global_buffer
      - .offset:         32
        .size:           8
        .value_kind:     by_value
      - .offset:         40
        .size:           4
        .value_kind:     by_value
      - .offset:         48
        .size:           8
        .value_kind:     by_value
      - .address_space:  global
        .offset:         56
        .size:           8
        .value_kind:     global_buffer
      - .offset:         64
        .size:           8
        .value_kind:     by_value
      - .offset:         72
        .size:           4
        .value_kind:     by_value
      - .offset:         80
        .size:           8
        .value_kind:     by_value
      - .address_space:  global
        .offset:         88
        .size:           8
        .value_kind:     global_buffer
      - .offset:         96
        .size:           8
        .value_kind:     by_value
      - .address_space:  global
        .offset:         104
        .size:           8
        .value_kind:     global_buffer
      - .offset:         112
        .size:           8
        .value_kind:     by_value
      - .offset:         120
        .size:           4
        .value_kind:     by_value
      - .offset:         128
        .size:           8
        .value_kind:     by_value
      - .offset:         136
        .size:           4
        .value_kind:     by_value
    .group_segment_fixed_size: 256
    .kernarg_segment_align: 8
    .kernarg_segment_size: 140
    .language:       OpenCL C
    .language_version:
      - 2
      - 0
    .max_flat_workgroup_size: 1024
    .name:           _ZL32rocblas_gemvt_warp_reduce_kernelILb1ELi1024EiDF16_PKffEviiT3_lPKT2_lT1_lS5_lS6_lS2_lPT4_lS6_li
    .private_segment_fixed_size: 0
    .sgpr_count:     32
    .sgpr_spill_count: 0
    .symbol:         _ZL32rocblas_gemvt_warp_reduce_kernelILb1ELi1024EiDF16_PKffEviiT3_lPKT2_lT1_lS5_lS6_lS2_lPT4_lS6_li.kd
    .uniform_work_group_size: 1
    .uses_dynamic_stack: false
    .vgpr_count:     12
    .vgpr_spill_count: 0
    .wavefront_size: 64
  - .agpr_count:     0
    .args:
      - .offset:         0
        .size:           4
        .value_kind:     by_value
      - .offset:         4
        .size:           4
        .value_kind:     by_value
      - .address_space:  global
        .offset:         8
        .size:           8
        .value_kind:     global_buffer
      - .offset:         16
        .size:           8
        .value_kind:     by_value
      - .address_space:  global
        .offset:         24
        .size:           8
        .value_kind:     global_buffer
      - .offset:         32
        .size:           8
        .value_kind:     by_value
      - .offset:         40
        .size:           8
        .value_kind:     by_value
      - .offset:         48
        .size:           8
        .value_kind:     by_value
      - .address_space:  global
        .offset:         56
        .size:           8
        .value_kind:     global_buffer
      - .offset:         64
        .size:           8
        .value_kind:     by_value
      - .offset:         72
        .size:           8
        .value_kind:     by_value
      - .offset:         80
        .size:           8
        .value_kind:     by_value
      - .address_space:  global
        .offset:         88
        .size:           8
        .value_kind:     global_buffer
      - .offset:         96
        .size:           8
        .value_kind:     by_value
      - .address_space:  global
        .offset:         104
        .size:           8
        .value_kind:     global_buffer
      - .offset:         112
        .size:           8
        .value_kind:     by_value
      - .offset:         120
        .size:           8
        .value_kind:     by_value
      - .offset:         128
        .size:           8
        .value_kind:     by_value
      - .offset:         136
        .size:           4
        .value_kind:     by_value
    .group_segment_fixed_size: 256
    .kernarg_segment_align: 8
    .kernarg_segment_size: 140
    .language:       OpenCL C
    .language_version:
      - 2
      - 0
    .max_flat_workgroup_size: 1024
    .name:           _ZL32rocblas_gemvt_warp_reduce_kernelILb1ELi1024ElDF16_PKffEviiT3_lPKT2_lT1_lS5_lS6_lS2_lPT4_lS6_li
    .private_segment_fixed_size: 0
    .sgpr_count:     58
    .sgpr_spill_count: 0
    .symbol:         _ZL32rocblas_gemvt_warp_reduce_kernelILb1ELi1024ElDF16_PKffEviiT3_lPKT2_lT1_lS5_lS6_lS2_lPT4_lS6_li.kd
    .uniform_work_group_size: 1
    .uses_dynamic_stack: false
    .vgpr_count:     11
    .vgpr_spill_count: 0
    .wavefront_size: 64
  - .agpr_count:     0
    .args:
      - .offset:         0
        .size:           4
        .value_kind:     by_value
      - .offset:         4
        .size:           4
        .value_kind:     by_value
      - .offset:         8
        .size:           4
        .value_kind:     by_value
      - .offset:         16
        .size:           8
        .value_kind:     by_value
      - .address_space:  global
        .offset:         24
        .size:           8
        .value_kind:     global_buffer
      - .offset:         32
        .size:           8
        .value_kind:     by_value
      - .offset:         40
        .size:           4
        .value_kind:     by_value
      - .offset:         48
        .size:           8
        .value_kind:     by_value
      - .address_space:  global
        .offset:         56
        .size:           8
        .value_kind:     global_buffer
      - .offset:         64
        .size:           8
        .value_kind:     by_value
      - .offset:         72
        .size:           4
        .value_kind:     by_value
      - .offset:         80
        .size:           8
        .value_kind:     by_value
      - .offset:         88
        .size:           4
        .value_kind:     by_value
      - .offset:         96
        .size:           8
        .value_kind:     by_value
      - .address_space:  global
        .offset:         104
        .size:           8
        .value_kind:     global_buffer
      - .offset:         112
        .size:           8
        .value_kind:     by_value
      - .offset:         120
        .size:           4
        .value_kind:     by_value
      - .offset:         128
        .size:           8
        .value_kind:     by_value
      - .offset:         136
        .size:           4
        .value_kind:     by_value
    .group_segment_fixed_size: 256
    .kernarg_segment_align: 8
    .kernarg_segment_size: 140
    .language:       OpenCL C
    .language_version:
      - 2
      - 0
    .max_flat_workgroup_size: 1024
    .name:           _ZL32rocblas_gemvt_warp_reduce_kernelILb1ELi1024EiDF16_ffEviiT3_lPKT2_lT1_lS3_lS4_lS0_lPT4_lS4_li
    .private_segment_fixed_size: 0
    .sgpr_count:     32
    .sgpr_spill_count: 0
    .symbol:         _ZL32rocblas_gemvt_warp_reduce_kernelILb1ELi1024EiDF16_ffEviiT3_lPKT2_lT1_lS3_lS4_lS0_lPT4_lS4_li.kd
    .uniform_work_group_size: 1
    .uses_dynamic_stack: false
    .vgpr_count:     12
    .vgpr_spill_count: 0
    .wavefront_size: 64
  - .agpr_count:     0
    .args:
      - .offset:         0
        .size:           4
        .value_kind:     by_value
      - .offset:         4
        .size:           4
        .value_kind:     by_value
      - .offset:         8
        .size:           4
        .value_kind:     by_value
      - .offset:         16
        .size:           8
        .value_kind:     by_value
      - .address_space:  global
        .offset:         24
        .size:           8
        .value_kind:     global_buffer
      - .offset:         32
        .size:           8
        .value_kind:     by_value
      - .offset:         40
        .size:           8
        .value_kind:     by_value
      - .offset:         48
        .size:           8
        .value_kind:     by_value
      - .address_space:  global
        .offset:         56
        .size:           8
        .value_kind:     global_buffer
      - .offset:         64
        .size:           8
        .value_kind:     by_value
      - .offset:         72
        .size:           8
        .value_kind:     by_value
      - .offset:         80
        .size:           8
        .value_kind:     by_value
      - .offset:         88
        .size:           4
        .value_kind:     by_value
      - .offset:         96
        .size:           8
        .value_kind:     by_value
      - .address_space:  global
        .offset:         104
        .size:           8
        .value_kind:     global_buffer
      - .offset:         112
        .size:           8
        .value_kind:     by_value
      - .offset:         120
        .size:           8
        .value_kind:     by_value
      - .offset:         128
        .size:           8
        .value_kind:     by_value
      - .offset:         136
        .size:           4
        .value_kind:     by_value
    .group_segment_fixed_size: 256
    .kernarg_segment_align: 8
    .kernarg_segment_size: 140
    .language:       OpenCL C
    .language_version:
      - 2
      - 0
    .max_flat_workgroup_size: 1024
    .name:           _ZL32rocblas_gemvt_warp_reduce_kernelILb1ELi1024ElDF16_ffEviiT3_lPKT2_lT1_lS3_lS4_lS0_lPT4_lS4_li
    .private_segment_fixed_size: 0
    .sgpr_count:     35
    .sgpr_spill_count: 0
    .symbol:         _ZL32rocblas_gemvt_warp_reduce_kernelILb1ELi1024ElDF16_ffEviiT3_lPKT2_lT1_lS3_lS4_lS0_lPT4_lS4_li.kd
    .uniform_work_group_size: 1
    .uses_dynamic_stack: false
    .vgpr_count:     11
    .vgpr_spill_count: 0
    .wavefront_size: 64
  - .agpr_count:     0
    .args:
      - .offset:         0
        .size:           4
        .value_kind:     by_value
      - .offset:         4
        .size:           4
        .value_kind:     by_value
      - .address_space:  global
        .offset:         8
        .size:           8
        .value_kind:     global_buffer
      - .offset:         16
        .size:           8
        .value_kind:     by_value
      - .address_space:  global
        .offset:         24
        .size:           8
        .value_kind:     global_buffer
      - .offset:         32
        .size:           8
        .value_kind:     by_value
      - .offset:         40
        .size:           4
        .value_kind:     by_value
      - .offset:         48
        .size:           8
        .value_kind:     by_value
      - .address_space:  global
        .offset:         56
        .size:           8
        .value_kind:     global_buffer
      - .offset:         64
        .size:           8
        .value_kind:     by_value
      - .offset:         72
        .size:           4
        .value_kind:     by_value
      - .offset:         80
        .size:           8
        .value_kind:     by_value
      - .address_space:  global
        .offset:         88
        .size:           8
        .value_kind:     global_buffer
      - .offset:         96
        .size:           8
        .value_kind:     by_value
      - .address_space:  global
        .offset:         104
        .size:           8
        .value_kind:     global_buffer
      - .offset:         112
        .size:           8
        .value_kind:     by_value
      - .offset:         120
        .size:           4
        .value_kind:     by_value
      - .offset:         128
        .size:           8
        .value_kind:     by_value
      - .offset:         136
        .size:           4
        .value_kind:     by_value
      - .offset:         144
        .size:           4
        .value_kind:     hidden_block_count_x
      - .offset:         148
        .size:           4
        .value_kind:     hidden_block_count_y
      - .offset:         152
        .size:           4
        .value_kind:     hidden_block_count_z
      - .offset:         156
        .size:           2
        .value_kind:     hidden_group_size_x
      - .offset:         158
        .size:           2
        .value_kind:     hidden_group_size_y
      - .offset:         160
        .size:           2
        .value_kind:     hidden_group_size_z
      - .offset:         162
        .size:           2
        .value_kind:     hidden_remainder_x
      - .offset:         164
        .size:           2
        .value_kind:     hidden_remainder_y
      - .offset:         166
        .size:           2
        .value_kind:     hidden_remainder_z
      - .offset:         184
        .size:           8
        .value_kind:     hidden_global_offset_x
      - .offset:         192
        .size:           8
        .value_kind:     hidden_global_offset_y
      - .offset:         200
        .size:           8
        .value_kind:     hidden_global_offset_z
      - .offset:         208
        .size:           2
        .value_kind:     hidden_grid_dims
    .group_segment_fixed_size: 3072
    .kernarg_segment_align: 8
    .kernarg_segment_size: 400
    .language:       OpenCL C
    .language_version:
      - 2
      - 0
    .max_flat_workgroup_size: 768
    .name:           _ZL34rocblas_gemvn_sm_mn_batched_kernelILi32ELi24EPKDF16_PKfKPfEviiT2_lPKT1_lilS9_lilS6_lPT3_lili
    .private_segment_fixed_size: 0
    .sgpr_count:     76
    .sgpr_spill_count: 0
    .symbol:         _ZL34rocblas_gemvn_sm_mn_batched_kernelILi32ELi24EPKDF16_PKfKPfEviiT2_lPKT1_lilS9_lilS6_lPT3_lili.kd
    .uniform_work_group_size: 1
    .uses_dynamic_stack: false
    .vgpr_count:     42
    .vgpr_spill_count: 0
    .wavefront_size: 64
  - .agpr_count:     0
    .args:
      - .offset:         0
        .size:           4
        .value_kind:     by_value
      - .offset:         4
        .size:           4
        .value_kind:     by_value
      - .offset:         8
        .size:           4
        .value_kind:     by_value
      - .offset:         16
        .size:           8
        .value_kind:     by_value
      - .address_space:  global
        .offset:         24
        .size:           8
        .value_kind:     global_buffer
      - .offset:         32
        .size:           8
        .value_kind:     by_value
      - .offset:         40
        .size:           4
        .value_kind:     by_value
      - .offset:         48
        .size:           8
        .value_kind:     by_value
      - .address_space:  global
        .offset:         56
        .size:           8
        .value_kind:     global_buffer
      - .offset:         64
        .size:           8
        .value_kind:     by_value
      - .offset:         72
        .size:           4
        .value_kind:     by_value
      - .offset:         80
        .size:           8
        .value_kind:     by_value
      - .offset:         88
        .size:           4
        .value_kind:     by_value
      - .offset:         96
        .size:           8
        .value_kind:     by_value
      - .address_space:  global
        .offset:         104
        .size:           8
        .value_kind:     global_buffer
      - .offset:         112
        .size:           8
        .value_kind:     by_value
      - .offset:         120
        .size:           4
        .value_kind:     by_value
      - .offset:         128
        .size:           8
        .value_kind:     by_value
      - .offset:         136
        .size:           4
        .value_kind:     by_value
      - .offset:         144
        .size:           4
        .value_kind:     hidden_block_count_x
      - .offset:         148
        .size:           4
        .value_kind:     hidden_block_count_y
      - .offset:         152
        .size:           4
        .value_kind:     hidden_block_count_z
      - .offset:         156
        .size:           2
        .value_kind:     hidden_group_size_x
      - .offset:         158
        .size:           2
        .value_kind:     hidden_group_size_y
      - .offset:         160
        .size:           2
        .value_kind:     hidden_group_size_z
      - .offset:         162
        .size:           2
        .value_kind:     hidden_remainder_x
      - .offset:         164
        .size:           2
        .value_kind:     hidden_remainder_y
      - .offset:         166
        .size:           2
        .value_kind:     hidden_remainder_z
      - .offset:         184
        .size:           8
        .value_kind:     hidden_global_offset_x
      - .offset:         192
        .size:           8
        .value_kind:     hidden_global_offset_y
      - .offset:         200
        .size:           8
        .value_kind:     hidden_global_offset_z
      - .offset:         208
        .size:           2
        .value_kind:     hidden_grid_dims
    .group_segment_fixed_size: 3072
    .kernarg_segment_align: 8
    .kernarg_segment_size: 400
    .language:       OpenCL C
    .language_version:
      - 2
      - 0
    .max_flat_workgroup_size: 768
    .name:           _ZL34rocblas_gemvn_sm_mn_batched_kernelILi32ELi24EPKDF16_fKPfEviiT2_lPKT1_lilS7_lilS4_lPT3_lili
    .private_segment_fixed_size: 0
    .sgpr_count:     76
    .sgpr_spill_count: 0
    .symbol:         _ZL34rocblas_gemvn_sm_mn_batched_kernelILi32ELi24EPKDF16_fKPfEviiT2_lPKT1_lilS7_lilS4_lPT3_lili.kd
    .uniform_work_group_size: 1
    .uses_dynamic_stack: false
    .vgpr_count:     42
    .vgpr_spill_count: 0
    .wavefront_size: 64
  - .agpr_count:     0
    .args:
      - .offset:         0
        .size:           4
        .value_kind:     by_value
      - .offset:         4
        .size:           4
        .value_kind:     by_value
      - .address_space:  global
        .offset:         8
        .size:           8
        .value_kind:     global_buffer
      - .offset:         16
        .size:           8
        .value_kind:     by_value
      - .address_space:  global
        .offset:         24
        .size:           8
        .value_kind:     global_buffer
      - .offset:         32
        .size:           8
        .value_kind:     by_value
      - .offset:         40
        .size:           4
        .value_kind:     by_value
      - .offset:         48
        .size:           8
        .value_kind:     by_value
      - .address_space:  global
        .offset:         56
        .size:           8
        .value_kind:     global_buffer
      - .offset:         64
        .size:           8
        .value_kind:     by_value
      - .offset:         72
        .size:           4
        .value_kind:     by_value
      - .offset:         80
        .size:           8
        .value_kind:     by_value
      - .address_space:  global
        .offset:         88
        .size:           8
        .value_kind:     global_buffer
      - .offset:         96
        .size:           8
        .value_kind:     by_value
      - .address_space:  global
        .offset:         104
        .size:           8
        .value_kind:     global_buffer
      - .offset:         112
        .size:           8
        .value_kind:     by_value
      - .offset:         120
        .size:           4
        .value_kind:     by_value
      - .offset:         128
        .size:           8
        .value_kind:     by_value
      - .offset:         136
        .size:           4
        .value_kind:     by_value
      - .offset:         144
        .size:           4
        .value_kind:     hidden_block_count_x
      - .offset:         148
        .size:           4
        .value_kind:     hidden_block_count_y
      - .offset:         152
        .size:           4
        .value_kind:     hidden_block_count_z
      - .offset:         156
        .size:           2
        .value_kind:     hidden_group_size_x
      - .offset:         158
        .size:           2
        .value_kind:     hidden_group_size_y
      - .offset:         160
        .size:           2
        .value_kind:     hidden_group_size_z
      - .offset:         162
        .size:           2
        .value_kind:     hidden_remainder_x
      - .offset:         164
        .size:           2
        .value_kind:     hidden_remainder_y
      - .offset:         166
        .size:           2
        .value_kind:     hidden_remainder_z
      - .offset:         184
        .size:           8
        .value_kind:     hidden_global_offset_x
      - .offset:         192
        .size:           8
        .value_kind:     hidden_global_offset_y
      - .offset:         200
        .size:           8
        .value_kind:     hidden_global_offset_z
      - .offset:         208
        .size:           2
        .value_kind:     hidden_grid_dims
    .group_segment_fixed_size: 4096
    .kernarg_segment_align: 8
    .kernarg_segment_size: 400
    .language:       OpenCL C
    .language_version:
      - 2
      - 0
    .max_flat_workgroup_size: 256
    .name:           _ZL20rocblas_gemvn_kernelILi64ELi4EiPKDF16_PKfKPfEviiT3_lPKT2_lT1_lS9_lSA_lS6_lPT4_lSA_li
    .private_segment_fixed_size: 0
    .sgpr_count:     45
    .sgpr_spill_count: 0
    .symbol:         _ZL20rocblas_gemvn_kernelILi64ELi4EiPKDF16_PKfKPfEviiT3_lPKT2_lT1_lS9_lSA_lS6_lPT4_lSA_li.kd
    .uniform_work_group_size: 1
    .uses_dynamic_stack: false
    .vgpr_count:     49
    .vgpr_spill_count: 0
    .wavefront_size: 64
  - .agpr_count:     0
    .args:
      - .offset:         0
        .size:           4
        .value_kind:     by_value
      - .offset:         4
        .size:           4
        .value_kind:     by_value
      - .address_space:  global
        .offset:         8
        .size:           8
        .value_kind:     global_buffer
      - .offset:         16
        .size:           8
        .value_kind:     by_value
      - .address_space:  global
        .offset:         24
        .size:           8
        .value_kind:     global_buffer
      - .offset:         32
        .size:           8
        .value_kind:     by_value
      - .offset:         40
        .size:           8
        .value_kind:     by_value
      - .offset:         48
        .size:           8
        .value_kind:     by_value
      - .address_space:  global
        .offset:         56
        .size:           8
        .value_kind:     global_buffer
      - .offset:         64
        .size:           8
        .value_kind:     by_value
      - .offset:         72
        .size:           8
        .value_kind:     by_value
      - .offset:         80
        .size:           8
        .value_kind:     by_value
      - .address_space:  global
        .offset:         88
        .size:           8
        .value_kind:     global_buffer
      - .offset:         96
        .size:           8
        .value_kind:     by_value
      - .address_space:  global
        .offset:         104
        .size:           8
        .value_kind:     global_buffer
      - .offset:         112
        .size:           8
        .value_kind:     by_value
      - .offset:         120
        .size:           8
        .value_kind:     by_value
      - .offset:         128
        .size:           8
        .value_kind:     by_value
      - .offset:         136
        .size:           4
        .value_kind:     by_value
      - .offset:         144
        .size:           4
        .value_kind:     hidden_block_count_x
      - .offset:         148
        .size:           4
        .value_kind:     hidden_block_count_y
      - .offset:         152
        .size:           4
        .value_kind:     hidden_block_count_z
      - .offset:         156
        .size:           2
        .value_kind:     hidden_group_size_x
      - .offset:         158
        .size:           2
        .value_kind:     hidden_group_size_y
      - .offset:         160
        .size:           2
        .value_kind:     hidden_group_size_z
      - .offset:         162
        .size:           2
        .value_kind:     hidden_remainder_x
      - .offset:         164
        .size:           2
        .value_kind:     hidden_remainder_y
      - .offset:         166
        .size:           2
        .value_kind:     hidden_remainder_z
      - .offset:         184
        .size:           8
        .value_kind:     hidden_global_offset_x
      - .offset:         192
        .size:           8
        .value_kind:     hidden_global_offset_y
      - .offset:         200
        .size:           8
        .value_kind:     hidden_global_offset_z
      - .offset:         208
        .size:           2
        .value_kind:     hidden_grid_dims
    .group_segment_fixed_size: 4096
    .kernarg_segment_align: 8
    .kernarg_segment_size: 400
    .language:       OpenCL C
    .language_version:
      - 2
      - 0
    .max_flat_workgroup_size: 256
    .name:           _ZL20rocblas_gemvn_kernelILi64ELi4ElPKDF16_PKfKPfEviiT3_lPKT2_lT1_lS9_lSA_lS6_lPT4_lSA_li
    .private_segment_fixed_size: 0
    .sgpr_count:     51
    .sgpr_spill_count: 0
    .symbol:         _ZL20rocblas_gemvn_kernelILi64ELi4ElPKDF16_PKfKPfEviiT3_lPKT2_lT1_lS9_lSA_lS6_lPT4_lSA_li.kd
    .uniform_work_group_size: 1
    .uses_dynamic_stack: false
    .vgpr_count:     59
    .vgpr_spill_count: 0
    .wavefront_size: 64
  - .agpr_count:     0
    .args:
      - .offset:         0
        .size:           4
        .value_kind:     by_value
      - .offset:         4
        .size:           4
        .value_kind:     by_value
      - .offset:         8
        .size:           4
        .value_kind:     by_value
      - .offset:         16
        .size:           8
        .value_kind:     by_value
      - .address_space:  global
        .offset:         24
        .size:           8
        .value_kind:     global_buffer
      - .offset:         32
        .size:           8
        .value_kind:     by_value
      - .offset:         40
        .size:           4
        .value_kind:     by_value
      - .offset:         48
        .size:           8
        .value_kind:     by_value
      - .address_space:  global
        .offset:         56
        .size:           8
        .value_kind:     global_buffer
      - .offset:         64
        .size:           8
        .value_kind:     by_value
      - .offset:         72
        .size:           4
        .value_kind:     by_value
      - .offset:         80
        .size:           8
        .value_kind:     by_value
      - .offset:         88
        .size:           4
        .value_kind:     by_value
      - .offset:         96
        .size:           8
        .value_kind:     by_value
      - .address_space:  global
        .offset:         104
        .size:           8
        .value_kind:     global_buffer
      - .offset:         112
        .size:           8
        .value_kind:     by_value
      - .offset:         120
        .size:           4
        .value_kind:     by_value
      - .offset:         128
        .size:           8
        .value_kind:     by_value
      - .offset:         136
        .size:           4
        .value_kind:     by_value
      - .offset:         144
        .size:           4
        .value_kind:     hidden_block_count_x
      - .offset:         148
        .size:           4
        .value_kind:     hidden_block_count_y
      - .offset:         152
        .size:           4
        .value_kind:     hidden_block_count_z
      - .offset:         156
        .size:           2
        .value_kind:     hidden_group_size_x
      - .offset:         158
        .size:           2
        .value_kind:     hidden_group_size_y
      - .offset:         160
        .size:           2
        .value_kind:     hidden_group_size_z
      - .offset:         162
        .size:           2
        .value_kind:     hidden_remainder_x
      - .offset:         164
        .size:           2
        .value_kind:     hidden_remainder_y
      - .offset:         166
        .size:           2
        .value_kind:     hidden_remainder_z
      - .offset:         184
        .size:           8
        .value_kind:     hidden_global_offset_x
      - .offset:         192
        .size:           8
        .value_kind:     hidden_global_offset_y
      - .offset:         200
        .size:           8
        .value_kind:     hidden_global_offset_z
      - .offset:         208
        .size:           2
        .value_kind:     hidden_grid_dims
    .group_segment_fixed_size: 4096
    .kernarg_segment_align: 8
    .kernarg_segment_size: 400
    .language:       OpenCL C
    .language_version:
      - 2
      - 0
    .max_flat_workgroup_size: 256
    .name:           _ZL20rocblas_gemvn_kernelILi64ELi4EiPKDF16_fKPfEviiT3_lPKT2_lT1_lS7_lS8_lS4_lPT4_lS8_li
    .private_segment_fixed_size: 0
    .sgpr_count:     45
    .sgpr_spill_count: 0
    .symbol:         _ZL20rocblas_gemvn_kernelILi64ELi4EiPKDF16_fKPfEviiT3_lPKT2_lT1_lS7_lS8_lS4_lPT4_lS8_li.kd
    .uniform_work_group_size: 1
    .uses_dynamic_stack: false
    .vgpr_count:     49
    .vgpr_spill_count: 0
    .wavefront_size: 64
  - .agpr_count:     0
    .args:
      - .offset:         0
        .size:           4
        .value_kind:     by_value
      - .offset:         4
        .size:           4
        .value_kind:     by_value
      - .offset:         8
        .size:           4
        .value_kind:     by_value
      - .offset:         16
        .size:           8
        .value_kind:     by_value
      - .address_space:  global
        .offset:         24
        .size:           8
        .value_kind:     global_buffer
      - .offset:         32
        .size:           8
        .value_kind:     by_value
      - .offset:         40
        .size:           8
        .value_kind:     by_value
      - .offset:         48
        .size:           8
        .value_kind:     by_value
      - .address_space:  global
        .offset:         56
        .size:           8
        .value_kind:     global_buffer
      - .offset:         64
        .size:           8
        .value_kind:     by_value
      - .offset:         72
        .size:           8
        .value_kind:     by_value
      - .offset:         80
        .size:           8
        .value_kind:     by_value
      - .offset:         88
        .size:           4
        .value_kind:     by_value
      - .offset:         96
        .size:           8
        .value_kind:     by_value
      - .address_space:  global
        .offset:         104
        .size:           8
        .value_kind:     global_buffer
      - .offset:         112
        .size:           8
        .value_kind:     by_value
      - .offset:         120
        .size:           8
        .value_kind:     by_value
      - .offset:         128
        .size:           8
        .value_kind:     by_value
      - .offset:         136
        .size:           4
        .value_kind:     by_value
      - .offset:         144
        .size:           4
        .value_kind:     hidden_block_count_x
      - .offset:         148
        .size:           4
        .value_kind:     hidden_block_count_y
      - .offset:         152
        .size:           4
        .value_kind:     hidden_block_count_z
      - .offset:         156
        .size:           2
        .value_kind:     hidden_group_size_x
      - .offset:         158
        .size:           2
        .value_kind:     hidden_group_size_y
      - .offset:         160
        .size:           2
        .value_kind:     hidden_group_size_z
      - .offset:         162
        .size:           2
        .value_kind:     hidden_remainder_x
      - .offset:         164
        .size:           2
        .value_kind:     hidden_remainder_y
      - .offset:         166
        .size:           2
        .value_kind:     hidden_remainder_z
      - .offset:         184
        .size:           8
        .value_kind:     hidden_global_offset_x
      - .offset:         192
        .size:           8
        .value_kind:     hidden_global_offset_y
      - .offset:         200
        .size:           8
        .value_kind:     hidden_global_offset_z
      - .offset:         208
        .size:           2
        .value_kind:     hidden_grid_dims
    .group_segment_fixed_size: 4096
    .kernarg_segment_align: 8
    .kernarg_segment_size: 400
    .language:       OpenCL C
    .language_version:
      - 2
      - 0
    .max_flat_workgroup_size: 256
    .name:           _ZL20rocblas_gemvn_kernelILi64ELi4ElPKDF16_fKPfEviiT3_lPKT2_lT1_lS7_lS8_lS4_lPT4_lS8_li
    .private_segment_fixed_size: 0
    .sgpr_count:     51
    .sgpr_spill_count: 0
    .symbol:         _ZL20rocblas_gemvn_kernelILi64ELi4ElPKDF16_fKPfEviiT3_lPKT2_lT1_lS7_lS8_lS4_lPT4_lS8_li.kd
    .uniform_work_group_size: 1
    .uses_dynamic_stack: false
    .vgpr_count:     59
    .vgpr_spill_count: 0
    .wavefront_size: 64
  - .agpr_count:     0
    .args:
      - .offset:         0
        .size:           4
        .value_kind:     by_value
      - .offset:         4
        .size:           4
        .value_kind:     by_value
      - .address_space:  global
        .offset:         8
        .size:           8
        .value_kind:     global_buffer
      - .offset:         16
        .size:           8
        .value_kind:     by_value
      - .address_space:  global
        .offset:         24
        .size:           8
        .value_kind:     global_buffer
      - .offset:         32
        .size:           8
        .value_kind:     by_value
      - .offset:         40
        .size:           4
        .value_kind:     by_value
      - .offset:         48
        .size:           8
        .value_kind:     by_value
      - .address_space:  global
        .offset:         56
        .size:           8
        .value_kind:     global_buffer
      - .offset:         64
        .size:           8
        .value_kind:     by_value
      - .offset:         72
        .size:           4
        .value_kind:     by_value
      - .offset:         80
        .size:           8
        .value_kind:     by_value
      - .address_space:  global
        .offset:         88
        .size:           8
        .value_kind:     global_buffer
      - .offset:         96
        .size:           8
        .value_kind:     by_value
      - .address_space:  global
        .offset:         104
        .size:           8
        .value_kind:     global_buffer
      - .offset:         112
        .size:           8
        .value_kind:     by_value
      - .offset:         120
        .size:           4
        .value_kind:     by_value
      - .offset:         128
        .size:           8
        .value_kind:     by_value
      - .offset:         136
        .size:           4
        .value_kind:     by_value
      - .offset:         144
        .size:           4
        .value_kind:     hidden_block_count_x
      - .offset:         148
        .size:           4
        .value_kind:     hidden_block_count_y
      - .offset:         152
        .size:           4
        .value_kind:     hidden_block_count_z
      - .offset:         156
        .size:           2
        .value_kind:     hidden_group_size_x
      - .offset:         158
        .size:           2
        .value_kind:     hidden_group_size_y
      - .offset:         160
        .size:           2
        .value_kind:     hidden_group_size_z
      - .offset:         162
        .size:           2
        .value_kind:     hidden_remainder_x
      - .offset:         164
        .size:           2
        .value_kind:     hidden_remainder_y
      - .offset:         166
        .size:           2
        .value_kind:     hidden_remainder_z
      - .offset:         184
        .size:           8
        .value_kind:     hidden_global_offset_x
      - .offset:         192
        .size:           8
        .value_kind:     hidden_global_offset_y
      - .offset:         200
        .size:           8
        .value_kind:     hidden_global_offset_z
      - .offset:         208
        .size:           2
        .value_kind:     hidden_grid_dims
    .group_segment_fixed_size: 8192
    .kernarg_segment_align: 8
    .kernarg_segment_size: 400
    .language:       OpenCL C
    .language_version:
      - 2
      - 0
    .max_flat_workgroup_size: 512
    .name:           _ZL20rocblas_gemvn_kernelILi32ELi16EiPKDF16_PKfKPfEviiT3_lPKT2_lT1_lS9_lSA_lS6_lPT4_lSA_li
    .private_segment_fixed_size: 0
    .sgpr_count:     45
    .sgpr_spill_count: 0
    .symbol:         _ZL20rocblas_gemvn_kernelILi32ELi16EiPKDF16_PKfKPfEviiT3_lPKT2_lT1_lS9_lSA_lS6_lPT4_lSA_li.kd
    .uniform_work_group_size: 1
    .uses_dynamic_stack: false
    .vgpr_count:     49
    .vgpr_spill_count: 0
    .wavefront_size: 64
  - .agpr_count:     0
    .args:
      - .offset:         0
        .size:           4
        .value_kind:     by_value
      - .offset:         4
        .size:           4
        .value_kind:     by_value
      - .address_space:  global
        .offset:         8
        .size:           8
        .value_kind:     global_buffer
      - .offset:         16
        .size:           8
        .value_kind:     by_value
      - .address_space:  global
        .offset:         24
        .size:           8
        .value_kind:     global_buffer
      - .offset:         32
        .size:           8
        .value_kind:     by_value
      - .offset:         40
        .size:           8
        .value_kind:     by_value
      - .offset:         48
        .size:           8
        .value_kind:     by_value
      - .address_space:  global
        .offset:         56
        .size:           8
        .value_kind:     global_buffer
      - .offset:         64
        .size:           8
        .value_kind:     by_value
      - .offset:         72
        .size:           8
        .value_kind:     by_value
      - .offset:         80
        .size:           8
        .value_kind:     by_value
      - .address_space:  global
        .offset:         88
        .size:           8
        .value_kind:     global_buffer
      - .offset:         96
        .size:           8
        .value_kind:     by_value
      - .address_space:  global
        .offset:         104
        .size:           8
        .value_kind:     global_buffer
      - .offset:         112
        .size:           8
        .value_kind:     by_value
      - .offset:         120
        .size:           8
        .value_kind:     by_value
      - .offset:         128
        .size:           8
        .value_kind:     by_value
      - .offset:         136
        .size:           4
        .value_kind:     by_value
      - .offset:         144
        .size:           4
        .value_kind:     hidden_block_count_x
      - .offset:         148
        .size:           4
        .value_kind:     hidden_block_count_y
      - .offset:         152
        .size:           4
        .value_kind:     hidden_block_count_z
      - .offset:         156
        .size:           2
        .value_kind:     hidden_group_size_x
      - .offset:         158
        .size:           2
        .value_kind:     hidden_group_size_y
      - .offset:         160
        .size:           2
        .value_kind:     hidden_group_size_z
      - .offset:         162
        .size:           2
        .value_kind:     hidden_remainder_x
      - .offset:         164
        .size:           2
        .value_kind:     hidden_remainder_y
      - .offset:         166
        .size:           2
        .value_kind:     hidden_remainder_z
      - .offset:         184
        .size:           8
        .value_kind:     hidden_global_offset_x
      - .offset:         192
        .size:           8
        .value_kind:     hidden_global_offset_y
      - .offset:         200
        .size:           8
        .value_kind:     hidden_global_offset_z
      - .offset:         208
        .size:           2
        .value_kind:     hidden_grid_dims
    .group_segment_fixed_size: 8192
    .kernarg_segment_align: 8
    .kernarg_segment_size: 400
    .language:       OpenCL C
    .language_version:
      - 2
      - 0
    .max_flat_workgroup_size: 512
    .name:           _ZL20rocblas_gemvn_kernelILi32ELi16ElPKDF16_PKfKPfEviiT3_lPKT2_lT1_lS9_lSA_lS6_lPT4_lSA_li
    .private_segment_fixed_size: 0
    .sgpr_count:     51
    .sgpr_spill_count: 0
    .symbol:         _ZL20rocblas_gemvn_kernelILi32ELi16ElPKDF16_PKfKPfEviiT3_lPKT2_lT1_lS9_lSA_lS6_lPT4_lSA_li.kd
    .uniform_work_group_size: 1
    .uses_dynamic_stack: false
    .vgpr_count:     59
    .vgpr_spill_count: 0
    .wavefront_size: 64
  - .agpr_count:     0
    .args:
      - .offset:         0
        .size:           4
        .value_kind:     by_value
      - .offset:         4
        .size:           4
        .value_kind:     by_value
      - .offset:         8
        .size:           4
        .value_kind:     by_value
      - .offset:         16
        .size:           8
        .value_kind:     by_value
      - .address_space:  global
        .offset:         24
        .size:           8
        .value_kind:     global_buffer
      - .offset:         32
        .size:           8
        .value_kind:     by_value
      - .offset:         40
        .size:           4
        .value_kind:     by_value
      - .offset:         48
        .size:           8
        .value_kind:     by_value
      - .address_space:  global
        .offset:         56
        .size:           8
        .value_kind:     global_buffer
      - .offset:         64
        .size:           8
        .value_kind:     by_value
      - .offset:         72
        .size:           4
        .value_kind:     by_value
      - .offset:         80
        .size:           8
        .value_kind:     by_value
      - .offset:         88
        .size:           4
        .value_kind:     by_value
      - .offset:         96
        .size:           8
        .value_kind:     by_value
      - .address_space:  global
        .offset:         104
        .size:           8
        .value_kind:     global_buffer
      - .offset:         112
        .size:           8
        .value_kind:     by_value
      - .offset:         120
        .size:           4
        .value_kind:     by_value
      - .offset:         128
        .size:           8
        .value_kind:     by_value
      - .offset:         136
        .size:           4
        .value_kind:     by_value
      - .offset:         144
        .size:           4
        .value_kind:     hidden_block_count_x
      - .offset:         148
        .size:           4
        .value_kind:     hidden_block_count_y
      - .offset:         152
        .size:           4
        .value_kind:     hidden_block_count_z
      - .offset:         156
        .size:           2
        .value_kind:     hidden_group_size_x
      - .offset:         158
        .size:           2
        .value_kind:     hidden_group_size_y
      - .offset:         160
        .size:           2
        .value_kind:     hidden_group_size_z
      - .offset:         162
        .size:           2
        .value_kind:     hidden_remainder_x
      - .offset:         164
        .size:           2
        .value_kind:     hidden_remainder_y
      - .offset:         166
        .size:           2
        .value_kind:     hidden_remainder_z
      - .offset:         184
        .size:           8
        .value_kind:     hidden_global_offset_x
      - .offset:         192
        .size:           8
        .value_kind:     hidden_global_offset_y
      - .offset:         200
        .size:           8
        .value_kind:     hidden_global_offset_z
      - .offset:         208
        .size:           2
        .value_kind:     hidden_grid_dims
    .group_segment_fixed_size: 8192
    .kernarg_segment_align: 8
    .kernarg_segment_size: 400
    .language:       OpenCL C
    .language_version:
      - 2
      - 0
    .max_flat_workgroup_size: 512
    .name:           _ZL20rocblas_gemvn_kernelILi32ELi16EiPKDF16_fKPfEviiT3_lPKT2_lT1_lS7_lS8_lS4_lPT4_lS8_li
    .private_segment_fixed_size: 0
    .sgpr_count:     45
    .sgpr_spill_count: 0
    .symbol:         _ZL20rocblas_gemvn_kernelILi32ELi16EiPKDF16_fKPfEviiT3_lPKT2_lT1_lS7_lS8_lS4_lPT4_lS8_li.kd
    .uniform_work_group_size: 1
    .uses_dynamic_stack: false
    .vgpr_count:     49
    .vgpr_spill_count: 0
    .wavefront_size: 64
  - .agpr_count:     0
    .args:
      - .offset:         0
        .size:           4
        .value_kind:     by_value
      - .offset:         4
        .size:           4
        .value_kind:     by_value
      - .offset:         8
        .size:           4
        .value_kind:     by_value
      - .offset:         16
        .size:           8
        .value_kind:     by_value
      - .address_space:  global
        .offset:         24
        .size:           8
        .value_kind:     global_buffer
      - .offset:         32
        .size:           8
        .value_kind:     by_value
      - .offset:         40
        .size:           8
        .value_kind:     by_value
      - .offset:         48
        .size:           8
        .value_kind:     by_value
      - .address_space:  global
        .offset:         56
        .size:           8
        .value_kind:     global_buffer
      - .offset:         64
        .size:           8
        .value_kind:     by_value
      - .offset:         72
        .size:           8
        .value_kind:     by_value
      - .offset:         80
        .size:           8
        .value_kind:     by_value
      - .offset:         88
        .size:           4
        .value_kind:     by_value
      - .offset:         96
        .size:           8
        .value_kind:     by_value
      - .address_space:  global
        .offset:         104
        .size:           8
        .value_kind:     global_buffer
      - .offset:         112
        .size:           8
        .value_kind:     by_value
      - .offset:         120
        .size:           8
        .value_kind:     by_value
      - .offset:         128
        .size:           8
        .value_kind:     by_value
      - .offset:         136
        .size:           4
        .value_kind:     by_value
      - .offset:         144
        .size:           4
        .value_kind:     hidden_block_count_x
      - .offset:         148
        .size:           4
        .value_kind:     hidden_block_count_y
      - .offset:         152
        .size:           4
        .value_kind:     hidden_block_count_z
      - .offset:         156
        .size:           2
        .value_kind:     hidden_group_size_x
      - .offset:         158
        .size:           2
        .value_kind:     hidden_group_size_y
      - .offset:         160
        .size:           2
        .value_kind:     hidden_group_size_z
      - .offset:         162
        .size:           2
        .value_kind:     hidden_remainder_x
      - .offset:         164
        .size:           2
        .value_kind:     hidden_remainder_y
      - .offset:         166
        .size:           2
        .value_kind:     hidden_remainder_z
      - .offset:         184
        .size:           8
        .value_kind:     hidden_global_offset_x
      - .offset:         192
        .size:           8
        .value_kind:     hidden_global_offset_y
      - .offset:         200
        .size:           8
        .value_kind:     hidden_global_offset_z
      - .offset:         208
        .size:           2
        .value_kind:     hidden_grid_dims
    .group_segment_fixed_size: 8192
    .kernarg_segment_align: 8
    .kernarg_segment_size: 400
    .language:       OpenCL C
    .language_version:
      - 2
      - 0
    .max_flat_workgroup_size: 512
    .name:           _ZL20rocblas_gemvn_kernelILi32ELi16ElPKDF16_fKPfEviiT3_lPKT2_lT1_lS7_lS8_lS4_lPT4_lS8_li
    .private_segment_fixed_size: 0
    .sgpr_count:     51
    .sgpr_spill_count: 0
    .symbol:         _ZL20rocblas_gemvn_kernelILi32ELi16ElPKDF16_fKPfEviiT3_lPKT2_lT1_lS7_lS8_lS4_lPT4_lS8_li.kd
    .uniform_work_group_size: 1
    .uses_dynamic_stack: false
    .vgpr_count:     59
    .vgpr_spill_count: 0
    .wavefront_size: 64
  - .agpr_count:     0
    .args:
      - .offset:         0
        .size:           4
        .value_kind:     by_value
      - .offset:         4
        .size:           4
        .value_kind:     by_value
      - .address_space:  global
        .offset:         8
        .size:           8
        .value_kind:     global_buffer
      - .offset:         16
        .size:           8
        .value_kind:     by_value
      - .address_space:  global
        .offset:         24
        .size:           8
        .value_kind:     global_buffer
      - .offset:         32
        .size:           8
        .value_kind:     by_value
      - .offset:         40
        .size:           4
        .value_kind:     by_value
      - .offset:         48
        .size:           8
        .value_kind:     by_value
      - .address_space:  global
        .offset:         56
        .size:           8
        .value_kind:     global_buffer
      - .offset:         64
        .size:           8
        .value_kind:     by_value
      - .offset:         72
        .size:           4
        .value_kind:     by_value
      - .offset:         80
        .size:           8
        .value_kind:     by_value
      - .address_space:  global
        .offset:         88
        .size:           8
        .value_kind:     global_buffer
      - .offset:         96
        .size:           8
        .value_kind:     by_value
      - .address_space:  global
        .offset:         104
        .size:           8
        .value_kind:     global_buffer
      - .offset:         112
        .size:           8
        .value_kind:     by_value
      - .offset:         120
        .size:           4
        .value_kind:     by_value
      - .offset:         128
        .size:           8
        .value_kind:     by_value
      - .offset:         136
        .size:           4
        .value_kind:     by_value
      - .offset:         144
        .size:           4
        .value_kind:     hidden_block_count_x
      - .offset:         148
        .size:           4
        .value_kind:     hidden_block_count_y
      - .offset:         152
        .size:           4
        .value_kind:     hidden_block_count_z
      - .offset:         156
        .size:           2
        .value_kind:     hidden_group_size_x
      - .offset:         158
        .size:           2
        .value_kind:     hidden_group_size_y
      - .offset:         160
        .size:           2
        .value_kind:     hidden_group_size_z
      - .offset:         162
        .size:           2
        .value_kind:     hidden_remainder_x
      - .offset:         164
        .size:           2
        .value_kind:     hidden_remainder_y
      - .offset:         166
        .size:           2
        .value_kind:     hidden_remainder_z
      - .offset:         184
        .size:           8
        .value_kind:     hidden_global_offset_x
      - .offset:         192
        .size:           8
        .value_kind:     hidden_global_offset_y
      - .offset:         200
        .size:           8
        .value_kind:     hidden_global_offset_z
      - .offset:         208
        .size:           2
        .value_kind:     hidden_grid_dims
    .group_segment_fixed_size: 16384
    .kernarg_segment_align: 8
    .kernarg_segment_size: 400
    .language:       OpenCL C
    .language_version:
      - 2
      - 0
    .max_flat_workgroup_size: 1024
    .name:           _ZL20rocblas_gemvn_kernelILi64ELi16EiPKDF16_PKfKPfEviiT3_lPKT2_lT1_lS9_lSA_lS6_lPT4_lSA_li
    .private_segment_fixed_size: 0
    .sgpr_count:     45
    .sgpr_spill_count: 0
    .symbol:         _ZL20rocblas_gemvn_kernelILi64ELi16EiPKDF16_PKfKPfEviiT3_lPKT2_lT1_lS9_lSA_lS6_lPT4_lSA_li.kd
    .uniform_work_group_size: 1
    .uses_dynamic_stack: false
    .vgpr_count:     49
    .vgpr_spill_count: 0
    .wavefront_size: 64
  - .agpr_count:     0
    .args:
      - .offset:         0
        .size:           4
        .value_kind:     by_value
      - .offset:         4
        .size:           4
        .value_kind:     by_value
      - .address_space:  global
        .offset:         8
        .size:           8
        .value_kind:     global_buffer
      - .offset:         16
        .size:           8
        .value_kind:     by_value
      - .address_space:  global
        .offset:         24
        .size:           8
        .value_kind:     global_buffer
      - .offset:         32
        .size:           8
        .value_kind:     by_value
      - .offset:         40
        .size:           8
        .value_kind:     by_value
      - .offset:         48
        .size:           8
        .value_kind:     by_value
      - .address_space:  global
        .offset:         56
        .size:           8
        .value_kind:     global_buffer
      - .offset:         64
        .size:           8
        .value_kind:     by_value
      - .offset:         72
        .size:           8
        .value_kind:     by_value
      - .offset:         80
        .size:           8
        .value_kind:     by_value
      - .address_space:  global
        .offset:         88
        .size:           8
        .value_kind:     global_buffer
      - .offset:         96
        .size:           8
        .value_kind:     by_value
      - .address_space:  global
        .offset:         104
        .size:           8
        .value_kind:     global_buffer
      - .offset:         112
        .size:           8
        .value_kind:     by_value
      - .offset:         120
        .size:           8
        .value_kind:     by_value
      - .offset:         128
        .size:           8
        .value_kind:     by_value
      - .offset:         136
        .size:           4
        .value_kind:     by_value
      - .offset:         144
        .size:           4
        .value_kind:     hidden_block_count_x
      - .offset:         148
        .size:           4
        .value_kind:     hidden_block_count_y
      - .offset:         152
        .size:           4
        .value_kind:     hidden_block_count_z
      - .offset:         156
        .size:           2
        .value_kind:     hidden_group_size_x
      - .offset:         158
        .size:           2
        .value_kind:     hidden_group_size_y
      - .offset:         160
        .size:           2
        .value_kind:     hidden_group_size_z
      - .offset:         162
        .size:           2
        .value_kind:     hidden_remainder_x
      - .offset:         164
        .size:           2
        .value_kind:     hidden_remainder_y
      - .offset:         166
        .size:           2
        .value_kind:     hidden_remainder_z
      - .offset:         184
        .size:           8
        .value_kind:     hidden_global_offset_x
      - .offset:         192
        .size:           8
        .value_kind:     hidden_global_offset_y
      - .offset:         200
        .size:           8
        .value_kind:     hidden_global_offset_z
      - .offset:         208
        .size:           2
        .value_kind:     hidden_grid_dims
    .group_segment_fixed_size: 16384
    .kernarg_segment_align: 8
    .kernarg_segment_size: 400
    .language:       OpenCL C
    .language_version:
      - 2
      - 0
    .max_flat_workgroup_size: 1024
    .name:           _ZL20rocblas_gemvn_kernelILi64ELi16ElPKDF16_PKfKPfEviiT3_lPKT2_lT1_lS9_lSA_lS6_lPT4_lSA_li
    .private_segment_fixed_size: 0
    .sgpr_count:     51
    .sgpr_spill_count: 0
    .symbol:         _ZL20rocblas_gemvn_kernelILi64ELi16ElPKDF16_PKfKPfEviiT3_lPKT2_lT1_lS9_lSA_lS6_lPT4_lSA_li.kd
    .uniform_work_group_size: 1
    .uses_dynamic_stack: false
    .vgpr_count:     59
    .vgpr_spill_count: 0
    .wavefront_size: 64
  - .agpr_count:     0
    .args:
      - .offset:         0
        .size:           4
        .value_kind:     by_value
      - .offset:         4
        .size:           4
        .value_kind:     by_value
      - .offset:         8
        .size:           4
        .value_kind:     by_value
      - .offset:         16
        .size:           8
        .value_kind:     by_value
      - .address_space:  global
        .offset:         24
        .size:           8
        .value_kind:     global_buffer
      - .offset:         32
        .size:           8
        .value_kind:     by_value
      - .offset:         40
        .size:           4
        .value_kind:     by_value
      - .offset:         48
        .size:           8
        .value_kind:     by_value
      - .address_space:  global
        .offset:         56
        .size:           8
        .value_kind:     global_buffer
      - .offset:         64
        .size:           8
        .value_kind:     by_value
      - .offset:         72
        .size:           4
        .value_kind:     by_value
      - .offset:         80
        .size:           8
        .value_kind:     by_value
      - .offset:         88
        .size:           4
        .value_kind:     by_value
      - .offset:         96
        .size:           8
        .value_kind:     by_value
      - .address_space:  global
        .offset:         104
        .size:           8
        .value_kind:     global_buffer
      - .offset:         112
        .size:           8
        .value_kind:     by_value
      - .offset:         120
        .size:           4
        .value_kind:     by_value
      - .offset:         128
        .size:           8
        .value_kind:     by_value
      - .offset:         136
        .size:           4
        .value_kind:     by_value
      - .offset:         144
        .size:           4
        .value_kind:     hidden_block_count_x
      - .offset:         148
        .size:           4
        .value_kind:     hidden_block_count_y
      - .offset:         152
        .size:           4
        .value_kind:     hidden_block_count_z
      - .offset:         156
        .size:           2
        .value_kind:     hidden_group_size_x
      - .offset:         158
        .size:           2
        .value_kind:     hidden_group_size_y
      - .offset:         160
        .size:           2
        .value_kind:     hidden_group_size_z
      - .offset:         162
        .size:           2
        .value_kind:     hidden_remainder_x
      - .offset:         164
        .size:           2
        .value_kind:     hidden_remainder_y
      - .offset:         166
        .size:           2
        .value_kind:     hidden_remainder_z
      - .offset:         184
        .size:           8
        .value_kind:     hidden_global_offset_x
      - .offset:         192
        .size:           8
        .value_kind:     hidden_global_offset_y
      - .offset:         200
        .size:           8
        .value_kind:     hidden_global_offset_z
      - .offset:         208
        .size:           2
        .value_kind:     hidden_grid_dims
    .group_segment_fixed_size: 16384
    .kernarg_segment_align: 8
    .kernarg_segment_size: 400
    .language:       OpenCL C
    .language_version:
      - 2
      - 0
    .max_flat_workgroup_size: 1024
    .name:           _ZL20rocblas_gemvn_kernelILi64ELi16EiPKDF16_fKPfEviiT3_lPKT2_lT1_lS7_lS8_lS4_lPT4_lS8_li
    .private_segment_fixed_size: 0
    .sgpr_count:     45
    .sgpr_spill_count: 0
    .symbol:         _ZL20rocblas_gemvn_kernelILi64ELi16EiPKDF16_fKPfEviiT3_lPKT2_lT1_lS7_lS8_lS4_lPT4_lS8_li.kd
    .uniform_work_group_size: 1
    .uses_dynamic_stack: false
    .vgpr_count:     49
    .vgpr_spill_count: 0
    .wavefront_size: 64
  - .agpr_count:     0
    .args:
      - .offset:         0
        .size:           4
        .value_kind:     by_value
      - .offset:         4
        .size:           4
        .value_kind:     by_value
      - .offset:         8
        .size:           4
        .value_kind:     by_value
      - .offset:         16
        .size:           8
        .value_kind:     by_value
      - .address_space:  global
        .offset:         24
        .size:           8
        .value_kind:     global_buffer
      - .offset:         32
        .size:           8
        .value_kind:     by_value
      - .offset:         40
        .size:           8
        .value_kind:     by_value
      - .offset:         48
        .size:           8
        .value_kind:     by_value
      - .address_space:  global
        .offset:         56
        .size:           8
        .value_kind:     global_buffer
      - .offset:         64
        .size:           8
        .value_kind:     by_value
      - .offset:         72
        .size:           8
        .value_kind:     by_value
      - .offset:         80
        .size:           8
        .value_kind:     by_value
      - .offset:         88
        .size:           4
        .value_kind:     by_value
      - .offset:         96
        .size:           8
        .value_kind:     by_value
      - .address_space:  global
        .offset:         104
        .size:           8
        .value_kind:     global_buffer
      - .offset:         112
        .size:           8
        .value_kind:     by_value
      - .offset:         120
        .size:           8
        .value_kind:     by_value
      - .offset:         128
        .size:           8
        .value_kind:     by_value
      - .offset:         136
        .size:           4
        .value_kind:     by_value
      - .offset:         144
        .size:           4
        .value_kind:     hidden_block_count_x
      - .offset:         148
        .size:           4
        .value_kind:     hidden_block_count_y
      - .offset:         152
        .size:           4
        .value_kind:     hidden_block_count_z
      - .offset:         156
        .size:           2
        .value_kind:     hidden_group_size_x
      - .offset:         158
        .size:           2
        .value_kind:     hidden_group_size_y
      - .offset:         160
        .size:           2
        .value_kind:     hidden_group_size_z
      - .offset:         162
        .size:           2
        .value_kind:     hidden_remainder_x
      - .offset:         164
        .size:           2
        .value_kind:     hidden_remainder_y
      - .offset:         166
        .size:           2
        .value_kind:     hidden_remainder_z
      - .offset:         184
        .size:           8
        .value_kind:     hidden_global_offset_x
      - .offset:         192
        .size:           8
        .value_kind:     hidden_global_offset_y
      - .offset:         200
        .size:           8
        .value_kind:     hidden_global_offset_z
      - .offset:         208
        .size:           2
        .value_kind:     hidden_grid_dims
    .group_segment_fixed_size: 16384
    .kernarg_segment_align: 8
    .kernarg_segment_size: 400
    .language:       OpenCL C
    .language_version:
      - 2
      - 0
    .max_flat_workgroup_size: 1024
    .name:           _ZL20rocblas_gemvn_kernelILi64ELi16ElPKDF16_fKPfEviiT3_lPKT2_lT1_lS7_lS8_lS4_lPT4_lS8_li
    .private_segment_fixed_size: 0
    .sgpr_count:     51
    .sgpr_spill_count: 0
    .symbol:         _ZL20rocblas_gemvn_kernelILi64ELi16ElPKDF16_fKPfEviiT3_lPKT2_lT1_lS7_lS8_lS4_lPT4_lS8_li.kd
    .uniform_work_group_size: 1
    .uses_dynamic_stack: false
    .vgpr_count:     59
    .vgpr_spill_count: 0
    .wavefront_size: 64
  - .agpr_count:     0
    .args:
      - .offset:         0
        .size:           4
        .value_kind:     by_value
      - .offset:         4
        .size:           4
        .value_kind:     by_value
      - .address_space:  global
        .offset:         8
        .size:           8
        .value_kind:     global_buffer
      - .offset:         16
        .size:           8
        .value_kind:     by_value
      - .address_space:  global
        .offset:         24
        .size:           8
        .value_kind:     global_buffer
      - .offset:         32
        .size:           8
        .value_kind:     by_value
      - .offset:         40
        .size:           4
        .value_kind:     by_value
      - .offset:         48
        .size:           8
        .value_kind:     by_value
      - .address_space:  global
        .offset:         56
        .size:           8
        .value_kind:     global_buffer
      - .offset:         64
        .size:           8
        .value_kind:     by_value
      - .offset:         72
        .size:           4
        .value_kind:     by_value
      - .offset:         80
        .size:           8
        .value_kind:     by_value
      - .address_space:  global
        .offset:         88
        .size:           8
        .value_kind:     global_buffer
      - .offset:         96
        .size:           8
        .value_kind:     by_value
      - .address_space:  global
        .offset:         104
        .size:           8
        .value_kind:     global_buffer
      - .offset:         112
        .size:           8
        .value_kind:     by_value
      - .offset:         120
        .size:           4
        .value_kind:     by_value
      - .offset:         128
        .size:           8
        .value_kind:     by_value
    .group_segment_fixed_size: 256
    .kernarg_segment_align: 8
    .kernarg_segment_size: 136
    .language:       OpenCL C
    .language_version:
      - 2
      - 0
    .max_flat_workgroup_size: 256
    .name:           _ZL22rocblas_gemvtsm_kernelILb0ELi256EPKDF16_PKfKPfEviiT2_lPKT1_lilS9_lilS6_lPT3_lil
    .private_segment_fixed_size: 0
    .sgpr_count:     32
    .sgpr_spill_count: 0
    .symbol:         _ZL22rocblas_gemvtsm_kernelILb0ELi256EPKDF16_PKfKPfEviiT2_lPKT1_lilS9_lilS6_lPT3_lil.kd
    .uniform_work_group_size: 1
    .uses_dynamic_stack: false
    .vgpr_count:     20
    .vgpr_spill_count: 0
    .wavefront_size: 64
  - .agpr_count:     0
    .args:
      - .offset:         0
        .size:           4
        .value_kind:     by_value
      - .offset:         4
        .size:           4
        .value_kind:     by_value
      - .offset:         8
        .size:           4
        .value_kind:     by_value
      - .offset:         16
        .size:           8
        .value_kind:     by_value
      - .address_space:  global
        .offset:         24
        .size:           8
        .value_kind:     global_buffer
      - .offset:         32
        .size:           8
        .value_kind:     by_value
      - .offset:         40
        .size:           4
        .value_kind:     by_value
      - .offset:         48
        .size:           8
        .value_kind:     by_value
      - .address_space:  global
        .offset:         56
        .size:           8
        .value_kind:     global_buffer
      - .offset:         64
        .size:           8
        .value_kind:     by_value
      - .offset:         72
        .size:           4
        .value_kind:     by_value
      - .offset:         80
        .size:           8
        .value_kind:     by_value
      - .offset:         88
        .size:           4
        .value_kind:     by_value
      - .offset:         96
        .size:           8
        .value_kind:     by_value
      - .address_space:  global
        .offset:         104
        .size:           8
        .value_kind:     global_buffer
      - .offset:         112
        .size:           8
        .value_kind:     by_value
      - .offset:         120
        .size:           4
        .value_kind:     by_value
      - .offset:         128
        .size:           8
        .value_kind:     by_value
    .group_segment_fixed_size: 256
    .kernarg_segment_align: 8
    .kernarg_segment_size: 136
    .language:       OpenCL C
    .language_version:
      - 2
      - 0
    .max_flat_workgroup_size: 256
    .name:           _ZL22rocblas_gemvtsm_kernelILb0ELi256EPKDF16_fKPfEviiT2_lPKT1_lilS7_lilS4_lPT3_lil
    .private_segment_fixed_size: 0
    .sgpr_count:     32
    .sgpr_spill_count: 0
    .symbol:         _ZL22rocblas_gemvtsm_kernelILb0ELi256EPKDF16_fKPfEviiT2_lPKT1_lilS7_lilS4_lPT3_lil.kd
    .uniform_work_group_size: 1
    .uses_dynamic_stack: false
    .vgpr_count:     20
    .vgpr_spill_count: 0
    .wavefront_size: 64
  - .agpr_count:     0
    .args:
      - .offset:         0
        .size:           4
        .value_kind:     by_value
      - .address_space:  global
        .offset:         8
        .size:           8
        .value_kind:     global_buffer
      - .offset:         16
        .size:           8
        .value_kind:     by_value
      - .address_space:  global
        .offset:         24
        .size:           8
        .value_kind:     global_buffer
      - .offset:         32
        .size:           8
        .value_kind:     by_value
      - .offset:         40
        .size:           4
        .value_kind:     by_value
      - .offset:         48
        .size:           8
        .value_kind:     by_value
      - .actual_access:  read_only
        .address_space:  global
        .offset:         56
        .size:           8
        .value_kind:     global_buffer
      - .offset:         64
        .size:           4
        .value_kind:     by_value
      - .offset:         72
        .size:           4
        .value_kind:     hidden_block_count_x
      - .offset:         76
        .size:           4
        .value_kind:     hidden_block_count_y
      - .offset:         80
        .size:           4
        .value_kind:     hidden_block_count_z
      - .offset:         84
        .size:           2
        .value_kind:     hidden_group_size_x
      - .offset:         86
        .size:           2
        .value_kind:     hidden_group_size_y
      - .offset:         88
        .size:           2
        .value_kind:     hidden_group_size_z
      - .offset:         90
        .size:           2
        .value_kind:     hidden_remainder_x
      - .offset:         92
        .size:           2
        .value_kind:     hidden_remainder_y
      - .offset:         94
        .size:           2
        .value_kind:     hidden_remainder_z
      - .offset:         112
        .size:           8
        .value_kind:     hidden_global_offset_x
      - .offset:         120
        .size:           8
        .value_kind:     hidden_global_offset_y
      - .offset:         128
        .size:           8
        .value_kind:     hidden_global_offset_z
      - .offset:         136
        .size:           2
        .value_kind:     hidden_grid_dims
    .group_segment_fixed_size: 256
    .kernarg_segment_align: 8
    .kernarg_segment_size: 328
    .language:       OpenCL C
    .language_version:
      - 2
      - 0
    .max_flat_workgroup_size: 256
    .name:           _ZL23rocblas_gemvt_sn_reduceILi256ELi8EfPKfKPfEviT2_lPT3_lilPT1_i
    .private_segment_fixed_size: 0
    .sgpr_count:     27
    .sgpr_spill_count: 0
    .symbol:         _ZL23rocblas_gemvt_sn_reduceILi256ELi8EfPKfKPfEviT2_lPT3_lilPT1_i.kd
    .uniform_work_group_size: 1
    .uses_dynamic_stack: false
    .vgpr_count:     14
    .vgpr_spill_count: 0
    .wavefront_size: 64
  - .agpr_count:     0
    .args:
      - .offset:         0
        .size:           4
        .value_kind:     by_value
      - .offset:         4
        .size:           4
        .value_kind:     by_value
      - .offset:         8
        .size:           8
        .value_kind:     by_value
      - .address_space:  global
        .offset:         16
        .size:           8
        .value_kind:     global_buffer
      - .offset:         24
        .size:           8
        .value_kind:     by_value
      - .offset:         32
        .size:           4
        .value_kind:     by_value
      - .offset:         40
        .size:           8
        .value_kind:     by_value
      - .actual_access:  read_only
        .address_space:  global
        .offset:         48
        .size:           8
        .value_kind:     global_buffer
      - .offset:         56
        .size:           4
        .value_kind:     by_value
      - .offset:         64
        .size:           4
        .value_kind:     hidden_block_count_x
      - .offset:         68
        .size:           4
        .value_kind:     hidden_block_count_y
      - .offset:         72
        .size:           4
        .value_kind:     hidden_block_count_z
      - .offset:         76
        .size:           2
        .value_kind:     hidden_group_size_x
      - .offset:         78
        .size:           2
        .value_kind:     hidden_group_size_y
      - .offset:         80
        .size:           2
        .value_kind:     hidden_group_size_z
      - .offset:         82
        .size:           2
        .value_kind:     hidden_remainder_x
      - .offset:         84
        .size:           2
        .value_kind:     hidden_remainder_y
      - .offset:         86
        .size:           2
        .value_kind:     hidden_remainder_z
      - .offset:         104
        .size:           8
        .value_kind:     hidden_global_offset_x
      - .offset:         112
        .size:           8
        .value_kind:     hidden_global_offset_y
      - .offset:         120
        .size:           8
        .value_kind:     hidden_global_offset_z
      - .offset:         128
        .size:           2
        .value_kind:     hidden_grid_dims
    .group_segment_fixed_size: 256
    .kernarg_segment_align: 8
    .kernarg_segment_size: 320
    .language:       OpenCL C
    .language_version:
      - 2
      - 0
    .max_flat_workgroup_size: 256
    .name:           _ZL23rocblas_gemvt_sn_reduceILi256ELi8EffKPfEviT2_lPT3_lilPT1_i
    .private_segment_fixed_size: 0
    .sgpr_count:     27
    .sgpr_spill_count: 0
    .symbol:         _ZL23rocblas_gemvt_sn_reduceILi256ELi8EffKPfEviT2_lPT3_lilPT1_i.kd
    .uniform_work_group_size: 1
    .uses_dynamic_stack: false
    .vgpr_count:     14
    .vgpr_spill_count: 0
    .wavefront_size: 64
  - .agpr_count:     0
    .args:
      - .offset:         0
        .size:           4
        .value_kind:     by_value
      - .offset:         4
        .size:           4
        .value_kind:     by_value
      - .address_space:  global
        .offset:         8
        .size:           8
        .value_kind:     global_buffer
      - .offset:         16
        .size:           8
        .value_kind:     by_value
      - .address_space:  global
        .offset:         24
        .size:           8
        .value_kind:     global_buffer
      - .offset:         32
        .size:           8
        .value_kind:     by_value
      - .offset:         40
        .size:           4
        .value_kind:     by_value
      - .offset:         48
        .size:           8
        .value_kind:     by_value
      - .address_space:  global
        .offset:         56
        .size:           8
        .value_kind:     global_buffer
      - .offset:         64
        .size:           8
        .value_kind:     by_value
      - .offset:         72
        .size:           4
        .value_kind:     by_value
      - .offset:         80
        .size:           8
        .value_kind:     by_value
      - .address_space:  global
        .offset:         88
        .size:           8
        .value_kind:     global_buffer
      - .offset:         96
        .size:           8
        .value_kind:     by_value
      - .address_space:  global
        .offset:         104
        .size:           8
        .value_kind:     global_buffer
      - .offset:         112
        .size:           8
        .value_kind:     by_value
      - .offset:         120
        .size:           4
        .value_kind:     by_value
      - .offset:         128
        .size:           8
        .value_kind:     by_value
      - .offset:         136
        .size:           4
        .value_kind:     by_value
    .group_segment_fixed_size: 256
    .kernarg_segment_align: 8
    .kernarg_segment_size: 140
    .language:       OpenCL C
    .language_version:
      - 2
      - 0
    .max_flat_workgroup_size: 256
    .name:           _ZL32rocblas_gemvt_warp_reduce_kernelILb0ELi256EiPKDF16_PKfKPfEviiT3_lPKT2_lT1_lS9_lSA_lS6_lPT4_lSA_li
    .private_segment_fixed_size: 0
    .sgpr_count:     29
    .sgpr_spill_count: 0
    .symbol:         _ZL32rocblas_gemvt_warp_reduce_kernelILb0ELi256EiPKDF16_PKfKPfEviiT3_lPKT2_lT1_lS9_lSA_lS6_lPT4_lSA_li.kd
    .uniform_work_group_size: 1
    .uses_dynamic_stack: false
    .vgpr_count:     12
    .vgpr_spill_count: 0
    .wavefront_size: 64
  - .agpr_count:     0
    .args:
      - .offset:         0
        .size:           4
        .value_kind:     by_value
      - .offset:         4
        .size:           4
        .value_kind:     by_value
      - .address_space:  global
        .offset:         8
        .size:           8
        .value_kind:     global_buffer
      - .offset:         16
        .size:           8
        .value_kind:     by_value
      - .address_space:  global
        .offset:         24
        .size:           8
        .value_kind:     global_buffer
      - .offset:         32
        .size:           8
        .value_kind:     by_value
      - .offset:         40
        .size:           8
        .value_kind:     by_value
      - .offset:         48
        .size:           8
        .value_kind:     by_value
      - .address_space:  global
        .offset:         56
        .size:           8
        .value_kind:     global_buffer
      - .offset:         64
        .size:           8
        .value_kind:     by_value
      - .offset:         72
        .size:           8
        .value_kind:     by_value
      - .offset:         80
        .size:           8
        .value_kind:     by_value
      - .address_space:  global
        .offset:         88
        .size:           8
        .value_kind:     global_buffer
      - .offset:         96
        .size:           8
        .value_kind:     by_value
      - .address_space:  global
        .offset:         104
        .size:           8
        .value_kind:     global_buffer
      - .offset:         112
        .size:           8
        .value_kind:     by_value
      - .offset:         120
        .size:           8
        .value_kind:     by_value
      - .offset:         128
        .size:           8
        .value_kind:     by_value
      - .offset:         136
        .size:           4
        .value_kind:     by_value
    .group_segment_fixed_size: 256
    .kernarg_segment_align: 8
    .kernarg_segment_size: 140
    .language:       OpenCL C
    .language_version:
      - 2
      - 0
    .max_flat_workgroup_size: 256
    .name:           _ZL32rocblas_gemvt_warp_reduce_kernelILb0ELi256ElPKDF16_PKfKPfEviiT3_lPKT2_lT1_lS9_lSA_lS6_lPT4_lSA_li
    .private_segment_fixed_size: 0
    .sgpr_count:     37
    .sgpr_spill_count: 0
    .symbol:         _ZL32rocblas_gemvt_warp_reduce_kernelILb0ELi256ElPKDF16_PKfKPfEviiT3_lPKT2_lT1_lS9_lSA_lS6_lPT4_lSA_li.kd
    .uniform_work_group_size: 1
    .uses_dynamic_stack: false
    .vgpr_count:     11
    .vgpr_spill_count: 0
    .wavefront_size: 64
  - .agpr_count:     0
    .args:
      - .offset:         0
        .size:           4
        .value_kind:     by_value
      - .offset:         4
        .size:           4
        .value_kind:     by_value
      - .offset:         8
        .size:           4
        .value_kind:     by_value
      - .offset:         16
        .size:           8
        .value_kind:     by_value
      - .address_space:  global
        .offset:         24
        .size:           8
        .value_kind:     global_buffer
      - .offset:         32
        .size:           8
        .value_kind:     by_value
      - .offset:         40
        .size:           4
        .value_kind:     by_value
      - .offset:         48
        .size:           8
        .value_kind:     by_value
      - .address_space:  global
        .offset:         56
        .size:           8
        .value_kind:     global_buffer
      - .offset:         64
        .size:           8
        .value_kind:     by_value
      - .offset:         72
        .size:           4
        .value_kind:     by_value
      - .offset:         80
        .size:           8
        .value_kind:     by_value
      - .offset:         88
        .size:           4
        .value_kind:     by_value
      - .offset:         96
        .size:           8
        .value_kind:     by_value
      - .address_space:  global
        .offset:         104
        .size:           8
        .value_kind:     global_buffer
      - .offset:         112
        .size:           8
        .value_kind:     by_value
      - .offset:         120
        .size:           4
        .value_kind:     by_value
      - .offset:         128
        .size:           8
        .value_kind:     by_value
      - .offset:         136
        .size:           4
        .value_kind:     by_value
    .group_segment_fixed_size: 256
    .kernarg_segment_align: 8
    .kernarg_segment_size: 140
    .language:       OpenCL C
    .language_version:
      - 2
      - 0
    .max_flat_workgroup_size: 256
    .name:           _ZL32rocblas_gemvt_warp_reduce_kernelILb0ELi256EiPKDF16_fKPfEviiT3_lPKT2_lT1_lS7_lS8_lS4_lPT4_lS8_li
    .private_segment_fixed_size: 0
    .sgpr_count:     34
    .sgpr_spill_count: 0
    .symbol:         _ZL32rocblas_gemvt_warp_reduce_kernelILb0ELi256EiPKDF16_fKPfEviiT3_lPKT2_lT1_lS7_lS8_lS4_lPT4_lS8_li.kd
    .uniform_work_group_size: 1
    .uses_dynamic_stack: false
    .vgpr_count:     12
    .vgpr_spill_count: 0
    .wavefront_size: 64
  - .agpr_count:     0
    .args:
      - .offset:         0
        .size:           4
        .value_kind:     by_value
      - .offset:         4
        .size:           4
        .value_kind:     by_value
      - .offset:         8
        .size:           4
        .value_kind:     by_value
      - .offset:         16
        .size:           8
        .value_kind:     by_value
      - .address_space:  global
        .offset:         24
        .size:           8
        .value_kind:     global_buffer
      - .offset:         32
        .size:           8
        .value_kind:     by_value
      - .offset:         40
        .size:           8
        .value_kind:     by_value
      - .offset:         48
        .size:           8
        .value_kind:     by_value
      - .address_space:  global
        .offset:         56
        .size:           8
        .value_kind:     global_buffer
      - .offset:         64
        .size:           8
        .value_kind:     by_value
      - .offset:         72
        .size:           8
        .value_kind:     by_value
      - .offset:         80
        .size:           8
        .value_kind:     by_value
      - .offset:         88
        .size:           4
        .value_kind:     by_value
      - .offset:         96
        .size:           8
        .value_kind:     by_value
      - .address_space:  global
        .offset:         104
        .size:           8
        .value_kind:     global_buffer
      - .offset:         112
        .size:           8
        .value_kind:     by_value
      - .offset:         120
        .size:           8
        .value_kind:     by_value
      - .offset:         128
        .size:           8
        .value_kind:     by_value
      - .offset:         136
        .size:           4
        .value_kind:     by_value
    .group_segment_fixed_size: 256
    .kernarg_segment_align: 8
    .kernarg_segment_size: 140
    .language:       OpenCL C
    .language_version:
      - 2
      - 0
    .max_flat_workgroup_size: 256
    .name:           _ZL32rocblas_gemvt_warp_reduce_kernelILb0ELi256ElPKDF16_fKPfEviiT3_lPKT2_lT1_lS7_lS8_lS4_lPT4_lS8_li
    .private_segment_fixed_size: 0
    .sgpr_count:     38
    .sgpr_spill_count: 0
    .symbol:         _ZL32rocblas_gemvt_warp_reduce_kernelILb0ELi256ElPKDF16_fKPfEviiT3_lPKT2_lT1_lS7_lS8_lS4_lPT4_lS8_li.kd
    .uniform_work_group_size: 1
    .uses_dynamic_stack: false
    .vgpr_count:     11
    .vgpr_spill_count: 0
    .wavefront_size: 64
  - .agpr_count:     0
    .args:
      - .offset:         0
        .size:           4
        .value_kind:     by_value
      - .offset:         4
        .size:           4
        .value_kind:     by_value
      - .address_space:  global
        .offset:         8
        .size:           8
        .value_kind:     global_buffer
      - .offset:         16
        .size:           8
        .value_kind:     by_value
      - .address_space:  global
        .offset:         24
        .size:           8
        .value_kind:     global_buffer
      - .offset:         32
        .size:           8
        .value_kind:     by_value
      - .offset:         40
        .size:           4
        .value_kind:     by_value
      - .offset:         48
        .size:           8
        .value_kind:     by_value
      - .address_space:  global
        .offset:         56
        .size:           8
        .value_kind:     global_buffer
      - .offset:         64
        .size:           8
        .value_kind:     by_value
      - .offset:         72
        .size:           4
        .value_kind:     by_value
      - .offset:         80
        .size:           8
        .value_kind:     by_value
      - .address_space:  global
        .offset:         88
        .size:           8
        .value_kind:     global_buffer
      - .offset:         96
        .size:           8
        .value_kind:     by_value
      - .address_space:  global
        .offset:         104
        .size:           8
        .value_kind:     global_buffer
      - .offset:         112
        .size:           8
        .value_kind:     by_value
      - .offset:         120
        .size:           4
        .value_kind:     by_value
      - .offset:         128
        .size:           8
        .value_kind:     by_value
      - .offset:         136
        .size:           4
        .value_kind:     by_value
    .group_segment_fixed_size: 1024
    .kernarg_segment_align: 8
    .kernarg_segment_size: 140
    .language:       OpenCL C
    .language_version:
      - 2
      - 0
    .max_flat_workgroup_size: 256
    .name:           _ZL20rocblas_gemvt_kernelILb0ELi256EPKDF16_PKfKPfEviiT2_lPKT1_lilS9_lilS6_lPT3_lili
    .private_segment_fixed_size: 0
    .sgpr_count:     29
    .sgpr_spill_count: 0
    .symbol:         _ZL20rocblas_gemvt_kernelILb0ELi256EPKDF16_PKfKPfEviiT2_lPKT1_lilS9_lilS6_lPT3_lili.kd
    .uniform_work_group_size: 1
    .uses_dynamic_stack: false
    .vgpr_count:     10
    .vgpr_spill_count: 0
    .wavefront_size: 64
  - .agpr_count:     0
    .args:
      - .offset:         0
        .size:           4
        .value_kind:     by_value
      - .offset:         4
        .size:           4
        .value_kind:     by_value
      - .offset:         8
        .size:           4
        .value_kind:     by_value
      - .offset:         16
        .size:           8
        .value_kind:     by_value
      - .address_space:  global
        .offset:         24
        .size:           8
        .value_kind:     global_buffer
      - .offset:         32
        .size:           8
        .value_kind:     by_value
      - .offset:         40
        .size:           4
        .value_kind:     by_value
      - .offset:         48
        .size:           8
        .value_kind:     by_value
      - .address_space:  global
        .offset:         56
        .size:           8
        .value_kind:     global_buffer
      - .offset:         64
        .size:           8
        .value_kind:     by_value
      - .offset:         72
        .size:           4
        .value_kind:     by_value
      - .offset:         80
        .size:           8
        .value_kind:     by_value
      - .offset:         88
        .size:           4
        .value_kind:     by_value
      - .offset:         96
        .size:           8
        .value_kind:     by_value
      - .address_space:  global
        .offset:         104
        .size:           8
        .value_kind:     global_buffer
      - .offset:         112
        .size:           8
        .value_kind:     by_value
      - .offset:         120
        .size:           4
        .value_kind:     by_value
      - .offset:         128
        .size:           8
        .value_kind:     by_value
      - .offset:         136
        .size:           4
        .value_kind:     by_value
    .group_segment_fixed_size: 1024
    .kernarg_segment_align: 8
    .kernarg_segment_size: 140
    .language:       OpenCL C
    .language_version:
      - 2
      - 0
    .max_flat_workgroup_size: 256
    .name:           _ZL20rocblas_gemvt_kernelILb0ELi256EPKDF16_fKPfEviiT2_lPKT1_lilS7_lilS4_lPT3_lili
    .private_segment_fixed_size: 0
    .sgpr_count:     34
    .sgpr_spill_count: 0
    .symbol:         _ZL20rocblas_gemvt_kernelILb0ELi256EPKDF16_fKPfEviiT2_lPKT1_lilS7_lilS4_lPT3_lili.kd
    .uniform_work_group_size: 1
    .uses_dynamic_stack: false
    .vgpr_count:     10
    .vgpr_spill_count: 0
    .wavefront_size: 64
  - .agpr_count:     0
    .args:
      - .offset:         0
        .size:           4
        .value_kind:     by_value
      - .offset:         4
        .size:           4
        .value_kind:     by_value
      - .address_space:  global
        .offset:         8
        .size:           8
        .value_kind:     global_buffer
      - .offset:         16
        .size:           8
        .value_kind:     by_value
      - .address_space:  global
        .offset:         24
        .size:           8
        .value_kind:     global_buffer
      - .offset:         32
        .size:           8
        .value_kind:     by_value
      - .offset:         40
        .size:           4
        .value_kind:     by_value
      - .offset:         48
        .size:           8
        .value_kind:     by_value
      - .address_space:  global
        .offset:         56
        .size:           8
        .value_kind:     global_buffer
      - .offset:         64
        .size:           8
        .value_kind:     by_value
      - .offset:         72
        .size:           4
        .value_kind:     by_value
      - .offset:         80
        .size:           8
        .value_kind:     by_value
      - .address_space:  global
        .offset:         88
        .size:           8
        .value_kind:     global_buffer
      - .offset:         96
        .size:           8
        .value_kind:     by_value
      - .address_space:  global
        .offset:         104
        .size:           8
        .value_kind:     global_buffer
      - .offset:         112
        .size:           8
        .value_kind:     by_value
      - .offset:         120
        .size:           4
        .value_kind:     by_value
      - .offset:         128
        .size:           8
        .value_kind:     by_value
      - .offset:         136
        .size:           4
        .value_kind:     by_value
    .group_segment_fixed_size: 256
    .kernarg_segment_align: 8
    .kernarg_segment_size: 140
    .language:       OpenCL C
    .language_version:
      - 2
      - 0
    .max_flat_workgroup_size: 1024
    .name:           _ZL32rocblas_gemvt_warp_reduce_kernelILb0ELi1024EiPKDF16_PKfKPfEviiT3_lPKT2_lT1_lS9_lSA_lS6_lPT4_lSA_li
    .private_segment_fixed_size: 0
    .sgpr_count:     29
    .sgpr_spill_count: 0
    .symbol:         _ZL32rocblas_gemvt_warp_reduce_kernelILb0ELi1024EiPKDF16_PKfKPfEviiT3_lPKT2_lT1_lS9_lSA_lS6_lPT4_lSA_li.kd
    .uniform_work_group_size: 1
    .uses_dynamic_stack: false
    .vgpr_count:     12
    .vgpr_spill_count: 0
    .wavefront_size: 64
  - .agpr_count:     0
    .args:
      - .offset:         0
        .size:           4
        .value_kind:     by_value
      - .offset:         4
        .size:           4
        .value_kind:     by_value
      - .address_space:  global
        .offset:         8
        .size:           8
        .value_kind:     global_buffer
      - .offset:         16
        .size:           8
        .value_kind:     by_value
      - .address_space:  global
        .offset:         24
        .size:           8
        .value_kind:     global_buffer
      - .offset:         32
        .size:           8
        .value_kind:     by_value
      - .offset:         40
        .size:           8
        .value_kind:     by_value
      - .offset:         48
        .size:           8
        .value_kind:     by_value
      - .address_space:  global
        .offset:         56
        .size:           8
        .value_kind:     global_buffer
      - .offset:         64
        .size:           8
        .value_kind:     by_value
      - .offset:         72
        .size:           8
        .value_kind:     by_value
      - .offset:         80
        .size:           8
        .value_kind:     by_value
      - .address_space:  global
        .offset:         88
        .size:           8
        .value_kind:     global_buffer
      - .offset:         96
        .size:           8
        .value_kind:     by_value
      - .address_space:  global
        .offset:         104
        .size:           8
        .value_kind:     global_buffer
      - .offset:         112
        .size:           8
        .value_kind:     by_value
      - .offset:         120
        .size:           8
        .value_kind:     by_value
      - .offset:         128
        .size:           8
        .value_kind:     by_value
      - .offset:         136
        .size:           4
        .value_kind:     by_value
    .group_segment_fixed_size: 256
    .kernarg_segment_align: 8
    .kernarg_segment_size: 140
    .language:       OpenCL C
    .language_version:
      - 2
      - 0
    .max_flat_workgroup_size: 1024
    .name:           _ZL32rocblas_gemvt_warp_reduce_kernelILb0ELi1024ElPKDF16_PKfKPfEviiT3_lPKT2_lT1_lS9_lSA_lS6_lPT4_lSA_li
    .private_segment_fixed_size: 0
    .sgpr_count:     37
    .sgpr_spill_count: 0
    .symbol:         _ZL32rocblas_gemvt_warp_reduce_kernelILb0ELi1024ElPKDF16_PKfKPfEviiT3_lPKT2_lT1_lS9_lSA_lS6_lPT4_lSA_li.kd
    .uniform_work_group_size: 1
    .uses_dynamic_stack: false
    .vgpr_count:     11
    .vgpr_spill_count: 0
    .wavefront_size: 64
  - .agpr_count:     0
    .args:
      - .offset:         0
        .size:           4
        .value_kind:     by_value
      - .offset:         4
        .size:           4
        .value_kind:     by_value
      - .offset:         8
        .size:           4
        .value_kind:     by_value
      - .offset:         16
        .size:           8
        .value_kind:     by_value
      - .address_space:  global
        .offset:         24
        .size:           8
        .value_kind:     global_buffer
      - .offset:         32
        .size:           8
        .value_kind:     by_value
      - .offset:         40
        .size:           4
        .value_kind:     by_value
      - .offset:         48
        .size:           8
        .value_kind:     by_value
      - .address_space:  global
        .offset:         56
        .size:           8
        .value_kind:     global_buffer
      - .offset:         64
        .size:           8
        .value_kind:     by_value
      - .offset:         72
        .size:           4
        .value_kind:     by_value
      - .offset:         80
        .size:           8
        .value_kind:     by_value
      - .offset:         88
        .size:           4
        .value_kind:     by_value
      - .offset:         96
        .size:           8
        .value_kind:     by_value
      - .address_space:  global
        .offset:         104
        .size:           8
        .value_kind:     global_buffer
      - .offset:         112
        .size:           8
        .value_kind:     by_value
      - .offset:         120
        .size:           4
        .value_kind:     by_value
      - .offset:         128
        .size:           8
        .value_kind:     by_value
      - .offset:         136
        .size:           4
        .value_kind:     by_value
    .group_segment_fixed_size: 256
    .kernarg_segment_align: 8
    .kernarg_segment_size: 140
    .language:       OpenCL C
    .language_version:
      - 2
      - 0
    .max_flat_workgroup_size: 1024
    .name:           _ZL32rocblas_gemvt_warp_reduce_kernelILb0ELi1024EiPKDF16_fKPfEviiT3_lPKT2_lT1_lS7_lS8_lS4_lPT4_lS8_li
    .private_segment_fixed_size: 0
    .sgpr_count:     34
    .sgpr_spill_count: 0
    .symbol:         _ZL32rocblas_gemvt_warp_reduce_kernelILb0ELi1024EiPKDF16_fKPfEviiT3_lPKT2_lT1_lS7_lS8_lS4_lPT4_lS8_li.kd
    .uniform_work_group_size: 1
    .uses_dynamic_stack: false
    .vgpr_count:     12
    .vgpr_spill_count: 0
    .wavefront_size: 64
  - .agpr_count:     0
    .args:
      - .offset:         0
        .size:           4
        .value_kind:     by_value
      - .offset:         4
        .size:           4
        .value_kind:     by_value
      - .offset:         8
        .size:           4
        .value_kind:     by_value
      - .offset:         16
        .size:           8
        .value_kind:     by_value
      - .address_space:  global
        .offset:         24
        .size:           8
        .value_kind:     global_buffer
      - .offset:         32
        .size:           8
        .value_kind:     by_value
      - .offset:         40
        .size:           8
        .value_kind:     by_value
      - .offset:         48
        .size:           8
        .value_kind:     by_value
      - .address_space:  global
        .offset:         56
        .size:           8
        .value_kind:     global_buffer
      - .offset:         64
        .size:           8
        .value_kind:     by_value
      - .offset:         72
        .size:           8
        .value_kind:     by_value
      - .offset:         80
        .size:           8
        .value_kind:     by_value
      - .offset:         88
        .size:           4
        .value_kind:     by_value
      - .offset:         96
        .size:           8
        .value_kind:     by_value
      - .address_space:  global
        .offset:         104
        .size:           8
        .value_kind:     global_buffer
      - .offset:         112
        .size:           8
        .value_kind:     by_value
      - .offset:         120
        .size:           8
        .value_kind:     by_value
      - .offset:         128
        .size:           8
        .value_kind:     by_value
      - .offset:         136
        .size:           4
        .value_kind:     by_value
    .group_segment_fixed_size: 256
    .kernarg_segment_align: 8
    .kernarg_segment_size: 140
    .language:       OpenCL C
    .language_version:
      - 2
      - 0
    .max_flat_workgroup_size: 1024
    .name:           _ZL32rocblas_gemvt_warp_reduce_kernelILb0ELi1024ElPKDF16_fKPfEviiT3_lPKT2_lT1_lS7_lS8_lS4_lPT4_lS8_li
    .private_segment_fixed_size: 0
    .sgpr_count:     38
    .sgpr_spill_count: 0
    .symbol:         _ZL32rocblas_gemvt_warp_reduce_kernelILb0ELi1024ElPKDF16_fKPfEviiT3_lPKT2_lT1_lS7_lS8_lS4_lPT4_lS8_li.kd
    .uniform_work_group_size: 1
    .uses_dynamic_stack: false
    .vgpr_count:     11
    .vgpr_spill_count: 0
    .wavefront_size: 64
  - .agpr_count:     0
    .args:
      - .offset:         0
        .size:           4
        .value_kind:     by_value
      - .offset:         4
        .size:           4
        .value_kind:     by_value
      - .address_space:  global
        .offset:         8
        .size:           8
        .value_kind:     global_buffer
      - .offset:         16
        .size:           8
        .value_kind:     by_value
      - .address_space:  global
        .offset:         24
        .size:           8
        .value_kind:     global_buffer
      - .offset:         32
        .size:           8
        .value_kind:     by_value
      - .offset:         40
        .size:           4
        .value_kind:     by_value
      - .offset:         48
        .size:           8
        .value_kind:     by_value
      - .address_space:  global
        .offset:         56
        .size:           8
        .value_kind:     global_buffer
      - .offset:         64
        .size:           8
        .value_kind:     by_value
      - .offset:         72
        .size:           4
        .value_kind:     by_value
      - .offset:         80
        .size:           8
        .value_kind:     by_value
      - .address_space:  global
        .offset:         88
        .size:           8
        .value_kind:     global_buffer
      - .offset:         96
        .size:           8
        .value_kind:     by_value
      - .address_space:  global
        .offset:         104
        .size:           8
        .value_kind:     global_buffer
      - .offset:         112
        .size:           8
        .value_kind:     by_value
      - .offset:         120
        .size:           4
        .value_kind:     by_value
      - .offset:         128
        .size:           8
        .value_kind:     by_value
    .group_segment_fixed_size: 256
    .kernarg_segment_align: 8
    .kernarg_segment_size: 136
    .language:       OpenCL C
    .language_version:
      - 2
      - 0
    .max_flat_workgroup_size: 256
    .name:           _ZL22rocblas_gemvtsm_kernelILb1ELi256EPKDF16_PKfKPfEviiT2_lPKT1_lilS9_lilS6_lPT3_lil
    .private_segment_fixed_size: 0
    .sgpr_count:     32
    .sgpr_spill_count: 0
    .symbol:         _ZL22rocblas_gemvtsm_kernelILb1ELi256EPKDF16_PKfKPfEviiT2_lPKT1_lilS9_lilS6_lPT3_lil.kd
    .uniform_work_group_size: 1
    .uses_dynamic_stack: false
    .vgpr_count:     20
    .vgpr_spill_count: 0
    .wavefront_size: 64
  - .agpr_count:     0
    .args:
      - .offset:         0
        .size:           4
        .value_kind:     by_value
      - .offset:         4
        .size:           4
        .value_kind:     by_value
      - .offset:         8
        .size:           4
        .value_kind:     by_value
      - .offset:         16
        .size:           8
        .value_kind:     by_value
      - .address_space:  global
        .offset:         24
        .size:           8
        .value_kind:     global_buffer
      - .offset:         32
        .size:           8
        .value_kind:     by_value
      - .offset:         40
        .size:           4
        .value_kind:     by_value
      - .offset:         48
        .size:           8
        .value_kind:     by_value
      - .address_space:  global
        .offset:         56
        .size:           8
        .value_kind:     global_buffer
      - .offset:         64
        .size:           8
        .value_kind:     by_value
      - .offset:         72
        .size:           4
        .value_kind:     by_value
      - .offset:         80
        .size:           8
        .value_kind:     by_value
      - .offset:         88
        .size:           4
        .value_kind:     by_value
      - .offset:         96
        .size:           8
        .value_kind:     by_value
      - .address_space:  global
        .offset:         104
        .size:           8
        .value_kind:     global_buffer
      - .offset:         112
        .size:           8
        .value_kind:     by_value
      - .offset:         120
        .size:           4
        .value_kind:     by_value
      - .offset:         128
        .size:           8
        .value_kind:     by_value
    .group_segment_fixed_size: 256
    .kernarg_segment_align: 8
    .kernarg_segment_size: 136
    .language:       OpenCL C
    .language_version:
      - 2
      - 0
    .max_flat_workgroup_size: 256
    .name:           _ZL22rocblas_gemvtsm_kernelILb1ELi256EPKDF16_fKPfEviiT2_lPKT1_lilS7_lilS4_lPT3_lil
    .private_segment_fixed_size: 0
    .sgpr_count:     32
    .sgpr_spill_count: 0
    .symbol:         _ZL22rocblas_gemvtsm_kernelILb1ELi256EPKDF16_fKPfEviiT2_lPKT1_lilS7_lilS4_lPT3_lil.kd
    .uniform_work_group_size: 1
    .uses_dynamic_stack: false
    .vgpr_count:     20
    .vgpr_spill_count: 0
    .wavefront_size: 64
  - .agpr_count:     0
    .args:
      - .offset:         0
        .size:           4
        .value_kind:     by_value
      - .offset:         4
        .size:           4
        .value_kind:     by_value
      - .address_space:  global
        .offset:         8
        .size:           8
        .value_kind:     global_buffer
      - .offset:         16
        .size:           8
        .value_kind:     by_value
      - .address_space:  global
        .offset:         24
        .size:           8
        .value_kind:     global_buffer
      - .offset:         32
        .size:           8
        .value_kind:     by_value
      - .offset:         40
        .size:           4
        .value_kind:     by_value
      - .offset:         48
        .size:           8
        .value_kind:     by_value
      - .address_space:  global
        .offset:         56
        .size:           8
        .value_kind:     global_buffer
      - .offset:         64
        .size:           8
        .value_kind:     by_value
      - .offset:         72
        .size:           4
        .value_kind:     by_value
      - .offset:         80
        .size:           8
        .value_kind:     by_value
      - .address_space:  global
        .offset:         88
        .size:           8
        .value_kind:     global_buffer
      - .offset:         96
        .size:           8
        .value_kind:     by_value
      - .address_space:  global
        .offset:         104
        .size:           8
        .value_kind:     global_buffer
      - .offset:         112
        .size:           8
        .value_kind:     by_value
      - .offset:         120
        .size:           4
        .value_kind:     by_value
      - .offset:         128
        .size:           8
        .value_kind:     by_value
      - .offset:         136
        .size:           4
        .value_kind:     by_value
    .group_segment_fixed_size: 1024
    .kernarg_segment_align: 8
    .kernarg_segment_size: 140
    .language:       OpenCL C
    .language_version:
      - 2
      - 0
    .max_flat_workgroup_size: 256
    .name:           _ZL20rocblas_gemvt_kernelILb1ELi256EPKDF16_PKfKPfEviiT2_lPKT1_lilS9_lilS6_lPT3_lili
    .private_segment_fixed_size: 0
    .sgpr_count:     29
    .sgpr_spill_count: 0
    .symbol:         _ZL20rocblas_gemvt_kernelILb1ELi256EPKDF16_PKfKPfEviiT2_lPKT1_lilS9_lilS6_lPT3_lili.kd
    .uniform_work_group_size: 1
    .uses_dynamic_stack: false
    .vgpr_count:     10
    .vgpr_spill_count: 0
    .wavefront_size: 64
  - .agpr_count:     0
    .args:
      - .offset:         0
        .size:           4
        .value_kind:     by_value
      - .offset:         4
        .size:           4
        .value_kind:     by_value
      - .offset:         8
        .size:           4
        .value_kind:     by_value
      - .offset:         16
        .size:           8
        .value_kind:     by_value
      - .address_space:  global
        .offset:         24
        .size:           8
        .value_kind:     global_buffer
      - .offset:         32
        .size:           8
        .value_kind:     by_value
      - .offset:         40
        .size:           4
        .value_kind:     by_value
      - .offset:         48
        .size:           8
        .value_kind:     by_value
      - .address_space:  global
        .offset:         56
        .size:           8
        .value_kind:     global_buffer
      - .offset:         64
        .size:           8
        .value_kind:     by_value
      - .offset:         72
        .size:           4
        .value_kind:     by_value
      - .offset:         80
        .size:           8
        .value_kind:     by_value
      - .offset:         88
        .size:           4
        .value_kind:     by_value
      - .offset:         96
        .size:           8
        .value_kind:     by_value
      - .address_space:  global
        .offset:         104
        .size:           8
        .value_kind:     global_buffer
      - .offset:         112
        .size:           8
        .value_kind:     by_value
      - .offset:         120
        .size:           4
        .value_kind:     by_value
      - .offset:         128
        .size:           8
        .value_kind:     by_value
      - .offset:         136
        .size:           4
        .value_kind:     by_value
    .group_segment_fixed_size: 1024
    .kernarg_segment_align: 8
    .kernarg_segment_size: 140
    .language:       OpenCL C
    .language_version:
      - 2
      - 0
    .max_flat_workgroup_size: 256
    .name:           _ZL20rocblas_gemvt_kernelILb1ELi256EPKDF16_fKPfEviiT2_lPKT1_lilS7_lilS4_lPT3_lili
    .private_segment_fixed_size: 0
    .sgpr_count:     34
    .sgpr_spill_count: 0
    .symbol:         _ZL20rocblas_gemvt_kernelILb1ELi256EPKDF16_fKPfEviiT2_lPKT1_lilS7_lilS4_lPT3_lili.kd
    .uniform_work_group_size: 1
    .uses_dynamic_stack: false
    .vgpr_count:     10
    .vgpr_spill_count: 0
    .wavefront_size: 64
  - .agpr_count:     0
    .args:
      - .offset:         0
        .size:           4
        .value_kind:     by_value
      - .offset:         4
        .size:           4
        .value_kind:     by_value
      - .address_space:  global
        .offset:         8
        .size:           8
        .value_kind:     global_buffer
      - .offset:         16
        .size:           8
        .value_kind:     by_value
      - .address_space:  global
        .offset:         24
        .size:           8
        .value_kind:     global_buffer
      - .offset:         32
        .size:           8
        .value_kind:     by_value
      - .offset:         40
        .size:           4
        .value_kind:     by_value
      - .offset:         48
        .size:           8
        .value_kind:     by_value
      - .address_space:  global
        .offset:         56
        .size:           8
        .value_kind:     global_buffer
      - .offset:         64
        .size:           8
        .value_kind:     by_value
      - .offset:         72
        .size:           4
        .value_kind:     by_value
      - .offset:         80
        .size:           8
        .value_kind:     by_value
      - .address_space:  global
        .offset:         88
        .size:           8
        .value_kind:     global_buffer
      - .offset:         96
        .size:           8
        .value_kind:     by_value
      - .address_space:  global
        .offset:         104
        .size:           8
        .value_kind:     global_buffer
      - .offset:         112
        .size:           8
        .value_kind:     by_value
      - .offset:         120
        .size:           4
        .value_kind:     by_value
      - .offset:         128
        .size:           8
        .value_kind:     by_value
      - .offset:         136
        .size:           4
        .value_kind:     by_value
    .group_segment_fixed_size: 256
    .kernarg_segment_align: 8
    .kernarg_segment_size: 140
    .language:       OpenCL C
    .language_version:
      - 2
      - 0
    .max_flat_workgroup_size: 1024
    .name:           _ZL32rocblas_gemvt_warp_reduce_kernelILb1ELi1024EiPKDF16_PKfKPfEviiT3_lPKT2_lT1_lS9_lSA_lS6_lPT4_lSA_li
    .private_segment_fixed_size: 0
    .sgpr_count:     29
    .sgpr_spill_count: 0
    .symbol:         _ZL32rocblas_gemvt_warp_reduce_kernelILb1ELi1024EiPKDF16_PKfKPfEviiT3_lPKT2_lT1_lS9_lSA_lS6_lPT4_lSA_li.kd
    .uniform_work_group_size: 1
    .uses_dynamic_stack: false
    .vgpr_count:     12
    .vgpr_spill_count: 0
    .wavefront_size: 64
  - .agpr_count:     0
    .args:
      - .offset:         0
        .size:           4
        .value_kind:     by_value
      - .offset:         4
        .size:           4
        .value_kind:     by_value
      - .address_space:  global
        .offset:         8
        .size:           8
        .value_kind:     global_buffer
      - .offset:         16
        .size:           8
        .value_kind:     by_value
      - .address_space:  global
        .offset:         24
        .size:           8
        .value_kind:     global_buffer
      - .offset:         32
        .size:           8
        .value_kind:     by_value
      - .offset:         40
        .size:           8
        .value_kind:     by_value
      - .offset:         48
        .size:           8
        .value_kind:     by_value
      - .address_space:  global
        .offset:         56
        .size:           8
        .value_kind:     global_buffer
      - .offset:         64
        .size:           8
        .value_kind:     by_value
      - .offset:         72
        .size:           8
        .value_kind:     by_value
      - .offset:         80
        .size:           8
        .value_kind:     by_value
      - .address_space:  global
        .offset:         88
        .size:           8
        .value_kind:     global_buffer
      - .offset:         96
        .size:           8
        .value_kind:     by_value
      - .address_space:  global
        .offset:         104
        .size:           8
        .value_kind:     global_buffer
      - .offset:         112
        .size:           8
        .value_kind:     by_value
      - .offset:         120
        .size:           8
        .value_kind:     by_value
      - .offset:         128
        .size:           8
        .value_kind:     by_value
      - .offset:         136
        .size:           4
        .value_kind:     by_value
    .group_segment_fixed_size: 256
    .kernarg_segment_align: 8
    .kernarg_segment_size: 140
    .language:       OpenCL C
    .language_version:
      - 2
      - 0
    .max_flat_workgroup_size: 1024
    .name:           _ZL32rocblas_gemvt_warp_reduce_kernelILb1ELi1024ElPKDF16_PKfKPfEviiT3_lPKT2_lT1_lS9_lSA_lS6_lPT4_lSA_li
    .private_segment_fixed_size: 0
    .sgpr_count:     37
    .sgpr_spill_count: 0
    .symbol:         _ZL32rocblas_gemvt_warp_reduce_kernelILb1ELi1024ElPKDF16_PKfKPfEviiT3_lPKT2_lT1_lS9_lSA_lS6_lPT4_lSA_li.kd
    .uniform_work_group_size: 1
    .uses_dynamic_stack: false
    .vgpr_count:     11
    .vgpr_spill_count: 0
    .wavefront_size: 64
  - .agpr_count:     0
    .args:
      - .offset:         0
        .size:           4
        .value_kind:     by_value
      - .offset:         4
        .size:           4
        .value_kind:     by_value
      - .offset:         8
        .size:           4
        .value_kind:     by_value
      - .offset:         16
        .size:           8
        .value_kind:     by_value
      - .address_space:  global
        .offset:         24
        .size:           8
        .value_kind:     global_buffer
      - .offset:         32
        .size:           8
        .value_kind:     by_value
      - .offset:         40
        .size:           4
        .value_kind:     by_value
      - .offset:         48
        .size:           8
        .value_kind:     by_value
      - .address_space:  global
        .offset:         56
        .size:           8
        .value_kind:     global_buffer
      - .offset:         64
        .size:           8
        .value_kind:     by_value
      - .offset:         72
        .size:           4
        .value_kind:     by_value
      - .offset:         80
        .size:           8
        .value_kind:     by_value
      - .offset:         88
        .size:           4
        .value_kind:     by_value
      - .offset:         96
        .size:           8
        .value_kind:     by_value
      - .address_space:  global
        .offset:         104
        .size:           8
        .value_kind:     global_buffer
      - .offset:         112
        .size:           8
        .value_kind:     by_value
      - .offset:         120
        .size:           4
        .value_kind:     by_value
      - .offset:         128
        .size:           8
        .value_kind:     by_value
      - .offset:         136
        .size:           4
        .value_kind:     by_value
    .group_segment_fixed_size: 256
    .kernarg_segment_align: 8
    .kernarg_segment_size: 140
    .language:       OpenCL C
    .language_version:
      - 2
      - 0
    .max_flat_workgroup_size: 1024
    .name:           _ZL32rocblas_gemvt_warp_reduce_kernelILb1ELi1024EiPKDF16_fKPfEviiT3_lPKT2_lT1_lS7_lS8_lS4_lPT4_lS8_li
    .private_segment_fixed_size: 0
    .sgpr_count:     34
    .sgpr_spill_count: 0
    .symbol:         _ZL32rocblas_gemvt_warp_reduce_kernelILb1ELi1024EiPKDF16_fKPfEviiT3_lPKT2_lT1_lS7_lS8_lS4_lPT4_lS8_li.kd
    .uniform_work_group_size: 1
    .uses_dynamic_stack: false
    .vgpr_count:     12
    .vgpr_spill_count: 0
    .wavefront_size: 64
  - .agpr_count:     0
    .args:
      - .offset:         0
        .size:           4
        .value_kind:     by_value
      - .offset:         4
        .size:           4
        .value_kind:     by_value
      - .offset:         8
        .size:           4
        .value_kind:     by_value
      - .offset:         16
        .size:           8
        .value_kind:     by_value
      - .address_space:  global
        .offset:         24
        .size:           8
        .value_kind:     global_buffer
      - .offset:         32
        .size:           8
        .value_kind:     by_value
      - .offset:         40
        .size:           8
        .value_kind:     by_value
      - .offset:         48
        .size:           8
        .value_kind:     by_value
      - .address_space:  global
        .offset:         56
        .size:           8
        .value_kind:     global_buffer
      - .offset:         64
        .size:           8
        .value_kind:     by_value
      - .offset:         72
        .size:           8
        .value_kind:     by_value
      - .offset:         80
        .size:           8
        .value_kind:     by_value
      - .offset:         88
        .size:           4
        .value_kind:     by_value
      - .offset:         96
        .size:           8
        .value_kind:     by_value
      - .address_space:  global
        .offset:         104
        .size:           8
        .value_kind:     global_buffer
      - .offset:         112
        .size:           8
        .value_kind:     by_value
      - .offset:         120
        .size:           8
        .value_kind:     by_value
      - .offset:         128
        .size:           8
        .value_kind:     by_value
      - .offset:         136
        .size:           4
        .value_kind:     by_value
    .group_segment_fixed_size: 256
    .kernarg_segment_align: 8
    .kernarg_segment_size: 140
    .language:       OpenCL C
    .language_version:
      - 2
      - 0
    .max_flat_workgroup_size: 1024
    .name:           _ZL32rocblas_gemvt_warp_reduce_kernelILb1ELi1024ElPKDF16_fKPfEviiT3_lPKT2_lT1_lS7_lS8_lS4_lPT4_lS8_li
    .private_segment_fixed_size: 0
    .sgpr_count:     38
    .sgpr_spill_count: 0
    .symbol:         _ZL32rocblas_gemvt_warp_reduce_kernelILb1ELi1024ElPKDF16_fKPfEviiT3_lPKT2_lT1_lS7_lS8_lS4_lPT4_lS8_li.kd
    .uniform_work_group_size: 1
    .uses_dynamic_stack: false
    .vgpr_count:     11
    .vgpr_spill_count: 0
    .wavefront_size: 64
  - .agpr_count:     0
    .args:
      - .offset:         0
        .size:           4
        .value_kind:     by_value
      - .offset:         4
        .size:           4
        .value_kind:     by_value
      - .address_space:  global
        .offset:         8
        .size:           8
        .value_kind:     global_buffer
      - .offset:         16
        .size:           8
        .value_kind:     by_value
      - .address_space:  global
        .offset:         24
        .size:           8
        .value_kind:     global_buffer
      - .offset:         32
        .size:           8
        .value_kind:     by_value
      - .offset:         40
        .size:           4
        .value_kind:     by_value
      - .offset:         48
        .size:           8
        .value_kind:     by_value
      - .address_space:  global
        .offset:         56
        .size:           8
        .value_kind:     global_buffer
      - .offset:         64
        .size:           8
        .value_kind:     by_value
      - .offset:         72
        .size:           4
        .value_kind:     by_value
      - .offset:         80
        .size:           8
        .value_kind:     by_value
      - .address_space:  global
        .offset:         88
        .size:           8
        .value_kind:     global_buffer
      - .offset:         96
        .size:           8
        .value_kind:     by_value
      - .address_space:  global
        .offset:         104
        .size:           8
        .value_kind:     global_buffer
      - .offset:         112
        .size:           8
        .value_kind:     by_value
      - .offset:         120
        .size:           4
        .value_kind:     by_value
      - .offset:         128
        .size:           8
        .value_kind:     by_value
      - .offset:         136
        .size:           4
        .value_kind:     by_value
      - .offset:         144
        .size:           4
        .value_kind:     hidden_block_count_x
      - .offset:         148
        .size:           4
        .value_kind:     hidden_block_count_y
      - .offset:         152
        .size:           4
        .value_kind:     hidden_block_count_z
      - .offset:         156
        .size:           2
        .value_kind:     hidden_group_size_x
      - .offset:         158
        .size:           2
        .value_kind:     hidden_group_size_y
      - .offset:         160
        .size:           2
        .value_kind:     hidden_group_size_z
      - .offset:         162
        .size:           2
        .value_kind:     hidden_remainder_x
      - .offset:         164
        .size:           2
        .value_kind:     hidden_remainder_y
      - .offset:         166
        .size:           2
        .value_kind:     hidden_remainder_z
      - .offset:         184
        .size:           8
        .value_kind:     hidden_global_offset_x
      - .offset:         192
        .size:           8
        .value_kind:     hidden_global_offset_y
      - .offset:         200
        .size:           8
        .value_kind:     hidden_global_offset_z
      - .offset:         208
        .size:           2
        .value_kind:     hidden_grid_dims
    .group_segment_fixed_size: 3072
    .kernarg_segment_align: 8
    .kernarg_segment_size: 400
    .language:       OpenCL C
    .language_version:
      - 2
      - 0
    .max_flat_workgroup_size: 768
    .name:           _ZL34rocblas_gemvn_sm_mn_batched_kernelILi32ELi24E16rocblas_bfloat16PKfS0_EviiT2_lPKT1_lilS6_lilS3_lPT3_lili
    .private_segment_fixed_size: 0
    .sgpr_count:     76
    .sgpr_spill_count: 0
    .symbol:         _ZL34rocblas_gemvn_sm_mn_batched_kernelILi32ELi24E16rocblas_bfloat16PKfS0_EviiT2_lPKT1_lilS6_lilS3_lPT3_lili.kd
    .uniform_work_group_size: 1
    .uses_dynamic_stack: false
    .vgpr_count:     40
    .vgpr_spill_count: 0
    .wavefront_size: 64
  - .agpr_count:     0
    .args:
      - .offset:         0
        .size:           4
        .value_kind:     by_value
      - .offset:         4
        .size:           4
        .value_kind:     by_value
      - .offset:         8
        .size:           4
        .value_kind:     by_value
      - .offset:         16
        .size:           8
        .value_kind:     by_value
      - .address_space:  global
        .offset:         24
        .size:           8
        .value_kind:     global_buffer
      - .offset:         32
        .size:           8
        .value_kind:     by_value
      - .offset:         40
        .size:           4
        .value_kind:     by_value
      - .offset:         48
        .size:           8
        .value_kind:     by_value
      - .address_space:  global
        .offset:         56
        .size:           8
        .value_kind:     global_buffer
      - .offset:         64
        .size:           8
        .value_kind:     by_value
      - .offset:         72
        .size:           4
        .value_kind:     by_value
      - .offset:         80
        .size:           8
        .value_kind:     by_value
      - .offset:         88
        .size:           4
        .value_kind:     by_value
      - .offset:         96
        .size:           8
        .value_kind:     by_value
      - .address_space:  global
        .offset:         104
        .size:           8
        .value_kind:     global_buffer
      - .offset:         112
        .size:           8
        .value_kind:     by_value
      - .offset:         120
        .size:           4
        .value_kind:     by_value
      - .offset:         128
        .size:           8
        .value_kind:     by_value
      - .offset:         136
        .size:           4
        .value_kind:     by_value
      - .offset:         144
        .size:           4
        .value_kind:     hidden_block_count_x
      - .offset:         148
        .size:           4
        .value_kind:     hidden_block_count_y
      - .offset:         152
        .size:           4
        .value_kind:     hidden_block_count_z
      - .offset:         156
        .size:           2
        .value_kind:     hidden_group_size_x
      - .offset:         158
        .size:           2
        .value_kind:     hidden_group_size_y
      - .offset:         160
        .size:           2
        .value_kind:     hidden_group_size_z
      - .offset:         162
        .size:           2
        .value_kind:     hidden_remainder_x
      - .offset:         164
        .size:           2
        .value_kind:     hidden_remainder_y
      - .offset:         166
        .size:           2
        .value_kind:     hidden_remainder_z
      - .offset:         184
        .size:           8
        .value_kind:     hidden_global_offset_x
      - .offset:         192
        .size:           8
        .value_kind:     hidden_global_offset_y
      - .offset:         200
        .size:           8
        .value_kind:     hidden_global_offset_z
      - .offset:         208
        .size:           2
        .value_kind:     hidden_grid_dims
    .group_segment_fixed_size: 3072
    .kernarg_segment_align: 8
    .kernarg_segment_size: 400
    .language:       OpenCL C
    .language_version:
      - 2
      - 0
    .max_flat_workgroup_size: 768
    .name:           _ZL34rocblas_gemvn_sm_mn_batched_kernelILi32ELi24E16rocblas_bfloat16fS0_EviiT2_lPKT1_lilS4_lilS1_lPT3_lili
    .private_segment_fixed_size: 0
    .sgpr_count:     76
    .sgpr_spill_count: 0
    .symbol:         _ZL34rocblas_gemvn_sm_mn_batched_kernelILi32ELi24E16rocblas_bfloat16fS0_EviiT2_lPKT1_lilS4_lilS1_lPT3_lili.kd
    .uniform_work_group_size: 1
    .uses_dynamic_stack: false
    .vgpr_count:     40
    .vgpr_spill_count: 0
    .wavefront_size: 64
  - .agpr_count:     0
    .args:
      - .offset:         0
        .size:           4
        .value_kind:     by_value
      - .offset:         4
        .size:           4
        .value_kind:     by_value
      - .address_space:  global
        .offset:         8
        .size:           8
        .value_kind:     global_buffer
      - .offset:         16
        .size:           8
        .value_kind:     by_value
      - .address_space:  global
        .offset:         24
        .size:           8
        .value_kind:     global_buffer
      - .offset:         32
        .size:           8
        .value_kind:     by_value
      - .offset:         40
        .size:           4
        .value_kind:     by_value
      - .offset:         48
        .size:           8
        .value_kind:     by_value
      - .address_space:  global
        .offset:         56
        .size:           8
        .value_kind:     global_buffer
      - .offset:         64
        .size:           8
        .value_kind:     by_value
      - .offset:         72
        .size:           4
        .value_kind:     by_value
      - .offset:         80
        .size:           8
        .value_kind:     by_value
      - .address_space:  global
        .offset:         88
        .size:           8
        .value_kind:     global_buffer
      - .offset:         96
        .size:           8
        .value_kind:     by_value
      - .address_space:  global
        .offset:         104
        .size:           8
        .value_kind:     global_buffer
      - .offset:         112
        .size:           8
        .value_kind:     by_value
      - .offset:         120
        .size:           4
        .value_kind:     by_value
      - .offset:         128
        .size:           8
        .value_kind:     by_value
      - .offset:         136
        .size:           4
        .value_kind:     by_value
      - .offset:         144
        .size:           4
        .value_kind:     hidden_block_count_x
      - .offset:         148
        .size:           4
        .value_kind:     hidden_block_count_y
      - .offset:         152
        .size:           4
        .value_kind:     hidden_block_count_z
      - .offset:         156
        .size:           2
        .value_kind:     hidden_group_size_x
      - .offset:         158
        .size:           2
        .value_kind:     hidden_group_size_y
      - .offset:         160
        .size:           2
        .value_kind:     hidden_group_size_z
      - .offset:         162
        .size:           2
        .value_kind:     hidden_remainder_x
      - .offset:         164
        .size:           2
        .value_kind:     hidden_remainder_y
      - .offset:         166
        .size:           2
        .value_kind:     hidden_remainder_z
      - .offset:         184
        .size:           8
        .value_kind:     hidden_global_offset_x
      - .offset:         192
        .size:           8
        .value_kind:     hidden_global_offset_y
      - .offset:         200
        .size:           8
        .value_kind:     hidden_global_offset_z
      - .offset:         208
        .size:           2
        .value_kind:     hidden_grid_dims
    .group_segment_fixed_size: 4096
    .kernarg_segment_align: 8
    .kernarg_segment_size: 400
    .language:       OpenCL C
    .language_version:
      - 2
      - 0
    .max_flat_workgroup_size: 256
    .name:           _ZL20rocblas_gemvn_kernelILi64ELi4Ei16rocblas_bfloat16PKfS0_EviiT3_lPKT2_lT1_lS6_lS7_lS3_lPT4_lS7_li
    .private_segment_fixed_size: 0
    .sgpr_count:     45
    .sgpr_spill_count: 0
    .symbol:         _ZL20rocblas_gemvn_kernelILi64ELi4Ei16rocblas_bfloat16PKfS0_EviiT3_lPKT2_lT1_lS6_lS7_lS3_lPT4_lS7_li.kd
    .uniform_work_group_size: 1
    .uses_dynamic_stack: false
    .vgpr_count:     45
    .vgpr_spill_count: 0
    .wavefront_size: 64
  - .agpr_count:     0
    .args:
      - .offset:         0
        .size:           4
        .value_kind:     by_value
      - .offset:         4
        .size:           4
        .value_kind:     by_value
      - .address_space:  global
        .offset:         8
        .size:           8
        .value_kind:     global_buffer
      - .offset:         16
        .size:           8
        .value_kind:     by_value
      - .address_space:  global
        .offset:         24
        .size:           8
        .value_kind:     global_buffer
      - .offset:         32
        .size:           8
        .value_kind:     by_value
      - .offset:         40
        .size:           8
        .value_kind:     by_value
      - .offset:         48
        .size:           8
        .value_kind:     by_value
      - .address_space:  global
        .offset:         56
        .size:           8
        .value_kind:     global_buffer
      - .offset:         64
        .size:           8
        .value_kind:     by_value
      - .offset:         72
        .size:           8
        .value_kind:     by_value
      - .offset:         80
        .size:           8
        .value_kind:     by_value
      - .address_space:  global
        .offset:         88
        .size:           8
        .value_kind:     global_buffer
      - .offset:         96
        .size:           8
        .value_kind:     by_value
      - .address_space:  global
        .offset:         104
        .size:           8
        .value_kind:     global_buffer
      - .offset:         112
        .size:           8
        .value_kind:     by_value
      - .offset:         120
        .size:           8
        .value_kind:     by_value
      - .offset:         128
        .size:           8
        .value_kind:     by_value
      - .offset:         136
        .size:           4
        .value_kind:     by_value
      - .offset:         144
        .size:           4
        .value_kind:     hidden_block_count_x
      - .offset:         148
        .size:           4
        .value_kind:     hidden_block_count_y
      - .offset:         152
        .size:           4
        .value_kind:     hidden_block_count_z
      - .offset:         156
        .size:           2
        .value_kind:     hidden_group_size_x
      - .offset:         158
        .size:           2
        .value_kind:     hidden_group_size_y
      - .offset:         160
        .size:           2
        .value_kind:     hidden_group_size_z
      - .offset:         162
        .size:           2
        .value_kind:     hidden_remainder_x
      - .offset:         164
        .size:           2
        .value_kind:     hidden_remainder_y
      - .offset:         166
        .size:           2
        .value_kind:     hidden_remainder_z
      - .offset:         184
        .size:           8
        .value_kind:     hidden_global_offset_x
      - .offset:         192
        .size:           8
        .value_kind:     hidden_global_offset_y
      - .offset:         200
        .size:           8
        .value_kind:     hidden_global_offset_z
      - .offset:         208
        .size:           2
        .value_kind:     hidden_grid_dims
    .group_segment_fixed_size: 4096
    .kernarg_segment_align: 8
    .kernarg_segment_size: 400
    .language:       OpenCL C
    .language_version:
      - 2
      - 0
    .max_flat_workgroup_size: 256
    .name:           _ZL20rocblas_gemvn_kernelILi64ELi4El16rocblas_bfloat16PKfS0_EviiT3_lPKT2_lT1_lS6_lS7_lS3_lPT4_lS7_li
    .private_segment_fixed_size: 0
    .sgpr_count:     59
    .sgpr_spill_count: 0
    .symbol:         _ZL20rocblas_gemvn_kernelILi64ELi4El16rocblas_bfloat16PKfS0_EviiT3_lPKT2_lT1_lS6_lS7_lS3_lPT4_lS7_li.kd
    .uniform_work_group_size: 1
    .uses_dynamic_stack: false
    .vgpr_count:     51
    .vgpr_spill_count: 0
    .wavefront_size: 64
  - .agpr_count:     0
    .args:
      - .offset:         0
        .size:           4
        .value_kind:     by_value
      - .offset:         4
        .size:           4
        .value_kind:     by_value
      - .offset:         8
        .size:           4
        .value_kind:     by_value
      - .offset:         16
        .size:           8
        .value_kind:     by_value
      - .address_space:  global
        .offset:         24
        .size:           8
        .value_kind:     global_buffer
      - .offset:         32
        .size:           8
        .value_kind:     by_value
      - .offset:         40
        .size:           4
        .value_kind:     by_value
      - .offset:         48
        .size:           8
        .value_kind:     by_value
      - .address_space:  global
        .offset:         56
        .size:           8
        .value_kind:     global_buffer
      - .offset:         64
        .size:           8
        .value_kind:     by_value
      - .offset:         72
        .size:           4
        .value_kind:     by_value
      - .offset:         80
        .size:           8
        .value_kind:     by_value
      - .offset:         88
        .size:           4
        .value_kind:     by_value
      - .offset:         96
        .size:           8
        .value_kind:     by_value
      - .address_space:  global
        .offset:         104
        .size:           8
        .value_kind:     global_buffer
      - .offset:         112
        .size:           8
        .value_kind:     by_value
      - .offset:         120
        .size:           4
        .value_kind:     by_value
      - .offset:         128
        .size:           8
        .value_kind:     by_value
      - .offset:         136
        .size:           4
        .value_kind:     by_value
      - .offset:         144
        .size:           4
        .value_kind:     hidden_block_count_x
      - .offset:         148
        .size:           4
        .value_kind:     hidden_block_count_y
      - .offset:         152
        .size:           4
        .value_kind:     hidden_block_count_z
      - .offset:         156
        .size:           2
        .value_kind:     hidden_group_size_x
      - .offset:         158
        .size:           2
        .value_kind:     hidden_group_size_y
      - .offset:         160
        .size:           2
        .value_kind:     hidden_group_size_z
      - .offset:         162
        .size:           2
        .value_kind:     hidden_remainder_x
      - .offset:         164
        .size:           2
        .value_kind:     hidden_remainder_y
      - .offset:         166
        .size:           2
        .value_kind:     hidden_remainder_z
      - .offset:         184
        .size:           8
        .value_kind:     hidden_global_offset_x
      - .offset:         192
        .size:           8
        .value_kind:     hidden_global_offset_y
      - .offset:         200
        .size:           8
        .value_kind:     hidden_global_offset_z
      - .offset:         208
        .size:           2
        .value_kind:     hidden_grid_dims
    .group_segment_fixed_size: 4096
    .kernarg_segment_align: 8
    .kernarg_segment_size: 400
    .language:       OpenCL C
    .language_version:
      - 2
      - 0
    .max_flat_workgroup_size: 256
    .name:           _ZL20rocblas_gemvn_kernelILi64ELi4Ei16rocblas_bfloat16fS0_EviiT3_lPKT2_lT1_lS4_lS5_lS1_lPT4_lS5_li
    .private_segment_fixed_size: 0
    .sgpr_count:     45
    .sgpr_spill_count: 0
    .symbol:         _ZL20rocblas_gemvn_kernelILi64ELi4Ei16rocblas_bfloat16fS0_EviiT3_lPKT2_lT1_lS4_lS5_lS1_lPT4_lS5_li.kd
    .uniform_work_group_size: 1
    .uses_dynamic_stack: false
    .vgpr_count:     45
    .vgpr_spill_count: 0
    .wavefront_size: 64
  - .agpr_count:     0
    .args:
      - .offset:         0
        .size:           4
        .value_kind:     by_value
      - .offset:         4
        .size:           4
        .value_kind:     by_value
      - .offset:         8
        .size:           4
        .value_kind:     by_value
      - .offset:         16
        .size:           8
        .value_kind:     by_value
      - .address_space:  global
        .offset:         24
        .size:           8
        .value_kind:     global_buffer
      - .offset:         32
        .size:           8
        .value_kind:     by_value
      - .offset:         40
        .size:           8
        .value_kind:     by_value
      - .offset:         48
        .size:           8
        .value_kind:     by_value
      - .address_space:  global
        .offset:         56
        .size:           8
        .value_kind:     global_buffer
      - .offset:         64
        .size:           8
        .value_kind:     by_value
      - .offset:         72
        .size:           8
        .value_kind:     by_value
      - .offset:         80
        .size:           8
        .value_kind:     by_value
      - .offset:         88
        .size:           4
        .value_kind:     by_value
      - .offset:         96
        .size:           8
        .value_kind:     by_value
      - .address_space:  global
        .offset:         104
        .size:           8
        .value_kind:     global_buffer
      - .offset:         112
        .size:           8
        .value_kind:     by_value
      - .offset:         120
        .size:           8
        .value_kind:     by_value
      - .offset:         128
        .size:           8
        .value_kind:     by_value
      - .offset:         136
        .size:           4
        .value_kind:     by_value
      - .offset:         144
        .size:           4
        .value_kind:     hidden_block_count_x
      - .offset:         148
        .size:           4
        .value_kind:     hidden_block_count_y
      - .offset:         152
        .size:           4
        .value_kind:     hidden_block_count_z
      - .offset:         156
        .size:           2
        .value_kind:     hidden_group_size_x
      - .offset:         158
        .size:           2
        .value_kind:     hidden_group_size_y
      - .offset:         160
        .size:           2
        .value_kind:     hidden_group_size_z
      - .offset:         162
        .size:           2
        .value_kind:     hidden_remainder_x
      - .offset:         164
        .size:           2
        .value_kind:     hidden_remainder_y
      - .offset:         166
        .size:           2
        .value_kind:     hidden_remainder_z
      - .offset:         184
        .size:           8
        .value_kind:     hidden_global_offset_x
      - .offset:         192
        .size:           8
        .value_kind:     hidden_global_offset_y
      - .offset:         200
        .size:           8
        .value_kind:     hidden_global_offset_z
      - .offset:         208
        .size:           2
        .value_kind:     hidden_grid_dims
    .group_segment_fixed_size: 4096
    .kernarg_segment_align: 8
    .kernarg_segment_size: 400
    .language:       OpenCL C
    .language_version:
      - 2
      - 0
    .max_flat_workgroup_size: 256
    .name:           _ZL20rocblas_gemvn_kernelILi64ELi4El16rocblas_bfloat16fS0_EviiT3_lPKT2_lT1_lS4_lS5_lS1_lPT4_lS5_li
    .private_segment_fixed_size: 0
    .sgpr_count:     59
    .sgpr_spill_count: 0
    .symbol:         _ZL20rocblas_gemvn_kernelILi64ELi4El16rocblas_bfloat16fS0_EviiT3_lPKT2_lT1_lS4_lS5_lS1_lPT4_lS5_li.kd
    .uniform_work_group_size: 1
    .uses_dynamic_stack: false
    .vgpr_count:     51
    .vgpr_spill_count: 0
    .wavefront_size: 64
  - .agpr_count:     0
    .args:
      - .offset:         0
        .size:           4
        .value_kind:     by_value
      - .offset:         4
        .size:           4
        .value_kind:     by_value
      - .address_space:  global
        .offset:         8
        .size:           8
        .value_kind:     global_buffer
      - .offset:         16
        .size:           8
        .value_kind:     by_value
      - .address_space:  global
        .offset:         24
        .size:           8
        .value_kind:     global_buffer
      - .offset:         32
        .size:           8
        .value_kind:     by_value
      - .offset:         40
        .size:           4
        .value_kind:     by_value
      - .offset:         48
        .size:           8
        .value_kind:     by_value
      - .address_space:  global
        .offset:         56
        .size:           8
        .value_kind:     global_buffer
      - .offset:         64
        .size:           8
        .value_kind:     by_value
      - .offset:         72
        .size:           4
        .value_kind:     by_value
      - .offset:         80
        .size:           8
        .value_kind:     by_value
      - .address_space:  global
        .offset:         88
        .size:           8
        .value_kind:     global_buffer
      - .offset:         96
        .size:           8
        .value_kind:     by_value
      - .address_space:  global
        .offset:         104
        .size:           8
        .value_kind:     global_buffer
      - .offset:         112
        .size:           8
        .value_kind:     by_value
      - .offset:         120
        .size:           4
        .value_kind:     by_value
      - .offset:         128
        .size:           8
        .value_kind:     by_value
      - .offset:         136
        .size:           4
        .value_kind:     by_value
      - .offset:         144
        .size:           4
        .value_kind:     hidden_block_count_x
      - .offset:         148
        .size:           4
        .value_kind:     hidden_block_count_y
      - .offset:         152
        .size:           4
        .value_kind:     hidden_block_count_z
      - .offset:         156
        .size:           2
        .value_kind:     hidden_group_size_x
      - .offset:         158
        .size:           2
        .value_kind:     hidden_group_size_y
      - .offset:         160
        .size:           2
        .value_kind:     hidden_group_size_z
      - .offset:         162
        .size:           2
        .value_kind:     hidden_remainder_x
      - .offset:         164
        .size:           2
        .value_kind:     hidden_remainder_y
      - .offset:         166
        .size:           2
        .value_kind:     hidden_remainder_z
      - .offset:         184
        .size:           8
        .value_kind:     hidden_global_offset_x
      - .offset:         192
        .size:           8
        .value_kind:     hidden_global_offset_y
      - .offset:         200
        .size:           8
        .value_kind:     hidden_global_offset_z
      - .offset:         208
        .size:           2
        .value_kind:     hidden_grid_dims
    .group_segment_fixed_size: 8192
    .kernarg_segment_align: 8
    .kernarg_segment_size: 400
    .language:       OpenCL C
    .language_version:
      - 2
      - 0
    .max_flat_workgroup_size: 512
    .name:           _ZL20rocblas_gemvn_kernelILi32ELi16Ei16rocblas_bfloat16PKfS0_EviiT3_lPKT2_lT1_lS6_lS7_lS3_lPT4_lS7_li
    .private_segment_fixed_size: 0
    .sgpr_count:     45
    .sgpr_spill_count: 0
    .symbol:         _ZL20rocblas_gemvn_kernelILi32ELi16Ei16rocblas_bfloat16PKfS0_EviiT3_lPKT2_lT1_lS6_lS7_lS3_lPT4_lS7_li.kd
    .uniform_work_group_size: 1
    .uses_dynamic_stack: false
    .vgpr_count:     45
    .vgpr_spill_count: 0
    .wavefront_size: 64
  - .agpr_count:     0
    .args:
      - .offset:         0
        .size:           4
        .value_kind:     by_value
      - .offset:         4
        .size:           4
        .value_kind:     by_value
      - .address_space:  global
        .offset:         8
        .size:           8
        .value_kind:     global_buffer
      - .offset:         16
        .size:           8
        .value_kind:     by_value
      - .address_space:  global
        .offset:         24
        .size:           8
        .value_kind:     global_buffer
      - .offset:         32
        .size:           8
        .value_kind:     by_value
      - .offset:         40
        .size:           8
        .value_kind:     by_value
      - .offset:         48
        .size:           8
        .value_kind:     by_value
      - .address_space:  global
        .offset:         56
        .size:           8
        .value_kind:     global_buffer
      - .offset:         64
        .size:           8
        .value_kind:     by_value
      - .offset:         72
        .size:           8
        .value_kind:     by_value
      - .offset:         80
        .size:           8
        .value_kind:     by_value
      - .address_space:  global
        .offset:         88
        .size:           8
        .value_kind:     global_buffer
      - .offset:         96
        .size:           8
        .value_kind:     by_value
      - .address_space:  global
        .offset:         104
        .size:           8
        .value_kind:     global_buffer
      - .offset:         112
        .size:           8
        .value_kind:     by_value
      - .offset:         120
        .size:           8
        .value_kind:     by_value
      - .offset:         128
        .size:           8
        .value_kind:     by_value
      - .offset:         136
        .size:           4
        .value_kind:     by_value
      - .offset:         144
        .size:           4
        .value_kind:     hidden_block_count_x
      - .offset:         148
        .size:           4
        .value_kind:     hidden_block_count_y
      - .offset:         152
        .size:           4
        .value_kind:     hidden_block_count_z
      - .offset:         156
        .size:           2
        .value_kind:     hidden_group_size_x
      - .offset:         158
        .size:           2
        .value_kind:     hidden_group_size_y
      - .offset:         160
        .size:           2
        .value_kind:     hidden_group_size_z
      - .offset:         162
        .size:           2
        .value_kind:     hidden_remainder_x
      - .offset:         164
        .size:           2
        .value_kind:     hidden_remainder_y
      - .offset:         166
        .size:           2
        .value_kind:     hidden_remainder_z
      - .offset:         184
        .size:           8
        .value_kind:     hidden_global_offset_x
      - .offset:         192
        .size:           8
        .value_kind:     hidden_global_offset_y
      - .offset:         200
        .size:           8
        .value_kind:     hidden_global_offset_z
      - .offset:         208
        .size:           2
        .value_kind:     hidden_grid_dims
    .group_segment_fixed_size: 8192
    .kernarg_segment_align: 8
    .kernarg_segment_size: 400
    .language:       OpenCL C
    .language_version:
      - 2
      - 0
    .max_flat_workgroup_size: 512
    .name:           _ZL20rocblas_gemvn_kernelILi32ELi16El16rocblas_bfloat16PKfS0_EviiT3_lPKT2_lT1_lS6_lS7_lS3_lPT4_lS7_li
    .private_segment_fixed_size: 0
    .sgpr_count:     59
    .sgpr_spill_count: 0
    .symbol:         _ZL20rocblas_gemvn_kernelILi32ELi16El16rocblas_bfloat16PKfS0_EviiT3_lPKT2_lT1_lS6_lS7_lS3_lPT4_lS7_li.kd
    .uniform_work_group_size: 1
    .uses_dynamic_stack: false
    .vgpr_count:     51
    .vgpr_spill_count: 0
    .wavefront_size: 64
  - .agpr_count:     0
    .args:
      - .offset:         0
        .size:           4
        .value_kind:     by_value
      - .offset:         4
        .size:           4
        .value_kind:     by_value
      - .offset:         8
        .size:           4
        .value_kind:     by_value
      - .offset:         16
        .size:           8
        .value_kind:     by_value
      - .address_space:  global
        .offset:         24
        .size:           8
        .value_kind:     global_buffer
      - .offset:         32
        .size:           8
        .value_kind:     by_value
      - .offset:         40
        .size:           4
        .value_kind:     by_value
      - .offset:         48
        .size:           8
        .value_kind:     by_value
      - .address_space:  global
        .offset:         56
        .size:           8
        .value_kind:     global_buffer
      - .offset:         64
        .size:           8
        .value_kind:     by_value
      - .offset:         72
        .size:           4
        .value_kind:     by_value
      - .offset:         80
        .size:           8
        .value_kind:     by_value
      - .offset:         88
        .size:           4
        .value_kind:     by_value
      - .offset:         96
        .size:           8
        .value_kind:     by_value
      - .address_space:  global
        .offset:         104
        .size:           8
        .value_kind:     global_buffer
      - .offset:         112
        .size:           8
        .value_kind:     by_value
      - .offset:         120
        .size:           4
        .value_kind:     by_value
      - .offset:         128
        .size:           8
        .value_kind:     by_value
      - .offset:         136
        .size:           4
        .value_kind:     by_value
      - .offset:         144
        .size:           4
        .value_kind:     hidden_block_count_x
      - .offset:         148
        .size:           4
        .value_kind:     hidden_block_count_y
      - .offset:         152
        .size:           4
        .value_kind:     hidden_block_count_z
      - .offset:         156
        .size:           2
        .value_kind:     hidden_group_size_x
      - .offset:         158
        .size:           2
        .value_kind:     hidden_group_size_y
      - .offset:         160
        .size:           2
        .value_kind:     hidden_group_size_z
      - .offset:         162
        .size:           2
        .value_kind:     hidden_remainder_x
      - .offset:         164
        .size:           2
        .value_kind:     hidden_remainder_y
      - .offset:         166
        .size:           2
        .value_kind:     hidden_remainder_z
      - .offset:         184
        .size:           8
        .value_kind:     hidden_global_offset_x
      - .offset:         192
        .size:           8
        .value_kind:     hidden_global_offset_y
      - .offset:         200
        .size:           8
        .value_kind:     hidden_global_offset_z
      - .offset:         208
        .size:           2
        .value_kind:     hidden_grid_dims
    .group_segment_fixed_size: 8192
    .kernarg_segment_align: 8
    .kernarg_segment_size: 400
    .language:       OpenCL C
    .language_version:
      - 2
      - 0
    .max_flat_workgroup_size: 512
    .name:           _ZL20rocblas_gemvn_kernelILi32ELi16Ei16rocblas_bfloat16fS0_EviiT3_lPKT2_lT1_lS4_lS5_lS1_lPT4_lS5_li
    .private_segment_fixed_size: 0
    .sgpr_count:     45
    .sgpr_spill_count: 0
    .symbol:         _ZL20rocblas_gemvn_kernelILi32ELi16Ei16rocblas_bfloat16fS0_EviiT3_lPKT2_lT1_lS4_lS5_lS1_lPT4_lS5_li.kd
    .uniform_work_group_size: 1
    .uses_dynamic_stack: false
    .vgpr_count:     45
    .vgpr_spill_count: 0
    .wavefront_size: 64
  - .agpr_count:     0
    .args:
      - .offset:         0
        .size:           4
        .value_kind:     by_value
      - .offset:         4
        .size:           4
        .value_kind:     by_value
      - .offset:         8
        .size:           4
        .value_kind:     by_value
      - .offset:         16
        .size:           8
        .value_kind:     by_value
      - .address_space:  global
        .offset:         24
        .size:           8
        .value_kind:     global_buffer
      - .offset:         32
        .size:           8
        .value_kind:     by_value
      - .offset:         40
        .size:           8
        .value_kind:     by_value
      - .offset:         48
        .size:           8
        .value_kind:     by_value
      - .address_space:  global
        .offset:         56
        .size:           8
        .value_kind:     global_buffer
      - .offset:         64
        .size:           8
        .value_kind:     by_value
      - .offset:         72
        .size:           8
        .value_kind:     by_value
      - .offset:         80
        .size:           8
        .value_kind:     by_value
      - .offset:         88
        .size:           4
        .value_kind:     by_value
      - .offset:         96
        .size:           8
        .value_kind:     by_value
      - .address_space:  global
        .offset:         104
        .size:           8
        .value_kind:     global_buffer
      - .offset:         112
        .size:           8
        .value_kind:     by_value
      - .offset:         120
        .size:           8
        .value_kind:     by_value
      - .offset:         128
        .size:           8
        .value_kind:     by_value
      - .offset:         136
        .size:           4
        .value_kind:     by_value
      - .offset:         144
        .size:           4
        .value_kind:     hidden_block_count_x
      - .offset:         148
        .size:           4
        .value_kind:     hidden_block_count_y
      - .offset:         152
        .size:           4
        .value_kind:     hidden_block_count_z
      - .offset:         156
        .size:           2
        .value_kind:     hidden_group_size_x
      - .offset:         158
        .size:           2
        .value_kind:     hidden_group_size_y
      - .offset:         160
        .size:           2
        .value_kind:     hidden_group_size_z
      - .offset:         162
        .size:           2
        .value_kind:     hidden_remainder_x
      - .offset:         164
        .size:           2
        .value_kind:     hidden_remainder_y
      - .offset:         166
        .size:           2
        .value_kind:     hidden_remainder_z
      - .offset:         184
        .size:           8
        .value_kind:     hidden_global_offset_x
      - .offset:         192
        .size:           8
        .value_kind:     hidden_global_offset_y
      - .offset:         200
        .size:           8
        .value_kind:     hidden_global_offset_z
      - .offset:         208
        .size:           2
        .value_kind:     hidden_grid_dims
    .group_segment_fixed_size: 8192
    .kernarg_segment_align: 8
    .kernarg_segment_size: 400
    .language:       OpenCL C
    .language_version:
      - 2
      - 0
    .max_flat_workgroup_size: 512
    .name:           _ZL20rocblas_gemvn_kernelILi32ELi16El16rocblas_bfloat16fS0_EviiT3_lPKT2_lT1_lS4_lS5_lS1_lPT4_lS5_li
    .private_segment_fixed_size: 0
    .sgpr_count:     59
    .sgpr_spill_count: 0
    .symbol:         _ZL20rocblas_gemvn_kernelILi32ELi16El16rocblas_bfloat16fS0_EviiT3_lPKT2_lT1_lS4_lS5_lS1_lPT4_lS5_li.kd
    .uniform_work_group_size: 1
    .uses_dynamic_stack: false
    .vgpr_count:     51
    .vgpr_spill_count: 0
    .wavefront_size: 64
  - .agpr_count:     0
    .args:
      - .offset:         0
        .size:           4
        .value_kind:     by_value
      - .offset:         4
        .size:           4
        .value_kind:     by_value
      - .address_space:  global
        .offset:         8
        .size:           8
        .value_kind:     global_buffer
      - .offset:         16
        .size:           8
        .value_kind:     by_value
      - .address_space:  global
        .offset:         24
        .size:           8
        .value_kind:     global_buffer
      - .offset:         32
        .size:           8
        .value_kind:     by_value
      - .offset:         40
        .size:           4
        .value_kind:     by_value
      - .offset:         48
        .size:           8
        .value_kind:     by_value
      - .address_space:  global
        .offset:         56
        .size:           8
        .value_kind:     global_buffer
      - .offset:         64
        .size:           8
        .value_kind:     by_value
      - .offset:         72
        .size:           4
        .value_kind:     by_value
      - .offset:         80
        .size:           8
        .value_kind:     by_value
      - .address_space:  global
        .offset:         88
        .size:           8
        .value_kind:     global_buffer
      - .offset:         96
        .size:           8
        .value_kind:     by_value
      - .address_space:  global
        .offset:         104
        .size:           8
        .value_kind:     global_buffer
      - .offset:         112
        .size:           8
        .value_kind:     by_value
      - .offset:         120
        .size:           4
        .value_kind:     by_value
      - .offset:         128
        .size:           8
        .value_kind:     by_value
      - .offset:         136
        .size:           4
        .value_kind:     by_value
      - .offset:         144
        .size:           4
        .value_kind:     hidden_block_count_x
      - .offset:         148
        .size:           4
        .value_kind:     hidden_block_count_y
      - .offset:         152
        .size:           4
        .value_kind:     hidden_block_count_z
      - .offset:         156
        .size:           2
        .value_kind:     hidden_group_size_x
      - .offset:         158
        .size:           2
        .value_kind:     hidden_group_size_y
      - .offset:         160
        .size:           2
        .value_kind:     hidden_group_size_z
      - .offset:         162
        .size:           2
        .value_kind:     hidden_remainder_x
      - .offset:         164
        .size:           2
        .value_kind:     hidden_remainder_y
      - .offset:         166
        .size:           2
        .value_kind:     hidden_remainder_z
      - .offset:         184
        .size:           8
        .value_kind:     hidden_global_offset_x
      - .offset:         192
        .size:           8
        .value_kind:     hidden_global_offset_y
      - .offset:         200
        .size:           8
        .value_kind:     hidden_global_offset_z
      - .offset:         208
        .size:           2
        .value_kind:     hidden_grid_dims
    .group_segment_fixed_size: 16384
    .kernarg_segment_align: 8
    .kernarg_segment_size: 400
    .language:       OpenCL C
    .language_version:
      - 2
      - 0
    .max_flat_workgroup_size: 1024
    .name:           _ZL20rocblas_gemvn_kernelILi64ELi16Ei16rocblas_bfloat16PKfS0_EviiT3_lPKT2_lT1_lS6_lS7_lS3_lPT4_lS7_li
    .private_segment_fixed_size: 0
    .sgpr_count:     45
    .sgpr_spill_count: 0
    .symbol:         _ZL20rocblas_gemvn_kernelILi64ELi16Ei16rocblas_bfloat16PKfS0_EviiT3_lPKT2_lT1_lS6_lS7_lS3_lPT4_lS7_li.kd
    .uniform_work_group_size: 1
    .uses_dynamic_stack: false
    .vgpr_count:     45
    .vgpr_spill_count: 0
    .wavefront_size: 64
  - .agpr_count:     0
    .args:
      - .offset:         0
        .size:           4
        .value_kind:     by_value
      - .offset:         4
        .size:           4
        .value_kind:     by_value
      - .address_space:  global
        .offset:         8
        .size:           8
        .value_kind:     global_buffer
      - .offset:         16
        .size:           8
        .value_kind:     by_value
      - .address_space:  global
        .offset:         24
        .size:           8
        .value_kind:     global_buffer
      - .offset:         32
        .size:           8
        .value_kind:     by_value
      - .offset:         40
        .size:           8
        .value_kind:     by_value
      - .offset:         48
        .size:           8
        .value_kind:     by_value
      - .address_space:  global
        .offset:         56
        .size:           8
        .value_kind:     global_buffer
      - .offset:         64
        .size:           8
        .value_kind:     by_value
      - .offset:         72
        .size:           8
        .value_kind:     by_value
      - .offset:         80
        .size:           8
        .value_kind:     by_value
      - .address_space:  global
        .offset:         88
        .size:           8
        .value_kind:     global_buffer
      - .offset:         96
        .size:           8
        .value_kind:     by_value
      - .address_space:  global
        .offset:         104
        .size:           8
        .value_kind:     global_buffer
      - .offset:         112
        .size:           8
        .value_kind:     by_value
      - .offset:         120
        .size:           8
        .value_kind:     by_value
      - .offset:         128
        .size:           8
        .value_kind:     by_value
      - .offset:         136
        .size:           4
        .value_kind:     by_value
      - .offset:         144
        .size:           4
        .value_kind:     hidden_block_count_x
      - .offset:         148
        .size:           4
        .value_kind:     hidden_block_count_y
      - .offset:         152
        .size:           4
        .value_kind:     hidden_block_count_z
      - .offset:         156
        .size:           2
        .value_kind:     hidden_group_size_x
      - .offset:         158
        .size:           2
        .value_kind:     hidden_group_size_y
      - .offset:         160
        .size:           2
        .value_kind:     hidden_group_size_z
      - .offset:         162
        .size:           2
        .value_kind:     hidden_remainder_x
      - .offset:         164
        .size:           2
        .value_kind:     hidden_remainder_y
      - .offset:         166
        .size:           2
        .value_kind:     hidden_remainder_z
      - .offset:         184
        .size:           8
        .value_kind:     hidden_global_offset_x
      - .offset:         192
        .size:           8
        .value_kind:     hidden_global_offset_y
      - .offset:         200
        .size:           8
        .value_kind:     hidden_global_offset_z
      - .offset:         208
        .size:           2
        .value_kind:     hidden_grid_dims
    .group_segment_fixed_size: 16384
    .kernarg_segment_align: 8
    .kernarg_segment_size: 400
    .language:       OpenCL C
    .language_version:
      - 2
      - 0
    .max_flat_workgroup_size: 1024
    .name:           _ZL20rocblas_gemvn_kernelILi64ELi16El16rocblas_bfloat16PKfS0_EviiT3_lPKT2_lT1_lS6_lS7_lS3_lPT4_lS7_li
    .private_segment_fixed_size: 0
    .sgpr_count:     59
    .sgpr_spill_count: 0
    .symbol:         _ZL20rocblas_gemvn_kernelILi64ELi16El16rocblas_bfloat16PKfS0_EviiT3_lPKT2_lT1_lS6_lS7_lS3_lPT4_lS7_li.kd
    .uniform_work_group_size: 1
    .uses_dynamic_stack: false
    .vgpr_count:     51
    .vgpr_spill_count: 0
    .wavefront_size: 64
  - .agpr_count:     0
    .args:
      - .offset:         0
        .size:           4
        .value_kind:     by_value
      - .offset:         4
        .size:           4
        .value_kind:     by_value
      - .offset:         8
        .size:           4
        .value_kind:     by_value
      - .offset:         16
        .size:           8
        .value_kind:     by_value
      - .address_space:  global
        .offset:         24
        .size:           8
        .value_kind:     global_buffer
      - .offset:         32
        .size:           8
        .value_kind:     by_value
      - .offset:         40
        .size:           4
        .value_kind:     by_value
      - .offset:         48
        .size:           8
        .value_kind:     by_value
      - .address_space:  global
        .offset:         56
        .size:           8
        .value_kind:     global_buffer
      - .offset:         64
        .size:           8
        .value_kind:     by_value
      - .offset:         72
        .size:           4
        .value_kind:     by_value
      - .offset:         80
        .size:           8
        .value_kind:     by_value
      - .offset:         88
        .size:           4
        .value_kind:     by_value
      - .offset:         96
        .size:           8
        .value_kind:     by_value
      - .address_space:  global
        .offset:         104
        .size:           8
        .value_kind:     global_buffer
      - .offset:         112
        .size:           8
        .value_kind:     by_value
      - .offset:         120
        .size:           4
        .value_kind:     by_value
      - .offset:         128
        .size:           8
        .value_kind:     by_value
      - .offset:         136
        .size:           4
        .value_kind:     by_value
      - .offset:         144
        .size:           4
        .value_kind:     hidden_block_count_x
      - .offset:         148
        .size:           4
        .value_kind:     hidden_block_count_y
      - .offset:         152
        .size:           4
        .value_kind:     hidden_block_count_z
      - .offset:         156
        .size:           2
        .value_kind:     hidden_group_size_x
      - .offset:         158
        .size:           2
        .value_kind:     hidden_group_size_y
      - .offset:         160
        .size:           2
        .value_kind:     hidden_group_size_z
      - .offset:         162
        .size:           2
        .value_kind:     hidden_remainder_x
      - .offset:         164
        .size:           2
        .value_kind:     hidden_remainder_y
      - .offset:         166
        .size:           2
        .value_kind:     hidden_remainder_z
      - .offset:         184
        .size:           8
        .value_kind:     hidden_global_offset_x
      - .offset:         192
        .size:           8
        .value_kind:     hidden_global_offset_y
      - .offset:         200
        .size:           8
        .value_kind:     hidden_global_offset_z
      - .offset:         208
        .size:           2
        .value_kind:     hidden_grid_dims
    .group_segment_fixed_size: 16384
    .kernarg_segment_align: 8
    .kernarg_segment_size: 400
    .language:       OpenCL C
    .language_version:
      - 2
      - 0
    .max_flat_workgroup_size: 1024
    .name:           _ZL20rocblas_gemvn_kernelILi64ELi16Ei16rocblas_bfloat16fS0_EviiT3_lPKT2_lT1_lS4_lS5_lS1_lPT4_lS5_li
    .private_segment_fixed_size: 0
    .sgpr_count:     45
    .sgpr_spill_count: 0
    .symbol:         _ZL20rocblas_gemvn_kernelILi64ELi16Ei16rocblas_bfloat16fS0_EviiT3_lPKT2_lT1_lS4_lS5_lS1_lPT4_lS5_li.kd
    .uniform_work_group_size: 1
    .uses_dynamic_stack: false
    .vgpr_count:     45
    .vgpr_spill_count: 0
    .wavefront_size: 64
  - .agpr_count:     0
    .args:
      - .offset:         0
        .size:           4
        .value_kind:     by_value
      - .offset:         4
        .size:           4
        .value_kind:     by_value
      - .offset:         8
        .size:           4
        .value_kind:     by_value
      - .offset:         16
        .size:           8
        .value_kind:     by_value
      - .address_space:  global
        .offset:         24
        .size:           8
        .value_kind:     global_buffer
      - .offset:         32
        .size:           8
        .value_kind:     by_value
      - .offset:         40
        .size:           8
        .value_kind:     by_value
      - .offset:         48
        .size:           8
        .value_kind:     by_value
      - .address_space:  global
        .offset:         56
        .size:           8
        .value_kind:     global_buffer
      - .offset:         64
        .size:           8
        .value_kind:     by_value
      - .offset:         72
        .size:           8
        .value_kind:     by_value
      - .offset:         80
        .size:           8
        .value_kind:     by_value
      - .offset:         88
        .size:           4
        .value_kind:     by_value
      - .offset:         96
        .size:           8
        .value_kind:     by_value
      - .address_space:  global
        .offset:         104
        .size:           8
        .value_kind:     global_buffer
      - .offset:         112
        .size:           8
        .value_kind:     by_value
      - .offset:         120
        .size:           8
        .value_kind:     by_value
      - .offset:         128
        .size:           8
        .value_kind:     by_value
      - .offset:         136
        .size:           4
        .value_kind:     by_value
      - .offset:         144
        .size:           4
        .value_kind:     hidden_block_count_x
      - .offset:         148
        .size:           4
        .value_kind:     hidden_block_count_y
      - .offset:         152
        .size:           4
        .value_kind:     hidden_block_count_z
      - .offset:         156
        .size:           2
        .value_kind:     hidden_group_size_x
      - .offset:         158
        .size:           2
        .value_kind:     hidden_group_size_y
      - .offset:         160
        .size:           2
        .value_kind:     hidden_group_size_z
      - .offset:         162
        .size:           2
        .value_kind:     hidden_remainder_x
      - .offset:         164
        .size:           2
        .value_kind:     hidden_remainder_y
      - .offset:         166
        .size:           2
        .value_kind:     hidden_remainder_z
      - .offset:         184
        .size:           8
        .value_kind:     hidden_global_offset_x
      - .offset:         192
        .size:           8
        .value_kind:     hidden_global_offset_y
      - .offset:         200
        .size:           8
        .value_kind:     hidden_global_offset_z
      - .offset:         208
        .size:           2
        .value_kind:     hidden_grid_dims
    .group_segment_fixed_size: 16384
    .kernarg_segment_align: 8
    .kernarg_segment_size: 400
    .language:       OpenCL C
    .language_version:
      - 2
      - 0
    .max_flat_workgroup_size: 1024
    .name:           _ZL20rocblas_gemvn_kernelILi64ELi16El16rocblas_bfloat16fS0_EviiT3_lPKT2_lT1_lS4_lS5_lS1_lPT4_lS5_li
    .private_segment_fixed_size: 0
    .sgpr_count:     59
    .sgpr_spill_count: 0
    .symbol:         _ZL20rocblas_gemvn_kernelILi64ELi16El16rocblas_bfloat16fS0_EviiT3_lPKT2_lT1_lS4_lS5_lS1_lPT4_lS5_li.kd
    .uniform_work_group_size: 1
    .uses_dynamic_stack: false
    .vgpr_count:     51
    .vgpr_spill_count: 0
    .wavefront_size: 64
  - .agpr_count:     0
    .args:
      - .offset:         0
        .size:           4
        .value_kind:     by_value
      - .offset:         4
        .size:           4
        .value_kind:     by_value
      - .address_space:  global
        .offset:         8
        .size:           8
        .value_kind:     global_buffer
      - .offset:         16
        .size:           8
        .value_kind:     by_value
      - .address_space:  global
        .offset:         24
        .size:           8
        .value_kind:     global_buffer
      - .offset:         32
        .size:           8
        .value_kind:     by_value
      - .offset:         40
        .size:           4
        .value_kind:     by_value
      - .offset:         48
        .size:           8
        .value_kind:     by_value
      - .address_space:  global
        .offset:         56
        .size:           8
        .value_kind:     global_buffer
      - .offset:         64
        .size:           8
        .value_kind:     by_value
      - .offset:         72
        .size:           4
        .value_kind:     by_value
      - .offset:         80
        .size:           8
        .value_kind:     by_value
      - .address_space:  global
        .offset:         88
        .size:           8
        .value_kind:     global_buffer
      - .offset:         96
        .size:           8
        .value_kind:     by_value
      - .address_space:  global
        .offset:         104
        .size:           8
        .value_kind:     global_buffer
      - .offset:         112
        .size:           8
        .value_kind:     by_value
      - .offset:         120
        .size:           4
        .value_kind:     by_value
      - .offset:         128
        .size:           8
        .value_kind:     by_value
    .group_segment_fixed_size: 256
    .kernarg_segment_align: 8
    .kernarg_segment_size: 136
    .language:       OpenCL C
    .language_version:
      - 2
      - 0
    .max_flat_workgroup_size: 256
    .name:           _ZL22rocblas_gemvtsm_kernelILb0ELi256E16rocblas_bfloat16PKfS0_EviiT2_lPKT1_lilS6_lilS3_lPT3_lil
    .private_segment_fixed_size: 0
    .sgpr_count:     35
    .sgpr_spill_count: 0
    .symbol:         _ZL22rocblas_gemvtsm_kernelILb0ELi256E16rocblas_bfloat16PKfS0_EviiT2_lPKT1_lilS6_lilS3_lPT3_lil.kd
    .uniform_work_group_size: 1
    .uses_dynamic_stack: false
    .vgpr_count:     16
    .vgpr_spill_count: 0
    .wavefront_size: 64
  - .agpr_count:     0
    .args:
      - .offset:         0
        .size:           4
        .value_kind:     by_value
      - .offset:         4
        .size:           4
        .value_kind:     by_value
      - .offset:         8
        .size:           4
        .value_kind:     by_value
      - .offset:         16
        .size:           8
        .value_kind:     by_value
      - .address_space:  global
        .offset:         24
        .size:           8
        .value_kind:     global_buffer
      - .offset:         32
        .size:           8
        .value_kind:     by_value
      - .offset:         40
        .size:           4
        .value_kind:     by_value
      - .offset:         48
        .size:           8
        .value_kind:     by_value
      - .address_space:  global
        .offset:         56
        .size:           8
        .value_kind:     global_buffer
      - .offset:         64
        .size:           8
        .value_kind:     by_value
      - .offset:         72
        .size:           4
        .value_kind:     by_value
      - .offset:         80
        .size:           8
        .value_kind:     by_value
      - .offset:         88
        .size:           4
        .value_kind:     by_value
      - .offset:         96
        .size:           8
        .value_kind:     by_value
      - .address_space:  global
        .offset:         104
        .size:           8
        .value_kind:     global_buffer
      - .offset:         112
        .size:           8
        .value_kind:     by_value
      - .offset:         120
        .size:           4
        .value_kind:     by_value
      - .offset:         128
        .size:           8
        .value_kind:     by_value
    .group_segment_fixed_size: 256
    .kernarg_segment_align: 8
    .kernarg_segment_size: 136
    .language:       OpenCL C
    .language_version:
      - 2
      - 0
    .max_flat_workgroup_size: 256
    .name:           _ZL22rocblas_gemvtsm_kernelILb0ELi256E16rocblas_bfloat16fS0_EviiT2_lPKT1_lilS4_lilS1_lPT3_lil
    .private_segment_fixed_size: 0
    .sgpr_count:     38
    .sgpr_spill_count: 0
    .symbol:         _ZL22rocblas_gemvtsm_kernelILb0ELi256E16rocblas_bfloat16fS0_EviiT2_lPKT1_lilS4_lilS1_lPT3_lil.kd
    .uniform_work_group_size: 1
    .uses_dynamic_stack: false
    .vgpr_count:     16
    .vgpr_spill_count: 0
    .wavefront_size: 64
  - .agpr_count:     0
    .args:
      - .offset:         0
        .size:           4
        .value_kind:     by_value
      - .offset:         4
        .size:           4
        .value_kind:     by_value
      - .address_space:  global
        .offset:         8
        .size:           8
        .value_kind:     global_buffer
      - .offset:         16
        .size:           8
        .value_kind:     by_value
      - .address_space:  global
        .offset:         24
        .size:           8
        .value_kind:     global_buffer
      - .offset:         32
        .size:           8
        .value_kind:     by_value
      - .offset:         40
        .size:           4
        .value_kind:     by_value
      - .offset:         48
        .size:           8
        .value_kind:     by_value
      - .address_space:  global
        .offset:         56
        .size:           8
        .value_kind:     global_buffer
      - .offset:         64
        .size:           8
        .value_kind:     by_value
      - .offset:         72
        .size:           4
        .value_kind:     by_value
      - .offset:         80
        .size:           8
        .value_kind:     by_value
      - .address_space:  global
        .offset:         88
        .size:           8
        .value_kind:     global_buffer
      - .offset:         96
        .size:           4
        .value_kind:     by_value
      - .offset:         104
        .size:           4
        .value_kind:     hidden_block_count_x
      - .offset:         108
        .size:           4
        .value_kind:     hidden_block_count_y
      - .offset:         112
        .size:           4
        .value_kind:     hidden_block_count_z
      - .offset:         116
        .size:           2
        .value_kind:     hidden_group_size_x
      - .offset:         118
        .size:           2
        .value_kind:     hidden_group_size_y
      - .offset:         120
        .size:           2
        .value_kind:     hidden_group_size_z
      - .offset:         122
        .size:           2
        .value_kind:     hidden_remainder_x
      - .offset:         124
        .size:           2
        .value_kind:     hidden_remainder_y
      - .offset:         126
        .size:           2
        .value_kind:     hidden_remainder_z
      - .offset:         144
        .size:           8
        .value_kind:     hidden_global_offset_x
      - .offset:         152
        .size:           8
        .value_kind:     hidden_global_offset_y
      - .offset:         160
        .size:           8
        .value_kind:     hidden_global_offset_z
      - .offset:         168
        .size:           2
        .value_kind:     hidden_grid_dims
    .group_segment_fixed_size: 256
    .kernarg_segment_align: 8
    .kernarg_segment_size: 360
    .language:       OpenCL C
    .language_version:
      - 2
      - 0
    .max_flat_workgroup_size: 256
    .name:           _ZL23rocblas_gemvt_sn_kernelILb0ELi256ELi4Ei16rocblas_bfloat16PKffEviiT4_lPKT3_lilS6_lilPT5_i
    .private_segment_fixed_size: 0
    .sgpr_count:     64
    .sgpr_spill_count: 0
    .symbol:         _ZL23rocblas_gemvt_sn_kernelILb0ELi256ELi4Ei16rocblas_bfloat16PKffEviiT4_lPKT3_lilS6_lilPT5_i.kd
    .uniform_work_group_size: 1
    .uses_dynamic_stack: false
    .vgpr_count:     64
    .vgpr_spill_count: 0
    .wavefront_size: 64
  - .agpr_count:     0
    .args:
      - .offset:         0
        .size:           4
        .value_kind:     by_value
      - .offset:         4
        .size:           4
        .value_kind:     by_value
      - .address_space:  global
        .offset:         8
        .size:           8
        .value_kind:     global_buffer
      - .offset:         16
        .size:           8
        .value_kind:     by_value
      - .address_space:  global
        .offset:         24
        .size:           8
        .value_kind:     global_buffer
      - .offset:         32
        .size:           8
        .value_kind:     by_value
      - .offset:         40
        .size:           4
        .value_kind:     by_value
      - .offset:         48
        .size:           8
        .value_kind:     by_value
      - .address_space:  global
        .offset:         56
        .size:           8
        .value_kind:     global_buffer
      - .offset:         64
        .size:           8
        .value_kind:     by_value
      - .offset:         72
        .size:           4
        .value_kind:     by_value
      - .offset:         80
        .size:           8
        .value_kind:     by_value
      - .address_space:  global
        .offset:         88
        .size:           8
        .value_kind:     global_buffer
      - .offset:         96
        .size:           4
        .value_kind:     by_value
      - .offset:         104
        .size:           4
        .value_kind:     hidden_block_count_x
      - .offset:         108
        .size:           4
        .value_kind:     hidden_block_count_y
      - .offset:         112
        .size:           4
        .value_kind:     hidden_block_count_z
      - .offset:         116
        .size:           2
        .value_kind:     hidden_group_size_x
      - .offset:         118
        .size:           2
        .value_kind:     hidden_group_size_y
      - .offset:         120
        .size:           2
        .value_kind:     hidden_group_size_z
      - .offset:         122
        .size:           2
        .value_kind:     hidden_remainder_x
      - .offset:         124
        .size:           2
        .value_kind:     hidden_remainder_y
      - .offset:         126
        .size:           2
        .value_kind:     hidden_remainder_z
      - .offset:         144
        .size:           8
        .value_kind:     hidden_global_offset_x
      - .offset:         152
        .size:           8
        .value_kind:     hidden_global_offset_y
      - .offset:         160
        .size:           8
        .value_kind:     hidden_global_offset_z
      - .offset:         168
        .size:           2
        .value_kind:     hidden_grid_dims
    .group_segment_fixed_size: 256
    .kernarg_segment_align: 8
    .kernarg_segment_size: 360
    .language:       OpenCL C
    .language_version:
      - 2
      - 0
    .max_flat_workgroup_size: 256
    .name:           _ZL23rocblas_gemvt_sn_kernelILb0ELi256ELi4El16rocblas_bfloat16PKffEviiT4_lPKT3_lilS6_lilPT5_i
    .private_segment_fixed_size: 0
    .sgpr_count:     69
    .sgpr_spill_count: 0
    .symbol:         _ZL23rocblas_gemvt_sn_kernelILb0ELi256ELi4El16rocblas_bfloat16PKffEviiT4_lPKT3_lilS6_lilPT5_i.kd
    .uniform_work_group_size: 1
    .uses_dynamic_stack: false
    .vgpr_count:     64
    .vgpr_spill_count: 0
    .wavefront_size: 64
  - .agpr_count:     0
    .args:
      - .offset:         0
        .size:           4
        .value_kind:     by_value
      - .address_space:  global
        .offset:         8
        .size:           8
        .value_kind:     global_buffer
      - .offset:         16
        .size:           8
        .value_kind:     by_value
      - .address_space:  global
        .offset:         24
        .size:           8
        .value_kind:     global_buffer
      - .offset:         32
        .size:           8
        .value_kind:     by_value
      - .offset:         40
        .size:           4
        .value_kind:     by_value
      - .offset:         48
        .size:           8
        .value_kind:     by_value
      - .actual_access:  read_only
        .address_space:  global
        .offset:         56
        .size:           8
        .value_kind:     global_buffer
      - .offset:         64
        .size:           4
        .value_kind:     by_value
      - .offset:         72
        .size:           4
        .value_kind:     hidden_block_count_x
      - .offset:         76
        .size:           4
        .value_kind:     hidden_block_count_y
      - .offset:         80
        .size:           4
        .value_kind:     hidden_block_count_z
      - .offset:         84
        .size:           2
        .value_kind:     hidden_group_size_x
      - .offset:         86
        .size:           2
        .value_kind:     hidden_group_size_y
      - .offset:         88
        .size:           2
        .value_kind:     hidden_group_size_z
      - .offset:         90
        .size:           2
        .value_kind:     hidden_remainder_x
      - .offset:         92
        .size:           2
        .value_kind:     hidden_remainder_y
      - .offset:         94
        .size:           2
        .value_kind:     hidden_remainder_z
      - .offset:         112
        .size:           8
        .value_kind:     hidden_global_offset_x
      - .offset:         120
        .size:           8
        .value_kind:     hidden_global_offset_y
      - .offset:         128
        .size:           8
        .value_kind:     hidden_global_offset_z
      - .offset:         136
        .size:           2
        .value_kind:     hidden_grid_dims
    .group_segment_fixed_size: 256
    .kernarg_segment_align: 8
    .kernarg_segment_size: 328
    .language:       OpenCL C
    .language_version:
      - 2
      - 0
    .max_flat_workgroup_size: 256
    .name:           _ZL23rocblas_gemvt_sn_reduceILi256ELi8EfPKf16rocblas_bfloat16EviT2_lPT3_lilPT1_i
    .private_segment_fixed_size: 0
    .sgpr_count:     28
    .sgpr_spill_count: 0
    .symbol:         _ZL23rocblas_gemvt_sn_reduceILi256ELi8EfPKf16rocblas_bfloat16EviT2_lPT3_lilPT1_i.kd
    .uniform_work_group_size: 1
    .uses_dynamic_stack: false
    .vgpr_count:     14
    .vgpr_spill_count: 0
    .wavefront_size: 64
  - .agpr_count:     0
    .args:
      - .offset:         0
        .size:           4
        .value_kind:     by_value
      - .offset:         4
        .size:           4
        .value_kind:     by_value
      - .offset:         8
        .size:           4
        .value_kind:     by_value
      - .offset:         16
        .size:           8
        .value_kind:     by_value
      - .address_space:  global
        .offset:         24
        .size:           8
        .value_kind:     global_buffer
      - .offset:         32
        .size:           8
        .value_kind:     by_value
      - .offset:         40
        .size:           4
        .value_kind:     by_value
      - .offset:         48
        .size:           8
        .value_kind:     by_value
      - .address_space:  global
        .offset:         56
        .size:           8
        .value_kind:     global_buffer
      - .offset:         64
        .size:           8
        .value_kind:     by_value
      - .offset:         72
        .size:           4
        .value_kind:     by_value
      - .offset:         80
        .size:           8
        .value_kind:     by_value
      - .address_space:  global
        .offset:         88
        .size:           8
        .value_kind:     global_buffer
      - .offset:         96
        .size:           4
        .value_kind:     by_value
      - .offset:         104
        .size:           4
        .value_kind:     hidden_block_count_x
      - .offset:         108
        .size:           4
        .value_kind:     hidden_block_count_y
      - .offset:         112
        .size:           4
        .value_kind:     hidden_block_count_z
      - .offset:         116
        .size:           2
        .value_kind:     hidden_group_size_x
      - .offset:         118
        .size:           2
        .value_kind:     hidden_group_size_y
      - .offset:         120
        .size:           2
        .value_kind:     hidden_group_size_z
      - .offset:         122
        .size:           2
        .value_kind:     hidden_remainder_x
      - .offset:         124
        .size:           2
        .value_kind:     hidden_remainder_y
      - .offset:         126
        .size:           2
        .value_kind:     hidden_remainder_z
      - .offset:         144
        .size:           8
        .value_kind:     hidden_global_offset_x
      - .offset:         152
        .size:           8
        .value_kind:     hidden_global_offset_y
      - .offset:         160
        .size:           8
        .value_kind:     hidden_global_offset_z
      - .offset:         168
        .size:           2
        .value_kind:     hidden_grid_dims
    .group_segment_fixed_size: 256
    .kernarg_segment_align: 8
    .kernarg_segment_size: 360
    .language:       OpenCL C
    .language_version:
      - 2
      - 0
    .max_flat_workgroup_size: 256
    .name:           _ZL23rocblas_gemvt_sn_kernelILb0ELi256ELi4Ei16rocblas_bfloat16ffEviiT4_lPKT3_lilS4_lilPT5_i
    .private_segment_fixed_size: 0
    .sgpr_count:     64
    .sgpr_spill_count: 0
    .symbol:         _ZL23rocblas_gemvt_sn_kernelILb0ELi256ELi4Ei16rocblas_bfloat16ffEviiT4_lPKT3_lilS4_lilPT5_i.kd
    .uniform_work_group_size: 1
    .uses_dynamic_stack: false
    .vgpr_count:     64
    .vgpr_spill_count: 0
    .wavefront_size: 64
  - .agpr_count:     0
    .args:
      - .offset:         0
        .size:           4
        .value_kind:     by_value
      - .offset:         4
        .size:           4
        .value_kind:     by_value
      - .offset:         8
        .size:           4
        .value_kind:     by_value
      - .offset:         16
        .size:           8
        .value_kind:     by_value
      - .address_space:  global
        .offset:         24
        .size:           8
        .value_kind:     global_buffer
      - .offset:         32
        .size:           8
        .value_kind:     by_value
      - .offset:         40
        .size:           4
        .value_kind:     by_value
      - .offset:         48
        .size:           8
        .value_kind:     by_value
      - .address_space:  global
        .offset:         56
        .size:           8
        .value_kind:     global_buffer
      - .offset:         64
        .size:           8
        .value_kind:     by_value
      - .offset:         72
        .size:           4
        .value_kind:     by_value
      - .offset:         80
        .size:           8
        .value_kind:     by_value
      - .address_space:  global
        .offset:         88
        .size:           8
        .value_kind:     global_buffer
      - .offset:         96
        .size:           4
        .value_kind:     by_value
      - .offset:         104
        .size:           4
        .value_kind:     hidden_block_count_x
      - .offset:         108
        .size:           4
        .value_kind:     hidden_block_count_y
      - .offset:         112
        .size:           4
        .value_kind:     hidden_block_count_z
      - .offset:         116
        .size:           2
        .value_kind:     hidden_group_size_x
      - .offset:         118
        .size:           2
        .value_kind:     hidden_group_size_y
      - .offset:         120
        .size:           2
        .value_kind:     hidden_group_size_z
      - .offset:         122
        .size:           2
        .value_kind:     hidden_remainder_x
      - .offset:         124
        .size:           2
        .value_kind:     hidden_remainder_y
      - .offset:         126
        .size:           2
        .value_kind:     hidden_remainder_z
      - .offset:         144
        .size:           8
        .value_kind:     hidden_global_offset_x
      - .offset:         152
        .size:           8
        .value_kind:     hidden_global_offset_y
      - .offset:         160
        .size:           8
        .value_kind:     hidden_global_offset_z
      - .offset:         168
        .size:           2
        .value_kind:     hidden_grid_dims
    .group_segment_fixed_size: 256
    .kernarg_segment_align: 8
    .kernarg_segment_size: 360
    .language:       OpenCL C
    .language_version:
      - 2
      - 0
    .max_flat_workgroup_size: 256
    .name:           _ZL23rocblas_gemvt_sn_kernelILb0ELi256ELi4El16rocblas_bfloat16ffEviiT4_lPKT3_lilS4_lilPT5_i
    .private_segment_fixed_size: 0
    .sgpr_count:     69
    .sgpr_spill_count: 0
    .symbol:         _ZL23rocblas_gemvt_sn_kernelILb0ELi256ELi4El16rocblas_bfloat16ffEviiT4_lPKT3_lilS4_lilPT5_i.kd
    .uniform_work_group_size: 1
    .uses_dynamic_stack: false
    .vgpr_count:     64
    .vgpr_spill_count: 0
    .wavefront_size: 64
  - .agpr_count:     0
    .args:
      - .offset:         0
        .size:           4
        .value_kind:     by_value
      - .offset:         4
        .size:           4
        .value_kind:     by_value
      - .offset:         8
        .size:           8
        .value_kind:     by_value
      - .address_space:  global
        .offset:         16
        .size:           8
        .value_kind:     global_buffer
      - .offset:         24
        .size:           8
        .value_kind:     by_value
      - .offset:         32
        .size:           4
        .value_kind:     by_value
      - .offset:         40
        .size:           8
        .value_kind:     by_value
      - .actual_access:  read_only
        .address_space:  global
        .offset:         48
        .size:           8
        .value_kind:     global_buffer
      - .offset:         56
        .size:           4
        .value_kind:     by_value
      - .offset:         64
        .size:           4
        .value_kind:     hidden_block_count_x
      - .offset:         68
        .size:           4
        .value_kind:     hidden_block_count_y
      - .offset:         72
        .size:           4
        .value_kind:     hidden_block_count_z
      - .offset:         76
        .size:           2
        .value_kind:     hidden_group_size_x
      - .offset:         78
        .size:           2
        .value_kind:     hidden_group_size_y
      - .offset:         80
        .size:           2
        .value_kind:     hidden_group_size_z
      - .offset:         82
        .size:           2
        .value_kind:     hidden_remainder_x
      - .offset:         84
        .size:           2
        .value_kind:     hidden_remainder_y
      - .offset:         86
        .size:           2
        .value_kind:     hidden_remainder_z
      - .offset:         104
        .size:           8
        .value_kind:     hidden_global_offset_x
      - .offset:         112
        .size:           8
        .value_kind:     hidden_global_offset_y
      - .offset:         120
        .size:           8
        .value_kind:     hidden_global_offset_z
      - .offset:         128
        .size:           2
        .value_kind:     hidden_grid_dims
    .group_segment_fixed_size: 256
    .kernarg_segment_align: 8
    .kernarg_segment_size: 320
    .language:       OpenCL C
    .language_version:
      - 2
      - 0
    .max_flat_workgroup_size: 256
    .name:           _ZL23rocblas_gemvt_sn_reduceILi256ELi8Eff16rocblas_bfloat16EviT2_lPT3_lilPT1_i
    .private_segment_fixed_size: 0
    .sgpr_count:     24
    .sgpr_spill_count: 0
    .symbol:         _ZL23rocblas_gemvt_sn_reduceILi256ELi8Eff16rocblas_bfloat16EviT2_lPT3_lilPT1_i.kd
    .uniform_work_group_size: 1
    .uses_dynamic_stack: false
    .vgpr_count:     14
    .vgpr_spill_count: 0
    .wavefront_size: 64
  - .agpr_count:     0
    .args:
      - .offset:         0
        .size:           4
        .value_kind:     by_value
      - .offset:         4
        .size:           4
        .value_kind:     by_value
      - .address_space:  global
        .offset:         8
        .size:           8
        .value_kind:     global_buffer
      - .offset:         16
        .size:           8
        .value_kind:     by_value
      - .address_space:  global
        .offset:         24
        .size:           8
        .value_kind:     global_buffer
      - .offset:         32
        .size:           8
        .value_kind:     by_value
      - .offset:         40
        .size:           4
        .value_kind:     by_value
      - .offset:         48
        .size:           8
        .value_kind:     by_value
      - .address_space:  global
        .offset:         56
        .size:           8
        .value_kind:     global_buffer
      - .offset:         64
        .size:           8
        .value_kind:     by_value
      - .offset:         72
        .size:           4
        .value_kind:     by_value
      - .offset:         80
        .size:           8
        .value_kind:     by_value
      - .address_space:  global
        .offset:         88
        .size:           8
        .value_kind:     global_buffer
      - .offset:         96
        .size:           8
        .value_kind:     by_value
      - .address_space:  global
        .offset:         104
        .size:           8
        .value_kind:     global_buffer
      - .offset:         112
        .size:           8
        .value_kind:     by_value
      - .offset:         120
        .size:           4
        .value_kind:     by_value
      - .offset:         128
        .size:           8
        .value_kind:     by_value
      - .offset:         136
        .size:           4
        .value_kind:     by_value
    .group_segment_fixed_size: 256
    .kernarg_segment_align: 8
    .kernarg_segment_size: 140
    .language:       OpenCL C
    .language_version:
      - 2
      - 0
    .max_flat_workgroup_size: 256
    .name:           _ZL32rocblas_gemvt_warp_reduce_kernelILb0ELi256Ei16rocblas_bfloat16PKfS0_EviiT3_lPKT2_lT1_lS6_lS7_lS3_lPT4_lS7_li
    .private_segment_fixed_size: 0
    .sgpr_count:     38
    .sgpr_spill_count: 0
    .symbol:         _ZL32rocblas_gemvt_warp_reduce_kernelILb0ELi256Ei16rocblas_bfloat16PKfS0_EviiT3_lPKT2_lT1_lS6_lS7_lS3_lPT4_lS7_li.kd
    .uniform_work_group_size: 1
    .uses_dynamic_stack: false
    .vgpr_count:     14
    .vgpr_spill_count: 0
    .wavefront_size: 64
  - .agpr_count:     0
    .args:
      - .offset:         0
        .size:           4
        .value_kind:     by_value
      - .offset:         4
        .size:           4
        .value_kind:     by_value
      - .address_space:  global
        .offset:         8
        .size:           8
        .value_kind:     global_buffer
      - .offset:         16
        .size:           8
        .value_kind:     by_value
      - .address_space:  global
        .offset:         24
        .size:           8
        .value_kind:     global_buffer
      - .offset:         32
        .size:           8
        .value_kind:     by_value
      - .offset:         40
        .size:           8
        .value_kind:     by_value
      - .offset:         48
        .size:           8
        .value_kind:     by_value
      - .address_space:  global
        .offset:         56
        .size:           8
        .value_kind:     global_buffer
      - .offset:         64
        .size:           8
        .value_kind:     by_value
      - .offset:         72
        .size:           8
        .value_kind:     by_value
      - .offset:         80
        .size:           8
        .value_kind:     by_value
      - .address_space:  global
        .offset:         88
        .size:           8
        .value_kind:     global_buffer
      - .offset:         96
        .size:           8
        .value_kind:     by_value
      - .address_space:  global
        .offset:         104
        .size:           8
        .value_kind:     global_buffer
      - .offset:         112
        .size:           8
        .value_kind:     by_value
      - .offset:         120
        .size:           8
        .value_kind:     by_value
      - .offset:         128
        .size:           8
        .value_kind:     by_value
      - .offset:         136
        .size:           4
        .value_kind:     by_value
    .group_segment_fixed_size: 256
    .kernarg_segment_align: 8
    .kernarg_segment_size: 140
    .language:       OpenCL C
    .language_version:
      - 2
      - 0
    .max_flat_workgroup_size: 256
    .name:           _ZL32rocblas_gemvt_warp_reduce_kernelILb0ELi256El16rocblas_bfloat16PKfS0_EviiT3_lPKT2_lT1_lS6_lS7_lS3_lPT4_lS7_li
    .private_segment_fixed_size: 0
    .sgpr_count:     58
    .sgpr_spill_count: 0
    .symbol:         _ZL32rocblas_gemvt_warp_reduce_kernelILb0ELi256El16rocblas_bfloat16PKfS0_EviiT3_lPKT2_lT1_lS6_lS7_lS3_lPT4_lS7_li.kd
    .uniform_work_group_size: 1
    .uses_dynamic_stack: false
    .vgpr_count:     14
    .vgpr_spill_count: 0
    .wavefront_size: 64
  - .agpr_count:     0
    .args:
      - .offset:         0
        .size:           4
        .value_kind:     by_value
      - .offset:         4
        .size:           4
        .value_kind:     by_value
      - .offset:         8
        .size:           4
        .value_kind:     by_value
      - .offset:         16
        .size:           8
        .value_kind:     by_value
      - .address_space:  global
        .offset:         24
        .size:           8
        .value_kind:     global_buffer
      - .offset:         32
        .size:           8
        .value_kind:     by_value
      - .offset:         40
        .size:           4
        .value_kind:     by_value
      - .offset:         48
        .size:           8
        .value_kind:     by_value
      - .address_space:  global
        .offset:         56
        .size:           8
        .value_kind:     global_buffer
      - .offset:         64
        .size:           8
        .value_kind:     by_value
      - .offset:         72
        .size:           4
        .value_kind:     by_value
      - .offset:         80
        .size:           8
        .value_kind:     by_value
      - .offset:         88
        .size:           4
        .value_kind:     by_value
      - .offset:         96
        .size:           8
        .value_kind:     by_value
      - .address_space:  global
        .offset:         104
        .size:           8
        .value_kind:     global_buffer
      - .offset:         112
        .size:           8
        .value_kind:     by_value
      - .offset:         120
        .size:           4
        .value_kind:     by_value
      - .offset:         128
        .size:           8
        .value_kind:     by_value
      - .offset:         136
        .size:           4
        .value_kind:     by_value
    .group_segment_fixed_size: 256
    .kernarg_segment_align: 8
    .kernarg_segment_size: 140
    .language:       OpenCL C
    .language_version:
      - 2
      - 0
    .max_flat_workgroup_size: 256
    .name:           _ZL32rocblas_gemvt_warp_reduce_kernelILb0ELi256Ei16rocblas_bfloat16fS0_EviiT3_lPKT2_lT1_lS4_lS5_lS1_lPT4_lS5_li
    .private_segment_fixed_size: 0
    .sgpr_count:     32
    .sgpr_spill_count: 0
    .symbol:         _ZL32rocblas_gemvt_warp_reduce_kernelILb0ELi256Ei16rocblas_bfloat16fS0_EviiT3_lPKT2_lT1_lS4_lS5_lS1_lPT4_lS5_li.kd
    .uniform_work_group_size: 1
    .uses_dynamic_stack: false
    .vgpr_count:     14
    .vgpr_spill_count: 0
    .wavefront_size: 64
  - .agpr_count:     0
    .args:
      - .offset:         0
        .size:           4
        .value_kind:     by_value
      - .offset:         4
        .size:           4
        .value_kind:     by_value
      - .offset:         8
        .size:           4
        .value_kind:     by_value
      - .offset:         16
        .size:           8
        .value_kind:     by_value
      - .address_space:  global
        .offset:         24
        .size:           8
        .value_kind:     global_buffer
      - .offset:         32
        .size:           8
        .value_kind:     by_value
      - .offset:         40
        .size:           8
        .value_kind:     by_value
      - .offset:         48
        .size:           8
        .value_kind:     by_value
      - .address_space:  global
        .offset:         56
        .size:           8
        .value_kind:     global_buffer
      - .offset:         64
        .size:           8
        .value_kind:     by_value
      - .offset:         72
        .size:           8
        .value_kind:     by_value
      - .offset:         80
        .size:           8
        .value_kind:     by_value
      - .offset:         88
        .size:           4
        .value_kind:     by_value
      - .offset:         96
        .size:           8
        .value_kind:     by_value
      - .address_space:  global
        .offset:         104
        .size:           8
        .value_kind:     global_buffer
      - .offset:         112
        .size:           8
        .value_kind:     by_value
      - .offset:         120
        .size:           8
        .value_kind:     by_value
      - .offset:         128
        .size:           8
        .value_kind:     by_value
      - .offset:         136
        .size:           4
        .value_kind:     by_value
    .group_segment_fixed_size: 256
    .kernarg_segment_align: 8
    .kernarg_segment_size: 140
    .language:       OpenCL C
    .language_version:
      - 2
      - 0
    .max_flat_workgroup_size: 256
    .name:           _ZL32rocblas_gemvt_warp_reduce_kernelILb0ELi256El16rocblas_bfloat16fS0_EviiT3_lPKT2_lT1_lS4_lS5_lS1_lPT4_lS5_li
    .private_segment_fixed_size: 0
    .sgpr_count:     38
    .sgpr_spill_count: 0
    .symbol:         _ZL32rocblas_gemvt_warp_reduce_kernelILb0ELi256El16rocblas_bfloat16fS0_EviiT3_lPKT2_lT1_lS4_lS5_lS1_lPT4_lS5_li.kd
    .uniform_work_group_size: 1
    .uses_dynamic_stack: false
    .vgpr_count:     14
    .vgpr_spill_count: 0
    .wavefront_size: 64
  - .agpr_count:     0
    .args:
      - .offset:         0
        .size:           4
        .value_kind:     by_value
      - .offset:         4
        .size:           4
        .value_kind:     by_value
      - .address_space:  global
        .offset:         8
        .size:           8
        .value_kind:     global_buffer
      - .offset:         16
        .size:           8
        .value_kind:     by_value
      - .address_space:  global
        .offset:         24
        .size:           8
        .value_kind:     global_buffer
      - .offset:         32
        .size:           8
        .value_kind:     by_value
      - .offset:         40
        .size:           4
        .value_kind:     by_value
      - .offset:         48
        .size:           8
        .value_kind:     by_value
      - .address_space:  global
        .offset:         56
        .size:           8
        .value_kind:     global_buffer
      - .offset:         64
        .size:           8
        .value_kind:     by_value
      - .offset:         72
        .size:           4
        .value_kind:     by_value
      - .offset:         80
        .size:           8
        .value_kind:     by_value
      - .address_space:  global
        .offset:         88
        .size:           8
        .value_kind:     global_buffer
      - .offset:         96
        .size:           8
        .value_kind:     by_value
      - .address_space:  global
        .offset:         104
        .size:           8
        .value_kind:     global_buffer
      - .offset:         112
        .size:           8
        .value_kind:     by_value
      - .offset:         120
        .size:           4
        .value_kind:     by_value
      - .offset:         128
        .size:           8
        .value_kind:     by_value
      - .offset:         136
        .size:           4
        .value_kind:     by_value
    .group_segment_fixed_size: 1024
    .kernarg_segment_align: 8
    .kernarg_segment_size: 140
    .language:       OpenCL C
    .language_version:
      - 2
      - 0
    .max_flat_workgroup_size: 256
    .name:           _ZL20rocblas_gemvt_kernelILb0ELi256E16rocblas_bfloat16PKfS0_EviiT2_lPKT1_lilS6_lilS3_lPT3_lili
    .private_segment_fixed_size: 0
    .sgpr_count:     32
    .sgpr_spill_count: 0
    .symbol:         _ZL20rocblas_gemvt_kernelILb0ELi256E16rocblas_bfloat16PKfS0_EviiT2_lPKT1_lilS6_lilS3_lPT3_lili.kd
    .uniform_work_group_size: 1
    .uses_dynamic_stack: false
    .vgpr_count:     12
    .vgpr_spill_count: 0
    .wavefront_size: 64
  - .agpr_count:     0
    .args:
      - .offset:         0
        .size:           4
        .value_kind:     by_value
      - .offset:         4
        .size:           4
        .value_kind:     by_value
      - .offset:         8
        .size:           4
        .value_kind:     by_value
      - .offset:         16
        .size:           8
        .value_kind:     by_value
      - .address_space:  global
        .offset:         24
        .size:           8
        .value_kind:     global_buffer
      - .offset:         32
        .size:           8
        .value_kind:     by_value
      - .offset:         40
        .size:           4
        .value_kind:     by_value
      - .offset:         48
        .size:           8
        .value_kind:     by_value
      - .address_space:  global
        .offset:         56
        .size:           8
        .value_kind:     global_buffer
      - .offset:         64
        .size:           8
        .value_kind:     by_value
      - .offset:         72
        .size:           4
        .value_kind:     by_value
      - .offset:         80
        .size:           8
        .value_kind:     by_value
      - .offset:         88
        .size:           4
        .value_kind:     by_value
      - .offset:         96
        .size:           8
        .value_kind:     by_value
      - .address_space:  global
        .offset:         104
        .size:           8
        .value_kind:     global_buffer
      - .offset:         112
        .size:           8
        .value_kind:     by_value
      - .offset:         120
        .size:           4
        .value_kind:     by_value
      - .offset:         128
        .size:           8
        .value_kind:     by_value
      - .offset:         136
        .size:           4
        .value_kind:     by_value
    .group_segment_fixed_size: 1024
    .kernarg_segment_align: 8
    .kernarg_segment_size: 140
    .language:       OpenCL C
    .language_version:
      - 2
      - 0
    .max_flat_workgroup_size: 256
    .name:           _ZL20rocblas_gemvt_kernelILb0ELi256E16rocblas_bfloat16fS0_EviiT2_lPKT1_lilS4_lilS1_lPT3_lili
    .private_segment_fixed_size: 0
    .sgpr_count:     32
    .sgpr_spill_count: 0
    .symbol:         _ZL20rocblas_gemvt_kernelILb0ELi256E16rocblas_bfloat16fS0_EviiT2_lPKT1_lilS4_lilS1_lPT3_lili.kd
    .uniform_work_group_size: 1
    .uses_dynamic_stack: false
    .vgpr_count:     12
    .vgpr_spill_count: 0
    .wavefront_size: 64
  - .agpr_count:     0
    .args:
      - .offset:         0
        .size:           4
        .value_kind:     by_value
      - .offset:         4
        .size:           4
        .value_kind:     by_value
      - .address_space:  global
        .offset:         8
        .size:           8
        .value_kind:     global_buffer
      - .offset:         16
        .size:           8
        .value_kind:     by_value
      - .address_space:  global
        .offset:         24
        .size:           8
        .value_kind:     global_buffer
      - .offset:         32
        .size:           8
        .value_kind:     by_value
      - .offset:         40
        .size:           4
        .value_kind:     by_value
      - .offset:         48
        .size:           8
        .value_kind:     by_value
      - .address_space:  global
        .offset:         56
        .size:           8
        .value_kind:     global_buffer
      - .offset:         64
        .size:           8
        .value_kind:     by_value
      - .offset:         72
        .size:           4
        .value_kind:     by_value
      - .offset:         80
        .size:           8
        .value_kind:     by_value
      - .address_space:  global
        .offset:         88
        .size:           8
        .value_kind:     global_buffer
      - .offset:         96
        .size:           8
        .value_kind:     by_value
      - .address_space:  global
        .offset:         104
        .size:           8
        .value_kind:     global_buffer
      - .offset:         112
        .size:           8
        .value_kind:     by_value
      - .offset:         120
        .size:           4
        .value_kind:     by_value
      - .offset:         128
        .size:           8
        .value_kind:     by_value
      - .offset:         136
        .size:           4
        .value_kind:     by_value
    .group_segment_fixed_size: 256
    .kernarg_segment_align: 8
    .kernarg_segment_size: 140
    .language:       OpenCL C
    .language_version:
      - 2
      - 0
    .max_flat_workgroup_size: 1024
    .name:           _ZL32rocblas_gemvt_warp_reduce_kernelILb0ELi1024Ei16rocblas_bfloat16PKfS0_EviiT3_lPKT2_lT1_lS6_lS7_lS3_lPT4_lS7_li
    .private_segment_fixed_size: 0
    .sgpr_count:     38
    .sgpr_spill_count: 0
    .symbol:         _ZL32rocblas_gemvt_warp_reduce_kernelILb0ELi1024Ei16rocblas_bfloat16PKfS0_EviiT3_lPKT2_lT1_lS6_lS7_lS3_lPT4_lS7_li.kd
    .uniform_work_group_size: 1
    .uses_dynamic_stack: false
    .vgpr_count:     14
    .vgpr_spill_count: 0
    .wavefront_size: 64
  - .agpr_count:     0
    .args:
      - .offset:         0
        .size:           4
        .value_kind:     by_value
      - .offset:         4
        .size:           4
        .value_kind:     by_value
      - .address_space:  global
        .offset:         8
        .size:           8
        .value_kind:     global_buffer
      - .offset:         16
        .size:           8
        .value_kind:     by_value
      - .address_space:  global
        .offset:         24
        .size:           8
        .value_kind:     global_buffer
      - .offset:         32
        .size:           8
        .value_kind:     by_value
      - .offset:         40
        .size:           8
        .value_kind:     by_value
      - .offset:         48
        .size:           8
        .value_kind:     by_value
      - .address_space:  global
        .offset:         56
        .size:           8
        .value_kind:     global_buffer
      - .offset:         64
        .size:           8
        .value_kind:     by_value
      - .offset:         72
        .size:           8
        .value_kind:     by_value
      - .offset:         80
        .size:           8
        .value_kind:     by_value
      - .address_space:  global
        .offset:         88
        .size:           8
        .value_kind:     global_buffer
      - .offset:         96
        .size:           8
        .value_kind:     by_value
      - .address_space:  global
        .offset:         104
        .size:           8
        .value_kind:     global_buffer
      - .offset:         112
        .size:           8
        .value_kind:     by_value
      - .offset:         120
        .size:           8
        .value_kind:     by_value
      - .offset:         128
        .size:           8
        .value_kind:     by_value
      - .offset:         136
        .size:           4
        .value_kind:     by_value
    .group_segment_fixed_size: 256
    .kernarg_segment_align: 8
    .kernarg_segment_size: 140
    .language:       OpenCL C
    .language_version:
      - 2
      - 0
    .max_flat_workgroup_size: 1024
    .name:           _ZL32rocblas_gemvt_warp_reduce_kernelILb0ELi1024El16rocblas_bfloat16PKfS0_EviiT3_lPKT2_lT1_lS6_lS7_lS3_lPT4_lS7_li
    .private_segment_fixed_size: 0
    .sgpr_count:     58
    .sgpr_spill_count: 0
    .symbol:         _ZL32rocblas_gemvt_warp_reduce_kernelILb0ELi1024El16rocblas_bfloat16PKfS0_EviiT3_lPKT2_lT1_lS6_lS7_lS3_lPT4_lS7_li.kd
    .uniform_work_group_size: 1
    .uses_dynamic_stack: false
    .vgpr_count:     14
    .vgpr_spill_count: 0
    .wavefront_size: 64
  - .agpr_count:     0
    .args:
      - .offset:         0
        .size:           4
        .value_kind:     by_value
      - .offset:         4
        .size:           4
        .value_kind:     by_value
      - .offset:         8
        .size:           4
        .value_kind:     by_value
      - .offset:         16
        .size:           8
        .value_kind:     by_value
      - .address_space:  global
        .offset:         24
        .size:           8
        .value_kind:     global_buffer
      - .offset:         32
        .size:           8
        .value_kind:     by_value
      - .offset:         40
        .size:           4
        .value_kind:     by_value
      - .offset:         48
        .size:           8
        .value_kind:     by_value
      - .address_space:  global
        .offset:         56
        .size:           8
        .value_kind:     global_buffer
      - .offset:         64
        .size:           8
        .value_kind:     by_value
      - .offset:         72
        .size:           4
        .value_kind:     by_value
      - .offset:         80
        .size:           8
        .value_kind:     by_value
      - .offset:         88
        .size:           4
        .value_kind:     by_value
      - .offset:         96
        .size:           8
        .value_kind:     by_value
      - .address_space:  global
        .offset:         104
        .size:           8
        .value_kind:     global_buffer
      - .offset:         112
        .size:           8
        .value_kind:     by_value
      - .offset:         120
        .size:           4
        .value_kind:     by_value
      - .offset:         128
        .size:           8
        .value_kind:     by_value
      - .offset:         136
        .size:           4
        .value_kind:     by_value
    .group_segment_fixed_size: 256
    .kernarg_segment_align: 8
    .kernarg_segment_size: 140
    .language:       OpenCL C
    .language_version:
      - 2
      - 0
    .max_flat_workgroup_size: 1024
    .name:           _ZL32rocblas_gemvt_warp_reduce_kernelILb0ELi1024Ei16rocblas_bfloat16fS0_EviiT3_lPKT2_lT1_lS4_lS5_lS1_lPT4_lS5_li
    .private_segment_fixed_size: 0
    .sgpr_count:     32
    .sgpr_spill_count: 0
    .symbol:         _ZL32rocblas_gemvt_warp_reduce_kernelILb0ELi1024Ei16rocblas_bfloat16fS0_EviiT3_lPKT2_lT1_lS4_lS5_lS1_lPT4_lS5_li.kd
    .uniform_work_group_size: 1
    .uses_dynamic_stack: false
    .vgpr_count:     14
    .vgpr_spill_count: 0
    .wavefront_size: 64
  - .agpr_count:     0
    .args:
      - .offset:         0
        .size:           4
        .value_kind:     by_value
      - .offset:         4
        .size:           4
        .value_kind:     by_value
      - .offset:         8
        .size:           4
        .value_kind:     by_value
      - .offset:         16
        .size:           8
        .value_kind:     by_value
      - .address_space:  global
        .offset:         24
        .size:           8
        .value_kind:     global_buffer
      - .offset:         32
        .size:           8
        .value_kind:     by_value
      - .offset:         40
        .size:           8
        .value_kind:     by_value
      - .offset:         48
        .size:           8
        .value_kind:     by_value
      - .address_space:  global
        .offset:         56
        .size:           8
        .value_kind:     global_buffer
      - .offset:         64
        .size:           8
        .value_kind:     by_value
      - .offset:         72
        .size:           8
        .value_kind:     by_value
      - .offset:         80
        .size:           8
        .value_kind:     by_value
      - .offset:         88
        .size:           4
        .value_kind:     by_value
      - .offset:         96
        .size:           8
        .value_kind:     by_value
      - .address_space:  global
        .offset:         104
        .size:           8
        .value_kind:     global_buffer
      - .offset:         112
        .size:           8
        .value_kind:     by_value
      - .offset:         120
        .size:           8
        .value_kind:     by_value
      - .offset:         128
        .size:           8
        .value_kind:     by_value
      - .offset:         136
        .size:           4
        .value_kind:     by_value
    .group_segment_fixed_size: 256
    .kernarg_segment_align: 8
    .kernarg_segment_size: 140
    .language:       OpenCL C
    .language_version:
      - 2
      - 0
    .max_flat_workgroup_size: 1024
    .name:           _ZL32rocblas_gemvt_warp_reduce_kernelILb0ELi1024El16rocblas_bfloat16fS0_EviiT3_lPKT2_lT1_lS4_lS5_lS1_lPT4_lS5_li
    .private_segment_fixed_size: 0
    .sgpr_count:     38
    .sgpr_spill_count: 0
    .symbol:         _ZL32rocblas_gemvt_warp_reduce_kernelILb0ELi1024El16rocblas_bfloat16fS0_EviiT3_lPKT2_lT1_lS4_lS5_lS1_lPT4_lS5_li.kd
    .uniform_work_group_size: 1
    .uses_dynamic_stack: false
    .vgpr_count:     14
    .vgpr_spill_count: 0
    .wavefront_size: 64
  - .agpr_count:     0
    .args:
      - .offset:         0
        .size:           4
        .value_kind:     by_value
      - .offset:         4
        .size:           4
        .value_kind:     by_value
      - .address_space:  global
        .offset:         8
        .size:           8
        .value_kind:     global_buffer
      - .offset:         16
        .size:           8
        .value_kind:     by_value
      - .address_space:  global
        .offset:         24
        .size:           8
        .value_kind:     global_buffer
      - .offset:         32
        .size:           8
        .value_kind:     by_value
      - .offset:         40
        .size:           4
        .value_kind:     by_value
      - .offset:         48
        .size:           8
        .value_kind:     by_value
      - .address_space:  global
        .offset:         56
        .size:           8
        .value_kind:     global_buffer
      - .offset:         64
        .size:           8
        .value_kind:     by_value
      - .offset:         72
        .size:           4
        .value_kind:     by_value
      - .offset:         80
        .size:           8
        .value_kind:     by_value
      - .address_space:  global
        .offset:         88
        .size:           8
        .value_kind:     global_buffer
      - .offset:         96
        .size:           8
        .value_kind:     by_value
      - .address_space:  global
        .offset:         104
        .size:           8
        .value_kind:     global_buffer
      - .offset:         112
        .size:           8
        .value_kind:     by_value
      - .offset:         120
        .size:           4
        .value_kind:     by_value
      - .offset:         128
        .size:           8
        .value_kind:     by_value
    .group_segment_fixed_size: 256
    .kernarg_segment_align: 8
    .kernarg_segment_size: 136
    .language:       OpenCL C
    .language_version:
      - 2
      - 0
    .max_flat_workgroup_size: 256
    .name:           _ZL22rocblas_gemvtsm_kernelILb1ELi256E16rocblas_bfloat16PKfS0_EviiT2_lPKT1_lilS6_lilS3_lPT3_lil
    .private_segment_fixed_size: 0
    .sgpr_count:     35
    .sgpr_spill_count: 0
    .symbol:         _ZL22rocblas_gemvtsm_kernelILb1ELi256E16rocblas_bfloat16PKfS0_EviiT2_lPKT1_lilS6_lilS3_lPT3_lil.kd
    .uniform_work_group_size: 1
    .uses_dynamic_stack: false
    .vgpr_count:     16
    .vgpr_spill_count: 0
    .wavefront_size: 64
  - .agpr_count:     0
    .args:
      - .offset:         0
        .size:           4
        .value_kind:     by_value
      - .offset:         4
        .size:           4
        .value_kind:     by_value
      - .offset:         8
        .size:           4
        .value_kind:     by_value
      - .offset:         16
        .size:           8
        .value_kind:     by_value
      - .address_space:  global
        .offset:         24
        .size:           8
        .value_kind:     global_buffer
      - .offset:         32
        .size:           8
        .value_kind:     by_value
      - .offset:         40
        .size:           4
        .value_kind:     by_value
      - .offset:         48
        .size:           8
        .value_kind:     by_value
      - .address_space:  global
        .offset:         56
        .size:           8
        .value_kind:     global_buffer
      - .offset:         64
        .size:           8
        .value_kind:     by_value
      - .offset:         72
        .size:           4
        .value_kind:     by_value
      - .offset:         80
        .size:           8
        .value_kind:     by_value
      - .offset:         88
        .size:           4
        .value_kind:     by_value
      - .offset:         96
        .size:           8
        .value_kind:     by_value
      - .address_space:  global
        .offset:         104
        .size:           8
        .value_kind:     global_buffer
      - .offset:         112
        .size:           8
        .value_kind:     by_value
      - .offset:         120
        .size:           4
        .value_kind:     by_value
      - .offset:         128
        .size:           8
        .value_kind:     by_value
    .group_segment_fixed_size: 256
    .kernarg_segment_align: 8
    .kernarg_segment_size: 136
    .language:       OpenCL C
    .language_version:
      - 2
      - 0
    .max_flat_workgroup_size: 256
    .name:           _ZL22rocblas_gemvtsm_kernelILb1ELi256E16rocblas_bfloat16fS0_EviiT2_lPKT1_lilS4_lilS1_lPT3_lil
    .private_segment_fixed_size: 0
    .sgpr_count:     38
    .sgpr_spill_count: 0
    .symbol:         _ZL22rocblas_gemvtsm_kernelILb1ELi256E16rocblas_bfloat16fS0_EviiT2_lPKT1_lilS4_lilS1_lPT3_lil.kd
    .uniform_work_group_size: 1
    .uses_dynamic_stack: false
    .vgpr_count:     16
    .vgpr_spill_count: 0
    .wavefront_size: 64
  - .agpr_count:     0
    .args:
      - .offset:         0
        .size:           4
        .value_kind:     by_value
      - .offset:         4
        .size:           4
        .value_kind:     by_value
      - .address_space:  global
        .offset:         8
        .size:           8
        .value_kind:     global_buffer
      - .offset:         16
        .size:           8
        .value_kind:     by_value
      - .address_space:  global
        .offset:         24
        .size:           8
        .value_kind:     global_buffer
      - .offset:         32
        .size:           8
        .value_kind:     by_value
      - .offset:         40
        .size:           4
        .value_kind:     by_value
      - .offset:         48
        .size:           8
        .value_kind:     by_value
      - .address_space:  global
        .offset:         56
        .size:           8
        .value_kind:     global_buffer
      - .offset:         64
        .size:           8
        .value_kind:     by_value
      - .offset:         72
        .size:           4
        .value_kind:     by_value
      - .offset:         80
        .size:           8
        .value_kind:     by_value
      - .address_space:  global
        .offset:         88
        .size:           8
        .value_kind:     global_buffer
      - .offset:         96
        .size:           4
        .value_kind:     by_value
      - .offset:         104
        .size:           4
        .value_kind:     hidden_block_count_x
      - .offset:         108
        .size:           4
        .value_kind:     hidden_block_count_y
      - .offset:         112
        .size:           4
        .value_kind:     hidden_block_count_z
      - .offset:         116
        .size:           2
        .value_kind:     hidden_group_size_x
      - .offset:         118
        .size:           2
        .value_kind:     hidden_group_size_y
      - .offset:         120
        .size:           2
        .value_kind:     hidden_group_size_z
      - .offset:         122
        .size:           2
        .value_kind:     hidden_remainder_x
      - .offset:         124
        .size:           2
        .value_kind:     hidden_remainder_y
      - .offset:         126
        .size:           2
        .value_kind:     hidden_remainder_z
      - .offset:         144
        .size:           8
        .value_kind:     hidden_global_offset_x
      - .offset:         152
        .size:           8
        .value_kind:     hidden_global_offset_y
      - .offset:         160
        .size:           8
        .value_kind:     hidden_global_offset_z
      - .offset:         168
        .size:           2
        .value_kind:     hidden_grid_dims
    .group_segment_fixed_size: 256
    .kernarg_segment_align: 8
    .kernarg_segment_size: 360
    .language:       OpenCL C
    .language_version:
      - 2
      - 0
    .max_flat_workgroup_size: 256
    .name:           _ZL23rocblas_gemvt_sn_kernelILb1ELi256ELi4Ei16rocblas_bfloat16PKffEviiT4_lPKT3_lilS6_lilPT5_i
    .private_segment_fixed_size: 0
    .sgpr_count:     64
    .sgpr_spill_count: 0
    .symbol:         _ZL23rocblas_gemvt_sn_kernelILb1ELi256ELi4Ei16rocblas_bfloat16PKffEviiT4_lPKT3_lilS6_lilPT5_i.kd
    .uniform_work_group_size: 1
    .uses_dynamic_stack: false
    .vgpr_count:     64
    .vgpr_spill_count: 0
    .wavefront_size: 64
  - .agpr_count:     0
    .args:
      - .offset:         0
        .size:           4
        .value_kind:     by_value
      - .offset:         4
        .size:           4
        .value_kind:     by_value
      - .address_space:  global
        .offset:         8
        .size:           8
        .value_kind:     global_buffer
      - .offset:         16
        .size:           8
        .value_kind:     by_value
      - .address_space:  global
        .offset:         24
        .size:           8
        .value_kind:     global_buffer
      - .offset:         32
        .size:           8
        .value_kind:     by_value
      - .offset:         40
        .size:           4
        .value_kind:     by_value
      - .offset:         48
        .size:           8
        .value_kind:     by_value
      - .address_space:  global
        .offset:         56
        .size:           8
        .value_kind:     global_buffer
      - .offset:         64
        .size:           8
        .value_kind:     by_value
      - .offset:         72
        .size:           4
        .value_kind:     by_value
      - .offset:         80
        .size:           8
        .value_kind:     by_value
      - .address_space:  global
        .offset:         88
        .size:           8
        .value_kind:     global_buffer
      - .offset:         96
        .size:           4
        .value_kind:     by_value
      - .offset:         104
        .size:           4
        .value_kind:     hidden_block_count_x
      - .offset:         108
        .size:           4
        .value_kind:     hidden_block_count_y
      - .offset:         112
        .size:           4
        .value_kind:     hidden_block_count_z
      - .offset:         116
        .size:           2
        .value_kind:     hidden_group_size_x
      - .offset:         118
        .size:           2
        .value_kind:     hidden_group_size_y
      - .offset:         120
        .size:           2
        .value_kind:     hidden_group_size_z
      - .offset:         122
        .size:           2
        .value_kind:     hidden_remainder_x
      - .offset:         124
        .size:           2
        .value_kind:     hidden_remainder_y
      - .offset:         126
        .size:           2
        .value_kind:     hidden_remainder_z
      - .offset:         144
        .size:           8
        .value_kind:     hidden_global_offset_x
      - .offset:         152
        .size:           8
        .value_kind:     hidden_global_offset_y
      - .offset:         160
        .size:           8
        .value_kind:     hidden_global_offset_z
      - .offset:         168
        .size:           2
        .value_kind:     hidden_grid_dims
    .group_segment_fixed_size: 256
    .kernarg_segment_align: 8
    .kernarg_segment_size: 360
    .language:       OpenCL C
    .language_version:
      - 2
      - 0
    .max_flat_workgroup_size: 256
    .name:           _ZL23rocblas_gemvt_sn_kernelILb1ELi256ELi4El16rocblas_bfloat16PKffEviiT4_lPKT3_lilS6_lilPT5_i
    .private_segment_fixed_size: 0
    .sgpr_count:     69
    .sgpr_spill_count: 0
    .symbol:         _ZL23rocblas_gemvt_sn_kernelILb1ELi256ELi4El16rocblas_bfloat16PKffEviiT4_lPKT3_lilS6_lilPT5_i.kd
    .uniform_work_group_size: 1
    .uses_dynamic_stack: false
    .vgpr_count:     64
    .vgpr_spill_count: 0
    .wavefront_size: 64
  - .agpr_count:     0
    .args:
      - .offset:         0
        .size:           4
        .value_kind:     by_value
      - .offset:         4
        .size:           4
        .value_kind:     by_value
      - .offset:         8
        .size:           4
        .value_kind:     by_value
      - .offset:         16
        .size:           8
        .value_kind:     by_value
      - .address_space:  global
        .offset:         24
        .size:           8
        .value_kind:     global_buffer
      - .offset:         32
        .size:           8
        .value_kind:     by_value
      - .offset:         40
        .size:           4
        .value_kind:     by_value
      - .offset:         48
        .size:           8
        .value_kind:     by_value
      - .address_space:  global
        .offset:         56
        .size:           8
        .value_kind:     global_buffer
      - .offset:         64
        .size:           8
        .value_kind:     by_value
      - .offset:         72
        .size:           4
        .value_kind:     by_value
      - .offset:         80
        .size:           8
        .value_kind:     by_value
      - .address_space:  global
        .offset:         88
        .size:           8
        .value_kind:     global_buffer
      - .offset:         96
        .size:           4
        .value_kind:     by_value
      - .offset:         104
        .size:           4
        .value_kind:     hidden_block_count_x
      - .offset:         108
        .size:           4
        .value_kind:     hidden_block_count_y
      - .offset:         112
        .size:           4
        .value_kind:     hidden_block_count_z
      - .offset:         116
        .size:           2
        .value_kind:     hidden_group_size_x
      - .offset:         118
        .size:           2
        .value_kind:     hidden_group_size_y
      - .offset:         120
        .size:           2
        .value_kind:     hidden_group_size_z
      - .offset:         122
        .size:           2
        .value_kind:     hidden_remainder_x
      - .offset:         124
        .size:           2
        .value_kind:     hidden_remainder_y
      - .offset:         126
        .size:           2
        .value_kind:     hidden_remainder_z
      - .offset:         144
        .size:           8
        .value_kind:     hidden_global_offset_x
      - .offset:         152
        .size:           8
        .value_kind:     hidden_global_offset_y
      - .offset:         160
        .size:           8
        .value_kind:     hidden_global_offset_z
      - .offset:         168
        .size:           2
        .value_kind:     hidden_grid_dims
    .group_segment_fixed_size: 256
    .kernarg_segment_align: 8
    .kernarg_segment_size: 360
    .language:       OpenCL C
    .language_version:
      - 2
      - 0
    .max_flat_workgroup_size: 256
    .name:           _ZL23rocblas_gemvt_sn_kernelILb1ELi256ELi4Ei16rocblas_bfloat16ffEviiT4_lPKT3_lilS4_lilPT5_i
    .private_segment_fixed_size: 0
    .sgpr_count:     64
    .sgpr_spill_count: 0
    .symbol:         _ZL23rocblas_gemvt_sn_kernelILb1ELi256ELi4Ei16rocblas_bfloat16ffEviiT4_lPKT3_lilS4_lilPT5_i.kd
    .uniform_work_group_size: 1
    .uses_dynamic_stack: false
    .vgpr_count:     64
    .vgpr_spill_count: 0
    .wavefront_size: 64
  - .agpr_count:     0
    .args:
      - .offset:         0
        .size:           4
        .value_kind:     by_value
      - .offset:         4
        .size:           4
        .value_kind:     by_value
      - .offset:         8
        .size:           4
        .value_kind:     by_value
      - .offset:         16
        .size:           8
        .value_kind:     by_value
      - .address_space:  global
        .offset:         24
        .size:           8
        .value_kind:     global_buffer
      - .offset:         32
        .size:           8
        .value_kind:     by_value
      - .offset:         40
        .size:           4
        .value_kind:     by_value
      - .offset:         48
        .size:           8
        .value_kind:     by_value
      - .address_space:  global
        .offset:         56
        .size:           8
        .value_kind:     global_buffer
      - .offset:         64
        .size:           8
        .value_kind:     by_value
      - .offset:         72
        .size:           4
        .value_kind:     by_value
      - .offset:         80
        .size:           8
        .value_kind:     by_value
      - .address_space:  global
        .offset:         88
        .size:           8
        .value_kind:     global_buffer
      - .offset:         96
        .size:           4
        .value_kind:     by_value
      - .offset:         104
        .size:           4
        .value_kind:     hidden_block_count_x
      - .offset:         108
        .size:           4
        .value_kind:     hidden_block_count_y
      - .offset:         112
        .size:           4
        .value_kind:     hidden_block_count_z
      - .offset:         116
        .size:           2
        .value_kind:     hidden_group_size_x
      - .offset:         118
        .size:           2
        .value_kind:     hidden_group_size_y
      - .offset:         120
        .size:           2
        .value_kind:     hidden_group_size_z
      - .offset:         122
        .size:           2
        .value_kind:     hidden_remainder_x
      - .offset:         124
        .size:           2
        .value_kind:     hidden_remainder_y
      - .offset:         126
        .size:           2
        .value_kind:     hidden_remainder_z
      - .offset:         144
        .size:           8
        .value_kind:     hidden_global_offset_x
      - .offset:         152
        .size:           8
        .value_kind:     hidden_global_offset_y
      - .offset:         160
        .size:           8
        .value_kind:     hidden_global_offset_z
      - .offset:         168
        .size:           2
        .value_kind:     hidden_grid_dims
    .group_segment_fixed_size: 256
    .kernarg_segment_align: 8
    .kernarg_segment_size: 360
    .language:       OpenCL C
    .language_version:
      - 2
      - 0
    .max_flat_workgroup_size: 256
    .name:           _ZL23rocblas_gemvt_sn_kernelILb1ELi256ELi4El16rocblas_bfloat16ffEviiT4_lPKT3_lilS4_lilPT5_i
    .private_segment_fixed_size: 0
    .sgpr_count:     69
    .sgpr_spill_count: 0
    .symbol:         _ZL23rocblas_gemvt_sn_kernelILb1ELi256ELi4El16rocblas_bfloat16ffEviiT4_lPKT3_lilS4_lilPT5_i.kd
    .uniform_work_group_size: 1
    .uses_dynamic_stack: false
    .vgpr_count:     64
    .vgpr_spill_count: 0
    .wavefront_size: 64
  - .agpr_count:     0
    .args:
      - .offset:         0
        .size:           4
        .value_kind:     by_value
      - .offset:         4
        .size:           4
        .value_kind:     by_value
      - .address_space:  global
        .offset:         8
        .size:           8
        .value_kind:     global_buffer
      - .offset:         16
        .size:           8
        .value_kind:     by_value
      - .address_space:  global
        .offset:         24
        .size:           8
        .value_kind:     global_buffer
      - .offset:         32
        .size:           8
        .value_kind:     by_value
      - .offset:         40
        .size:           4
        .value_kind:     by_value
      - .offset:         48
        .size:           8
        .value_kind:     by_value
      - .address_space:  global
        .offset:         56
        .size:           8
        .value_kind:     global_buffer
      - .offset:         64
        .size:           8
        .value_kind:     by_value
      - .offset:         72
        .size:           4
        .value_kind:     by_value
      - .offset:         80
        .size:           8
        .value_kind:     by_value
      - .address_space:  global
        .offset:         88
        .size:           8
        .value_kind:     global_buffer
      - .offset:         96
        .size:           8
        .value_kind:     by_value
      - .address_space:  global
        .offset:         104
        .size:           8
        .value_kind:     global_buffer
      - .offset:         112
        .size:           8
        .value_kind:     by_value
      - .offset:         120
        .size:           4
        .value_kind:     by_value
      - .offset:         128
        .size:           8
        .value_kind:     by_value
      - .offset:         136
        .size:           4
        .value_kind:     by_value
    .group_segment_fixed_size: 1024
    .kernarg_segment_align: 8
    .kernarg_segment_size: 140
    .language:       OpenCL C
    .language_version:
      - 2
      - 0
    .max_flat_workgroup_size: 256
    .name:           _ZL20rocblas_gemvt_kernelILb1ELi256E16rocblas_bfloat16PKfS0_EviiT2_lPKT1_lilS6_lilS3_lPT3_lili
    .private_segment_fixed_size: 0
    .sgpr_count:     32
    .sgpr_spill_count: 0
    .symbol:         _ZL20rocblas_gemvt_kernelILb1ELi256E16rocblas_bfloat16PKfS0_EviiT2_lPKT1_lilS6_lilS3_lPT3_lili.kd
    .uniform_work_group_size: 1
    .uses_dynamic_stack: false
    .vgpr_count:     12
    .vgpr_spill_count: 0
    .wavefront_size: 64
  - .agpr_count:     0
    .args:
      - .offset:         0
        .size:           4
        .value_kind:     by_value
      - .offset:         4
        .size:           4
        .value_kind:     by_value
      - .offset:         8
        .size:           4
        .value_kind:     by_value
      - .offset:         16
        .size:           8
        .value_kind:     by_value
      - .address_space:  global
        .offset:         24
        .size:           8
        .value_kind:     global_buffer
      - .offset:         32
        .size:           8
        .value_kind:     by_value
      - .offset:         40
        .size:           4
        .value_kind:     by_value
      - .offset:         48
        .size:           8
        .value_kind:     by_value
      - .address_space:  global
        .offset:         56
        .size:           8
        .value_kind:     global_buffer
      - .offset:         64
        .size:           8
        .value_kind:     by_value
      - .offset:         72
        .size:           4
        .value_kind:     by_value
      - .offset:         80
        .size:           8
        .value_kind:     by_value
      - .offset:         88
        .size:           4
        .value_kind:     by_value
      - .offset:         96
        .size:           8
        .value_kind:     by_value
      - .address_space:  global
        .offset:         104
        .size:           8
        .value_kind:     global_buffer
      - .offset:         112
        .size:           8
        .value_kind:     by_value
      - .offset:         120
        .size:           4
        .value_kind:     by_value
      - .offset:         128
        .size:           8
        .value_kind:     by_value
      - .offset:         136
        .size:           4
        .value_kind:     by_value
    .group_segment_fixed_size: 1024
    .kernarg_segment_align: 8
    .kernarg_segment_size: 140
    .language:       OpenCL C
    .language_version:
      - 2
      - 0
    .max_flat_workgroup_size: 256
    .name:           _ZL20rocblas_gemvt_kernelILb1ELi256E16rocblas_bfloat16fS0_EviiT2_lPKT1_lilS4_lilS1_lPT3_lili
    .private_segment_fixed_size: 0
    .sgpr_count:     32
    .sgpr_spill_count: 0
    .symbol:         _ZL20rocblas_gemvt_kernelILb1ELi256E16rocblas_bfloat16fS0_EviiT2_lPKT1_lilS4_lilS1_lPT3_lili.kd
    .uniform_work_group_size: 1
    .uses_dynamic_stack: false
    .vgpr_count:     12
    .vgpr_spill_count: 0
    .wavefront_size: 64
  - .agpr_count:     0
    .args:
      - .offset:         0
        .size:           4
        .value_kind:     by_value
      - .offset:         4
        .size:           4
        .value_kind:     by_value
      - .address_space:  global
        .offset:         8
        .size:           8
        .value_kind:     global_buffer
      - .offset:         16
        .size:           8
        .value_kind:     by_value
      - .address_space:  global
        .offset:         24
        .size:           8
        .value_kind:     global_buffer
      - .offset:         32
        .size:           8
        .value_kind:     by_value
      - .offset:         40
        .size:           4
        .value_kind:     by_value
      - .offset:         48
        .size:           8
        .value_kind:     by_value
      - .address_space:  global
        .offset:         56
        .size:           8
        .value_kind:     global_buffer
      - .offset:         64
        .size:           8
        .value_kind:     by_value
      - .offset:         72
        .size:           4
        .value_kind:     by_value
      - .offset:         80
        .size:           8
        .value_kind:     by_value
      - .address_space:  global
        .offset:         88
        .size:           8
        .value_kind:     global_buffer
      - .offset:         96
        .size:           8
        .value_kind:     by_value
      - .address_space:  global
        .offset:         104
        .size:           8
        .value_kind:     global_buffer
      - .offset:         112
        .size:           8
        .value_kind:     by_value
      - .offset:         120
        .size:           4
        .value_kind:     by_value
      - .offset:         128
        .size:           8
        .value_kind:     by_value
      - .offset:         136
        .size:           4
        .value_kind:     by_value
    .group_segment_fixed_size: 256
    .kernarg_segment_align: 8
    .kernarg_segment_size: 140
    .language:       OpenCL C
    .language_version:
      - 2
      - 0
    .max_flat_workgroup_size: 1024
    .name:           _ZL32rocblas_gemvt_warp_reduce_kernelILb1ELi1024Ei16rocblas_bfloat16PKfS0_EviiT3_lPKT2_lT1_lS6_lS7_lS3_lPT4_lS7_li
    .private_segment_fixed_size: 0
    .sgpr_count:     38
    .sgpr_spill_count: 0
    .symbol:         _ZL32rocblas_gemvt_warp_reduce_kernelILb1ELi1024Ei16rocblas_bfloat16PKfS0_EviiT3_lPKT2_lT1_lS6_lS7_lS3_lPT4_lS7_li.kd
    .uniform_work_group_size: 1
    .uses_dynamic_stack: false
    .vgpr_count:     14
    .vgpr_spill_count: 0
    .wavefront_size: 64
  - .agpr_count:     0
    .args:
      - .offset:         0
        .size:           4
        .value_kind:     by_value
      - .offset:         4
        .size:           4
        .value_kind:     by_value
      - .address_space:  global
        .offset:         8
        .size:           8
        .value_kind:     global_buffer
      - .offset:         16
        .size:           8
        .value_kind:     by_value
      - .address_space:  global
        .offset:         24
        .size:           8
        .value_kind:     global_buffer
      - .offset:         32
        .size:           8
        .value_kind:     by_value
      - .offset:         40
        .size:           8
        .value_kind:     by_value
      - .offset:         48
        .size:           8
        .value_kind:     by_value
      - .address_space:  global
        .offset:         56
        .size:           8
        .value_kind:     global_buffer
      - .offset:         64
        .size:           8
        .value_kind:     by_value
      - .offset:         72
        .size:           8
        .value_kind:     by_value
      - .offset:         80
        .size:           8
        .value_kind:     by_value
      - .address_space:  global
        .offset:         88
        .size:           8
        .value_kind:     global_buffer
      - .offset:         96
        .size:           8
        .value_kind:     by_value
      - .address_space:  global
        .offset:         104
        .size:           8
        .value_kind:     global_buffer
      - .offset:         112
        .size:           8
        .value_kind:     by_value
      - .offset:         120
        .size:           8
        .value_kind:     by_value
      - .offset:         128
        .size:           8
        .value_kind:     by_value
      - .offset:         136
        .size:           4
        .value_kind:     by_value
    .group_segment_fixed_size: 256
    .kernarg_segment_align: 8
    .kernarg_segment_size: 140
    .language:       OpenCL C
    .language_version:
      - 2
      - 0
    .max_flat_workgroup_size: 1024
    .name:           _ZL32rocblas_gemvt_warp_reduce_kernelILb1ELi1024El16rocblas_bfloat16PKfS0_EviiT3_lPKT2_lT1_lS6_lS7_lS3_lPT4_lS7_li
    .private_segment_fixed_size: 0
    .sgpr_count:     58
    .sgpr_spill_count: 0
    .symbol:         _ZL32rocblas_gemvt_warp_reduce_kernelILb1ELi1024El16rocblas_bfloat16PKfS0_EviiT3_lPKT2_lT1_lS6_lS7_lS3_lPT4_lS7_li.kd
    .uniform_work_group_size: 1
    .uses_dynamic_stack: false
    .vgpr_count:     14
    .vgpr_spill_count: 0
    .wavefront_size: 64
  - .agpr_count:     0
    .args:
      - .offset:         0
        .size:           4
        .value_kind:     by_value
      - .offset:         4
        .size:           4
        .value_kind:     by_value
      - .offset:         8
        .size:           4
        .value_kind:     by_value
      - .offset:         16
        .size:           8
        .value_kind:     by_value
      - .address_space:  global
        .offset:         24
        .size:           8
        .value_kind:     global_buffer
      - .offset:         32
        .size:           8
        .value_kind:     by_value
      - .offset:         40
        .size:           4
        .value_kind:     by_value
      - .offset:         48
        .size:           8
        .value_kind:     by_value
      - .address_space:  global
        .offset:         56
        .size:           8
        .value_kind:     global_buffer
      - .offset:         64
        .size:           8
        .value_kind:     by_value
      - .offset:         72
        .size:           4
        .value_kind:     by_value
      - .offset:         80
        .size:           8
        .value_kind:     by_value
      - .offset:         88
        .size:           4
        .value_kind:     by_value
      - .offset:         96
        .size:           8
        .value_kind:     by_value
      - .address_space:  global
        .offset:         104
        .size:           8
        .value_kind:     global_buffer
      - .offset:         112
        .size:           8
        .value_kind:     by_value
      - .offset:         120
        .size:           4
        .value_kind:     by_value
      - .offset:         128
        .size:           8
        .value_kind:     by_value
      - .offset:         136
        .size:           4
        .value_kind:     by_value
    .group_segment_fixed_size: 256
    .kernarg_segment_align: 8
    .kernarg_segment_size: 140
    .language:       OpenCL C
    .language_version:
      - 2
      - 0
    .max_flat_workgroup_size: 1024
    .name:           _ZL32rocblas_gemvt_warp_reduce_kernelILb1ELi1024Ei16rocblas_bfloat16fS0_EviiT3_lPKT2_lT1_lS4_lS5_lS1_lPT4_lS5_li
    .private_segment_fixed_size: 0
    .sgpr_count:     32
    .sgpr_spill_count: 0
    .symbol:         _ZL32rocblas_gemvt_warp_reduce_kernelILb1ELi1024Ei16rocblas_bfloat16fS0_EviiT3_lPKT2_lT1_lS4_lS5_lS1_lPT4_lS5_li.kd
    .uniform_work_group_size: 1
    .uses_dynamic_stack: false
    .vgpr_count:     14
    .vgpr_spill_count: 0
    .wavefront_size: 64
  - .agpr_count:     0
    .args:
      - .offset:         0
        .size:           4
        .value_kind:     by_value
      - .offset:         4
        .size:           4
        .value_kind:     by_value
      - .offset:         8
        .size:           4
        .value_kind:     by_value
      - .offset:         16
        .size:           8
        .value_kind:     by_value
      - .address_space:  global
        .offset:         24
        .size:           8
        .value_kind:     global_buffer
      - .offset:         32
        .size:           8
        .value_kind:     by_value
      - .offset:         40
        .size:           8
        .value_kind:     by_value
      - .offset:         48
        .size:           8
        .value_kind:     by_value
      - .address_space:  global
        .offset:         56
        .size:           8
        .value_kind:     global_buffer
      - .offset:         64
        .size:           8
        .value_kind:     by_value
      - .offset:         72
        .size:           8
        .value_kind:     by_value
      - .offset:         80
        .size:           8
        .value_kind:     by_value
      - .offset:         88
        .size:           4
        .value_kind:     by_value
      - .offset:         96
        .size:           8
        .value_kind:     by_value
      - .address_space:  global
        .offset:         104
        .size:           8
        .value_kind:     global_buffer
      - .offset:         112
        .size:           8
        .value_kind:     by_value
      - .offset:         120
        .size:           8
        .value_kind:     by_value
      - .offset:         128
        .size:           8
        .value_kind:     by_value
      - .offset:         136
        .size:           4
        .value_kind:     by_value
    .group_segment_fixed_size: 256
    .kernarg_segment_align: 8
    .kernarg_segment_size: 140
    .language:       OpenCL C
    .language_version:
      - 2
      - 0
    .max_flat_workgroup_size: 1024
    .name:           _ZL32rocblas_gemvt_warp_reduce_kernelILb1ELi1024El16rocblas_bfloat16fS0_EviiT3_lPKT2_lT1_lS4_lS5_lS1_lPT4_lS5_li
    .private_segment_fixed_size: 0
    .sgpr_count:     38
    .sgpr_spill_count: 0
    .symbol:         _ZL32rocblas_gemvt_warp_reduce_kernelILb1ELi1024El16rocblas_bfloat16fS0_EviiT3_lPKT2_lT1_lS4_lS5_lS1_lPT4_lS5_li.kd
    .uniform_work_group_size: 1
    .uses_dynamic_stack: false
    .vgpr_count:     14
    .vgpr_spill_count: 0
    .wavefront_size: 64
  - .agpr_count:     0
    .args:
      - .offset:         0
        .size:           4
        .value_kind:     by_value
      - .offset:         4
        .size:           4
        .value_kind:     by_value
      - .address_space:  global
        .offset:         8
        .size:           8
        .value_kind:     global_buffer
      - .offset:         16
        .size:           8
        .value_kind:     by_value
      - .address_space:  global
        .offset:         24
        .size:           8
        .value_kind:     global_buffer
      - .offset:         32
        .size:           8
        .value_kind:     by_value
      - .offset:         40
        .size:           4
        .value_kind:     by_value
      - .offset:         48
        .size:           8
        .value_kind:     by_value
      - .address_space:  global
        .offset:         56
        .size:           8
        .value_kind:     global_buffer
      - .offset:         64
        .size:           8
        .value_kind:     by_value
      - .offset:         72
        .size:           4
        .value_kind:     by_value
      - .offset:         80
        .size:           8
        .value_kind:     by_value
      - .address_space:  global
        .offset:         88
        .size:           8
        .value_kind:     global_buffer
      - .offset:         96
        .size:           8
        .value_kind:     by_value
      - .address_space:  global
        .offset:         104
        .size:           8
        .value_kind:     global_buffer
      - .offset:         112
        .size:           8
        .value_kind:     by_value
      - .offset:         120
        .size:           4
        .value_kind:     by_value
      - .offset:         128
        .size:           8
        .value_kind:     by_value
      - .offset:         136
        .size:           4
        .value_kind:     by_value
      - .offset:         144
        .size:           4
        .value_kind:     hidden_block_count_x
      - .offset:         148
        .size:           4
        .value_kind:     hidden_block_count_y
      - .offset:         152
        .size:           4
        .value_kind:     hidden_block_count_z
      - .offset:         156
        .size:           2
        .value_kind:     hidden_group_size_x
      - .offset:         158
        .size:           2
        .value_kind:     hidden_group_size_y
      - .offset:         160
        .size:           2
        .value_kind:     hidden_group_size_z
      - .offset:         162
        .size:           2
        .value_kind:     hidden_remainder_x
      - .offset:         164
        .size:           2
        .value_kind:     hidden_remainder_y
      - .offset:         166
        .size:           2
        .value_kind:     hidden_remainder_z
      - .offset:         184
        .size:           8
        .value_kind:     hidden_global_offset_x
      - .offset:         192
        .size:           8
        .value_kind:     hidden_global_offset_y
      - .offset:         200
        .size:           8
        .value_kind:     hidden_global_offset_z
      - .offset:         208
        .size:           2
        .value_kind:     hidden_grid_dims
    .group_segment_fixed_size: 3072
    .kernarg_segment_align: 8
    .kernarg_segment_size: 400
    .language:       OpenCL C
    .language_version:
      - 2
      - 0
    .max_flat_workgroup_size: 768
    .name:           _ZL34rocblas_gemvn_sm_mn_batched_kernelILi32ELi24EPK16rocblas_bfloat16PKfKPS0_EviiT2_lPKT1_lilSA_lilS7_lPT3_lili
    .private_segment_fixed_size: 0
    .sgpr_count:     76
    .sgpr_spill_count: 0
    .symbol:         _ZL34rocblas_gemvn_sm_mn_batched_kernelILi32ELi24EPK16rocblas_bfloat16PKfKPS0_EviiT2_lPKT1_lilSA_lilS7_lPT3_lili.kd
    .uniform_work_group_size: 1
    .uses_dynamic_stack: false
    .vgpr_count:     40
    .vgpr_spill_count: 0
    .wavefront_size: 64
  - .agpr_count:     0
    .args:
      - .offset:         0
        .size:           4
        .value_kind:     by_value
      - .offset:         4
        .size:           4
        .value_kind:     by_value
      - .offset:         8
        .size:           4
        .value_kind:     by_value
      - .offset:         16
        .size:           8
        .value_kind:     by_value
      - .address_space:  global
        .offset:         24
        .size:           8
        .value_kind:     global_buffer
      - .offset:         32
        .size:           8
        .value_kind:     by_value
      - .offset:         40
        .size:           4
        .value_kind:     by_value
      - .offset:         48
        .size:           8
        .value_kind:     by_value
      - .address_space:  global
        .offset:         56
        .size:           8
        .value_kind:     global_buffer
      - .offset:         64
        .size:           8
        .value_kind:     by_value
      - .offset:         72
        .size:           4
        .value_kind:     by_value
      - .offset:         80
        .size:           8
        .value_kind:     by_value
      - .offset:         88
        .size:           4
        .value_kind:     by_value
      - .offset:         96
        .size:           8
        .value_kind:     by_value
      - .address_space:  global
        .offset:         104
        .size:           8
        .value_kind:     global_buffer
      - .offset:         112
        .size:           8
        .value_kind:     by_value
      - .offset:         120
        .size:           4
        .value_kind:     by_value
      - .offset:         128
        .size:           8
        .value_kind:     by_value
      - .offset:         136
        .size:           4
        .value_kind:     by_value
      - .offset:         144
        .size:           4
        .value_kind:     hidden_block_count_x
      - .offset:         148
        .size:           4
        .value_kind:     hidden_block_count_y
      - .offset:         152
        .size:           4
        .value_kind:     hidden_block_count_z
      - .offset:         156
        .size:           2
        .value_kind:     hidden_group_size_x
      - .offset:         158
        .size:           2
        .value_kind:     hidden_group_size_y
      - .offset:         160
        .size:           2
        .value_kind:     hidden_group_size_z
      - .offset:         162
        .size:           2
        .value_kind:     hidden_remainder_x
      - .offset:         164
        .size:           2
        .value_kind:     hidden_remainder_y
      - .offset:         166
        .size:           2
        .value_kind:     hidden_remainder_z
      - .offset:         184
        .size:           8
        .value_kind:     hidden_global_offset_x
      - .offset:         192
        .size:           8
        .value_kind:     hidden_global_offset_y
      - .offset:         200
        .size:           8
        .value_kind:     hidden_global_offset_z
      - .offset:         208
        .size:           2
        .value_kind:     hidden_grid_dims
    .group_segment_fixed_size: 3072
    .kernarg_segment_align: 8
    .kernarg_segment_size: 400
    .language:       OpenCL C
    .language_version:
      - 2
      - 0
    .max_flat_workgroup_size: 768
    .name:           _ZL34rocblas_gemvn_sm_mn_batched_kernelILi32ELi24EPK16rocblas_bfloat16fKPS0_EviiT2_lPKT1_lilS8_lilS5_lPT3_lili
    .private_segment_fixed_size: 0
    .sgpr_count:     76
    .sgpr_spill_count: 0
    .symbol:         _ZL34rocblas_gemvn_sm_mn_batched_kernelILi32ELi24EPK16rocblas_bfloat16fKPS0_EviiT2_lPKT1_lilS8_lilS5_lPT3_lili.kd
    .uniform_work_group_size: 1
    .uses_dynamic_stack: false
    .vgpr_count:     40
    .vgpr_spill_count: 0
    .wavefront_size: 64
  - .agpr_count:     0
    .args:
      - .offset:         0
        .size:           4
        .value_kind:     by_value
      - .offset:         4
        .size:           4
        .value_kind:     by_value
      - .address_space:  global
        .offset:         8
        .size:           8
        .value_kind:     global_buffer
      - .offset:         16
        .size:           8
        .value_kind:     by_value
      - .address_space:  global
        .offset:         24
        .size:           8
        .value_kind:     global_buffer
      - .offset:         32
        .size:           8
        .value_kind:     by_value
      - .offset:         40
        .size:           4
        .value_kind:     by_value
      - .offset:         48
        .size:           8
        .value_kind:     by_value
      - .address_space:  global
        .offset:         56
        .size:           8
        .value_kind:     global_buffer
      - .offset:         64
        .size:           8
        .value_kind:     by_value
      - .offset:         72
        .size:           4
        .value_kind:     by_value
      - .offset:         80
        .size:           8
        .value_kind:     by_value
      - .address_space:  global
        .offset:         88
        .size:           8
        .value_kind:     global_buffer
      - .offset:         96
        .size:           8
        .value_kind:     by_value
      - .address_space:  global
        .offset:         104
        .size:           8
        .value_kind:     global_buffer
      - .offset:         112
        .size:           8
        .value_kind:     by_value
      - .offset:         120
        .size:           4
        .value_kind:     by_value
      - .offset:         128
        .size:           8
        .value_kind:     by_value
      - .offset:         136
        .size:           4
        .value_kind:     by_value
      - .offset:         144
        .size:           4
        .value_kind:     hidden_block_count_x
      - .offset:         148
        .size:           4
        .value_kind:     hidden_block_count_y
      - .offset:         152
        .size:           4
        .value_kind:     hidden_block_count_z
      - .offset:         156
        .size:           2
        .value_kind:     hidden_group_size_x
      - .offset:         158
        .size:           2
        .value_kind:     hidden_group_size_y
      - .offset:         160
        .size:           2
        .value_kind:     hidden_group_size_z
      - .offset:         162
        .size:           2
        .value_kind:     hidden_remainder_x
      - .offset:         164
        .size:           2
        .value_kind:     hidden_remainder_y
      - .offset:         166
        .size:           2
        .value_kind:     hidden_remainder_z
      - .offset:         184
        .size:           8
        .value_kind:     hidden_global_offset_x
      - .offset:         192
        .size:           8
        .value_kind:     hidden_global_offset_y
      - .offset:         200
        .size:           8
        .value_kind:     hidden_global_offset_z
      - .offset:         208
        .size:           2
        .value_kind:     hidden_grid_dims
    .group_segment_fixed_size: 4096
    .kernarg_segment_align: 8
    .kernarg_segment_size: 400
    .language:       OpenCL C
    .language_version:
      - 2
      - 0
    .max_flat_workgroup_size: 256
    .name:           _ZL20rocblas_gemvn_kernelILi64ELi4EiPK16rocblas_bfloat16PKfKPS0_EviiT3_lPKT2_lT1_lSA_lSB_lS7_lPT4_lSB_li
    .private_segment_fixed_size: 0
    .sgpr_count:     45
    .sgpr_spill_count: 0
    .symbol:         _ZL20rocblas_gemvn_kernelILi64ELi4EiPK16rocblas_bfloat16PKfKPS0_EviiT3_lPKT2_lT1_lSA_lSB_lS7_lPT4_lSB_li.kd
    .uniform_work_group_size: 1
    .uses_dynamic_stack: false
    .vgpr_count:     45
    .vgpr_spill_count: 0
    .wavefront_size: 64
  - .agpr_count:     0
    .args:
      - .offset:         0
        .size:           4
        .value_kind:     by_value
      - .offset:         4
        .size:           4
        .value_kind:     by_value
      - .address_space:  global
        .offset:         8
        .size:           8
        .value_kind:     global_buffer
      - .offset:         16
        .size:           8
        .value_kind:     by_value
      - .address_space:  global
        .offset:         24
        .size:           8
        .value_kind:     global_buffer
      - .offset:         32
        .size:           8
        .value_kind:     by_value
      - .offset:         40
        .size:           8
        .value_kind:     by_value
      - .offset:         48
        .size:           8
        .value_kind:     by_value
      - .address_space:  global
        .offset:         56
        .size:           8
        .value_kind:     global_buffer
      - .offset:         64
        .size:           8
        .value_kind:     by_value
      - .offset:         72
        .size:           8
        .value_kind:     by_value
      - .offset:         80
        .size:           8
        .value_kind:     by_value
      - .address_space:  global
        .offset:         88
        .size:           8
        .value_kind:     global_buffer
      - .offset:         96
        .size:           8
        .value_kind:     by_value
      - .address_space:  global
        .offset:         104
        .size:           8
        .value_kind:     global_buffer
      - .offset:         112
        .size:           8
        .value_kind:     by_value
      - .offset:         120
        .size:           8
        .value_kind:     by_value
      - .offset:         128
        .size:           8
        .value_kind:     by_value
      - .offset:         136
        .size:           4
        .value_kind:     by_value
      - .offset:         144
        .size:           4
        .value_kind:     hidden_block_count_x
      - .offset:         148
        .size:           4
        .value_kind:     hidden_block_count_y
      - .offset:         152
        .size:           4
        .value_kind:     hidden_block_count_z
      - .offset:         156
        .size:           2
        .value_kind:     hidden_group_size_x
      - .offset:         158
        .size:           2
        .value_kind:     hidden_group_size_y
      - .offset:         160
        .size:           2
        .value_kind:     hidden_group_size_z
      - .offset:         162
        .size:           2
        .value_kind:     hidden_remainder_x
      - .offset:         164
        .size:           2
        .value_kind:     hidden_remainder_y
      - .offset:         166
        .size:           2
        .value_kind:     hidden_remainder_z
      - .offset:         184
        .size:           8
        .value_kind:     hidden_global_offset_x
      - .offset:         192
        .size:           8
        .value_kind:     hidden_global_offset_y
      - .offset:         200
        .size:           8
        .value_kind:     hidden_global_offset_z
      - .offset:         208
        .size:           2
        .value_kind:     hidden_grid_dims
    .group_segment_fixed_size: 4096
    .kernarg_segment_align: 8
    .kernarg_segment_size: 400
    .language:       OpenCL C
    .language_version:
      - 2
      - 0
    .max_flat_workgroup_size: 256
    .name:           _ZL20rocblas_gemvn_kernelILi64ELi4ElPK16rocblas_bfloat16PKfKPS0_EviiT3_lPKT2_lT1_lSA_lSB_lS7_lPT4_lSB_li
    .private_segment_fixed_size: 0
    .sgpr_count:     51
    .sgpr_spill_count: 0
    .symbol:         _ZL20rocblas_gemvn_kernelILi64ELi4ElPK16rocblas_bfloat16PKfKPS0_EviiT3_lPKT2_lT1_lSA_lSB_lS7_lPT4_lSB_li.kd
    .uniform_work_group_size: 1
    .uses_dynamic_stack: false
    .vgpr_count:     55
    .vgpr_spill_count: 0
    .wavefront_size: 64
  - .agpr_count:     0
    .args:
      - .offset:         0
        .size:           4
        .value_kind:     by_value
      - .offset:         4
        .size:           4
        .value_kind:     by_value
      - .offset:         8
        .size:           4
        .value_kind:     by_value
      - .offset:         16
        .size:           8
        .value_kind:     by_value
      - .address_space:  global
        .offset:         24
        .size:           8
        .value_kind:     global_buffer
      - .offset:         32
        .size:           8
        .value_kind:     by_value
      - .offset:         40
        .size:           4
        .value_kind:     by_value
      - .offset:         48
        .size:           8
        .value_kind:     by_value
      - .address_space:  global
        .offset:         56
        .size:           8
        .value_kind:     global_buffer
      - .offset:         64
        .size:           8
        .value_kind:     by_value
      - .offset:         72
        .size:           4
        .value_kind:     by_value
      - .offset:         80
        .size:           8
        .value_kind:     by_value
      - .offset:         88
        .size:           4
        .value_kind:     by_value
      - .offset:         96
        .size:           8
        .value_kind:     by_value
      - .address_space:  global
        .offset:         104
        .size:           8
        .value_kind:     global_buffer
      - .offset:         112
        .size:           8
        .value_kind:     by_value
      - .offset:         120
        .size:           4
        .value_kind:     by_value
      - .offset:         128
        .size:           8
        .value_kind:     by_value
      - .offset:         136
        .size:           4
        .value_kind:     by_value
      - .offset:         144
        .size:           4
        .value_kind:     hidden_block_count_x
      - .offset:         148
        .size:           4
        .value_kind:     hidden_block_count_y
      - .offset:         152
        .size:           4
        .value_kind:     hidden_block_count_z
      - .offset:         156
        .size:           2
        .value_kind:     hidden_group_size_x
      - .offset:         158
        .size:           2
        .value_kind:     hidden_group_size_y
      - .offset:         160
        .size:           2
        .value_kind:     hidden_group_size_z
      - .offset:         162
        .size:           2
        .value_kind:     hidden_remainder_x
      - .offset:         164
        .size:           2
        .value_kind:     hidden_remainder_y
      - .offset:         166
        .size:           2
        .value_kind:     hidden_remainder_z
      - .offset:         184
        .size:           8
        .value_kind:     hidden_global_offset_x
      - .offset:         192
        .size:           8
        .value_kind:     hidden_global_offset_y
      - .offset:         200
        .size:           8
        .value_kind:     hidden_global_offset_z
      - .offset:         208
        .size:           2
        .value_kind:     hidden_grid_dims
    .group_segment_fixed_size: 4096
    .kernarg_segment_align: 8
    .kernarg_segment_size: 400
    .language:       OpenCL C
    .language_version:
      - 2
      - 0
    .max_flat_workgroup_size: 256
    .name:           _ZL20rocblas_gemvn_kernelILi64ELi4EiPK16rocblas_bfloat16fKPS0_EviiT3_lPKT2_lT1_lS8_lS9_lS5_lPT4_lS9_li
    .private_segment_fixed_size: 0
    .sgpr_count:     45
    .sgpr_spill_count: 0
    .symbol:         _ZL20rocblas_gemvn_kernelILi64ELi4EiPK16rocblas_bfloat16fKPS0_EviiT3_lPKT2_lT1_lS8_lS9_lS5_lPT4_lS9_li.kd
    .uniform_work_group_size: 1
    .uses_dynamic_stack: false
    .vgpr_count:     45
    .vgpr_spill_count: 0
    .wavefront_size: 64
  - .agpr_count:     0
    .args:
      - .offset:         0
        .size:           4
        .value_kind:     by_value
      - .offset:         4
        .size:           4
        .value_kind:     by_value
      - .offset:         8
        .size:           4
        .value_kind:     by_value
      - .offset:         16
        .size:           8
        .value_kind:     by_value
      - .address_space:  global
        .offset:         24
        .size:           8
        .value_kind:     global_buffer
      - .offset:         32
        .size:           8
        .value_kind:     by_value
      - .offset:         40
        .size:           8
        .value_kind:     by_value
      - .offset:         48
        .size:           8
        .value_kind:     by_value
      - .address_space:  global
        .offset:         56
        .size:           8
        .value_kind:     global_buffer
      - .offset:         64
        .size:           8
        .value_kind:     by_value
      - .offset:         72
        .size:           8
        .value_kind:     by_value
      - .offset:         80
        .size:           8
        .value_kind:     by_value
      - .offset:         88
        .size:           4
        .value_kind:     by_value
      - .offset:         96
        .size:           8
        .value_kind:     by_value
      - .address_space:  global
        .offset:         104
        .size:           8
        .value_kind:     global_buffer
      - .offset:         112
        .size:           8
        .value_kind:     by_value
      - .offset:         120
        .size:           8
        .value_kind:     by_value
      - .offset:         128
        .size:           8
        .value_kind:     by_value
      - .offset:         136
        .size:           4
        .value_kind:     by_value
      - .offset:         144
        .size:           4
        .value_kind:     hidden_block_count_x
      - .offset:         148
        .size:           4
        .value_kind:     hidden_block_count_y
      - .offset:         152
        .size:           4
        .value_kind:     hidden_block_count_z
      - .offset:         156
        .size:           2
        .value_kind:     hidden_group_size_x
      - .offset:         158
        .size:           2
        .value_kind:     hidden_group_size_y
      - .offset:         160
        .size:           2
        .value_kind:     hidden_group_size_z
      - .offset:         162
        .size:           2
        .value_kind:     hidden_remainder_x
      - .offset:         164
        .size:           2
        .value_kind:     hidden_remainder_y
      - .offset:         166
        .size:           2
        .value_kind:     hidden_remainder_z
      - .offset:         184
        .size:           8
        .value_kind:     hidden_global_offset_x
      - .offset:         192
        .size:           8
        .value_kind:     hidden_global_offset_y
      - .offset:         200
        .size:           8
        .value_kind:     hidden_global_offset_z
      - .offset:         208
        .size:           2
        .value_kind:     hidden_grid_dims
    .group_segment_fixed_size: 4096
    .kernarg_segment_align: 8
    .kernarg_segment_size: 400
    .language:       OpenCL C
    .language_version:
      - 2
      - 0
    .max_flat_workgroup_size: 256
    .name:           _ZL20rocblas_gemvn_kernelILi64ELi4ElPK16rocblas_bfloat16fKPS0_EviiT3_lPKT2_lT1_lS8_lS9_lS5_lPT4_lS9_li
    .private_segment_fixed_size: 0
    .sgpr_count:     51
    .sgpr_spill_count: 0
    .symbol:         _ZL20rocblas_gemvn_kernelILi64ELi4ElPK16rocblas_bfloat16fKPS0_EviiT3_lPKT2_lT1_lS8_lS9_lS5_lPT4_lS9_li.kd
    .uniform_work_group_size: 1
    .uses_dynamic_stack: false
    .vgpr_count:     55
    .vgpr_spill_count: 0
    .wavefront_size: 64
  - .agpr_count:     0
    .args:
      - .offset:         0
        .size:           4
        .value_kind:     by_value
      - .offset:         4
        .size:           4
        .value_kind:     by_value
      - .address_space:  global
        .offset:         8
        .size:           8
        .value_kind:     global_buffer
      - .offset:         16
        .size:           8
        .value_kind:     by_value
      - .address_space:  global
        .offset:         24
        .size:           8
        .value_kind:     global_buffer
      - .offset:         32
        .size:           8
        .value_kind:     by_value
      - .offset:         40
        .size:           4
        .value_kind:     by_value
      - .offset:         48
        .size:           8
        .value_kind:     by_value
      - .address_space:  global
        .offset:         56
        .size:           8
        .value_kind:     global_buffer
      - .offset:         64
        .size:           8
        .value_kind:     by_value
      - .offset:         72
        .size:           4
        .value_kind:     by_value
      - .offset:         80
        .size:           8
        .value_kind:     by_value
      - .address_space:  global
        .offset:         88
        .size:           8
        .value_kind:     global_buffer
      - .offset:         96
        .size:           8
        .value_kind:     by_value
      - .address_space:  global
        .offset:         104
        .size:           8
        .value_kind:     global_buffer
      - .offset:         112
        .size:           8
        .value_kind:     by_value
      - .offset:         120
        .size:           4
        .value_kind:     by_value
      - .offset:         128
        .size:           8
        .value_kind:     by_value
      - .offset:         136
        .size:           4
        .value_kind:     by_value
      - .offset:         144
        .size:           4
        .value_kind:     hidden_block_count_x
      - .offset:         148
        .size:           4
        .value_kind:     hidden_block_count_y
      - .offset:         152
        .size:           4
        .value_kind:     hidden_block_count_z
      - .offset:         156
        .size:           2
        .value_kind:     hidden_group_size_x
      - .offset:         158
        .size:           2
        .value_kind:     hidden_group_size_y
      - .offset:         160
        .size:           2
        .value_kind:     hidden_group_size_z
      - .offset:         162
        .size:           2
        .value_kind:     hidden_remainder_x
      - .offset:         164
        .size:           2
        .value_kind:     hidden_remainder_y
      - .offset:         166
        .size:           2
        .value_kind:     hidden_remainder_z
      - .offset:         184
        .size:           8
        .value_kind:     hidden_global_offset_x
      - .offset:         192
        .size:           8
        .value_kind:     hidden_global_offset_y
      - .offset:         200
        .size:           8
        .value_kind:     hidden_global_offset_z
      - .offset:         208
        .size:           2
        .value_kind:     hidden_grid_dims
    .group_segment_fixed_size: 8192
    .kernarg_segment_align: 8
    .kernarg_segment_size: 400
    .language:       OpenCL C
    .language_version:
      - 2
      - 0
    .max_flat_workgroup_size: 512
    .name:           _ZL20rocblas_gemvn_kernelILi32ELi16EiPK16rocblas_bfloat16PKfKPS0_EviiT3_lPKT2_lT1_lSA_lSB_lS7_lPT4_lSB_li
    .private_segment_fixed_size: 0
    .sgpr_count:     45
    .sgpr_spill_count: 0
    .symbol:         _ZL20rocblas_gemvn_kernelILi32ELi16EiPK16rocblas_bfloat16PKfKPS0_EviiT3_lPKT2_lT1_lSA_lSB_lS7_lPT4_lSB_li.kd
    .uniform_work_group_size: 1
    .uses_dynamic_stack: false
    .vgpr_count:     45
    .vgpr_spill_count: 0
    .wavefront_size: 64
  - .agpr_count:     0
    .args:
      - .offset:         0
        .size:           4
        .value_kind:     by_value
      - .offset:         4
        .size:           4
        .value_kind:     by_value
      - .address_space:  global
        .offset:         8
        .size:           8
        .value_kind:     global_buffer
      - .offset:         16
        .size:           8
        .value_kind:     by_value
      - .address_space:  global
        .offset:         24
        .size:           8
        .value_kind:     global_buffer
      - .offset:         32
        .size:           8
        .value_kind:     by_value
      - .offset:         40
        .size:           8
        .value_kind:     by_value
      - .offset:         48
        .size:           8
        .value_kind:     by_value
      - .address_space:  global
        .offset:         56
        .size:           8
        .value_kind:     global_buffer
      - .offset:         64
        .size:           8
        .value_kind:     by_value
      - .offset:         72
        .size:           8
        .value_kind:     by_value
      - .offset:         80
        .size:           8
        .value_kind:     by_value
      - .address_space:  global
        .offset:         88
        .size:           8
        .value_kind:     global_buffer
      - .offset:         96
        .size:           8
        .value_kind:     by_value
      - .address_space:  global
        .offset:         104
        .size:           8
        .value_kind:     global_buffer
      - .offset:         112
        .size:           8
        .value_kind:     by_value
      - .offset:         120
        .size:           8
        .value_kind:     by_value
      - .offset:         128
        .size:           8
        .value_kind:     by_value
      - .offset:         136
        .size:           4
        .value_kind:     by_value
      - .offset:         144
        .size:           4
        .value_kind:     hidden_block_count_x
      - .offset:         148
        .size:           4
        .value_kind:     hidden_block_count_y
      - .offset:         152
        .size:           4
        .value_kind:     hidden_block_count_z
      - .offset:         156
        .size:           2
        .value_kind:     hidden_group_size_x
      - .offset:         158
        .size:           2
        .value_kind:     hidden_group_size_y
      - .offset:         160
        .size:           2
        .value_kind:     hidden_group_size_z
      - .offset:         162
        .size:           2
        .value_kind:     hidden_remainder_x
      - .offset:         164
        .size:           2
        .value_kind:     hidden_remainder_y
      - .offset:         166
        .size:           2
        .value_kind:     hidden_remainder_z
      - .offset:         184
        .size:           8
        .value_kind:     hidden_global_offset_x
      - .offset:         192
        .size:           8
        .value_kind:     hidden_global_offset_y
      - .offset:         200
        .size:           8
        .value_kind:     hidden_global_offset_z
      - .offset:         208
        .size:           2
        .value_kind:     hidden_grid_dims
    .group_segment_fixed_size: 8192
    .kernarg_segment_align: 8
    .kernarg_segment_size: 400
    .language:       OpenCL C
    .language_version:
      - 2
      - 0
    .max_flat_workgroup_size: 512
    .name:           _ZL20rocblas_gemvn_kernelILi32ELi16ElPK16rocblas_bfloat16PKfKPS0_EviiT3_lPKT2_lT1_lSA_lSB_lS7_lPT4_lSB_li
    .private_segment_fixed_size: 0
    .sgpr_count:     51
    .sgpr_spill_count: 0
    .symbol:         _ZL20rocblas_gemvn_kernelILi32ELi16ElPK16rocblas_bfloat16PKfKPS0_EviiT3_lPKT2_lT1_lSA_lSB_lS7_lPT4_lSB_li.kd
    .uniform_work_group_size: 1
    .uses_dynamic_stack: false
    .vgpr_count:     55
    .vgpr_spill_count: 0
    .wavefront_size: 64
  - .agpr_count:     0
    .args:
      - .offset:         0
        .size:           4
        .value_kind:     by_value
      - .offset:         4
        .size:           4
        .value_kind:     by_value
      - .offset:         8
        .size:           4
        .value_kind:     by_value
      - .offset:         16
        .size:           8
        .value_kind:     by_value
      - .address_space:  global
        .offset:         24
        .size:           8
        .value_kind:     global_buffer
      - .offset:         32
        .size:           8
        .value_kind:     by_value
      - .offset:         40
        .size:           4
        .value_kind:     by_value
      - .offset:         48
        .size:           8
        .value_kind:     by_value
      - .address_space:  global
        .offset:         56
        .size:           8
        .value_kind:     global_buffer
      - .offset:         64
        .size:           8
        .value_kind:     by_value
      - .offset:         72
        .size:           4
        .value_kind:     by_value
      - .offset:         80
        .size:           8
        .value_kind:     by_value
      - .offset:         88
        .size:           4
        .value_kind:     by_value
      - .offset:         96
        .size:           8
        .value_kind:     by_value
      - .address_space:  global
        .offset:         104
        .size:           8
        .value_kind:     global_buffer
      - .offset:         112
        .size:           8
        .value_kind:     by_value
      - .offset:         120
        .size:           4
        .value_kind:     by_value
      - .offset:         128
        .size:           8
        .value_kind:     by_value
      - .offset:         136
        .size:           4
        .value_kind:     by_value
      - .offset:         144
        .size:           4
        .value_kind:     hidden_block_count_x
      - .offset:         148
        .size:           4
        .value_kind:     hidden_block_count_y
      - .offset:         152
        .size:           4
        .value_kind:     hidden_block_count_z
      - .offset:         156
        .size:           2
        .value_kind:     hidden_group_size_x
      - .offset:         158
        .size:           2
        .value_kind:     hidden_group_size_y
      - .offset:         160
        .size:           2
        .value_kind:     hidden_group_size_z
      - .offset:         162
        .size:           2
        .value_kind:     hidden_remainder_x
      - .offset:         164
        .size:           2
        .value_kind:     hidden_remainder_y
      - .offset:         166
        .size:           2
        .value_kind:     hidden_remainder_z
      - .offset:         184
        .size:           8
        .value_kind:     hidden_global_offset_x
      - .offset:         192
        .size:           8
        .value_kind:     hidden_global_offset_y
      - .offset:         200
        .size:           8
        .value_kind:     hidden_global_offset_z
      - .offset:         208
        .size:           2
        .value_kind:     hidden_grid_dims
    .group_segment_fixed_size: 8192
    .kernarg_segment_align: 8
    .kernarg_segment_size: 400
    .language:       OpenCL C
    .language_version:
      - 2
      - 0
    .max_flat_workgroup_size: 512
    .name:           _ZL20rocblas_gemvn_kernelILi32ELi16EiPK16rocblas_bfloat16fKPS0_EviiT3_lPKT2_lT1_lS8_lS9_lS5_lPT4_lS9_li
    .private_segment_fixed_size: 0
    .sgpr_count:     45
    .sgpr_spill_count: 0
    .symbol:         _ZL20rocblas_gemvn_kernelILi32ELi16EiPK16rocblas_bfloat16fKPS0_EviiT3_lPKT2_lT1_lS8_lS9_lS5_lPT4_lS9_li.kd
    .uniform_work_group_size: 1
    .uses_dynamic_stack: false
    .vgpr_count:     45
    .vgpr_spill_count: 0
    .wavefront_size: 64
  - .agpr_count:     0
    .args:
      - .offset:         0
        .size:           4
        .value_kind:     by_value
      - .offset:         4
        .size:           4
        .value_kind:     by_value
      - .offset:         8
        .size:           4
        .value_kind:     by_value
      - .offset:         16
        .size:           8
        .value_kind:     by_value
      - .address_space:  global
        .offset:         24
        .size:           8
        .value_kind:     global_buffer
      - .offset:         32
        .size:           8
        .value_kind:     by_value
      - .offset:         40
        .size:           8
        .value_kind:     by_value
      - .offset:         48
        .size:           8
        .value_kind:     by_value
      - .address_space:  global
        .offset:         56
        .size:           8
        .value_kind:     global_buffer
      - .offset:         64
        .size:           8
        .value_kind:     by_value
      - .offset:         72
        .size:           8
        .value_kind:     by_value
      - .offset:         80
        .size:           8
        .value_kind:     by_value
      - .offset:         88
        .size:           4
        .value_kind:     by_value
      - .offset:         96
        .size:           8
        .value_kind:     by_value
      - .address_space:  global
        .offset:         104
        .size:           8
        .value_kind:     global_buffer
      - .offset:         112
        .size:           8
        .value_kind:     by_value
      - .offset:         120
        .size:           8
        .value_kind:     by_value
      - .offset:         128
        .size:           8
        .value_kind:     by_value
      - .offset:         136
        .size:           4
        .value_kind:     by_value
      - .offset:         144
        .size:           4
        .value_kind:     hidden_block_count_x
      - .offset:         148
        .size:           4
        .value_kind:     hidden_block_count_y
      - .offset:         152
        .size:           4
        .value_kind:     hidden_block_count_z
      - .offset:         156
        .size:           2
        .value_kind:     hidden_group_size_x
      - .offset:         158
        .size:           2
        .value_kind:     hidden_group_size_y
      - .offset:         160
        .size:           2
        .value_kind:     hidden_group_size_z
      - .offset:         162
        .size:           2
        .value_kind:     hidden_remainder_x
      - .offset:         164
        .size:           2
        .value_kind:     hidden_remainder_y
      - .offset:         166
        .size:           2
        .value_kind:     hidden_remainder_z
      - .offset:         184
        .size:           8
        .value_kind:     hidden_global_offset_x
      - .offset:         192
        .size:           8
        .value_kind:     hidden_global_offset_y
      - .offset:         200
        .size:           8
        .value_kind:     hidden_global_offset_z
      - .offset:         208
        .size:           2
        .value_kind:     hidden_grid_dims
    .group_segment_fixed_size: 8192
    .kernarg_segment_align: 8
    .kernarg_segment_size: 400
    .language:       OpenCL C
    .language_version:
      - 2
      - 0
    .max_flat_workgroup_size: 512
    .name:           _ZL20rocblas_gemvn_kernelILi32ELi16ElPK16rocblas_bfloat16fKPS0_EviiT3_lPKT2_lT1_lS8_lS9_lS5_lPT4_lS9_li
    .private_segment_fixed_size: 0
    .sgpr_count:     51
    .sgpr_spill_count: 0
    .symbol:         _ZL20rocblas_gemvn_kernelILi32ELi16ElPK16rocblas_bfloat16fKPS0_EviiT3_lPKT2_lT1_lS8_lS9_lS5_lPT4_lS9_li.kd
    .uniform_work_group_size: 1
    .uses_dynamic_stack: false
    .vgpr_count:     55
    .vgpr_spill_count: 0
    .wavefront_size: 64
  - .agpr_count:     0
    .args:
      - .offset:         0
        .size:           4
        .value_kind:     by_value
      - .offset:         4
        .size:           4
        .value_kind:     by_value
      - .address_space:  global
        .offset:         8
        .size:           8
        .value_kind:     global_buffer
      - .offset:         16
        .size:           8
        .value_kind:     by_value
      - .address_space:  global
        .offset:         24
        .size:           8
        .value_kind:     global_buffer
      - .offset:         32
        .size:           8
        .value_kind:     by_value
      - .offset:         40
        .size:           4
        .value_kind:     by_value
      - .offset:         48
        .size:           8
        .value_kind:     by_value
      - .address_space:  global
        .offset:         56
        .size:           8
        .value_kind:     global_buffer
      - .offset:         64
        .size:           8
        .value_kind:     by_value
      - .offset:         72
        .size:           4
        .value_kind:     by_value
      - .offset:         80
        .size:           8
        .value_kind:     by_value
      - .address_space:  global
        .offset:         88
        .size:           8
        .value_kind:     global_buffer
      - .offset:         96
        .size:           8
        .value_kind:     by_value
      - .address_space:  global
        .offset:         104
        .size:           8
        .value_kind:     global_buffer
      - .offset:         112
        .size:           8
        .value_kind:     by_value
      - .offset:         120
        .size:           4
        .value_kind:     by_value
      - .offset:         128
        .size:           8
        .value_kind:     by_value
      - .offset:         136
        .size:           4
        .value_kind:     by_value
      - .offset:         144
        .size:           4
        .value_kind:     hidden_block_count_x
      - .offset:         148
        .size:           4
        .value_kind:     hidden_block_count_y
      - .offset:         152
        .size:           4
        .value_kind:     hidden_block_count_z
      - .offset:         156
        .size:           2
        .value_kind:     hidden_group_size_x
      - .offset:         158
        .size:           2
        .value_kind:     hidden_group_size_y
      - .offset:         160
        .size:           2
        .value_kind:     hidden_group_size_z
      - .offset:         162
        .size:           2
        .value_kind:     hidden_remainder_x
      - .offset:         164
        .size:           2
        .value_kind:     hidden_remainder_y
      - .offset:         166
        .size:           2
        .value_kind:     hidden_remainder_z
      - .offset:         184
        .size:           8
        .value_kind:     hidden_global_offset_x
      - .offset:         192
        .size:           8
        .value_kind:     hidden_global_offset_y
      - .offset:         200
        .size:           8
        .value_kind:     hidden_global_offset_z
      - .offset:         208
        .size:           2
        .value_kind:     hidden_grid_dims
    .group_segment_fixed_size: 16384
    .kernarg_segment_align: 8
    .kernarg_segment_size: 400
    .language:       OpenCL C
    .language_version:
      - 2
      - 0
    .max_flat_workgroup_size: 1024
    .name:           _ZL20rocblas_gemvn_kernelILi64ELi16EiPK16rocblas_bfloat16PKfKPS0_EviiT3_lPKT2_lT1_lSA_lSB_lS7_lPT4_lSB_li
    .private_segment_fixed_size: 0
    .sgpr_count:     45
    .sgpr_spill_count: 0
    .symbol:         _ZL20rocblas_gemvn_kernelILi64ELi16EiPK16rocblas_bfloat16PKfKPS0_EviiT3_lPKT2_lT1_lSA_lSB_lS7_lPT4_lSB_li.kd
    .uniform_work_group_size: 1
    .uses_dynamic_stack: false
    .vgpr_count:     45
    .vgpr_spill_count: 0
    .wavefront_size: 64
  - .agpr_count:     0
    .args:
      - .offset:         0
        .size:           4
        .value_kind:     by_value
      - .offset:         4
        .size:           4
        .value_kind:     by_value
      - .address_space:  global
        .offset:         8
        .size:           8
        .value_kind:     global_buffer
      - .offset:         16
        .size:           8
        .value_kind:     by_value
      - .address_space:  global
        .offset:         24
        .size:           8
        .value_kind:     global_buffer
      - .offset:         32
        .size:           8
        .value_kind:     by_value
      - .offset:         40
        .size:           8
        .value_kind:     by_value
      - .offset:         48
        .size:           8
        .value_kind:     by_value
      - .address_space:  global
        .offset:         56
        .size:           8
        .value_kind:     global_buffer
      - .offset:         64
        .size:           8
        .value_kind:     by_value
      - .offset:         72
        .size:           8
        .value_kind:     by_value
      - .offset:         80
        .size:           8
        .value_kind:     by_value
      - .address_space:  global
        .offset:         88
        .size:           8
        .value_kind:     global_buffer
      - .offset:         96
        .size:           8
        .value_kind:     by_value
      - .address_space:  global
        .offset:         104
        .size:           8
        .value_kind:     global_buffer
      - .offset:         112
        .size:           8
        .value_kind:     by_value
      - .offset:         120
        .size:           8
        .value_kind:     by_value
      - .offset:         128
        .size:           8
        .value_kind:     by_value
      - .offset:         136
        .size:           4
        .value_kind:     by_value
      - .offset:         144
        .size:           4
        .value_kind:     hidden_block_count_x
      - .offset:         148
        .size:           4
        .value_kind:     hidden_block_count_y
      - .offset:         152
        .size:           4
        .value_kind:     hidden_block_count_z
      - .offset:         156
        .size:           2
        .value_kind:     hidden_group_size_x
      - .offset:         158
        .size:           2
        .value_kind:     hidden_group_size_y
      - .offset:         160
        .size:           2
        .value_kind:     hidden_group_size_z
      - .offset:         162
        .size:           2
        .value_kind:     hidden_remainder_x
      - .offset:         164
        .size:           2
        .value_kind:     hidden_remainder_y
      - .offset:         166
        .size:           2
        .value_kind:     hidden_remainder_z
      - .offset:         184
        .size:           8
        .value_kind:     hidden_global_offset_x
      - .offset:         192
        .size:           8
        .value_kind:     hidden_global_offset_y
      - .offset:         200
        .size:           8
        .value_kind:     hidden_global_offset_z
      - .offset:         208
        .size:           2
        .value_kind:     hidden_grid_dims
    .group_segment_fixed_size: 16384
    .kernarg_segment_align: 8
    .kernarg_segment_size: 400
    .language:       OpenCL C
    .language_version:
      - 2
      - 0
    .max_flat_workgroup_size: 1024
    .name:           _ZL20rocblas_gemvn_kernelILi64ELi16ElPK16rocblas_bfloat16PKfKPS0_EviiT3_lPKT2_lT1_lSA_lSB_lS7_lPT4_lSB_li
    .private_segment_fixed_size: 0
    .sgpr_count:     51
    .sgpr_spill_count: 0
    .symbol:         _ZL20rocblas_gemvn_kernelILi64ELi16ElPK16rocblas_bfloat16PKfKPS0_EviiT3_lPKT2_lT1_lSA_lSB_lS7_lPT4_lSB_li.kd
    .uniform_work_group_size: 1
    .uses_dynamic_stack: false
    .vgpr_count:     55
    .vgpr_spill_count: 0
    .wavefront_size: 64
  - .agpr_count:     0
    .args:
      - .offset:         0
        .size:           4
        .value_kind:     by_value
      - .offset:         4
        .size:           4
        .value_kind:     by_value
      - .offset:         8
        .size:           4
        .value_kind:     by_value
      - .offset:         16
        .size:           8
        .value_kind:     by_value
      - .address_space:  global
        .offset:         24
        .size:           8
        .value_kind:     global_buffer
      - .offset:         32
        .size:           8
        .value_kind:     by_value
      - .offset:         40
        .size:           4
        .value_kind:     by_value
      - .offset:         48
        .size:           8
        .value_kind:     by_value
      - .address_space:  global
        .offset:         56
        .size:           8
        .value_kind:     global_buffer
      - .offset:         64
        .size:           8
        .value_kind:     by_value
      - .offset:         72
        .size:           4
        .value_kind:     by_value
      - .offset:         80
        .size:           8
        .value_kind:     by_value
      - .offset:         88
        .size:           4
        .value_kind:     by_value
      - .offset:         96
        .size:           8
        .value_kind:     by_value
      - .address_space:  global
        .offset:         104
        .size:           8
        .value_kind:     global_buffer
      - .offset:         112
        .size:           8
        .value_kind:     by_value
      - .offset:         120
        .size:           4
        .value_kind:     by_value
      - .offset:         128
        .size:           8
        .value_kind:     by_value
      - .offset:         136
        .size:           4
        .value_kind:     by_value
      - .offset:         144
        .size:           4
        .value_kind:     hidden_block_count_x
      - .offset:         148
        .size:           4
        .value_kind:     hidden_block_count_y
      - .offset:         152
        .size:           4
        .value_kind:     hidden_block_count_z
      - .offset:         156
        .size:           2
        .value_kind:     hidden_group_size_x
      - .offset:         158
        .size:           2
        .value_kind:     hidden_group_size_y
      - .offset:         160
        .size:           2
        .value_kind:     hidden_group_size_z
      - .offset:         162
        .size:           2
        .value_kind:     hidden_remainder_x
      - .offset:         164
        .size:           2
        .value_kind:     hidden_remainder_y
      - .offset:         166
        .size:           2
        .value_kind:     hidden_remainder_z
      - .offset:         184
        .size:           8
        .value_kind:     hidden_global_offset_x
      - .offset:         192
        .size:           8
        .value_kind:     hidden_global_offset_y
      - .offset:         200
        .size:           8
        .value_kind:     hidden_global_offset_z
      - .offset:         208
        .size:           2
        .value_kind:     hidden_grid_dims
    .group_segment_fixed_size: 16384
    .kernarg_segment_align: 8
    .kernarg_segment_size: 400
    .language:       OpenCL C
    .language_version:
      - 2
      - 0
    .max_flat_workgroup_size: 1024
    .name:           _ZL20rocblas_gemvn_kernelILi64ELi16EiPK16rocblas_bfloat16fKPS0_EviiT3_lPKT2_lT1_lS8_lS9_lS5_lPT4_lS9_li
    .private_segment_fixed_size: 0
    .sgpr_count:     45
    .sgpr_spill_count: 0
    .symbol:         _ZL20rocblas_gemvn_kernelILi64ELi16EiPK16rocblas_bfloat16fKPS0_EviiT3_lPKT2_lT1_lS8_lS9_lS5_lPT4_lS9_li.kd
    .uniform_work_group_size: 1
    .uses_dynamic_stack: false
    .vgpr_count:     45
    .vgpr_spill_count: 0
    .wavefront_size: 64
  - .agpr_count:     0
    .args:
      - .offset:         0
        .size:           4
        .value_kind:     by_value
      - .offset:         4
        .size:           4
        .value_kind:     by_value
      - .offset:         8
        .size:           4
        .value_kind:     by_value
      - .offset:         16
        .size:           8
        .value_kind:     by_value
      - .address_space:  global
        .offset:         24
        .size:           8
        .value_kind:     global_buffer
      - .offset:         32
        .size:           8
        .value_kind:     by_value
      - .offset:         40
        .size:           8
        .value_kind:     by_value
      - .offset:         48
        .size:           8
        .value_kind:     by_value
      - .address_space:  global
        .offset:         56
        .size:           8
        .value_kind:     global_buffer
      - .offset:         64
        .size:           8
        .value_kind:     by_value
      - .offset:         72
        .size:           8
        .value_kind:     by_value
      - .offset:         80
        .size:           8
        .value_kind:     by_value
      - .offset:         88
        .size:           4
        .value_kind:     by_value
      - .offset:         96
        .size:           8
        .value_kind:     by_value
      - .address_space:  global
        .offset:         104
        .size:           8
        .value_kind:     global_buffer
      - .offset:         112
        .size:           8
        .value_kind:     by_value
      - .offset:         120
        .size:           8
        .value_kind:     by_value
      - .offset:         128
        .size:           8
        .value_kind:     by_value
      - .offset:         136
        .size:           4
        .value_kind:     by_value
      - .offset:         144
        .size:           4
        .value_kind:     hidden_block_count_x
      - .offset:         148
        .size:           4
        .value_kind:     hidden_block_count_y
      - .offset:         152
        .size:           4
        .value_kind:     hidden_block_count_z
      - .offset:         156
        .size:           2
        .value_kind:     hidden_group_size_x
      - .offset:         158
        .size:           2
        .value_kind:     hidden_group_size_y
      - .offset:         160
        .size:           2
        .value_kind:     hidden_group_size_z
      - .offset:         162
        .size:           2
        .value_kind:     hidden_remainder_x
      - .offset:         164
        .size:           2
        .value_kind:     hidden_remainder_y
      - .offset:         166
        .size:           2
        .value_kind:     hidden_remainder_z
      - .offset:         184
        .size:           8
        .value_kind:     hidden_global_offset_x
      - .offset:         192
        .size:           8
        .value_kind:     hidden_global_offset_y
      - .offset:         200
        .size:           8
        .value_kind:     hidden_global_offset_z
      - .offset:         208
        .size:           2
        .value_kind:     hidden_grid_dims
    .group_segment_fixed_size: 16384
    .kernarg_segment_align: 8
    .kernarg_segment_size: 400
    .language:       OpenCL C
    .language_version:
      - 2
      - 0
    .max_flat_workgroup_size: 1024
    .name:           _ZL20rocblas_gemvn_kernelILi64ELi16ElPK16rocblas_bfloat16fKPS0_EviiT3_lPKT2_lT1_lS8_lS9_lS5_lPT4_lS9_li
    .private_segment_fixed_size: 0
    .sgpr_count:     51
    .sgpr_spill_count: 0
    .symbol:         _ZL20rocblas_gemvn_kernelILi64ELi16ElPK16rocblas_bfloat16fKPS0_EviiT3_lPKT2_lT1_lS8_lS9_lS5_lPT4_lS9_li.kd
    .uniform_work_group_size: 1
    .uses_dynamic_stack: false
    .vgpr_count:     55
    .vgpr_spill_count: 0
    .wavefront_size: 64
  - .agpr_count:     0
    .args:
      - .offset:         0
        .size:           4
        .value_kind:     by_value
      - .offset:         4
        .size:           4
        .value_kind:     by_value
      - .address_space:  global
        .offset:         8
        .size:           8
        .value_kind:     global_buffer
      - .offset:         16
        .size:           8
        .value_kind:     by_value
      - .address_space:  global
        .offset:         24
        .size:           8
        .value_kind:     global_buffer
      - .offset:         32
        .size:           8
        .value_kind:     by_value
      - .offset:         40
        .size:           4
        .value_kind:     by_value
      - .offset:         48
        .size:           8
        .value_kind:     by_value
      - .address_space:  global
        .offset:         56
        .size:           8
        .value_kind:     global_buffer
      - .offset:         64
        .size:           8
        .value_kind:     by_value
      - .offset:         72
        .size:           4
        .value_kind:     by_value
      - .offset:         80
        .size:           8
        .value_kind:     by_value
      - .address_space:  global
        .offset:         88
        .size:           8
        .value_kind:     global_buffer
      - .offset:         96
        .size:           8
        .value_kind:     by_value
      - .address_space:  global
        .offset:         104
        .size:           8
        .value_kind:     global_buffer
      - .offset:         112
        .size:           8
        .value_kind:     by_value
      - .offset:         120
        .size:           4
        .value_kind:     by_value
      - .offset:         128
        .size:           8
        .value_kind:     by_value
    .group_segment_fixed_size: 256
    .kernarg_segment_align: 8
    .kernarg_segment_size: 136
    .language:       OpenCL C
    .language_version:
      - 2
      - 0
    .max_flat_workgroup_size: 256
    .name:           _ZL22rocblas_gemvtsm_kernelILb0ELi256EPK16rocblas_bfloat16PKfKPS0_EviiT2_lPKT1_lilSA_lilS7_lPT3_lil
    .private_segment_fixed_size: 0
    .sgpr_count:     34
    .sgpr_spill_count: 0
    .symbol:         _ZL22rocblas_gemvtsm_kernelILb0ELi256EPK16rocblas_bfloat16PKfKPS0_EviiT2_lPKT1_lilSA_lilS7_lPT3_lil.kd
    .uniform_work_group_size: 1
    .uses_dynamic_stack: false
    .vgpr_count:     14
    .vgpr_spill_count: 0
    .wavefront_size: 64
  - .agpr_count:     0
    .args:
      - .offset:         0
        .size:           4
        .value_kind:     by_value
      - .offset:         4
        .size:           4
        .value_kind:     by_value
      - .offset:         8
        .size:           4
        .value_kind:     by_value
      - .offset:         16
        .size:           8
        .value_kind:     by_value
      - .address_space:  global
        .offset:         24
        .size:           8
        .value_kind:     global_buffer
      - .offset:         32
        .size:           8
        .value_kind:     by_value
      - .offset:         40
        .size:           4
        .value_kind:     by_value
      - .offset:         48
        .size:           8
        .value_kind:     by_value
      - .address_space:  global
        .offset:         56
        .size:           8
        .value_kind:     global_buffer
      - .offset:         64
        .size:           8
        .value_kind:     by_value
      - .offset:         72
        .size:           4
        .value_kind:     by_value
      - .offset:         80
        .size:           8
        .value_kind:     by_value
      - .offset:         88
        .size:           4
        .value_kind:     by_value
      - .offset:         96
        .size:           8
        .value_kind:     by_value
      - .address_space:  global
        .offset:         104
        .size:           8
        .value_kind:     global_buffer
      - .offset:         112
        .size:           8
        .value_kind:     by_value
      - .offset:         120
        .size:           4
        .value_kind:     by_value
      - .offset:         128
        .size:           8
        .value_kind:     by_value
    .group_segment_fixed_size: 256
    .kernarg_segment_align: 8
    .kernarg_segment_size: 136
    .language:       OpenCL C
    .language_version:
      - 2
      - 0
    .max_flat_workgroup_size: 256
    .name:           _ZL22rocblas_gemvtsm_kernelILb0ELi256EPK16rocblas_bfloat16fKPS0_EviiT2_lPKT1_lilS8_lilS5_lPT3_lil
    .private_segment_fixed_size: 0
    .sgpr_count:     34
    .sgpr_spill_count: 0
    .symbol:         _ZL22rocblas_gemvtsm_kernelILb0ELi256EPK16rocblas_bfloat16fKPS0_EviiT2_lPKT1_lilS8_lilS5_lPT3_lil.kd
    .uniform_work_group_size: 1
    .uses_dynamic_stack: false
    .vgpr_count:     14
    .vgpr_spill_count: 0
    .wavefront_size: 64
  - .agpr_count:     0
    .args:
      - .offset:         0
        .size:           4
        .value_kind:     by_value
      - .offset:         4
        .size:           4
        .value_kind:     by_value
      - .address_space:  global
        .offset:         8
        .size:           8
        .value_kind:     global_buffer
      - .offset:         16
        .size:           8
        .value_kind:     by_value
      - .address_space:  global
        .offset:         24
        .size:           8
        .value_kind:     global_buffer
      - .offset:         32
        .size:           8
        .value_kind:     by_value
      - .offset:         40
        .size:           4
        .value_kind:     by_value
      - .offset:         48
        .size:           8
        .value_kind:     by_value
      - .address_space:  global
        .offset:         56
        .size:           8
        .value_kind:     global_buffer
      - .offset:         64
        .size:           8
        .value_kind:     by_value
      - .offset:         72
        .size:           4
        .value_kind:     by_value
      - .offset:         80
        .size:           8
        .value_kind:     by_value
      - .address_space:  global
        .offset:         88
        .size:           8
        .value_kind:     global_buffer
      - .offset:         96
        .size:           4
        .value_kind:     by_value
      - .offset:         104
        .size:           4
        .value_kind:     hidden_block_count_x
      - .offset:         108
        .size:           4
        .value_kind:     hidden_block_count_y
      - .offset:         112
        .size:           4
        .value_kind:     hidden_block_count_z
      - .offset:         116
        .size:           2
        .value_kind:     hidden_group_size_x
      - .offset:         118
        .size:           2
        .value_kind:     hidden_group_size_y
      - .offset:         120
        .size:           2
        .value_kind:     hidden_group_size_z
      - .offset:         122
        .size:           2
        .value_kind:     hidden_remainder_x
      - .offset:         124
        .size:           2
        .value_kind:     hidden_remainder_y
      - .offset:         126
        .size:           2
        .value_kind:     hidden_remainder_z
      - .offset:         144
        .size:           8
        .value_kind:     hidden_global_offset_x
      - .offset:         152
        .size:           8
        .value_kind:     hidden_global_offset_y
      - .offset:         160
        .size:           8
        .value_kind:     hidden_global_offset_z
      - .offset:         168
        .size:           2
        .value_kind:     hidden_grid_dims
    .group_segment_fixed_size: 256
    .kernarg_segment_align: 8
    .kernarg_segment_size: 360
    .language:       OpenCL C
    .language_version:
      - 2
      - 0
    .max_flat_workgroup_size: 256
    .name:           _ZL23rocblas_gemvt_sn_kernelILb0ELi256ELi4EiPK16rocblas_bfloat16PKffEviiT4_lPKT3_lilS8_lilPT5_i
    .private_segment_fixed_size: 0
    .sgpr_count:     58
    .sgpr_spill_count: 0
    .symbol:         _ZL23rocblas_gemvt_sn_kernelILb0ELi256ELi4EiPK16rocblas_bfloat16PKffEviiT4_lPKT3_lilS8_lilPT5_i.kd
    .uniform_work_group_size: 1
    .uses_dynamic_stack: false
    .vgpr_count:     60
    .vgpr_spill_count: 0
    .wavefront_size: 64
  - .agpr_count:     0
    .args:
      - .offset:         0
        .size:           4
        .value_kind:     by_value
      - .offset:         4
        .size:           4
        .value_kind:     by_value
      - .address_space:  global
        .offset:         8
        .size:           8
        .value_kind:     global_buffer
      - .offset:         16
        .size:           8
        .value_kind:     by_value
      - .address_space:  global
        .offset:         24
        .size:           8
        .value_kind:     global_buffer
      - .offset:         32
        .size:           8
        .value_kind:     by_value
      - .offset:         40
        .size:           4
        .value_kind:     by_value
      - .offset:         48
        .size:           8
        .value_kind:     by_value
      - .address_space:  global
        .offset:         56
        .size:           8
        .value_kind:     global_buffer
      - .offset:         64
        .size:           8
        .value_kind:     by_value
      - .offset:         72
        .size:           4
        .value_kind:     by_value
      - .offset:         80
        .size:           8
        .value_kind:     by_value
      - .address_space:  global
        .offset:         88
        .size:           8
        .value_kind:     global_buffer
      - .offset:         96
        .size:           4
        .value_kind:     by_value
      - .offset:         104
        .size:           4
        .value_kind:     hidden_block_count_x
      - .offset:         108
        .size:           4
        .value_kind:     hidden_block_count_y
      - .offset:         112
        .size:           4
        .value_kind:     hidden_block_count_z
      - .offset:         116
        .size:           2
        .value_kind:     hidden_group_size_x
      - .offset:         118
        .size:           2
        .value_kind:     hidden_group_size_y
      - .offset:         120
        .size:           2
        .value_kind:     hidden_group_size_z
      - .offset:         122
        .size:           2
        .value_kind:     hidden_remainder_x
      - .offset:         124
        .size:           2
        .value_kind:     hidden_remainder_y
      - .offset:         126
        .size:           2
        .value_kind:     hidden_remainder_z
      - .offset:         144
        .size:           8
        .value_kind:     hidden_global_offset_x
      - .offset:         152
        .size:           8
        .value_kind:     hidden_global_offset_y
      - .offset:         160
        .size:           8
        .value_kind:     hidden_global_offset_z
      - .offset:         168
        .size:           2
        .value_kind:     hidden_grid_dims
    .group_segment_fixed_size: 256
    .kernarg_segment_align: 8
    .kernarg_segment_size: 360
    .language:       OpenCL C
    .language_version:
      - 2
      - 0
    .max_flat_workgroup_size: 256
    .name:           _ZL23rocblas_gemvt_sn_kernelILb0ELi256ELi4ElPK16rocblas_bfloat16PKffEviiT4_lPKT3_lilS8_lilPT5_i
    .private_segment_fixed_size: 0
    .sgpr_count:     59
    .sgpr_spill_count: 0
    .symbol:         _ZL23rocblas_gemvt_sn_kernelILb0ELi256ELi4ElPK16rocblas_bfloat16PKffEviiT4_lPKT3_lilS8_lilPT5_i.kd
    .uniform_work_group_size: 1
    .uses_dynamic_stack: false
    .vgpr_count:     62
    .vgpr_spill_count: 0
    .wavefront_size: 64
  - .agpr_count:     0
    .args:
      - .offset:         0
        .size:           4
        .value_kind:     by_value
      - .address_space:  global
        .offset:         8
        .size:           8
        .value_kind:     global_buffer
      - .offset:         16
        .size:           8
        .value_kind:     by_value
      - .address_space:  global
        .offset:         24
        .size:           8
        .value_kind:     global_buffer
      - .offset:         32
        .size:           8
        .value_kind:     by_value
      - .offset:         40
        .size:           4
        .value_kind:     by_value
      - .offset:         48
        .size:           8
        .value_kind:     by_value
      - .actual_access:  read_only
        .address_space:  global
        .offset:         56
        .size:           8
        .value_kind:     global_buffer
      - .offset:         64
        .size:           4
        .value_kind:     by_value
      - .offset:         72
        .size:           4
        .value_kind:     hidden_block_count_x
      - .offset:         76
        .size:           4
        .value_kind:     hidden_block_count_y
      - .offset:         80
        .size:           4
        .value_kind:     hidden_block_count_z
      - .offset:         84
        .size:           2
        .value_kind:     hidden_group_size_x
      - .offset:         86
        .size:           2
        .value_kind:     hidden_group_size_y
      - .offset:         88
        .size:           2
        .value_kind:     hidden_group_size_z
      - .offset:         90
        .size:           2
        .value_kind:     hidden_remainder_x
      - .offset:         92
        .size:           2
        .value_kind:     hidden_remainder_y
      - .offset:         94
        .size:           2
        .value_kind:     hidden_remainder_z
      - .offset:         112
        .size:           8
        .value_kind:     hidden_global_offset_x
      - .offset:         120
        .size:           8
        .value_kind:     hidden_global_offset_y
      - .offset:         128
        .size:           8
        .value_kind:     hidden_global_offset_z
      - .offset:         136
        .size:           2
        .value_kind:     hidden_grid_dims
    .group_segment_fixed_size: 256
    .kernarg_segment_align: 8
    .kernarg_segment_size: 328
    .language:       OpenCL C
    .language_version:
      - 2
      - 0
    .max_flat_workgroup_size: 256
    .name:           _ZL23rocblas_gemvt_sn_reduceILi256ELi8EfPKfKP16rocblas_bfloat16EviT2_lPT3_lilPT1_i
    .private_segment_fixed_size: 0
    .sgpr_count:     27
    .sgpr_spill_count: 0
    .symbol:         _ZL23rocblas_gemvt_sn_reduceILi256ELi8EfPKfKP16rocblas_bfloat16EviT2_lPT3_lilPT1_i.kd
    .uniform_work_group_size: 1
    .uses_dynamic_stack: false
    .vgpr_count:     14
    .vgpr_spill_count: 0
    .wavefront_size: 64
  - .agpr_count:     0
    .args:
      - .offset:         0
        .size:           4
        .value_kind:     by_value
      - .offset:         4
        .size:           4
        .value_kind:     by_value
      - .offset:         8
        .size:           4
        .value_kind:     by_value
      - .offset:         16
        .size:           8
        .value_kind:     by_value
      - .address_space:  global
        .offset:         24
        .size:           8
        .value_kind:     global_buffer
      - .offset:         32
        .size:           8
        .value_kind:     by_value
      - .offset:         40
        .size:           4
        .value_kind:     by_value
      - .offset:         48
        .size:           8
        .value_kind:     by_value
      - .address_space:  global
        .offset:         56
        .size:           8
        .value_kind:     global_buffer
      - .offset:         64
        .size:           8
        .value_kind:     by_value
      - .offset:         72
        .size:           4
        .value_kind:     by_value
      - .offset:         80
        .size:           8
        .value_kind:     by_value
      - .address_space:  global
        .offset:         88
        .size:           8
        .value_kind:     global_buffer
      - .offset:         96
        .size:           4
        .value_kind:     by_value
      - .offset:         104
        .size:           4
        .value_kind:     hidden_block_count_x
      - .offset:         108
        .size:           4
        .value_kind:     hidden_block_count_y
      - .offset:         112
        .size:           4
        .value_kind:     hidden_block_count_z
      - .offset:         116
        .size:           2
        .value_kind:     hidden_group_size_x
      - .offset:         118
        .size:           2
        .value_kind:     hidden_group_size_y
      - .offset:         120
        .size:           2
        .value_kind:     hidden_group_size_z
      - .offset:         122
        .size:           2
        .value_kind:     hidden_remainder_x
      - .offset:         124
        .size:           2
        .value_kind:     hidden_remainder_y
      - .offset:         126
        .size:           2
        .value_kind:     hidden_remainder_z
      - .offset:         144
        .size:           8
        .value_kind:     hidden_global_offset_x
      - .offset:         152
        .size:           8
        .value_kind:     hidden_global_offset_y
      - .offset:         160
        .size:           8
        .value_kind:     hidden_global_offset_z
      - .offset:         168
        .size:           2
        .value_kind:     hidden_grid_dims
    .group_segment_fixed_size: 256
    .kernarg_segment_align: 8
    .kernarg_segment_size: 360
    .language:       OpenCL C
    .language_version:
      - 2
      - 0
    .max_flat_workgroup_size: 256
    .name:           _ZL23rocblas_gemvt_sn_kernelILb0ELi256ELi4EiPK16rocblas_bfloat16ffEviiT4_lPKT3_lilS6_lilPT5_i
    .private_segment_fixed_size: 0
    .sgpr_count:     58
    .sgpr_spill_count: 0
    .symbol:         _ZL23rocblas_gemvt_sn_kernelILb0ELi256ELi4EiPK16rocblas_bfloat16ffEviiT4_lPKT3_lilS6_lilPT5_i.kd
    .uniform_work_group_size: 1
    .uses_dynamic_stack: false
    .vgpr_count:     60
    .vgpr_spill_count: 0
    .wavefront_size: 64
  - .agpr_count:     0
    .args:
      - .offset:         0
        .size:           4
        .value_kind:     by_value
      - .offset:         4
        .size:           4
        .value_kind:     by_value
      - .offset:         8
        .size:           4
        .value_kind:     by_value
      - .offset:         16
        .size:           8
        .value_kind:     by_value
      - .address_space:  global
        .offset:         24
        .size:           8
        .value_kind:     global_buffer
      - .offset:         32
        .size:           8
        .value_kind:     by_value
      - .offset:         40
        .size:           4
        .value_kind:     by_value
      - .offset:         48
        .size:           8
        .value_kind:     by_value
      - .address_space:  global
        .offset:         56
        .size:           8
        .value_kind:     global_buffer
      - .offset:         64
        .size:           8
        .value_kind:     by_value
      - .offset:         72
        .size:           4
        .value_kind:     by_value
      - .offset:         80
        .size:           8
        .value_kind:     by_value
      - .address_space:  global
        .offset:         88
        .size:           8
        .value_kind:     global_buffer
      - .offset:         96
        .size:           4
        .value_kind:     by_value
      - .offset:         104
        .size:           4
        .value_kind:     hidden_block_count_x
      - .offset:         108
        .size:           4
        .value_kind:     hidden_block_count_y
      - .offset:         112
        .size:           4
        .value_kind:     hidden_block_count_z
      - .offset:         116
        .size:           2
        .value_kind:     hidden_group_size_x
      - .offset:         118
        .size:           2
        .value_kind:     hidden_group_size_y
      - .offset:         120
        .size:           2
        .value_kind:     hidden_group_size_z
      - .offset:         122
        .size:           2
        .value_kind:     hidden_remainder_x
      - .offset:         124
        .size:           2
        .value_kind:     hidden_remainder_y
      - .offset:         126
        .size:           2
        .value_kind:     hidden_remainder_z
      - .offset:         144
        .size:           8
        .value_kind:     hidden_global_offset_x
      - .offset:         152
        .size:           8
        .value_kind:     hidden_global_offset_y
      - .offset:         160
        .size:           8
        .value_kind:     hidden_global_offset_z
      - .offset:         168
        .size:           2
        .value_kind:     hidden_grid_dims
    .group_segment_fixed_size: 256
    .kernarg_segment_align: 8
    .kernarg_segment_size: 360
    .language:       OpenCL C
    .language_version:
      - 2
      - 0
    .max_flat_workgroup_size: 256
    .name:           _ZL23rocblas_gemvt_sn_kernelILb0ELi256ELi4ElPK16rocblas_bfloat16ffEviiT4_lPKT3_lilS6_lilPT5_i
    .private_segment_fixed_size: 0
    .sgpr_count:     59
    .sgpr_spill_count: 0
    .symbol:         _ZL23rocblas_gemvt_sn_kernelILb0ELi256ELi4ElPK16rocblas_bfloat16ffEviiT4_lPKT3_lilS6_lilPT5_i.kd
    .uniform_work_group_size: 1
    .uses_dynamic_stack: false
    .vgpr_count:     62
    .vgpr_spill_count: 0
    .wavefront_size: 64
  - .agpr_count:     0
    .args:
      - .offset:         0
        .size:           4
        .value_kind:     by_value
      - .offset:         4
        .size:           4
        .value_kind:     by_value
      - .offset:         8
        .size:           8
        .value_kind:     by_value
      - .address_space:  global
        .offset:         16
        .size:           8
        .value_kind:     global_buffer
      - .offset:         24
        .size:           8
        .value_kind:     by_value
      - .offset:         32
        .size:           4
        .value_kind:     by_value
      - .offset:         40
        .size:           8
        .value_kind:     by_value
      - .actual_access:  read_only
        .address_space:  global
        .offset:         48
        .size:           8
        .value_kind:     global_buffer
      - .offset:         56
        .size:           4
        .value_kind:     by_value
      - .offset:         64
        .size:           4
        .value_kind:     hidden_block_count_x
      - .offset:         68
        .size:           4
        .value_kind:     hidden_block_count_y
      - .offset:         72
        .size:           4
        .value_kind:     hidden_block_count_z
      - .offset:         76
        .size:           2
        .value_kind:     hidden_group_size_x
      - .offset:         78
        .size:           2
        .value_kind:     hidden_group_size_y
      - .offset:         80
        .size:           2
        .value_kind:     hidden_group_size_z
      - .offset:         82
        .size:           2
        .value_kind:     hidden_remainder_x
      - .offset:         84
        .size:           2
        .value_kind:     hidden_remainder_y
      - .offset:         86
        .size:           2
        .value_kind:     hidden_remainder_z
      - .offset:         104
        .size:           8
        .value_kind:     hidden_global_offset_x
      - .offset:         112
        .size:           8
        .value_kind:     hidden_global_offset_y
      - .offset:         120
        .size:           8
        .value_kind:     hidden_global_offset_z
      - .offset:         128
        .size:           2
        .value_kind:     hidden_grid_dims
    .group_segment_fixed_size: 256
    .kernarg_segment_align: 8
    .kernarg_segment_size: 320
    .language:       OpenCL C
    .language_version:
      - 2
      - 0
    .max_flat_workgroup_size: 256
    .name:           _ZL23rocblas_gemvt_sn_reduceILi256ELi8EffKP16rocblas_bfloat16EviT2_lPT3_lilPT1_i
    .private_segment_fixed_size: 0
    .sgpr_count:     27
    .sgpr_spill_count: 0
    .symbol:         _ZL23rocblas_gemvt_sn_reduceILi256ELi8EffKP16rocblas_bfloat16EviT2_lPT3_lilPT1_i.kd
    .uniform_work_group_size: 1
    .uses_dynamic_stack: false
    .vgpr_count:     14
    .vgpr_spill_count: 0
    .wavefront_size: 64
  - .agpr_count:     0
    .args:
      - .offset:         0
        .size:           4
        .value_kind:     by_value
      - .offset:         4
        .size:           4
        .value_kind:     by_value
      - .address_space:  global
        .offset:         8
        .size:           8
        .value_kind:     global_buffer
      - .offset:         16
        .size:           8
        .value_kind:     by_value
      - .address_space:  global
        .offset:         24
        .size:           8
        .value_kind:     global_buffer
      - .offset:         32
        .size:           8
        .value_kind:     by_value
      - .offset:         40
        .size:           4
        .value_kind:     by_value
      - .offset:         48
        .size:           8
        .value_kind:     by_value
      - .address_space:  global
        .offset:         56
        .size:           8
        .value_kind:     global_buffer
      - .offset:         64
        .size:           8
        .value_kind:     by_value
      - .offset:         72
        .size:           4
        .value_kind:     by_value
      - .offset:         80
        .size:           8
        .value_kind:     by_value
      - .address_space:  global
        .offset:         88
        .size:           8
        .value_kind:     global_buffer
      - .offset:         96
        .size:           8
        .value_kind:     by_value
      - .address_space:  global
        .offset:         104
        .size:           8
        .value_kind:     global_buffer
      - .offset:         112
        .size:           8
        .value_kind:     by_value
      - .offset:         120
        .size:           4
        .value_kind:     by_value
      - .offset:         128
        .size:           8
        .value_kind:     by_value
      - .offset:         136
        .size:           4
        .value_kind:     by_value
    .group_segment_fixed_size: 256
    .kernarg_segment_align: 8
    .kernarg_segment_size: 140
    .language:       OpenCL C
    .language_version:
      - 2
      - 0
    .max_flat_workgroup_size: 256
    .name:           _ZL32rocblas_gemvt_warp_reduce_kernelILb0ELi256EiPK16rocblas_bfloat16PKfKPS0_EviiT3_lPKT2_lT1_lSA_lSB_lS7_lPT4_lSB_li
    .private_segment_fixed_size: 0
    .sgpr_count:     30
    .sgpr_spill_count: 0
    .symbol:         _ZL32rocblas_gemvt_warp_reduce_kernelILb0ELi256EiPK16rocblas_bfloat16PKfKPS0_EviiT3_lPKT2_lT1_lSA_lSB_lS7_lPT4_lSB_li.kd
    .uniform_work_group_size: 1
    .uses_dynamic_stack: false
    .vgpr_count:     14
    .vgpr_spill_count: 0
    .wavefront_size: 64
  - .agpr_count:     0
    .args:
      - .offset:         0
        .size:           4
        .value_kind:     by_value
      - .offset:         4
        .size:           4
        .value_kind:     by_value
      - .address_space:  global
        .offset:         8
        .size:           8
        .value_kind:     global_buffer
      - .offset:         16
        .size:           8
        .value_kind:     by_value
      - .address_space:  global
        .offset:         24
        .size:           8
        .value_kind:     global_buffer
      - .offset:         32
        .size:           8
        .value_kind:     by_value
      - .offset:         40
        .size:           8
        .value_kind:     by_value
      - .offset:         48
        .size:           8
        .value_kind:     by_value
      - .address_space:  global
        .offset:         56
        .size:           8
        .value_kind:     global_buffer
      - .offset:         64
        .size:           8
        .value_kind:     by_value
      - .offset:         72
        .size:           8
        .value_kind:     by_value
      - .offset:         80
        .size:           8
        .value_kind:     by_value
      - .address_space:  global
        .offset:         88
        .size:           8
        .value_kind:     global_buffer
      - .offset:         96
        .size:           8
        .value_kind:     by_value
      - .address_space:  global
        .offset:         104
        .size:           8
        .value_kind:     global_buffer
      - .offset:         112
        .size:           8
        .value_kind:     by_value
      - .offset:         120
        .size:           8
        .value_kind:     by_value
      - .offset:         128
        .size:           8
        .value_kind:     by_value
      - .offset:         136
        .size:           4
        .value_kind:     by_value
    .group_segment_fixed_size: 256
    .kernarg_segment_align: 8
    .kernarg_segment_size: 140
    .language:       OpenCL C
    .language_version:
      - 2
      - 0
    .max_flat_workgroup_size: 256
    .name:           _ZL32rocblas_gemvt_warp_reduce_kernelILb0ELi256ElPK16rocblas_bfloat16PKfKPS0_EviiT3_lPKT2_lT1_lSA_lSB_lS7_lPT4_lSB_li
    .private_segment_fixed_size: 0
    .sgpr_count:     37
    .sgpr_spill_count: 0
    .symbol:         _ZL32rocblas_gemvt_warp_reduce_kernelILb0ELi256ElPK16rocblas_bfloat16PKfKPS0_EviiT3_lPKT2_lT1_lSA_lSB_lS7_lPT4_lSB_li.kd
    .uniform_work_group_size: 1
    .uses_dynamic_stack: false
    .vgpr_count:     14
    .vgpr_spill_count: 0
    .wavefront_size: 64
  - .agpr_count:     0
    .args:
      - .offset:         0
        .size:           4
        .value_kind:     by_value
      - .offset:         4
        .size:           4
        .value_kind:     by_value
      - .offset:         8
        .size:           4
        .value_kind:     by_value
      - .offset:         16
        .size:           8
        .value_kind:     by_value
      - .address_space:  global
        .offset:         24
        .size:           8
        .value_kind:     global_buffer
      - .offset:         32
        .size:           8
        .value_kind:     by_value
      - .offset:         40
        .size:           4
        .value_kind:     by_value
      - .offset:         48
        .size:           8
        .value_kind:     by_value
      - .address_space:  global
        .offset:         56
        .size:           8
        .value_kind:     global_buffer
      - .offset:         64
        .size:           8
        .value_kind:     by_value
      - .offset:         72
        .size:           4
        .value_kind:     by_value
      - .offset:         80
        .size:           8
        .value_kind:     by_value
      - .offset:         88
        .size:           4
        .value_kind:     by_value
      - .offset:         96
        .size:           8
        .value_kind:     by_value
      - .address_space:  global
        .offset:         104
        .size:           8
        .value_kind:     global_buffer
      - .offset:         112
        .size:           8
        .value_kind:     by_value
      - .offset:         120
        .size:           4
        .value_kind:     by_value
      - .offset:         128
        .size:           8
        .value_kind:     by_value
      - .offset:         136
        .size:           4
        .value_kind:     by_value
    .group_segment_fixed_size: 256
    .kernarg_segment_align: 8
    .kernarg_segment_size: 140
    .language:       OpenCL C
    .language_version:
      - 2
      - 0
    .max_flat_workgroup_size: 256
    .name:           _ZL32rocblas_gemvt_warp_reduce_kernelILb0ELi256EiPK16rocblas_bfloat16fKPS0_EviiT3_lPKT2_lT1_lS8_lS9_lS5_lPT4_lS9_li
    .private_segment_fixed_size: 0
    .sgpr_count:     30
    .sgpr_spill_count: 0
    .symbol:         _ZL32rocblas_gemvt_warp_reduce_kernelILb0ELi256EiPK16rocblas_bfloat16fKPS0_EviiT3_lPKT2_lT1_lS8_lS9_lS5_lPT4_lS9_li.kd
    .uniform_work_group_size: 1
    .uses_dynamic_stack: false
    .vgpr_count:     14
    .vgpr_spill_count: 0
    .wavefront_size: 64
  - .agpr_count:     0
    .args:
      - .offset:         0
        .size:           4
        .value_kind:     by_value
      - .offset:         4
        .size:           4
        .value_kind:     by_value
      - .offset:         8
        .size:           4
        .value_kind:     by_value
      - .offset:         16
        .size:           8
        .value_kind:     by_value
      - .address_space:  global
        .offset:         24
        .size:           8
        .value_kind:     global_buffer
      - .offset:         32
        .size:           8
        .value_kind:     by_value
      - .offset:         40
        .size:           8
        .value_kind:     by_value
      - .offset:         48
        .size:           8
        .value_kind:     by_value
      - .address_space:  global
        .offset:         56
        .size:           8
        .value_kind:     global_buffer
      - .offset:         64
        .size:           8
        .value_kind:     by_value
      - .offset:         72
        .size:           8
        .value_kind:     by_value
      - .offset:         80
        .size:           8
        .value_kind:     by_value
      - .offset:         88
        .size:           4
        .value_kind:     by_value
      - .offset:         96
        .size:           8
        .value_kind:     by_value
      - .address_space:  global
        .offset:         104
        .size:           8
        .value_kind:     global_buffer
      - .offset:         112
        .size:           8
        .value_kind:     by_value
      - .offset:         120
        .size:           8
        .value_kind:     by_value
      - .offset:         128
        .size:           8
        .value_kind:     by_value
      - .offset:         136
        .size:           4
        .value_kind:     by_value
    .group_segment_fixed_size: 256
    .kernarg_segment_align: 8
    .kernarg_segment_size: 140
    .language:       OpenCL C
    .language_version:
      - 2
      - 0
    .max_flat_workgroup_size: 256
    .name:           _ZL32rocblas_gemvt_warp_reduce_kernelILb0ELi256ElPK16rocblas_bfloat16fKPS0_EviiT3_lPKT2_lT1_lS8_lS9_lS5_lPT4_lS9_li
    .private_segment_fixed_size: 0
    .sgpr_count:     38
    .sgpr_spill_count: 0
    .symbol:         _ZL32rocblas_gemvt_warp_reduce_kernelILb0ELi256ElPK16rocblas_bfloat16fKPS0_EviiT3_lPKT2_lT1_lS8_lS9_lS5_lPT4_lS9_li.kd
    .uniform_work_group_size: 1
    .uses_dynamic_stack: false
    .vgpr_count:     14
    .vgpr_spill_count: 0
    .wavefront_size: 64
  - .agpr_count:     0
    .args:
      - .offset:         0
        .size:           4
        .value_kind:     by_value
      - .offset:         4
        .size:           4
        .value_kind:     by_value
      - .address_space:  global
        .offset:         8
        .size:           8
        .value_kind:     global_buffer
      - .offset:         16
        .size:           8
        .value_kind:     by_value
      - .address_space:  global
        .offset:         24
        .size:           8
        .value_kind:     global_buffer
      - .offset:         32
        .size:           8
        .value_kind:     by_value
      - .offset:         40
        .size:           4
        .value_kind:     by_value
      - .offset:         48
        .size:           8
        .value_kind:     by_value
      - .address_space:  global
        .offset:         56
        .size:           8
        .value_kind:     global_buffer
      - .offset:         64
        .size:           8
        .value_kind:     by_value
      - .offset:         72
        .size:           4
        .value_kind:     by_value
      - .offset:         80
        .size:           8
        .value_kind:     by_value
      - .address_space:  global
        .offset:         88
        .size:           8
        .value_kind:     global_buffer
      - .offset:         96
        .size:           8
        .value_kind:     by_value
      - .address_space:  global
        .offset:         104
        .size:           8
        .value_kind:     global_buffer
      - .offset:         112
        .size:           8
        .value_kind:     by_value
      - .offset:         120
        .size:           4
        .value_kind:     by_value
      - .offset:         128
        .size:           8
        .value_kind:     by_value
      - .offset:         136
        .size:           4
        .value_kind:     by_value
    .group_segment_fixed_size: 1024
    .kernarg_segment_align: 8
    .kernarg_segment_size: 140
    .language:       OpenCL C
    .language_version:
      - 2
      - 0
    .max_flat_workgroup_size: 256
    .name:           _ZL20rocblas_gemvt_kernelILb0ELi256EPK16rocblas_bfloat16PKfKPS0_EviiT2_lPKT1_lilSA_lilS7_lPT3_lili
    .private_segment_fixed_size: 0
    .sgpr_count:     29
    .sgpr_spill_count: 0
    .symbol:         _ZL20rocblas_gemvt_kernelILb0ELi256EPK16rocblas_bfloat16PKfKPS0_EviiT2_lPKT1_lilSA_lilS7_lPT3_lili.kd
    .uniform_work_group_size: 1
    .uses_dynamic_stack: false
    .vgpr_count:     12
    .vgpr_spill_count: 0
    .wavefront_size: 64
  - .agpr_count:     0
    .args:
      - .offset:         0
        .size:           4
        .value_kind:     by_value
      - .offset:         4
        .size:           4
        .value_kind:     by_value
      - .offset:         8
        .size:           4
        .value_kind:     by_value
      - .offset:         16
        .size:           8
        .value_kind:     by_value
      - .address_space:  global
        .offset:         24
        .size:           8
        .value_kind:     global_buffer
      - .offset:         32
        .size:           8
        .value_kind:     by_value
      - .offset:         40
        .size:           4
        .value_kind:     by_value
      - .offset:         48
        .size:           8
        .value_kind:     by_value
      - .address_space:  global
        .offset:         56
        .size:           8
        .value_kind:     global_buffer
      - .offset:         64
        .size:           8
        .value_kind:     by_value
      - .offset:         72
        .size:           4
        .value_kind:     by_value
      - .offset:         80
        .size:           8
        .value_kind:     by_value
      - .offset:         88
        .size:           4
        .value_kind:     by_value
      - .offset:         96
        .size:           8
        .value_kind:     by_value
      - .address_space:  global
        .offset:         104
        .size:           8
        .value_kind:     global_buffer
      - .offset:         112
        .size:           8
        .value_kind:     by_value
      - .offset:         120
        .size:           4
        .value_kind:     by_value
      - .offset:         128
        .size:           8
        .value_kind:     by_value
      - .offset:         136
        .size:           4
        .value_kind:     by_value
    .group_segment_fixed_size: 1024
    .kernarg_segment_align: 8
    .kernarg_segment_size: 140
    .language:       OpenCL C
    .language_version:
      - 2
      - 0
    .max_flat_workgroup_size: 256
    .name:           _ZL20rocblas_gemvt_kernelILb0ELi256EPK16rocblas_bfloat16fKPS0_EviiT2_lPKT1_lilS8_lilS5_lPT3_lili
    .private_segment_fixed_size: 0
    .sgpr_count:     29
    .sgpr_spill_count: 0
    .symbol:         _ZL20rocblas_gemvt_kernelILb0ELi256EPK16rocblas_bfloat16fKPS0_EviiT2_lPKT1_lilS8_lilS5_lPT3_lili.kd
    .uniform_work_group_size: 1
    .uses_dynamic_stack: false
    .vgpr_count:     12
    .vgpr_spill_count: 0
    .wavefront_size: 64
  - .agpr_count:     0
    .args:
      - .offset:         0
        .size:           4
        .value_kind:     by_value
      - .offset:         4
        .size:           4
        .value_kind:     by_value
      - .address_space:  global
        .offset:         8
        .size:           8
        .value_kind:     global_buffer
      - .offset:         16
        .size:           8
        .value_kind:     by_value
      - .address_space:  global
        .offset:         24
        .size:           8
        .value_kind:     global_buffer
      - .offset:         32
        .size:           8
        .value_kind:     by_value
      - .offset:         40
        .size:           4
        .value_kind:     by_value
      - .offset:         48
        .size:           8
        .value_kind:     by_value
      - .address_space:  global
        .offset:         56
        .size:           8
        .value_kind:     global_buffer
      - .offset:         64
        .size:           8
        .value_kind:     by_value
      - .offset:         72
        .size:           4
        .value_kind:     by_value
      - .offset:         80
        .size:           8
        .value_kind:     by_value
      - .address_space:  global
        .offset:         88
        .size:           8
        .value_kind:     global_buffer
      - .offset:         96
        .size:           8
        .value_kind:     by_value
      - .address_space:  global
        .offset:         104
        .size:           8
        .value_kind:     global_buffer
      - .offset:         112
        .size:           8
        .value_kind:     by_value
      - .offset:         120
        .size:           4
        .value_kind:     by_value
      - .offset:         128
        .size:           8
        .value_kind:     by_value
      - .offset:         136
        .size:           4
        .value_kind:     by_value
    .group_segment_fixed_size: 256
    .kernarg_segment_align: 8
    .kernarg_segment_size: 140
    .language:       OpenCL C
    .language_version:
      - 2
      - 0
    .max_flat_workgroup_size: 1024
    .name:           _ZL32rocblas_gemvt_warp_reduce_kernelILb0ELi1024EiPK16rocblas_bfloat16PKfKPS0_EviiT3_lPKT2_lT1_lSA_lSB_lS7_lPT4_lSB_li
    .private_segment_fixed_size: 0
    .sgpr_count:     30
    .sgpr_spill_count: 0
    .symbol:         _ZL32rocblas_gemvt_warp_reduce_kernelILb0ELi1024EiPK16rocblas_bfloat16PKfKPS0_EviiT3_lPKT2_lT1_lSA_lSB_lS7_lPT4_lSB_li.kd
    .uniform_work_group_size: 1
    .uses_dynamic_stack: false
    .vgpr_count:     14
    .vgpr_spill_count: 0
    .wavefront_size: 64
  - .agpr_count:     0
    .args:
      - .offset:         0
        .size:           4
        .value_kind:     by_value
      - .offset:         4
        .size:           4
        .value_kind:     by_value
      - .address_space:  global
        .offset:         8
        .size:           8
        .value_kind:     global_buffer
      - .offset:         16
        .size:           8
        .value_kind:     by_value
      - .address_space:  global
        .offset:         24
        .size:           8
        .value_kind:     global_buffer
      - .offset:         32
        .size:           8
        .value_kind:     by_value
      - .offset:         40
        .size:           8
        .value_kind:     by_value
      - .offset:         48
        .size:           8
        .value_kind:     by_value
      - .address_space:  global
        .offset:         56
        .size:           8
        .value_kind:     global_buffer
      - .offset:         64
        .size:           8
        .value_kind:     by_value
      - .offset:         72
        .size:           8
        .value_kind:     by_value
      - .offset:         80
        .size:           8
        .value_kind:     by_value
      - .address_space:  global
        .offset:         88
        .size:           8
        .value_kind:     global_buffer
      - .offset:         96
        .size:           8
        .value_kind:     by_value
      - .address_space:  global
        .offset:         104
        .size:           8
        .value_kind:     global_buffer
      - .offset:         112
        .size:           8
        .value_kind:     by_value
      - .offset:         120
        .size:           8
        .value_kind:     by_value
      - .offset:         128
        .size:           8
        .value_kind:     by_value
      - .offset:         136
        .size:           4
        .value_kind:     by_value
    .group_segment_fixed_size: 256
    .kernarg_segment_align: 8
    .kernarg_segment_size: 140
    .language:       OpenCL C
    .language_version:
      - 2
      - 0
    .max_flat_workgroup_size: 1024
    .name:           _ZL32rocblas_gemvt_warp_reduce_kernelILb0ELi1024ElPK16rocblas_bfloat16PKfKPS0_EviiT3_lPKT2_lT1_lSA_lSB_lS7_lPT4_lSB_li
    .private_segment_fixed_size: 0
    .sgpr_count:     37
    .sgpr_spill_count: 0
    .symbol:         _ZL32rocblas_gemvt_warp_reduce_kernelILb0ELi1024ElPK16rocblas_bfloat16PKfKPS0_EviiT3_lPKT2_lT1_lSA_lSB_lS7_lPT4_lSB_li.kd
    .uniform_work_group_size: 1
    .uses_dynamic_stack: false
    .vgpr_count:     14
    .vgpr_spill_count: 0
    .wavefront_size: 64
  - .agpr_count:     0
    .args:
      - .offset:         0
        .size:           4
        .value_kind:     by_value
      - .offset:         4
        .size:           4
        .value_kind:     by_value
      - .offset:         8
        .size:           4
        .value_kind:     by_value
      - .offset:         16
        .size:           8
        .value_kind:     by_value
      - .address_space:  global
        .offset:         24
        .size:           8
        .value_kind:     global_buffer
      - .offset:         32
        .size:           8
        .value_kind:     by_value
      - .offset:         40
        .size:           4
        .value_kind:     by_value
      - .offset:         48
        .size:           8
        .value_kind:     by_value
      - .address_space:  global
        .offset:         56
        .size:           8
        .value_kind:     global_buffer
      - .offset:         64
        .size:           8
        .value_kind:     by_value
      - .offset:         72
        .size:           4
        .value_kind:     by_value
      - .offset:         80
        .size:           8
        .value_kind:     by_value
      - .offset:         88
        .size:           4
        .value_kind:     by_value
      - .offset:         96
        .size:           8
        .value_kind:     by_value
      - .address_space:  global
        .offset:         104
        .size:           8
        .value_kind:     global_buffer
      - .offset:         112
        .size:           8
        .value_kind:     by_value
      - .offset:         120
        .size:           4
        .value_kind:     by_value
      - .offset:         128
        .size:           8
        .value_kind:     by_value
      - .offset:         136
        .size:           4
        .value_kind:     by_value
    .group_segment_fixed_size: 256
    .kernarg_segment_align: 8
    .kernarg_segment_size: 140
    .language:       OpenCL C
    .language_version:
      - 2
      - 0
    .max_flat_workgroup_size: 1024
    .name:           _ZL32rocblas_gemvt_warp_reduce_kernelILb0ELi1024EiPK16rocblas_bfloat16fKPS0_EviiT3_lPKT2_lT1_lS8_lS9_lS5_lPT4_lS9_li
    .private_segment_fixed_size: 0
    .sgpr_count:     30
    .sgpr_spill_count: 0
    .symbol:         _ZL32rocblas_gemvt_warp_reduce_kernelILb0ELi1024EiPK16rocblas_bfloat16fKPS0_EviiT3_lPKT2_lT1_lS8_lS9_lS5_lPT4_lS9_li.kd
    .uniform_work_group_size: 1
    .uses_dynamic_stack: false
    .vgpr_count:     14
    .vgpr_spill_count: 0
    .wavefront_size: 64
  - .agpr_count:     0
    .args:
      - .offset:         0
        .size:           4
        .value_kind:     by_value
      - .offset:         4
        .size:           4
        .value_kind:     by_value
      - .offset:         8
        .size:           4
        .value_kind:     by_value
      - .offset:         16
        .size:           8
        .value_kind:     by_value
      - .address_space:  global
        .offset:         24
        .size:           8
        .value_kind:     global_buffer
      - .offset:         32
        .size:           8
        .value_kind:     by_value
      - .offset:         40
        .size:           8
        .value_kind:     by_value
      - .offset:         48
        .size:           8
        .value_kind:     by_value
      - .address_space:  global
        .offset:         56
        .size:           8
        .value_kind:     global_buffer
      - .offset:         64
        .size:           8
        .value_kind:     by_value
      - .offset:         72
        .size:           8
        .value_kind:     by_value
      - .offset:         80
        .size:           8
        .value_kind:     by_value
      - .offset:         88
        .size:           4
        .value_kind:     by_value
      - .offset:         96
        .size:           8
        .value_kind:     by_value
      - .address_space:  global
        .offset:         104
        .size:           8
        .value_kind:     global_buffer
      - .offset:         112
        .size:           8
        .value_kind:     by_value
      - .offset:         120
        .size:           8
        .value_kind:     by_value
      - .offset:         128
        .size:           8
        .value_kind:     by_value
      - .offset:         136
        .size:           4
        .value_kind:     by_value
    .group_segment_fixed_size: 256
    .kernarg_segment_align: 8
    .kernarg_segment_size: 140
    .language:       OpenCL C
    .language_version:
      - 2
      - 0
    .max_flat_workgroup_size: 1024
    .name:           _ZL32rocblas_gemvt_warp_reduce_kernelILb0ELi1024ElPK16rocblas_bfloat16fKPS0_EviiT3_lPKT2_lT1_lS8_lS9_lS5_lPT4_lS9_li
    .private_segment_fixed_size: 0
    .sgpr_count:     38
    .sgpr_spill_count: 0
    .symbol:         _ZL32rocblas_gemvt_warp_reduce_kernelILb0ELi1024ElPK16rocblas_bfloat16fKPS0_EviiT3_lPKT2_lT1_lS8_lS9_lS5_lPT4_lS9_li.kd
    .uniform_work_group_size: 1
    .uses_dynamic_stack: false
    .vgpr_count:     14
    .vgpr_spill_count: 0
    .wavefront_size: 64
  - .agpr_count:     0
    .args:
      - .offset:         0
        .size:           4
        .value_kind:     by_value
      - .offset:         4
        .size:           4
        .value_kind:     by_value
      - .address_space:  global
        .offset:         8
        .size:           8
        .value_kind:     global_buffer
      - .offset:         16
        .size:           8
        .value_kind:     by_value
      - .address_space:  global
        .offset:         24
        .size:           8
        .value_kind:     global_buffer
      - .offset:         32
        .size:           8
        .value_kind:     by_value
      - .offset:         40
        .size:           4
        .value_kind:     by_value
      - .offset:         48
        .size:           8
        .value_kind:     by_value
      - .address_space:  global
        .offset:         56
        .size:           8
        .value_kind:     global_buffer
      - .offset:         64
        .size:           8
        .value_kind:     by_value
      - .offset:         72
        .size:           4
        .value_kind:     by_value
      - .offset:         80
        .size:           8
        .value_kind:     by_value
      - .address_space:  global
        .offset:         88
        .size:           8
        .value_kind:     global_buffer
      - .offset:         96
        .size:           8
        .value_kind:     by_value
      - .address_space:  global
        .offset:         104
        .size:           8
        .value_kind:     global_buffer
      - .offset:         112
        .size:           8
        .value_kind:     by_value
      - .offset:         120
        .size:           4
        .value_kind:     by_value
      - .offset:         128
        .size:           8
        .value_kind:     by_value
    .group_segment_fixed_size: 256
    .kernarg_segment_align: 8
    .kernarg_segment_size: 136
    .language:       OpenCL C
    .language_version:
      - 2
      - 0
    .max_flat_workgroup_size: 256
    .name:           _ZL22rocblas_gemvtsm_kernelILb1ELi256EPK16rocblas_bfloat16PKfKPS0_EviiT2_lPKT1_lilSA_lilS7_lPT3_lil
    .private_segment_fixed_size: 0
    .sgpr_count:     34
    .sgpr_spill_count: 0
    .symbol:         _ZL22rocblas_gemvtsm_kernelILb1ELi256EPK16rocblas_bfloat16PKfKPS0_EviiT2_lPKT1_lilSA_lilS7_lPT3_lil.kd
    .uniform_work_group_size: 1
    .uses_dynamic_stack: false
    .vgpr_count:     14
    .vgpr_spill_count: 0
    .wavefront_size: 64
  - .agpr_count:     0
    .args:
      - .offset:         0
        .size:           4
        .value_kind:     by_value
      - .offset:         4
        .size:           4
        .value_kind:     by_value
      - .offset:         8
        .size:           4
        .value_kind:     by_value
      - .offset:         16
        .size:           8
        .value_kind:     by_value
      - .address_space:  global
        .offset:         24
        .size:           8
        .value_kind:     global_buffer
      - .offset:         32
        .size:           8
        .value_kind:     by_value
      - .offset:         40
        .size:           4
        .value_kind:     by_value
      - .offset:         48
        .size:           8
        .value_kind:     by_value
      - .address_space:  global
        .offset:         56
        .size:           8
        .value_kind:     global_buffer
      - .offset:         64
        .size:           8
        .value_kind:     by_value
      - .offset:         72
        .size:           4
        .value_kind:     by_value
      - .offset:         80
        .size:           8
        .value_kind:     by_value
      - .offset:         88
        .size:           4
        .value_kind:     by_value
      - .offset:         96
        .size:           8
        .value_kind:     by_value
      - .address_space:  global
        .offset:         104
        .size:           8
        .value_kind:     global_buffer
      - .offset:         112
        .size:           8
        .value_kind:     by_value
      - .offset:         120
        .size:           4
        .value_kind:     by_value
      - .offset:         128
        .size:           8
        .value_kind:     by_value
    .group_segment_fixed_size: 256
    .kernarg_segment_align: 8
    .kernarg_segment_size: 136
    .language:       OpenCL C
    .language_version:
      - 2
      - 0
    .max_flat_workgroup_size: 256
    .name:           _ZL22rocblas_gemvtsm_kernelILb1ELi256EPK16rocblas_bfloat16fKPS0_EviiT2_lPKT1_lilS8_lilS5_lPT3_lil
    .private_segment_fixed_size: 0
    .sgpr_count:     34
    .sgpr_spill_count: 0
    .symbol:         _ZL22rocblas_gemvtsm_kernelILb1ELi256EPK16rocblas_bfloat16fKPS0_EviiT2_lPKT1_lilS8_lilS5_lPT3_lil.kd
    .uniform_work_group_size: 1
    .uses_dynamic_stack: false
    .vgpr_count:     14
    .vgpr_spill_count: 0
    .wavefront_size: 64
  - .agpr_count:     0
    .args:
      - .offset:         0
        .size:           4
        .value_kind:     by_value
      - .offset:         4
        .size:           4
        .value_kind:     by_value
      - .address_space:  global
        .offset:         8
        .size:           8
        .value_kind:     global_buffer
      - .offset:         16
        .size:           8
        .value_kind:     by_value
      - .address_space:  global
        .offset:         24
        .size:           8
        .value_kind:     global_buffer
      - .offset:         32
        .size:           8
        .value_kind:     by_value
      - .offset:         40
        .size:           4
        .value_kind:     by_value
      - .offset:         48
        .size:           8
        .value_kind:     by_value
      - .address_space:  global
        .offset:         56
        .size:           8
        .value_kind:     global_buffer
      - .offset:         64
        .size:           8
        .value_kind:     by_value
      - .offset:         72
        .size:           4
        .value_kind:     by_value
      - .offset:         80
        .size:           8
        .value_kind:     by_value
      - .address_space:  global
        .offset:         88
        .size:           8
        .value_kind:     global_buffer
      - .offset:         96
        .size:           4
        .value_kind:     by_value
      - .offset:         104
        .size:           4
        .value_kind:     hidden_block_count_x
      - .offset:         108
        .size:           4
        .value_kind:     hidden_block_count_y
      - .offset:         112
        .size:           4
        .value_kind:     hidden_block_count_z
      - .offset:         116
        .size:           2
        .value_kind:     hidden_group_size_x
      - .offset:         118
        .size:           2
        .value_kind:     hidden_group_size_y
      - .offset:         120
        .size:           2
        .value_kind:     hidden_group_size_z
      - .offset:         122
        .size:           2
        .value_kind:     hidden_remainder_x
      - .offset:         124
        .size:           2
        .value_kind:     hidden_remainder_y
      - .offset:         126
        .size:           2
        .value_kind:     hidden_remainder_z
      - .offset:         144
        .size:           8
        .value_kind:     hidden_global_offset_x
      - .offset:         152
        .size:           8
        .value_kind:     hidden_global_offset_y
      - .offset:         160
        .size:           8
        .value_kind:     hidden_global_offset_z
      - .offset:         168
        .size:           2
        .value_kind:     hidden_grid_dims
    .group_segment_fixed_size: 256
    .kernarg_segment_align: 8
    .kernarg_segment_size: 360
    .language:       OpenCL C
    .language_version:
      - 2
      - 0
    .max_flat_workgroup_size: 256
    .name:           _ZL23rocblas_gemvt_sn_kernelILb1ELi256ELi4EiPK16rocblas_bfloat16PKffEviiT4_lPKT3_lilS8_lilPT5_i
    .private_segment_fixed_size: 0
    .sgpr_count:     58
    .sgpr_spill_count: 0
    .symbol:         _ZL23rocblas_gemvt_sn_kernelILb1ELi256ELi4EiPK16rocblas_bfloat16PKffEviiT4_lPKT3_lilS8_lilPT5_i.kd
    .uniform_work_group_size: 1
    .uses_dynamic_stack: false
    .vgpr_count:     60
    .vgpr_spill_count: 0
    .wavefront_size: 64
  - .agpr_count:     0
    .args:
      - .offset:         0
        .size:           4
        .value_kind:     by_value
      - .offset:         4
        .size:           4
        .value_kind:     by_value
      - .address_space:  global
        .offset:         8
        .size:           8
        .value_kind:     global_buffer
      - .offset:         16
        .size:           8
        .value_kind:     by_value
      - .address_space:  global
        .offset:         24
        .size:           8
        .value_kind:     global_buffer
      - .offset:         32
        .size:           8
        .value_kind:     by_value
      - .offset:         40
        .size:           4
        .value_kind:     by_value
      - .offset:         48
        .size:           8
        .value_kind:     by_value
      - .address_space:  global
        .offset:         56
        .size:           8
        .value_kind:     global_buffer
      - .offset:         64
        .size:           8
        .value_kind:     by_value
      - .offset:         72
        .size:           4
        .value_kind:     by_value
      - .offset:         80
        .size:           8
        .value_kind:     by_value
      - .address_space:  global
        .offset:         88
        .size:           8
        .value_kind:     global_buffer
      - .offset:         96
        .size:           4
        .value_kind:     by_value
      - .offset:         104
        .size:           4
        .value_kind:     hidden_block_count_x
      - .offset:         108
        .size:           4
        .value_kind:     hidden_block_count_y
      - .offset:         112
        .size:           4
        .value_kind:     hidden_block_count_z
      - .offset:         116
        .size:           2
        .value_kind:     hidden_group_size_x
      - .offset:         118
        .size:           2
        .value_kind:     hidden_group_size_y
      - .offset:         120
        .size:           2
        .value_kind:     hidden_group_size_z
      - .offset:         122
        .size:           2
        .value_kind:     hidden_remainder_x
      - .offset:         124
        .size:           2
        .value_kind:     hidden_remainder_y
      - .offset:         126
        .size:           2
        .value_kind:     hidden_remainder_z
      - .offset:         144
        .size:           8
        .value_kind:     hidden_global_offset_x
      - .offset:         152
        .size:           8
        .value_kind:     hidden_global_offset_y
      - .offset:         160
        .size:           8
        .value_kind:     hidden_global_offset_z
      - .offset:         168
        .size:           2
        .value_kind:     hidden_grid_dims
    .group_segment_fixed_size: 256
    .kernarg_segment_align: 8
    .kernarg_segment_size: 360
    .language:       OpenCL C
    .language_version:
      - 2
      - 0
    .max_flat_workgroup_size: 256
    .name:           _ZL23rocblas_gemvt_sn_kernelILb1ELi256ELi4ElPK16rocblas_bfloat16PKffEviiT4_lPKT3_lilS8_lilPT5_i
    .private_segment_fixed_size: 0
    .sgpr_count:     59
    .sgpr_spill_count: 0
    .symbol:         _ZL23rocblas_gemvt_sn_kernelILb1ELi256ELi4ElPK16rocblas_bfloat16PKffEviiT4_lPKT3_lilS8_lilPT5_i.kd
    .uniform_work_group_size: 1
    .uses_dynamic_stack: false
    .vgpr_count:     62
    .vgpr_spill_count: 0
    .wavefront_size: 64
  - .agpr_count:     0
    .args:
      - .offset:         0
        .size:           4
        .value_kind:     by_value
      - .offset:         4
        .size:           4
        .value_kind:     by_value
      - .offset:         8
        .size:           4
        .value_kind:     by_value
      - .offset:         16
        .size:           8
        .value_kind:     by_value
      - .address_space:  global
        .offset:         24
        .size:           8
        .value_kind:     global_buffer
      - .offset:         32
        .size:           8
        .value_kind:     by_value
      - .offset:         40
        .size:           4
        .value_kind:     by_value
      - .offset:         48
        .size:           8
        .value_kind:     by_value
      - .address_space:  global
        .offset:         56
        .size:           8
        .value_kind:     global_buffer
      - .offset:         64
        .size:           8
        .value_kind:     by_value
      - .offset:         72
        .size:           4
        .value_kind:     by_value
      - .offset:         80
        .size:           8
        .value_kind:     by_value
      - .address_space:  global
        .offset:         88
        .size:           8
        .value_kind:     global_buffer
      - .offset:         96
        .size:           4
        .value_kind:     by_value
      - .offset:         104
        .size:           4
        .value_kind:     hidden_block_count_x
      - .offset:         108
        .size:           4
        .value_kind:     hidden_block_count_y
      - .offset:         112
        .size:           4
        .value_kind:     hidden_block_count_z
      - .offset:         116
        .size:           2
        .value_kind:     hidden_group_size_x
      - .offset:         118
        .size:           2
        .value_kind:     hidden_group_size_y
      - .offset:         120
        .size:           2
        .value_kind:     hidden_group_size_z
      - .offset:         122
        .size:           2
        .value_kind:     hidden_remainder_x
      - .offset:         124
        .size:           2
        .value_kind:     hidden_remainder_y
      - .offset:         126
        .size:           2
        .value_kind:     hidden_remainder_z
      - .offset:         144
        .size:           8
        .value_kind:     hidden_global_offset_x
      - .offset:         152
        .size:           8
        .value_kind:     hidden_global_offset_y
      - .offset:         160
        .size:           8
        .value_kind:     hidden_global_offset_z
      - .offset:         168
        .size:           2
        .value_kind:     hidden_grid_dims
    .group_segment_fixed_size: 256
    .kernarg_segment_align: 8
    .kernarg_segment_size: 360
    .language:       OpenCL C
    .language_version:
      - 2
      - 0
    .max_flat_workgroup_size: 256
    .name:           _ZL23rocblas_gemvt_sn_kernelILb1ELi256ELi4EiPK16rocblas_bfloat16ffEviiT4_lPKT3_lilS6_lilPT5_i
    .private_segment_fixed_size: 0
    .sgpr_count:     58
    .sgpr_spill_count: 0
    .symbol:         _ZL23rocblas_gemvt_sn_kernelILb1ELi256ELi4EiPK16rocblas_bfloat16ffEviiT4_lPKT3_lilS6_lilPT5_i.kd
    .uniform_work_group_size: 1
    .uses_dynamic_stack: false
    .vgpr_count:     60
    .vgpr_spill_count: 0
    .wavefront_size: 64
  - .agpr_count:     0
    .args:
      - .offset:         0
        .size:           4
        .value_kind:     by_value
      - .offset:         4
        .size:           4
        .value_kind:     by_value
      - .offset:         8
        .size:           4
        .value_kind:     by_value
      - .offset:         16
        .size:           8
        .value_kind:     by_value
      - .address_space:  global
        .offset:         24
        .size:           8
        .value_kind:     global_buffer
      - .offset:         32
        .size:           8
        .value_kind:     by_value
      - .offset:         40
        .size:           4
        .value_kind:     by_value
      - .offset:         48
        .size:           8
        .value_kind:     by_value
      - .address_space:  global
        .offset:         56
        .size:           8
        .value_kind:     global_buffer
      - .offset:         64
        .size:           8
        .value_kind:     by_value
      - .offset:         72
        .size:           4
        .value_kind:     by_value
      - .offset:         80
        .size:           8
        .value_kind:     by_value
      - .address_space:  global
        .offset:         88
        .size:           8
        .value_kind:     global_buffer
      - .offset:         96
        .size:           4
        .value_kind:     by_value
      - .offset:         104
        .size:           4
        .value_kind:     hidden_block_count_x
      - .offset:         108
        .size:           4
        .value_kind:     hidden_block_count_y
      - .offset:         112
        .size:           4
        .value_kind:     hidden_block_count_z
      - .offset:         116
        .size:           2
        .value_kind:     hidden_group_size_x
      - .offset:         118
        .size:           2
        .value_kind:     hidden_group_size_y
      - .offset:         120
        .size:           2
        .value_kind:     hidden_group_size_z
      - .offset:         122
        .size:           2
        .value_kind:     hidden_remainder_x
      - .offset:         124
        .size:           2
        .value_kind:     hidden_remainder_y
      - .offset:         126
        .size:           2
        .value_kind:     hidden_remainder_z
      - .offset:         144
        .size:           8
        .value_kind:     hidden_global_offset_x
      - .offset:         152
        .size:           8
        .value_kind:     hidden_global_offset_y
      - .offset:         160
        .size:           8
        .value_kind:     hidden_global_offset_z
      - .offset:         168
        .size:           2
        .value_kind:     hidden_grid_dims
    .group_segment_fixed_size: 256
    .kernarg_segment_align: 8
    .kernarg_segment_size: 360
    .language:       OpenCL C
    .language_version:
      - 2
      - 0
    .max_flat_workgroup_size: 256
    .name:           _ZL23rocblas_gemvt_sn_kernelILb1ELi256ELi4ElPK16rocblas_bfloat16ffEviiT4_lPKT3_lilS6_lilPT5_i
    .private_segment_fixed_size: 0
    .sgpr_count:     59
    .sgpr_spill_count: 0
    .symbol:         _ZL23rocblas_gemvt_sn_kernelILb1ELi256ELi4ElPK16rocblas_bfloat16ffEviiT4_lPKT3_lilS6_lilPT5_i.kd
    .uniform_work_group_size: 1
    .uses_dynamic_stack: false
    .vgpr_count:     62
    .vgpr_spill_count: 0
    .wavefront_size: 64
  - .agpr_count:     0
    .args:
      - .offset:         0
        .size:           4
        .value_kind:     by_value
      - .offset:         4
        .size:           4
        .value_kind:     by_value
      - .address_space:  global
        .offset:         8
        .size:           8
        .value_kind:     global_buffer
      - .offset:         16
        .size:           8
        .value_kind:     by_value
      - .address_space:  global
        .offset:         24
        .size:           8
        .value_kind:     global_buffer
      - .offset:         32
        .size:           8
        .value_kind:     by_value
      - .offset:         40
        .size:           4
        .value_kind:     by_value
      - .offset:         48
        .size:           8
        .value_kind:     by_value
      - .address_space:  global
        .offset:         56
        .size:           8
        .value_kind:     global_buffer
      - .offset:         64
        .size:           8
        .value_kind:     by_value
      - .offset:         72
        .size:           4
        .value_kind:     by_value
      - .offset:         80
        .size:           8
        .value_kind:     by_value
      - .address_space:  global
        .offset:         88
        .size:           8
        .value_kind:     global_buffer
      - .offset:         96
        .size:           8
        .value_kind:     by_value
      - .address_space:  global
        .offset:         104
        .size:           8
        .value_kind:     global_buffer
      - .offset:         112
        .size:           8
        .value_kind:     by_value
      - .offset:         120
        .size:           4
        .value_kind:     by_value
      - .offset:         128
        .size:           8
        .value_kind:     by_value
      - .offset:         136
        .size:           4
        .value_kind:     by_value
    .group_segment_fixed_size: 1024
    .kernarg_segment_align: 8
    .kernarg_segment_size: 140
    .language:       OpenCL C
    .language_version:
      - 2
      - 0
    .max_flat_workgroup_size: 256
    .name:           _ZL20rocblas_gemvt_kernelILb1ELi256EPK16rocblas_bfloat16PKfKPS0_EviiT2_lPKT1_lilSA_lilS7_lPT3_lili
    .private_segment_fixed_size: 0
    .sgpr_count:     29
    .sgpr_spill_count: 0
    .symbol:         _ZL20rocblas_gemvt_kernelILb1ELi256EPK16rocblas_bfloat16PKfKPS0_EviiT2_lPKT1_lilSA_lilS7_lPT3_lili.kd
    .uniform_work_group_size: 1
    .uses_dynamic_stack: false
    .vgpr_count:     12
    .vgpr_spill_count: 0
    .wavefront_size: 64
  - .agpr_count:     0
    .args:
      - .offset:         0
        .size:           4
        .value_kind:     by_value
      - .offset:         4
        .size:           4
        .value_kind:     by_value
      - .offset:         8
        .size:           4
        .value_kind:     by_value
      - .offset:         16
        .size:           8
        .value_kind:     by_value
      - .address_space:  global
        .offset:         24
        .size:           8
        .value_kind:     global_buffer
      - .offset:         32
        .size:           8
        .value_kind:     by_value
      - .offset:         40
        .size:           4
        .value_kind:     by_value
      - .offset:         48
        .size:           8
        .value_kind:     by_value
      - .address_space:  global
        .offset:         56
        .size:           8
        .value_kind:     global_buffer
      - .offset:         64
        .size:           8
        .value_kind:     by_value
      - .offset:         72
        .size:           4
        .value_kind:     by_value
      - .offset:         80
        .size:           8
        .value_kind:     by_value
      - .offset:         88
        .size:           4
        .value_kind:     by_value
      - .offset:         96
        .size:           8
        .value_kind:     by_value
      - .address_space:  global
        .offset:         104
        .size:           8
        .value_kind:     global_buffer
      - .offset:         112
        .size:           8
        .value_kind:     by_value
      - .offset:         120
        .size:           4
        .value_kind:     by_value
      - .offset:         128
        .size:           8
        .value_kind:     by_value
      - .offset:         136
        .size:           4
        .value_kind:     by_value
    .group_segment_fixed_size: 1024
    .kernarg_segment_align: 8
    .kernarg_segment_size: 140
    .language:       OpenCL C
    .language_version:
      - 2
      - 0
    .max_flat_workgroup_size: 256
    .name:           _ZL20rocblas_gemvt_kernelILb1ELi256EPK16rocblas_bfloat16fKPS0_EviiT2_lPKT1_lilS8_lilS5_lPT3_lili
    .private_segment_fixed_size: 0
    .sgpr_count:     29
    .sgpr_spill_count: 0
    .symbol:         _ZL20rocblas_gemvt_kernelILb1ELi256EPK16rocblas_bfloat16fKPS0_EviiT2_lPKT1_lilS8_lilS5_lPT3_lili.kd
    .uniform_work_group_size: 1
    .uses_dynamic_stack: false
    .vgpr_count:     12
    .vgpr_spill_count: 0
    .wavefront_size: 64
  - .agpr_count:     0
    .args:
      - .offset:         0
        .size:           4
        .value_kind:     by_value
      - .offset:         4
        .size:           4
        .value_kind:     by_value
      - .address_space:  global
        .offset:         8
        .size:           8
        .value_kind:     global_buffer
      - .offset:         16
        .size:           8
        .value_kind:     by_value
      - .address_space:  global
        .offset:         24
        .size:           8
        .value_kind:     global_buffer
      - .offset:         32
        .size:           8
        .value_kind:     by_value
      - .offset:         40
        .size:           4
        .value_kind:     by_value
      - .offset:         48
        .size:           8
        .value_kind:     by_value
      - .address_space:  global
        .offset:         56
        .size:           8
        .value_kind:     global_buffer
      - .offset:         64
        .size:           8
        .value_kind:     by_value
      - .offset:         72
        .size:           4
        .value_kind:     by_value
      - .offset:         80
        .size:           8
        .value_kind:     by_value
      - .address_space:  global
        .offset:         88
        .size:           8
        .value_kind:     global_buffer
      - .offset:         96
        .size:           8
        .value_kind:     by_value
      - .address_space:  global
        .offset:         104
        .size:           8
        .value_kind:     global_buffer
      - .offset:         112
        .size:           8
        .value_kind:     by_value
      - .offset:         120
        .size:           4
        .value_kind:     by_value
      - .offset:         128
        .size:           8
        .value_kind:     by_value
      - .offset:         136
        .size:           4
        .value_kind:     by_value
    .group_segment_fixed_size: 256
    .kernarg_segment_align: 8
    .kernarg_segment_size: 140
    .language:       OpenCL C
    .language_version:
      - 2
      - 0
    .max_flat_workgroup_size: 1024
    .name:           _ZL32rocblas_gemvt_warp_reduce_kernelILb1ELi1024EiPK16rocblas_bfloat16PKfKPS0_EviiT3_lPKT2_lT1_lSA_lSB_lS7_lPT4_lSB_li
    .private_segment_fixed_size: 0
    .sgpr_count:     30
    .sgpr_spill_count: 0
    .symbol:         _ZL32rocblas_gemvt_warp_reduce_kernelILb1ELi1024EiPK16rocblas_bfloat16PKfKPS0_EviiT3_lPKT2_lT1_lSA_lSB_lS7_lPT4_lSB_li.kd
    .uniform_work_group_size: 1
    .uses_dynamic_stack: false
    .vgpr_count:     14
    .vgpr_spill_count: 0
    .wavefront_size: 64
  - .agpr_count:     0
    .args:
      - .offset:         0
        .size:           4
        .value_kind:     by_value
      - .offset:         4
        .size:           4
        .value_kind:     by_value
      - .address_space:  global
        .offset:         8
        .size:           8
        .value_kind:     global_buffer
      - .offset:         16
        .size:           8
        .value_kind:     by_value
      - .address_space:  global
        .offset:         24
        .size:           8
        .value_kind:     global_buffer
      - .offset:         32
        .size:           8
        .value_kind:     by_value
      - .offset:         40
        .size:           8
        .value_kind:     by_value
      - .offset:         48
        .size:           8
        .value_kind:     by_value
      - .address_space:  global
        .offset:         56
        .size:           8
        .value_kind:     global_buffer
      - .offset:         64
        .size:           8
        .value_kind:     by_value
      - .offset:         72
        .size:           8
        .value_kind:     by_value
      - .offset:         80
        .size:           8
        .value_kind:     by_value
      - .address_space:  global
        .offset:         88
        .size:           8
        .value_kind:     global_buffer
      - .offset:         96
        .size:           8
        .value_kind:     by_value
      - .address_space:  global
        .offset:         104
        .size:           8
        .value_kind:     global_buffer
      - .offset:         112
        .size:           8
        .value_kind:     by_value
      - .offset:         120
        .size:           8
        .value_kind:     by_value
      - .offset:         128
        .size:           8
        .value_kind:     by_value
      - .offset:         136
        .size:           4
        .value_kind:     by_value
    .group_segment_fixed_size: 256
    .kernarg_segment_align: 8
    .kernarg_segment_size: 140
    .language:       OpenCL C
    .language_version:
      - 2
      - 0
    .max_flat_workgroup_size: 1024
    .name:           _ZL32rocblas_gemvt_warp_reduce_kernelILb1ELi1024ElPK16rocblas_bfloat16PKfKPS0_EviiT3_lPKT2_lT1_lSA_lSB_lS7_lPT4_lSB_li
    .private_segment_fixed_size: 0
    .sgpr_count:     37
    .sgpr_spill_count: 0
    .symbol:         _ZL32rocblas_gemvt_warp_reduce_kernelILb1ELi1024ElPK16rocblas_bfloat16PKfKPS0_EviiT3_lPKT2_lT1_lSA_lSB_lS7_lPT4_lSB_li.kd
    .uniform_work_group_size: 1
    .uses_dynamic_stack: false
    .vgpr_count:     14
    .vgpr_spill_count: 0
    .wavefront_size: 64
  - .agpr_count:     0
    .args:
      - .offset:         0
        .size:           4
        .value_kind:     by_value
      - .offset:         4
        .size:           4
        .value_kind:     by_value
      - .offset:         8
        .size:           4
        .value_kind:     by_value
      - .offset:         16
        .size:           8
        .value_kind:     by_value
      - .address_space:  global
        .offset:         24
        .size:           8
        .value_kind:     global_buffer
      - .offset:         32
        .size:           8
        .value_kind:     by_value
      - .offset:         40
        .size:           4
        .value_kind:     by_value
      - .offset:         48
        .size:           8
        .value_kind:     by_value
      - .address_space:  global
        .offset:         56
        .size:           8
        .value_kind:     global_buffer
      - .offset:         64
        .size:           8
        .value_kind:     by_value
      - .offset:         72
        .size:           4
        .value_kind:     by_value
      - .offset:         80
        .size:           8
        .value_kind:     by_value
      - .offset:         88
        .size:           4
        .value_kind:     by_value
      - .offset:         96
        .size:           8
        .value_kind:     by_value
      - .address_space:  global
        .offset:         104
        .size:           8
        .value_kind:     global_buffer
      - .offset:         112
        .size:           8
        .value_kind:     by_value
      - .offset:         120
        .size:           4
        .value_kind:     by_value
      - .offset:         128
        .size:           8
        .value_kind:     by_value
      - .offset:         136
        .size:           4
        .value_kind:     by_value
    .group_segment_fixed_size: 256
    .kernarg_segment_align: 8
    .kernarg_segment_size: 140
    .language:       OpenCL C
    .language_version:
      - 2
      - 0
    .max_flat_workgroup_size: 1024
    .name:           _ZL32rocblas_gemvt_warp_reduce_kernelILb1ELi1024EiPK16rocblas_bfloat16fKPS0_EviiT3_lPKT2_lT1_lS8_lS9_lS5_lPT4_lS9_li
    .private_segment_fixed_size: 0
    .sgpr_count:     30
    .sgpr_spill_count: 0
    .symbol:         _ZL32rocblas_gemvt_warp_reduce_kernelILb1ELi1024EiPK16rocblas_bfloat16fKPS0_EviiT3_lPKT2_lT1_lS8_lS9_lS5_lPT4_lS9_li.kd
    .uniform_work_group_size: 1
    .uses_dynamic_stack: false
    .vgpr_count:     14
    .vgpr_spill_count: 0
    .wavefront_size: 64
  - .agpr_count:     0
    .args:
      - .offset:         0
        .size:           4
        .value_kind:     by_value
      - .offset:         4
        .size:           4
        .value_kind:     by_value
      - .offset:         8
        .size:           4
        .value_kind:     by_value
      - .offset:         16
        .size:           8
        .value_kind:     by_value
      - .address_space:  global
        .offset:         24
        .size:           8
        .value_kind:     global_buffer
      - .offset:         32
        .size:           8
        .value_kind:     by_value
      - .offset:         40
        .size:           8
        .value_kind:     by_value
      - .offset:         48
        .size:           8
        .value_kind:     by_value
      - .address_space:  global
        .offset:         56
        .size:           8
        .value_kind:     global_buffer
      - .offset:         64
        .size:           8
        .value_kind:     by_value
      - .offset:         72
        .size:           8
        .value_kind:     by_value
      - .offset:         80
        .size:           8
        .value_kind:     by_value
      - .offset:         88
        .size:           4
        .value_kind:     by_value
      - .offset:         96
        .size:           8
        .value_kind:     by_value
      - .address_space:  global
        .offset:         104
        .size:           8
        .value_kind:     global_buffer
      - .offset:         112
        .size:           8
        .value_kind:     by_value
      - .offset:         120
        .size:           8
        .value_kind:     by_value
      - .offset:         128
        .size:           8
        .value_kind:     by_value
      - .offset:         136
        .size:           4
        .value_kind:     by_value
    .group_segment_fixed_size: 256
    .kernarg_segment_align: 8
    .kernarg_segment_size: 140
    .language:       OpenCL C
    .language_version:
      - 2
      - 0
    .max_flat_workgroup_size: 1024
    .name:           _ZL32rocblas_gemvt_warp_reduce_kernelILb1ELi1024ElPK16rocblas_bfloat16fKPS0_EviiT3_lPKT2_lT1_lS8_lS9_lS5_lPT4_lS9_li
    .private_segment_fixed_size: 0
    .sgpr_count:     38
    .sgpr_spill_count: 0
    .symbol:         _ZL32rocblas_gemvt_warp_reduce_kernelILb1ELi1024ElPK16rocblas_bfloat16fKPS0_EviiT3_lPKT2_lT1_lS8_lS9_lS5_lPT4_lS9_li.kd
    .uniform_work_group_size: 1
    .uses_dynamic_stack: false
    .vgpr_count:     14
    .vgpr_spill_count: 0
    .wavefront_size: 64
  - .agpr_count:     0
    .args:
      - .offset:         0
        .size:           4
        .value_kind:     by_value
      - .offset:         4
        .size:           4
        .value_kind:     by_value
      - .address_space:  global
        .offset:         8
        .size:           8
        .value_kind:     global_buffer
      - .offset:         16
        .size:           8
        .value_kind:     by_value
      - .address_space:  global
        .offset:         24
        .size:           8
        .value_kind:     global_buffer
      - .offset:         32
        .size:           8
        .value_kind:     by_value
      - .offset:         40
        .size:           4
        .value_kind:     by_value
      - .offset:         48
        .size:           8
        .value_kind:     by_value
      - .address_space:  global
        .offset:         56
        .size:           8
        .value_kind:     global_buffer
      - .offset:         64
        .size:           8
        .value_kind:     by_value
      - .offset:         72
        .size:           4
        .value_kind:     by_value
      - .offset:         80
        .size:           8
        .value_kind:     by_value
      - .address_space:  global
        .offset:         88
        .size:           8
        .value_kind:     global_buffer
      - .offset:         96
        .size:           8
        .value_kind:     by_value
      - .address_space:  global
        .offset:         104
        .size:           8
        .value_kind:     global_buffer
      - .offset:         112
        .size:           8
        .value_kind:     by_value
      - .offset:         120
        .size:           4
        .value_kind:     by_value
      - .offset:         128
        .size:           8
        .value_kind:     by_value
      - .offset:         136
        .size:           4
        .value_kind:     by_value
      - .offset:         144
        .size:           4
        .value_kind:     hidden_block_count_x
      - .offset:         148
        .size:           4
        .value_kind:     hidden_block_count_y
      - .offset:         152
        .size:           4
        .value_kind:     hidden_block_count_z
      - .offset:         156
        .size:           2
        .value_kind:     hidden_group_size_x
      - .offset:         158
        .size:           2
        .value_kind:     hidden_group_size_y
      - .offset:         160
        .size:           2
        .value_kind:     hidden_group_size_z
      - .offset:         162
        .size:           2
        .value_kind:     hidden_remainder_x
      - .offset:         164
        .size:           2
        .value_kind:     hidden_remainder_y
      - .offset:         166
        .size:           2
        .value_kind:     hidden_remainder_z
      - .offset:         184
        .size:           8
        .value_kind:     hidden_global_offset_x
      - .offset:         192
        .size:           8
        .value_kind:     hidden_global_offset_y
      - .offset:         200
        .size:           8
        .value_kind:     hidden_global_offset_z
      - .offset:         208
        .size:           2
        .value_kind:     hidden_grid_dims
    .group_segment_fixed_size: 3072
    .kernarg_segment_align: 8
    .kernarg_segment_size: 400
    .language:       OpenCL C
    .language_version:
      - 2
      - 0
    .max_flat_workgroup_size: 768
    .name:           _ZL34rocblas_gemvn_sm_mn_batched_kernelILi32ELi24E16rocblas_bfloat16PKffEviiT2_lPKT1_lilS6_lilS3_lPT3_lili
    .private_segment_fixed_size: 0
    .sgpr_count:     76
    .sgpr_spill_count: 0
    .symbol:         _ZL34rocblas_gemvn_sm_mn_batched_kernelILi32ELi24E16rocblas_bfloat16PKffEviiT2_lPKT1_lilS6_lilS3_lPT3_lili.kd
    .uniform_work_group_size: 1
    .uses_dynamic_stack: false
    .vgpr_count:     42
    .vgpr_spill_count: 0
    .wavefront_size: 64
  - .agpr_count:     0
    .args:
      - .offset:         0
        .size:           4
        .value_kind:     by_value
      - .offset:         4
        .size:           4
        .value_kind:     by_value
      - .offset:         8
        .size:           4
        .value_kind:     by_value
      - .offset:         16
        .size:           8
        .value_kind:     by_value
      - .address_space:  global
        .offset:         24
        .size:           8
        .value_kind:     global_buffer
      - .offset:         32
        .size:           8
        .value_kind:     by_value
      - .offset:         40
        .size:           4
        .value_kind:     by_value
      - .offset:         48
        .size:           8
        .value_kind:     by_value
      - .address_space:  global
        .offset:         56
        .size:           8
        .value_kind:     global_buffer
      - .offset:         64
        .size:           8
        .value_kind:     by_value
      - .offset:         72
        .size:           4
        .value_kind:     by_value
      - .offset:         80
        .size:           8
        .value_kind:     by_value
      - .offset:         88
        .size:           4
        .value_kind:     by_value
      - .offset:         96
        .size:           8
        .value_kind:     by_value
      - .address_space:  global
        .offset:         104
        .size:           8
        .value_kind:     global_buffer
      - .offset:         112
        .size:           8
        .value_kind:     by_value
      - .offset:         120
        .size:           4
        .value_kind:     by_value
      - .offset:         128
        .size:           8
        .value_kind:     by_value
      - .offset:         136
        .size:           4
        .value_kind:     by_value
      - .offset:         144
        .size:           4
        .value_kind:     hidden_block_count_x
      - .offset:         148
        .size:           4
        .value_kind:     hidden_block_count_y
      - .offset:         152
        .size:           4
        .value_kind:     hidden_block_count_z
      - .offset:         156
        .size:           2
        .value_kind:     hidden_group_size_x
      - .offset:         158
        .size:           2
        .value_kind:     hidden_group_size_y
      - .offset:         160
        .size:           2
        .value_kind:     hidden_group_size_z
      - .offset:         162
        .size:           2
        .value_kind:     hidden_remainder_x
      - .offset:         164
        .size:           2
        .value_kind:     hidden_remainder_y
      - .offset:         166
        .size:           2
        .value_kind:     hidden_remainder_z
      - .offset:         184
        .size:           8
        .value_kind:     hidden_global_offset_x
      - .offset:         192
        .size:           8
        .value_kind:     hidden_global_offset_y
      - .offset:         200
        .size:           8
        .value_kind:     hidden_global_offset_z
      - .offset:         208
        .size:           2
        .value_kind:     hidden_grid_dims
    .group_segment_fixed_size: 3072
    .kernarg_segment_align: 8
    .kernarg_segment_size: 400
    .language:       OpenCL C
    .language_version:
      - 2
      - 0
    .max_flat_workgroup_size: 768
    .name:           _ZL34rocblas_gemvn_sm_mn_batched_kernelILi32ELi24E16rocblas_bfloat16ffEviiT2_lPKT1_lilS4_lilS1_lPT3_lili
    .private_segment_fixed_size: 0
    .sgpr_count:     76
    .sgpr_spill_count: 0
    .symbol:         _ZL34rocblas_gemvn_sm_mn_batched_kernelILi32ELi24E16rocblas_bfloat16ffEviiT2_lPKT1_lilS4_lilS1_lPT3_lili.kd
    .uniform_work_group_size: 1
    .uses_dynamic_stack: false
    .vgpr_count:     42
    .vgpr_spill_count: 0
    .wavefront_size: 64
  - .agpr_count:     0
    .args:
      - .offset:         0
        .size:           4
        .value_kind:     by_value
      - .offset:         4
        .size:           4
        .value_kind:     by_value
      - .address_space:  global
        .offset:         8
        .size:           8
        .value_kind:     global_buffer
      - .offset:         16
        .size:           8
        .value_kind:     by_value
      - .address_space:  global
        .offset:         24
        .size:           8
        .value_kind:     global_buffer
      - .offset:         32
        .size:           8
        .value_kind:     by_value
      - .offset:         40
        .size:           4
        .value_kind:     by_value
      - .offset:         48
        .size:           8
        .value_kind:     by_value
      - .address_space:  global
        .offset:         56
        .size:           8
        .value_kind:     global_buffer
      - .offset:         64
        .size:           8
        .value_kind:     by_value
      - .offset:         72
        .size:           4
        .value_kind:     by_value
      - .offset:         80
        .size:           8
        .value_kind:     by_value
      - .address_space:  global
        .offset:         88
        .size:           8
        .value_kind:     global_buffer
      - .offset:         96
        .size:           8
        .value_kind:     by_value
      - .address_space:  global
        .offset:         104
        .size:           8
        .value_kind:     global_buffer
      - .offset:         112
        .size:           8
        .value_kind:     by_value
      - .offset:         120
        .size:           4
        .value_kind:     by_value
      - .offset:         128
        .size:           8
        .value_kind:     by_value
      - .offset:         136
        .size:           4
        .value_kind:     by_value
      - .offset:         144
        .size:           4
        .value_kind:     hidden_block_count_x
      - .offset:         148
        .size:           4
        .value_kind:     hidden_block_count_y
      - .offset:         152
        .size:           4
        .value_kind:     hidden_block_count_z
      - .offset:         156
        .size:           2
        .value_kind:     hidden_group_size_x
      - .offset:         158
        .size:           2
        .value_kind:     hidden_group_size_y
      - .offset:         160
        .size:           2
        .value_kind:     hidden_group_size_z
      - .offset:         162
        .size:           2
        .value_kind:     hidden_remainder_x
      - .offset:         164
        .size:           2
        .value_kind:     hidden_remainder_y
      - .offset:         166
        .size:           2
        .value_kind:     hidden_remainder_z
      - .offset:         184
        .size:           8
        .value_kind:     hidden_global_offset_x
      - .offset:         192
        .size:           8
        .value_kind:     hidden_global_offset_y
      - .offset:         200
        .size:           8
        .value_kind:     hidden_global_offset_z
      - .offset:         208
        .size:           2
        .value_kind:     hidden_grid_dims
    .group_segment_fixed_size: 4096
    .kernarg_segment_align: 8
    .kernarg_segment_size: 400
    .language:       OpenCL C
    .language_version:
      - 2
      - 0
    .max_flat_workgroup_size: 256
    .name:           _ZL20rocblas_gemvn_kernelILi64ELi4Ei16rocblas_bfloat16PKffEviiT3_lPKT2_lT1_lS6_lS7_lS3_lPT4_lS7_li
    .private_segment_fixed_size: 0
    .sgpr_count:     45
    .sgpr_spill_count: 0
    .symbol:         _ZL20rocblas_gemvn_kernelILi64ELi4Ei16rocblas_bfloat16PKffEviiT3_lPKT2_lT1_lS6_lS7_lS3_lPT4_lS7_li.kd
    .uniform_work_group_size: 1
    .uses_dynamic_stack: false
    .vgpr_count:     45
    .vgpr_spill_count: 0
    .wavefront_size: 64
  - .agpr_count:     0
    .args:
      - .offset:         0
        .size:           4
        .value_kind:     by_value
      - .offset:         4
        .size:           4
        .value_kind:     by_value
      - .address_space:  global
        .offset:         8
        .size:           8
        .value_kind:     global_buffer
      - .offset:         16
        .size:           8
        .value_kind:     by_value
      - .address_space:  global
        .offset:         24
        .size:           8
        .value_kind:     global_buffer
      - .offset:         32
        .size:           8
        .value_kind:     by_value
      - .offset:         40
        .size:           8
        .value_kind:     by_value
      - .offset:         48
        .size:           8
        .value_kind:     by_value
      - .address_space:  global
        .offset:         56
        .size:           8
        .value_kind:     global_buffer
      - .offset:         64
        .size:           8
        .value_kind:     by_value
      - .offset:         72
        .size:           8
        .value_kind:     by_value
      - .offset:         80
        .size:           8
        .value_kind:     by_value
      - .address_space:  global
        .offset:         88
        .size:           8
        .value_kind:     global_buffer
      - .offset:         96
        .size:           8
        .value_kind:     by_value
      - .address_space:  global
        .offset:         104
        .size:           8
        .value_kind:     global_buffer
      - .offset:         112
        .size:           8
        .value_kind:     by_value
      - .offset:         120
        .size:           8
        .value_kind:     by_value
      - .offset:         128
        .size:           8
        .value_kind:     by_value
      - .offset:         136
        .size:           4
        .value_kind:     by_value
      - .offset:         144
        .size:           4
        .value_kind:     hidden_block_count_x
      - .offset:         148
        .size:           4
        .value_kind:     hidden_block_count_y
      - .offset:         152
        .size:           4
        .value_kind:     hidden_block_count_z
      - .offset:         156
        .size:           2
        .value_kind:     hidden_group_size_x
      - .offset:         158
        .size:           2
        .value_kind:     hidden_group_size_y
      - .offset:         160
        .size:           2
        .value_kind:     hidden_group_size_z
      - .offset:         162
        .size:           2
        .value_kind:     hidden_remainder_x
      - .offset:         164
        .size:           2
        .value_kind:     hidden_remainder_y
      - .offset:         166
        .size:           2
        .value_kind:     hidden_remainder_z
      - .offset:         184
        .size:           8
        .value_kind:     hidden_global_offset_x
      - .offset:         192
        .size:           8
        .value_kind:     hidden_global_offset_y
      - .offset:         200
        .size:           8
        .value_kind:     hidden_global_offset_z
      - .offset:         208
        .size:           2
        .value_kind:     hidden_grid_dims
    .group_segment_fixed_size: 4096
    .kernarg_segment_align: 8
    .kernarg_segment_size: 400
    .language:       OpenCL C
    .language_version:
      - 2
      - 0
    .max_flat_workgroup_size: 256
    .name:           _ZL20rocblas_gemvn_kernelILi64ELi4El16rocblas_bfloat16PKffEviiT3_lPKT2_lT1_lS6_lS7_lS3_lPT4_lS7_li
    .private_segment_fixed_size: 0
    .sgpr_count:     59
    .sgpr_spill_count: 0
    .symbol:         _ZL20rocblas_gemvn_kernelILi64ELi4El16rocblas_bfloat16PKffEviiT3_lPKT2_lT1_lS6_lS7_lS3_lPT4_lS7_li.kd
    .uniform_work_group_size: 1
    .uses_dynamic_stack: false
    .vgpr_count:     51
    .vgpr_spill_count: 0
    .wavefront_size: 64
  - .agpr_count:     0
    .args:
      - .offset:         0
        .size:           4
        .value_kind:     by_value
      - .offset:         4
        .size:           4
        .value_kind:     by_value
      - .offset:         8
        .size:           4
        .value_kind:     by_value
      - .offset:         16
        .size:           8
        .value_kind:     by_value
      - .address_space:  global
        .offset:         24
        .size:           8
        .value_kind:     global_buffer
      - .offset:         32
        .size:           8
        .value_kind:     by_value
      - .offset:         40
        .size:           4
        .value_kind:     by_value
      - .offset:         48
        .size:           8
        .value_kind:     by_value
      - .address_space:  global
        .offset:         56
        .size:           8
        .value_kind:     global_buffer
      - .offset:         64
        .size:           8
        .value_kind:     by_value
      - .offset:         72
        .size:           4
        .value_kind:     by_value
      - .offset:         80
        .size:           8
        .value_kind:     by_value
      - .offset:         88
        .size:           4
        .value_kind:     by_value
      - .offset:         96
        .size:           8
        .value_kind:     by_value
      - .address_space:  global
        .offset:         104
        .size:           8
        .value_kind:     global_buffer
      - .offset:         112
        .size:           8
        .value_kind:     by_value
      - .offset:         120
        .size:           4
        .value_kind:     by_value
      - .offset:         128
        .size:           8
        .value_kind:     by_value
      - .offset:         136
        .size:           4
        .value_kind:     by_value
      - .offset:         144
        .size:           4
        .value_kind:     hidden_block_count_x
      - .offset:         148
        .size:           4
        .value_kind:     hidden_block_count_y
      - .offset:         152
        .size:           4
        .value_kind:     hidden_block_count_z
      - .offset:         156
        .size:           2
        .value_kind:     hidden_group_size_x
      - .offset:         158
        .size:           2
        .value_kind:     hidden_group_size_y
      - .offset:         160
        .size:           2
        .value_kind:     hidden_group_size_z
      - .offset:         162
        .size:           2
        .value_kind:     hidden_remainder_x
      - .offset:         164
        .size:           2
        .value_kind:     hidden_remainder_y
      - .offset:         166
        .size:           2
        .value_kind:     hidden_remainder_z
      - .offset:         184
        .size:           8
        .value_kind:     hidden_global_offset_x
      - .offset:         192
        .size:           8
        .value_kind:     hidden_global_offset_y
      - .offset:         200
        .size:           8
        .value_kind:     hidden_global_offset_z
      - .offset:         208
        .size:           2
        .value_kind:     hidden_grid_dims
    .group_segment_fixed_size: 4096
    .kernarg_segment_align: 8
    .kernarg_segment_size: 400
    .language:       OpenCL C
    .language_version:
      - 2
      - 0
    .max_flat_workgroup_size: 256
    .name:           _ZL20rocblas_gemvn_kernelILi64ELi4Ei16rocblas_bfloat16ffEviiT3_lPKT2_lT1_lS4_lS5_lS1_lPT4_lS5_li
    .private_segment_fixed_size: 0
    .sgpr_count:     45
    .sgpr_spill_count: 0
    .symbol:         _ZL20rocblas_gemvn_kernelILi64ELi4Ei16rocblas_bfloat16ffEviiT3_lPKT2_lT1_lS4_lS5_lS1_lPT4_lS5_li.kd
    .uniform_work_group_size: 1
    .uses_dynamic_stack: false
    .vgpr_count:     45
    .vgpr_spill_count: 0
    .wavefront_size: 64
  - .agpr_count:     0
    .args:
      - .offset:         0
        .size:           4
        .value_kind:     by_value
      - .offset:         4
        .size:           4
        .value_kind:     by_value
      - .offset:         8
        .size:           4
        .value_kind:     by_value
      - .offset:         16
        .size:           8
        .value_kind:     by_value
      - .address_space:  global
        .offset:         24
        .size:           8
        .value_kind:     global_buffer
      - .offset:         32
        .size:           8
        .value_kind:     by_value
      - .offset:         40
        .size:           8
        .value_kind:     by_value
      - .offset:         48
        .size:           8
        .value_kind:     by_value
      - .address_space:  global
        .offset:         56
        .size:           8
        .value_kind:     global_buffer
      - .offset:         64
        .size:           8
        .value_kind:     by_value
      - .offset:         72
        .size:           8
        .value_kind:     by_value
      - .offset:         80
        .size:           8
        .value_kind:     by_value
      - .offset:         88
        .size:           4
        .value_kind:     by_value
      - .offset:         96
        .size:           8
        .value_kind:     by_value
      - .address_space:  global
        .offset:         104
        .size:           8
        .value_kind:     global_buffer
      - .offset:         112
        .size:           8
        .value_kind:     by_value
      - .offset:         120
        .size:           8
        .value_kind:     by_value
      - .offset:         128
        .size:           8
        .value_kind:     by_value
      - .offset:         136
        .size:           4
        .value_kind:     by_value
      - .offset:         144
        .size:           4
        .value_kind:     hidden_block_count_x
      - .offset:         148
        .size:           4
        .value_kind:     hidden_block_count_y
      - .offset:         152
        .size:           4
        .value_kind:     hidden_block_count_z
      - .offset:         156
        .size:           2
        .value_kind:     hidden_group_size_x
      - .offset:         158
        .size:           2
        .value_kind:     hidden_group_size_y
      - .offset:         160
        .size:           2
        .value_kind:     hidden_group_size_z
      - .offset:         162
        .size:           2
        .value_kind:     hidden_remainder_x
      - .offset:         164
        .size:           2
        .value_kind:     hidden_remainder_y
      - .offset:         166
        .size:           2
        .value_kind:     hidden_remainder_z
      - .offset:         184
        .size:           8
        .value_kind:     hidden_global_offset_x
      - .offset:         192
        .size:           8
        .value_kind:     hidden_global_offset_y
      - .offset:         200
        .size:           8
        .value_kind:     hidden_global_offset_z
      - .offset:         208
        .size:           2
        .value_kind:     hidden_grid_dims
    .group_segment_fixed_size: 4096
    .kernarg_segment_align: 8
    .kernarg_segment_size: 400
    .language:       OpenCL C
    .language_version:
      - 2
      - 0
    .max_flat_workgroup_size: 256
    .name:           _ZL20rocblas_gemvn_kernelILi64ELi4El16rocblas_bfloat16ffEviiT3_lPKT2_lT1_lS4_lS5_lS1_lPT4_lS5_li
    .private_segment_fixed_size: 0
    .sgpr_count:     59
    .sgpr_spill_count: 0
    .symbol:         _ZL20rocblas_gemvn_kernelILi64ELi4El16rocblas_bfloat16ffEviiT3_lPKT2_lT1_lS4_lS5_lS1_lPT4_lS5_li.kd
    .uniform_work_group_size: 1
    .uses_dynamic_stack: false
    .vgpr_count:     51
    .vgpr_spill_count: 0
    .wavefront_size: 64
  - .agpr_count:     0
    .args:
      - .offset:         0
        .size:           4
        .value_kind:     by_value
      - .offset:         4
        .size:           4
        .value_kind:     by_value
      - .address_space:  global
        .offset:         8
        .size:           8
        .value_kind:     global_buffer
      - .offset:         16
        .size:           8
        .value_kind:     by_value
      - .address_space:  global
        .offset:         24
        .size:           8
        .value_kind:     global_buffer
      - .offset:         32
        .size:           8
        .value_kind:     by_value
      - .offset:         40
        .size:           4
        .value_kind:     by_value
      - .offset:         48
        .size:           8
        .value_kind:     by_value
      - .address_space:  global
        .offset:         56
        .size:           8
        .value_kind:     global_buffer
      - .offset:         64
        .size:           8
        .value_kind:     by_value
      - .offset:         72
        .size:           4
        .value_kind:     by_value
      - .offset:         80
        .size:           8
        .value_kind:     by_value
      - .address_space:  global
        .offset:         88
        .size:           8
        .value_kind:     global_buffer
      - .offset:         96
        .size:           8
        .value_kind:     by_value
      - .address_space:  global
        .offset:         104
        .size:           8
        .value_kind:     global_buffer
      - .offset:         112
        .size:           8
        .value_kind:     by_value
      - .offset:         120
        .size:           4
        .value_kind:     by_value
      - .offset:         128
        .size:           8
        .value_kind:     by_value
      - .offset:         136
        .size:           4
        .value_kind:     by_value
      - .offset:         144
        .size:           4
        .value_kind:     hidden_block_count_x
      - .offset:         148
        .size:           4
        .value_kind:     hidden_block_count_y
      - .offset:         152
        .size:           4
        .value_kind:     hidden_block_count_z
      - .offset:         156
        .size:           2
        .value_kind:     hidden_group_size_x
      - .offset:         158
        .size:           2
        .value_kind:     hidden_group_size_y
      - .offset:         160
        .size:           2
        .value_kind:     hidden_group_size_z
      - .offset:         162
        .size:           2
        .value_kind:     hidden_remainder_x
      - .offset:         164
        .size:           2
        .value_kind:     hidden_remainder_y
      - .offset:         166
        .size:           2
        .value_kind:     hidden_remainder_z
      - .offset:         184
        .size:           8
        .value_kind:     hidden_global_offset_x
      - .offset:         192
        .size:           8
        .value_kind:     hidden_global_offset_y
      - .offset:         200
        .size:           8
        .value_kind:     hidden_global_offset_z
      - .offset:         208
        .size:           2
        .value_kind:     hidden_grid_dims
    .group_segment_fixed_size: 8192
    .kernarg_segment_align: 8
    .kernarg_segment_size: 400
    .language:       OpenCL C
    .language_version:
      - 2
      - 0
    .max_flat_workgroup_size: 512
    .name:           _ZL20rocblas_gemvn_kernelILi32ELi16Ei16rocblas_bfloat16PKffEviiT3_lPKT2_lT1_lS6_lS7_lS3_lPT4_lS7_li
    .private_segment_fixed_size: 0
    .sgpr_count:     45
    .sgpr_spill_count: 0
    .symbol:         _ZL20rocblas_gemvn_kernelILi32ELi16Ei16rocblas_bfloat16PKffEviiT3_lPKT2_lT1_lS6_lS7_lS3_lPT4_lS7_li.kd
    .uniform_work_group_size: 1
    .uses_dynamic_stack: false
    .vgpr_count:     45
    .vgpr_spill_count: 0
    .wavefront_size: 64
  - .agpr_count:     0
    .args:
      - .offset:         0
        .size:           4
        .value_kind:     by_value
      - .offset:         4
        .size:           4
        .value_kind:     by_value
      - .address_space:  global
        .offset:         8
        .size:           8
        .value_kind:     global_buffer
      - .offset:         16
        .size:           8
        .value_kind:     by_value
      - .address_space:  global
        .offset:         24
        .size:           8
        .value_kind:     global_buffer
      - .offset:         32
        .size:           8
        .value_kind:     by_value
      - .offset:         40
        .size:           8
        .value_kind:     by_value
      - .offset:         48
        .size:           8
        .value_kind:     by_value
      - .address_space:  global
        .offset:         56
        .size:           8
        .value_kind:     global_buffer
      - .offset:         64
        .size:           8
        .value_kind:     by_value
      - .offset:         72
        .size:           8
        .value_kind:     by_value
      - .offset:         80
        .size:           8
        .value_kind:     by_value
      - .address_space:  global
        .offset:         88
        .size:           8
        .value_kind:     global_buffer
      - .offset:         96
        .size:           8
        .value_kind:     by_value
      - .address_space:  global
        .offset:         104
        .size:           8
        .value_kind:     global_buffer
      - .offset:         112
        .size:           8
        .value_kind:     by_value
      - .offset:         120
        .size:           8
        .value_kind:     by_value
      - .offset:         128
        .size:           8
        .value_kind:     by_value
      - .offset:         136
        .size:           4
        .value_kind:     by_value
      - .offset:         144
        .size:           4
        .value_kind:     hidden_block_count_x
      - .offset:         148
        .size:           4
        .value_kind:     hidden_block_count_y
      - .offset:         152
        .size:           4
        .value_kind:     hidden_block_count_z
      - .offset:         156
        .size:           2
        .value_kind:     hidden_group_size_x
      - .offset:         158
        .size:           2
        .value_kind:     hidden_group_size_y
      - .offset:         160
        .size:           2
        .value_kind:     hidden_group_size_z
      - .offset:         162
        .size:           2
        .value_kind:     hidden_remainder_x
      - .offset:         164
        .size:           2
        .value_kind:     hidden_remainder_y
      - .offset:         166
        .size:           2
        .value_kind:     hidden_remainder_z
      - .offset:         184
        .size:           8
        .value_kind:     hidden_global_offset_x
      - .offset:         192
        .size:           8
        .value_kind:     hidden_global_offset_y
      - .offset:         200
        .size:           8
        .value_kind:     hidden_global_offset_z
      - .offset:         208
        .size:           2
        .value_kind:     hidden_grid_dims
    .group_segment_fixed_size: 8192
    .kernarg_segment_align: 8
    .kernarg_segment_size: 400
    .language:       OpenCL C
    .language_version:
      - 2
      - 0
    .max_flat_workgroup_size: 512
    .name:           _ZL20rocblas_gemvn_kernelILi32ELi16El16rocblas_bfloat16PKffEviiT3_lPKT2_lT1_lS6_lS7_lS3_lPT4_lS7_li
    .private_segment_fixed_size: 0
    .sgpr_count:     59
    .sgpr_spill_count: 0
    .symbol:         _ZL20rocblas_gemvn_kernelILi32ELi16El16rocblas_bfloat16PKffEviiT3_lPKT2_lT1_lS6_lS7_lS3_lPT4_lS7_li.kd
    .uniform_work_group_size: 1
    .uses_dynamic_stack: false
    .vgpr_count:     51
    .vgpr_spill_count: 0
    .wavefront_size: 64
  - .agpr_count:     0
    .args:
      - .offset:         0
        .size:           4
        .value_kind:     by_value
      - .offset:         4
        .size:           4
        .value_kind:     by_value
      - .offset:         8
        .size:           4
        .value_kind:     by_value
      - .offset:         16
        .size:           8
        .value_kind:     by_value
      - .address_space:  global
        .offset:         24
        .size:           8
        .value_kind:     global_buffer
      - .offset:         32
        .size:           8
        .value_kind:     by_value
      - .offset:         40
        .size:           4
        .value_kind:     by_value
      - .offset:         48
        .size:           8
        .value_kind:     by_value
      - .address_space:  global
        .offset:         56
        .size:           8
        .value_kind:     global_buffer
      - .offset:         64
        .size:           8
        .value_kind:     by_value
      - .offset:         72
        .size:           4
        .value_kind:     by_value
      - .offset:         80
        .size:           8
        .value_kind:     by_value
      - .offset:         88
        .size:           4
        .value_kind:     by_value
      - .offset:         96
        .size:           8
        .value_kind:     by_value
      - .address_space:  global
        .offset:         104
        .size:           8
        .value_kind:     global_buffer
      - .offset:         112
        .size:           8
        .value_kind:     by_value
      - .offset:         120
        .size:           4
        .value_kind:     by_value
      - .offset:         128
        .size:           8
        .value_kind:     by_value
      - .offset:         136
        .size:           4
        .value_kind:     by_value
      - .offset:         144
        .size:           4
        .value_kind:     hidden_block_count_x
      - .offset:         148
        .size:           4
        .value_kind:     hidden_block_count_y
      - .offset:         152
        .size:           4
        .value_kind:     hidden_block_count_z
      - .offset:         156
        .size:           2
        .value_kind:     hidden_group_size_x
      - .offset:         158
        .size:           2
        .value_kind:     hidden_group_size_y
      - .offset:         160
        .size:           2
        .value_kind:     hidden_group_size_z
      - .offset:         162
        .size:           2
        .value_kind:     hidden_remainder_x
      - .offset:         164
        .size:           2
        .value_kind:     hidden_remainder_y
      - .offset:         166
        .size:           2
        .value_kind:     hidden_remainder_z
      - .offset:         184
        .size:           8
        .value_kind:     hidden_global_offset_x
      - .offset:         192
        .size:           8
        .value_kind:     hidden_global_offset_y
      - .offset:         200
        .size:           8
        .value_kind:     hidden_global_offset_z
      - .offset:         208
        .size:           2
        .value_kind:     hidden_grid_dims
    .group_segment_fixed_size: 8192
    .kernarg_segment_align: 8
    .kernarg_segment_size: 400
    .language:       OpenCL C
    .language_version:
      - 2
      - 0
    .max_flat_workgroup_size: 512
    .name:           _ZL20rocblas_gemvn_kernelILi32ELi16Ei16rocblas_bfloat16ffEviiT3_lPKT2_lT1_lS4_lS5_lS1_lPT4_lS5_li
    .private_segment_fixed_size: 0
    .sgpr_count:     45
    .sgpr_spill_count: 0
    .symbol:         _ZL20rocblas_gemvn_kernelILi32ELi16Ei16rocblas_bfloat16ffEviiT3_lPKT2_lT1_lS4_lS5_lS1_lPT4_lS5_li.kd
    .uniform_work_group_size: 1
    .uses_dynamic_stack: false
    .vgpr_count:     45
    .vgpr_spill_count: 0
    .wavefront_size: 64
  - .agpr_count:     0
    .args:
      - .offset:         0
        .size:           4
        .value_kind:     by_value
      - .offset:         4
        .size:           4
        .value_kind:     by_value
      - .offset:         8
        .size:           4
        .value_kind:     by_value
      - .offset:         16
        .size:           8
        .value_kind:     by_value
      - .address_space:  global
        .offset:         24
        .size:           8
        .value_kind:     global_buffer
      - .offset:         32
        .size:           8
        .value_kind:     by_value
      - .offset:         40
        .size:           8
        .value_kind:     by_value
      - .offset:         48
        .size:           8
        .value_kind:     by_value
      - .address_space:  global
        .offset:         56
        .size:           8
        .value_kind:     global_buffer
      - .offset:         64
        .size:           8
        .value_kind:     by_value
      - .offset:         72
        .size:           8
        .value_kind:     by_value
      - .offset:         80
        .size:           8
        .value_kind:     by_value
      - .offset:         88
        .size:           4
        .value_kind:     by_value
      - .offset:         96
        .size:           8
        .value_kind:     by_value
      - .address_space:  global
        .offset:         104
        .size:           8
        .value_kind:     global_buffer
      - .offset:         112
        .size:           8
        .value_kind:     by_value
      - .offset:         120
        .size:           8
        .value_kind:     by_value
      - .offset:         128
        .size:           8
        .value_kind:     by_value
      - .offset:         136
        .size:           4
        .value_kind:     by_value
      - .offset:         144
        .size:           4
        .value_kind:     hidden_block_count_x
      - .offset:         148
        .size:           4
        .value_kind:     hidden_block_count_y
      - .offset:         152
        .size:           4
        .value_kind:     hidden_block_count_z
      - .offset:         156
        .size:           2
        .value_kind:     hidden_group_size_x
      - .offset:         158
        .size:           2
        .value_kind:     hidden_group_size_y
      - .offset:         160
        .size:           2
        .value_kind:     hidden_group_size_z
      - .offset:         162
        .size:           2
        .value_kind:     hidden_remainder_x
      - .offset:         164
        .size:           2
        .value_kind:     hidden_remainder_y
      - .offset:         166
        .size:           2
        .value_kind:     hidden_remainder_z
      - .offset:         184
        .size:           8
        .value_kind:     hidden_global_offset_x
      - .offset:         192
        .size:           8
        .value_kind:     hidden_global_offset_y
      - .offset:         200
        .size:           8
        .value_kind:     hidden_global_offset_z
      - .offset:         208
        .size:           2
        .value_kind:     hidden_grid_dims
    .group_segment_fixed_size: 8192
    .kernarg_segment_align: 8
    .kernarg_segment_size: 400
    .language:       OpenCL C
    .language_version:
      - 2
      - 0
    .max_flat_workgroup_size: 512
    .name:           _ZL20rocblas_gemvn_kernelILi32ELi16El16rocblas_bfloat16ffEviiT3_lPKT2_lT1_lS4_lS5_lS1_lPT4_lS5_li
    .private_segment_fixed_size: 0
    .sgpr_count:     59
    .sgpr_spill_count: 0
    .symbol:         _ZL20rocblas_gemvn_kernelILi32ELi16El16rocblas_bfloat16ffEviiT3_lPKT2_lT1_lS4_lS5_lS1_lPT4_lS5_li.kd
    .uniform_work_group_size: 1
    .uses_dynamic_stack: false
    .vgpr_count:     51
    .vgpr_spill_count: 0
    .wavefront_size: 64
  - .agpr_count:     0
    .args:
      - .offset:         0
        .size:           4
        .value_kind:     by_value
      - .offset:         4
        .size:           4
        .value_kind:     by_value
      - .address_space:  global
        .offset:         8
        .size:           8
        .value_kind:     global_buffer
      - .offset:         16
        .size:           8
        .value_kind:     by_value
      - .address_space:  global
        .offset:         24
        .size:           8
        .value_kind:     global_buffer
      - .offset:         32
        .size:           8
        .value_kind:     by_value
      - .offset:         40
        .size:           4
        .value_kind:     by_value
      - .offset:         48
        .size:           8
        .value_kind:     by_value
      - .address_space:  global
        .offset:         56
        .size:           8
        .value_kind:     global_buffer
      - .offset:         64
        .size:           8
        .value_kind:     by_value
      - .offset:         72
        .size:           4
        .value_kind:     by_value
      - .offset:         80
        .size:           8
        .value_kind:     by_value
      - .address_space:  global
        .offset:         88
        .size:           8
        .value_kind:     global_buffer
      - .offset:         96
        .size:           8
        .value_kind:     by_value
      - .address_space:  global
        .offset:         104
        .size:           8
        .value_kind:     global_buffer
      - .offset:         112
        .size:           8
        .value_kind:     by_value
      - .offset:         120
        .size:           4
        .value_kind:     by_value
      - .offset:         128
        .size:           8
        .value_kind:     by_value
      - .offset:         136
        .size:           4
        .value_kind:     by_value
      - .offset:         144
        .size:           4
        .value_kind:     hidden_block_count_x
      - .offset:         148
        .size:           4
        .value_kind:     hidden_block_count_y
      - .offset:         152
        .size:           4
        .value_kind:     hidden_block_count_z
      - .offset:         156
        .size:           2
        .value_kind:     hidden_group_size_x
      - .offset:         158
        .size:           2
        .value_kind:     hidden_group_size_y
      - .offset:         160
        .size:           2
        .value_kind:     hidden_group_size_z
      - .offset:         162
        .size:           2
        .value_kind:     hidden_remainder_x
      - .offset:         164
        .size:           2
        .value_kind:     hidden_remainder_y
      - .offset:         166
        .size:           2
        .value_kind:     hidden_remainder_z
      - .offset:         184
        .size:           8
        .value_kind:     hidden_global_offset_x
      - .offset:         192
        .size:           8
        .value_kind:     hidden_global_offset_y
      - .offset:         200
        .size:           8
        .value_kind:     hidden_global_offset_z
      - .offset:         208
        .size:           2
        .value_kind:     hidden_grid_dims
    .group_segment_fixed_size: 16384
    .kernarg_segment_align: 8
    .kernarg_segment_size: 400
    .language:       OpenCL C
    .language_version:
      - 2
      - 0
    .max_flat_workgroup_size: 1024
    .name:           _ZL20rocblas_gemvn_kernelILi64ELi16Ei16rocblas_bfloat16PKffEviiT3_lPKT2_lT1_lS6_lS7_lS3_lPT4_lS7_li
    .private_segment_fixed_size: 0
    .sgpr_count:     45
    .sgpr_spill_count: 0
    .symbol:         _ZL20rocblas_gemvn_kernelILi64ELi16Ei16rocblas_bfloat16PKffEviiT3_lPKT2_lT1_lS6_lS7_lS3_lPT4_lS7_li.kd
    .uniform_work_group_size: 1
    .uses_dynamic_stack: false
    .vgpr_count:     45
    .vgpr_spill_count: 0
    .wavefront_size: 64
  - .agpr_count:     0
    .args:
      - .offset:         0
        .size:           4
        .value_kind:     by_value
      - .offset:         4
        .size:           4
        .value_kind:     by_value
      - .address_space:  global
        .offset:         8
        .size:           8
        .value_kind:     global_buffer
      - .offset:         16
        .size:           8
        .value_kind:     by_value
      - .address_space:  global
        .offset:         24
        .size:           8
        .value_kind:     global_buffer
      - .offset:         32
        .size:           8
        .value_kind:     by_value
      - .offset:         40
        .size:           8
        .value_kind:     by_value
      - .offset:         48
        .size:           8
        .value_kind:     by_value
      - .address_space:  global
        .offset:         56
        .size:           8
        .value_kind:     global_buffer
      - .offset:         64
        .size:           8
        .value_kind:     by_value
      - .offset:         72
        .size:           8
        .value_kind:     by_value
      - .offset:         80
        .size:           8
        .value_kind:     by_value
      - .address_space:  global
        .offset:         88
        .size:           8
        .value_kind:     global_buffer
      - .offset:         96
        .size:           8
        .value_kind:     by_value
      - .address_space:  global
        .offset:         104
        .size:           8
        .value_kind:     global_buffer
      - .offset:         112
        .size:           8
        .value_kind:     by_value
      - .offset:         120
        .size:           8
        .value_kind:     by_value
      - .offset:         128
        .size:           8
        .value_kind:     by_value
      - .offset:         136
        .size:           4
        .value_kind:     by_value
      - .offset:         144
        .size:           4
        .value_kind:     hidden_block_count_x
      - .offset:         148
        .size:           4
        .value_kind:     hidden_block_count_y
      - .offset:         152
        .size:           4
        .value_kind:     hidden_block_count_z
      - .offset:         156
        .size:           2
        .value_kind:     hidden_group_size_x
      - .offset:         158
        .size:           2
        .value_kind:     hidden_group_size_y
      - .offset:         160
        .size:           2
        .value_kind:     hidden_group_size_z
      - .offset:         162
        .size:           2
        .value_kind:     hidden_remainder_x
      - .offset:         164
        .size:           2
        .value_kind:     hidden_remainder_y
      - .offset:         166
        .size:           2
        .value_kind:     hidden_remainder_z
      - .offset:         184
        .size:           8
        .value_kind:     hidden_global_offset_x
      - .offset:         192
        .size:           8
        .value_kind:     hidden_global_offset_y
      - .offset:         200
        .size:           8
        .value_kind:     hidden_global_offset_z
      - .offset:         208
        .size:           2
        .value_kind:     hidden_grid_dims
    .group_segment_fixed_size: 16384
    .kernarg_segment_align: 8
    .kernarg_segment_size: 400
    .language:       OpenCL C
    .language_version:
      - 2
      - 0
    .max_flat_workgroup_size: 1024
    .name:           _ZL20rocblas_gemvn_kernelILi64ELi16El16rocblas_bfloat16PKffEviiT3_lPKT2_lT1_lS6_lS7_lS3_lPT4_lS7_li
    .private_segment_fixed_size: 0
    .sgpr_count:     59
    .sgpr_spill_count: 0
    .symbol:         _ZL20rocblas_gemvn_kernelILi64ELi16El16rocblas_bfloat16PKffEviiT3_lPKT2_lT1_lS6_lS7_lS3_lPT4_lS7_li.kd
    .uniform_work_group_size: 1
    .uses_dynamic_stack: false
    .vgpr_count:     51
    .vgpr_spill_count: 0
    .wavefront_size: 64
  - .agpr_count:     0
    .args:
      - .offset:         0
        .size:           4
        .value_kind:     by_value
      - .offset:         4
        .size:           4
        .value_kind:     by_value
      - .offset:         8
        .size:           4
        .value_kind:     by_value
      - .offset:         16
        .size:           8
        .value_kind:     by_value
      - .address_space:  global
        .offset:         24
        .size:           8
        .value_kind:     global_buffer
      - .offset:         32
        .size:           8
        .value_kind:     by_value
      - .offset:         40
        .size:           4
        .value_kind:     by_value
      - .offset:         48
        .size:           8
        .value_kind:     by_value
      - .address_space:  global
        .offset:         56
        .size:           8
        .value_kind:     global_buffer
      - .offset:         64
        .size:           8
        .value_kind:     by_value
      - .offset:         72
        .size:           4
        .value_kind:     by_value
      - .offset:         80
        .size:           8
        .value_kind:     by_value
      - .offset:         88
        .size:           4
        .value_kind:     by_value
      - .offset:         96
        .size:           8
        .value_kind:     by_value
      - .address_space:  global
        .offset:         104
        .size:           8
        .value_kind:     global_buffer
      - .offset:         112
        .size:           8
        .value_kind:     by_value
      - .offset:         120
        .size:           4
        .value_kind:     by_value
      - .offset:         128
        .size:           8
        .value_kind:     by_value
      - .offset:         136
        .size:           4
        .value_kind:     by_value
      - .offset:         144
        .size:           4
        .value_kind:     hidden_block_count_x
      - .offset:         148
        .size:           4
        .value_kind:     hidden_block_count_y
      - .offset:         152
        .size:           4
        .value_kind:     hidden_block_count_z
      - .offset:         156
        .size:           2
        .value_kind:     hidden_group_size_x
      - .offset:         158
        .size:           2
        .value_kind:     hidden_group_size_y
      - .offset:         160
        .size:           2
        .value_kind:     hidden_group_size_z
      - .offset:         162
        .size:           2
        .value_kind:     hidden_remainder_x
      - .offset:         164
        .size:           2
        .value_kind:     hidden_remainder_y
      - .offset:         166
        .size:           2
        .value_kind:     hidden_remainder_z
      - .offset:         184
        .size:           8
        .value_kind:     hidden_global_offset_x
      - .offset:         192
        .size:           8
        .value_kind:     hidden_global_offset_y
      - .offset:         200
        .size:           8
        .value_kind:     hidden_global_offset_z
      - .offset:         208
        .size:           2
        .value_kind:     hidden_grid_dims
    .group_segment_fixed_size: 16384
    .kernarg_segment_align: 8
    .kernarg_segment_size: 400
    .language:       OpenCL C
    .language_version:
      - 2
      - 0
    .max_flat_workgroup_size: 1024
    .name:           _ZL20rocblas_gemvn_kernelILi64ELi16Ei16rocblas_bfloat16ffEviiT3_lPKT2_lT1_lS4_lS5_lS1_lPT4_lS5_li
    .private_segment_fixed_size: 0
    .sgpr_count:     45
    .sgpr_spill_count: 0
    .symbol:         _ZL20rocblas_gemvn_kernelILi64ELi16Ei16rocblas_bfloat16ffEviiT3_lPKT2_lT1_lS4_lS5_lS1_lPT4_lS5_li.kd
    .uniform_work_group_size: 1
    .uses_dynamic_stack: false
    .vgpr_count:     45
    .vgpr_spill_count: 0
    .wavefront_size: 64
  - .agpr_count:     0
    .args:
      - .offset:         0
        .size:           4
        .value_kind:     by_value
      - .offset:         4
        .size:           4
        .value_kind:     by_value
      - .offset:         8
        .size:           4
        .value_kind:     by_value
      - .offset:         16
        .size:           8
        .value_kind:     by_value
      - .address_space:  global
        .offset:         24
        .size:           8
        .value_kind:     global_buffer
      - .offset:         32
        .size:           8
        .value_kind:     by_value
      - .offset:         40
        .size:           8
        .value_kind:     by_value
      - .offset:         48
        .size:           8
        .value_kind:     by_value
      - .address_space:  global
        .offset:         56
        .size:           8
        .value_kind:     global_buffer
      - .offset:         64
        .size:           8
        .value_kind:     by_value
      - .offset:         72
        .size:           8
        .value_kind:     by_value
      - .offset:         80
        .size:           8
        .value_kind:     by_value
      - .offset:         88
        .size:           4
        .value_kind:     by_value
      - .offset:         96
        .size:           8
        .value_kind:     by_value
      - .address_space:  global
        .offset:         104
        .size:           8
        .value_kind:     global_buffer
      - .offset:         112
        .size:           8
        .value_kind:     by_value
      - .offset:         120
        .size:           8
        .value_kind:     by_value
      - .offset:         128
        .size:           8
        .value_kind:     by_value
      - .offset:         136
        .size:           4
        .value_kind:     by_value
      - .offset:         144
        .size:           4
        .value_kind:     hidden_block_count_x
      - .offset:         148
        .size:           4
        .value_kind:     hidden_block_count_y
      - .offset:         152
        .size:           4
        .value_kind:     hidden_block_count_z
      - .offset:         156
        .size:           2
        .value_kind:     hidden_group_size_x
      - .offset:         158
        .size:           2
        .value_kind:     hidden_group_size_y
      - .offset:         160
        .size:           2
        .value_kind:     hidden_group_size_z
      - .offset:         162
        .size:           2
        .value_kind:     hidden_remainder_x
      - .offset:         164
        .size:           2
        .value_kind:     hidden_remainder_y
      - .offset:         166
        .size:           2
        .value_kind:     hidden_remainder_z
      - .offset:         184
        .size:           8
        .value_kind:     hidden_global_offset_x
      - .offset:         192
        .size:           8
        .value_kind:     hidden_global_offset_y
      - .offset:         200
        .size:           8
        .value_kind:     hidden_global_offset_z
      - .offset:         208
        .size:           2
        .value_kind:     hidden_grid_dims
    .group_segment_fixed_size: 16384
    .kernarg_segment_align: 8
    .kernarg_segment_size: 400
    .language:       OpenCL C
    .language_version:
      - 2
      - 0
    .max_flat_workgroup_size: 1024
    .name:           _ZL20rocblas_gemvn_kernelILi64ELi16El16rocblas_bfloat16ffEviiT3_lPKT2_lT1_lS4_lS5_lS1_lPT4_lS5_li
    .private_segment_fixed_size: 0
    .sgpr_count:     59
    .sgpr_spill_count: 0
    .symbol:         _ZL20rocblas_gemvn_kernelILi64ELi16El16rocblas_bfloat16ffEviiT3_lPKT2_lT1_lS4_lS5_lS1_lPT4_lS5_li.kd
    .uniform_work_group_size: 1
    .uses_dynamic_stack: false
    .vgpr_count:     51
    .vgpr_spill_count: 0
    .wavefront_size: 64
  - .agpr_count:     0
    .args:
      - .offset:         0
        .size:           4
        .value_kind:     by_value
      - .offset:         4
        .size:           4
        .value_kind:     by_value
      - .address_space:  global
        .offset:         8
        .size:           8
        .value_kind:     global_buffer
      - .offset:         16
        .size:           8
        .value_kind:     by_value
      - .address_space:  global
        .offset:         24
        .size:           8
        .value_kind:     global_buffer
      - .offset:         32
        .size:           8
        .value_kind:     by_value
      - .offset:         40
        .size:           4
        .value_kind:     by_value
      - .offset:         48
        .size:           8
        .value_kind:     by_value
      - .address_space:  global
        .offset:         56
        .size:           8
        .value_kind:     global_buffer
      - .offset:         64
        .size:           8
        .value_kind:     by_value
      - .offset:         72
        .size:           4
        .value_kind:     by_value
      - .offset:         80
        .size:           8
        .value_kind:     by_value
      - .address_space:  global
        .offset:         88
        .size:           8
        .value_kind:     global_buffer
      - .offset:         96
        .size:           8
        .value_kind:     by_value
      - .address_space:  global
        .offset:         104
        .size:           8
        .value_kind:     global_buffer
      - .offset:         112
        .size:           8
        .value_kind:     by_value
      - .offset:         120
        .size:           4
        .value_kind:     by_value
      - .offset:         128
        .size:           8
        .value_kind:     by_value
    .group_segment_fixed_size: 256
    .kernarg_segment_align: 8
    .kernarg_segment_size: 136
    .language:       OpenCL C
    .language_version:
      - 2
      - 0
    .max_flat_workgroup_size: 256
    .name:           _ZL22rocblas_gemvtsm_kernelILb0ELi256E16rocblas_bfloat16PKffEviiT2_lPKT1_lilS6_lilS3_lPT3_lil
    .private_segment_fixed_size: 0
    .sgpr_count:     35
    .sgpr_spill_count: 0
    .symbol:         _ZL22rocblas_gemvtsm_kernelILb0ELi256E16rocblas_bfloat16PKffEviiT2_lPKT1_lilS6_lilS3_lPT3_lil.kd
    .uniform_work_group_size: 1
    .uses_dynamic_stack: false
    .vgpr_count:     16
    .vgpr_spill_count: 0
    .wavefront_size: 64
  - .agpr_count:     0
    .args:
      - .offset:         0
        .size:           4
        .value_kind:     by_value
      - .offset:         4
        .size:           4
        .value_kind:     by_value
      - .offset:         8
        .size:           4
        .value_kind:     by_value
      - .offset:         16
        .size:           8
        .value_kind:     by_value
      - .address_space:  global
        .offset:         24
        .size:           8
        .value_kind:     global_buffer
      - .offset:         32
        .size:           8
        .value_kind:     by_value
      - .offset:         40
        .size:           4
        .value_kind:     by_value
      - .offset:         48
        .size:           8
        .value_kind:     by_value
      - .address_space:  global
        .offset:         56
        .size:           8
        .value_kind:     global_buffer
      - .offset:         64
        .size:           8
        .value_kind:     by_value
      - .offset:         72
        .size:           4
        .value_kind:     by_value
      - .offset:         80
        .size:           8
        .value_kind:     by_value
      - .offset:         88
        .size:           4
        .value_kind:     by_value
      - .offset:         96
        .size:           8
        .value_kind:     by_value
      - .address_space:  global
        .offset:         104
        .size:           8
        .value_kind:     global_buffer
      - .offset:         112
        .size:           8
        .value_kind:     by_value
      - .offset:         120
        .size:           4
        .value_kind:     by_value
      - .offset:         128
        .size:           8
        .value_kind:     by_value
    .group_segment_fixed_size: 256
    .kernarg_segment_align: 8
    .kernarg_segment_size: 136
    .language:       OpenCL C
    .language_version:
      - 2
      - 0
    .max_flat_workgroup_size: 256
    .name:           _ZL22rocblas_gemvtsm_kernelILb0ELi256E16rocblas_bfloat16ffEviiT2_lPKT1_lilS4_lilS1_lPT3_lil
    .private_segment_fixed_size: 0
    .sgpr_count:     38
    .sgpr_spill_count: 0
    .symbol:         _ZL22rocblas_gemvtsm_kernelILb0ELi256E16rocblas_bfloat16ffEviiT2_lPKT1_lilS4_lilS1_lPT3_lil.kd
    .uniform_work_group_size: 1
    .uses_dynamic_stack: false
    .vgpr_count:     16
    .vgpr_spill_count: 0
    .wavefront_size: 64
  - .agpr_count:     0
    .args:
      - .offset:         0
        .size:           4
        .value_kind:     by_value
      - .offset:         4
        .size:           4
        .value_kind:     by_value
      - .address_space:  global
        .offset:         8
        .size:           8
        .value_kind:     global_buffer
      - .offset:         16
        .size:           8
        .value_kind:     by_value
      - .address_space:  global
        .offset:         24
        .size:           8
        .value_kind:     global_buffer
      - .offset:         32
        .size:           8
        .value_kind:     by_value
      - .offset:         40
        .size:           4
        .value_kind:     by_value
      - .offset:         48
        .size:           8
        .value_kind:     by_value
      - .address_space:  global
        .offset:         56
        .size:           8
        .value_kind:     global_buffer
      - .offset:         64
        .size:           8
        .value_kind:     by_value
      - .offset:         72
        .size:           4
        .value_kind:     by_value
      - .offset:         80
        .size:           8
        .value_kind:     by_value
      - .address_space:  global
        .offset:         88
        .size:           8
        .value_kind:     global_buffer
      - .offset:         96
        .size:           8
        .value_kind:     by_value
      - .address_space:  global
        .offset:         104
        .size:           8
        .value_kind:     global_buffer
      - .offset:         112
        .size:           8
        .value_kind:     by_value
      - .offset:         120
        .size:           4
        .value_kind:     by_value
      - .offset:         128
        .size:           8
        .value_kind:     by_value
      - .offset:         136
        .size:           4
        .value_kind:     by_value
    .group_segment_fixed_size: 256
    .kernarg_segment_align: 8
    .kernarg_segment_size: 140
    .language:       OpenCL C
    .language_version:
      - 2
      - 0
    .max_flat_workgroup_size: 256
    .name:           _ZL32rocblas_gemvt_warp_reduce_kernelILb0ELi256Ei16rocblas_bfloat16PKffEviiT3_lPKT2_lT1_lS6_lS7_lS3_lPT4_lS7_li
    .private_segment_fixed_size: 0
    .sgpr_count:     38
    .sgpr_spill_count: 0
    .symbol:         _ZL32rocblas_gemvt_warp_reduce_kernelILb0ELi256Ei16rocblas_bfloat16PKffEviiT3_lPKT2_lT1_lS6_lS7_lS3_lPT4_lS7_li.kd
    .uniform_work_group_size: 1
    .uses_dynamic_stack: false
    .vgpr_count:     14
    .vgpr_spill_count: 0
    .wavefront_size: 64
  - .agpr_count:     0
    .args:
      - .offset:         0
        .size:           4
        .value_kind:     by_value
      - .offset:         4
        .size:           4
        .value_kind:     by_value
      - .address_space:  global
        .offset:         8
        .size:           8
        .value_kind:     global_buffer
      - .offset:         16
        .size:           8
        .value_kind:     by_value
      - .address_space:  global
        .offset:         24
        .size:           8
        .value_kind:     global_buffer
      - .offset:         32
        .size:           8
        .value_kind:     by_value
      - .offset:         40
        .size:           8
        .value_kind:     by_value
      - .offset:         48
        .size:           8
        .value_kind:     by_value
      - .address_space:  global
        .offset:         56
        .size:           8
        .value_kind:     global_buffer
      - .offset:         64
        .size:           8
        .value_kind:     by_value
      - .offset:         72
        .size:           8
        .value_kind:     by_value
      - .offset:         80
        .size:           8
        .value_kind:     by_value
      - .address_space:  global
        .offset:         88
        .size:           8
        .value_kind:     global_buffer
      - .offset:         96
        .size:           8
        .value_kind:     by_value
      - .address_space:  global
        .offset:         104
        .size:           8
        .value_kind:     global_buffer
      - .offset:         112
        .size:           8
        .value_kind:     by_value
      - .offset:         120
        .size:           8
        .value_kind:     by_value
      - .offset:         128
        .size:           8
        .value_kind:     by_value
      - .offset:         136
        .size:           4
        .value_kind:     by_value
    .group_segment_fixed_size: 256
    .kernarg_segment_align: 8
    .kernarg_segment_size: 140
    .language:       OpenCL C
    .language_version:
      - 2
      - 0
    .max_flat_workgroup_size: 256
    .name:           _ZL32rocblas_gemvt_warp_reduce_kernelILb0ELi256El16rocblas_bfloat16PKffEviiT3_lPKT2_lT1_lS6_lS7_lS3_lPT4_lS7_li
    .private_segment_fixed_size: 0
    .sgpr_count:     58
    .sgpr_spill_count: 0
    .symbol:         _ZL32rocblas_gemvt_warp_reduce_kernelILb0ELi256El16rocblas_bfloat16PKffEviiT3_lPKT2_lT1_lS6_lS7_lS3_lPT4_lS7_li.kd
    .uniform_work_group_size: 1
    .uses_dynamic_stack: false
    .vgpr_count:     14
    .vgpr_spill_count: 0
    .wavefront_size: 64
  - .agpr_count:     0
    .args:
      - .offset:         0
        .size:           4
        .value_kind:     by_value
      - .offset:         4
        .size:           4
        .value_kind:     by_value
      - .offset:         8
        .size:           4
        .value_kind:     by_value
      - .offset:         16
        .size:           8
        .value_kind:     by_value
      - .address_space:  global
        .offset:         24
        .size:           8
        .value_kind:     global_buffer
      - .offset:         32
        .size:           8
        .value_kind:     by_value
      - .offset:         40
        .size:           4
        .value_kind:     by_value
      - .offset:         48
        .size:           8
        .value_kind:     by_value
      - .address_space:  global
        .offset:         56
        .size:           8
        .value_kind:     global_buffer
      - .offset:         64
        .size:           8
        .value_kind:     by_value
      - .offset:         72
        .size:           4
        .value_kind:     by_value
      - .offset:         80
        .size:           8
        .value_kind:     by_value
      - .offset:         88
        .size:           4
        .value_kind:     by_value
      - .offset:         96
        .size:           8
        .value_kind:     by_value
      - .address_space:  global
        .offset:         104
        .size:           8
        .value_kind:     global_buffer
      - .offset:         112
        .size:           8
        .value_kind:     by_value
      - .offset:         120
        .size:           4
        .value_kind:     by_value
      - .offset:         128
        .size:           8
        .value_kind:     by_value
      - .offset:         136
        .size:           4
        .value_kind:     by_value
    .group_segment_fixed_size: 256
    .kernarg_segment_align: 8
    .kernarg_segment_size: 140
    .language:       OpenCL C
    .language_version:
      - 2
      - 0
    .max_flat_workgroup_size: 256
    .name:           _ZL32rocblas_gemvt_warp_reduce_kernelILb0ELi256Ei16rocblas_bfloat16ffEviiT3_lPKT2_lT1_lS4_lS5_lS1_lPT4_lS5_li
    .private_segment_fixed_size: 0
    .sgpr_count:     32
    .sgpr_spill_count: 0
    .symbol:         _ZL32rocblas_gemvt_warp_reduce_kernelILb0ELi256Ei16rocblas_bfloat16ffEviiT3_lPKT2_lT1_lS4_lS5_lS1_lPT4_lS5_li.kd
    .uniform_work_group_size: 1
    .uses_dynamic_stack: false
    .vgpr_count:     14
    .vgpr_spill_count: 0
    .wavefront_size: 64
  - .agpr_count:     0
    .args:
      - .offset:         0
        .size:           4
        .value_kind:     by_value
      - .offset:         4
        .size:           4
        .value_kind:     by_value
      - .offset:         8
        .size:           4
        .value_kind:     by_value
      - .offset:         16
        .size:           8
        .value_kind:     by_value
      - .address_space:  global
        .offset:         24
        .size:           8
        .value_kind:     global_buffer
      - .offset:         32
        .size:           8
        .value_kind:     by_value
      - .offset:         40
        .size:           8
        .value_kind:     by_value
      - .offset:         48
        .size:           8
        .value_kind:     by_value
      - .address_space:  global
        .offset:         56
        .size:           8
        .value_kind:     global_buffer
      - .offset:         64
        .size:           8
        .value_kind:     by_value
      - .offset:         72
        .size:           8
        .value_kind:     by_value
      - .offset:         80
        .size:           8
        .value_kind:     by_value
      - .offset:         88
        .size:           4
        .value_kind:     by_value
      - .offset:         96
        .size:           8
        .value_kind:     by_value
      - .address_space:  global
        .offset:         104
        .size:           8
        .value_kind:     global_buffer
      - .offset:         112
        .size:           8
        .value_kind:     by_value
      - .offset:         120
        .size:           8
        .value_kind:     by_value
      - .offset:         128
        .size:           8
        .value_kind:     by_value
      - .offset:         136
        .size:           4
        .value_kind:     by_value
    .group_segment_fixed_size: 256
    .kernarg_segment_align: 8
    .kernarg_segment_size: 140
    .language:       OpenCL C
    .language_version:
      - 2
      - 0
    .max_flat_workgroup_size: 256
    .name:           _ZL32rocblas_gemvt_warp_reduce_kernelILb0ELi256El16rocblas_bfloat16ffEviiT3_lPKT2_lT1_lS4_lS5_lS1_lPT4_lS5_li
    .private_segment_fixed_size: 0
    .sgpr_count:     38
    .sgpr_spill_count: 0
    .symbol:         _ZL32rocblas_gemvt_warp_reduce_kernelILb0ELi256El16rocblas_bfloat16ffEviiT3_lPKT2_lT1_lS4_lS5_lS1_lPT4_lS5_li.kd
    .uniform_work_group_size: 1
    .uses_dynamic_stack: false
    .vgpr_count:     14
    .vgpr_spill_count: 0
    .wavefront_size: 64
  - .agpr_count:     0
    .args:
      - .offset:         0
        .size:           4
        .value_kind:     by_value
      - .offset:         4
        .size:           4
        .value_kind:     by_value
      - .address_space:  global
        .offset:         8
        .size:           8
        .value_kind:     global_buffer
      - .offset:         16
        .size:           8
        .value_kind:     by_value
      - .address_space:  global
        .offset:         24
        .size:           8
        .value_kind:     global_buffer
      - .offset:         32
        .size:           8
        .value_kind:     by_value
      - .offset:         40
        .size:           4
        .value_kind:     by_value
      - .offset:         48
        .size:           8
        .value_kind:     by_value
      - .address_space:  global
        .offset:         56
        .size:           8
        .value_kind:     global_buffer
      - .offset:         64
        .size:           8
        .value_kind:     by_value
      - .offset:         72
        .size:           4
        .value_kind:     by_value
      - .offset:         80
        .size:           8
        .value_kind:     by_value
      - .address_space:  global
        .offset:         88
        .size:           8
        .value_kind:     global_buffer
      - .offset:         96
        .size:           8
        .value_kind:     by_value
      - .address_space:  global
        .offset:         104
        .size:           8
        .value_kind:     global_buffer
      - .offset:         112
        .size:           8
        .value_kind:     by_value
      - .offset:         120
        .size:           4
        .value_kind:     by_value
      - .offset:         128
        .size:           8
        .value_kind:     by_value
      - .offset:         136
        .size:           4
        .value_kind:     by_value
    .group_segment_fixed_size: 1024
    .kernarg_segment_align: 8
    .kernarg_segment_size: 140
    .language:       OpenCL C
    .language_version:
      - 2
      - 0
    .max_flat_workgroup_size: 256
    .name:           _ZL20rocblas_gemvt_kernelILb0ELi256E16rocblas_bfloat16PKffEviiT2_lPKT1_lilS6_lilS3_lPT3_lili
    .private_segment_fixed_size: 0
    .sgpr_count:     32
    .sgpr_spill_count: 0
    .symbol:         _ZL20rocblas_gemvt_kernelILb0ELi256E16rocblas_bfloat16PKffEviiT2_lPKT1_lilS6_lilS3_lPT3_lili.kd
    .uniform_work_group_size: 1
    .uses_dynamic_stack: false
    .vgpr_count:     12
    .vgpr_spill_count: 0
    .wavefront_size: 64
  - .agpr_count:     0
    .args:
      - .offset:         0
        .size:           4
        .value_kind:     by_value
      - .offset:         4
        .size:           4
        .value_kind:     by_value
      - .offset:         8
        .size:           4
        .value_kind:     by_value
      - .offset:         16
        .size:           8
        .value_kind:     by_value
      - .address_space:  global
        .offset:         24
        .size:           8
        .value_kind:     global_buffer
      - .offset:         32
        .size:           8
        .value_kind:     by_value
      - .offset:         40
        .size:           4
        .value_kind:     by_value
      - .offset:         48
        .size:           8
        .value_kind:     by_value
      - .address_space:  global
        .offset:         56
        .size:           8
        .value_kind:     global_buffer
      - .offset:         64
        .size:           8
        .value_kind:     by_value
      - .offset:         72
        .size:           4
        .value_kind:     by_value
      - .offset:         80
        .size:           8
        .value_kind:     by_value
      - .offset:         88
        .size:           4
        .value_kind:     by_value
      - .offset:         96
        .size:           8
        .value_kind:     by_value
      - .address_space:  global
        .offset:         104
        .size:           8
        .value_kind:     global_buffer
      - .offset:         112
        .size:           8
        .value_kind:     by_value
      - .offset:         120
        .size:           4
        .value_kind:     by_value
      - .offset:         128
        .size:           8
        .value_kind:     by_value
      - .offset:         136
        .size:           4
        .value_kind:     by_value
    .group_segment_fixed_size: 1024
    .kernarg_segment_align: 8
    .kernarg_segment_size: 140
    .language:       OpenCL C
    .language_version:
      - 2
      - 0
    .max_flat_workgroup_size: 256
    .name:           _ZL20rocblas_gemvt_kernelILb0ELi256E16rocblas_bfloat16ffEviiT2_lPKT1_lilS4_lilS1_lPT3_lili
    .private_segment_fixed_size: 0
    .sgpr_count:     32
    .sgpr_spill_count: 0
    .symbol:         _ZL20rocblas_gemvt_kernelILb0ELi256E16rocblas_bfloat16ffEviiT2_lPKT1_lilS4_lilS1_lPT3_lili.kd
    .uniform_work_group_size: 1
    .uses_dynamic_stack: false
    .vgpr_count:     12
    .vgpr_spill_count: 0
    .wavefront_size: 64
  - .agpr_count:     0
    .args:
      - .offset:         0
        .size:           4
        .value_kind:     by_value
      - .offset:         4
        .size:           4
        .value_kind:     by_value
      - .address_space:  global
        .offset:         8
        .size:           8
        .value_kind:     global_buffer
      - .offset:         16
        .size:           8
        .value_kind:     by_value
      - .address_space:  global
        .offset:         24
        .size:           8
        .value_kind:     global_buffer
      - .offset:         32
        .size:           8
        .value_kind:     by_value
      - .offset:         40
        .size:           4
        .value_kind:     by_value
      - .offset:         48
        .size:           8
        .value_kind:     by_value
      - .address_space:  global
        .offset:         56
        .size:           8
        .value_kind:     global_buffer
      - .offset:         64
        .size:           8
        .value_kind:     by_value
      - .offset:         72
        .size:           4
        .value_kind:     by_value
      - .offset:         80
        .size:           8
        .value_kind:     by_value
      - .address_space:  global
        .offset:         88
        .size:           8
        .value_kind:     global_buffer
      - .offset:         96
        .size:           8
        .value_kind:     by_value
      - .address_space:  global
        .offset:         104
        .size:           8
        .value_kind:     global_buffer
      - .offset:         112
        .size:           8
        .value_kind:     by_value
      - .offset:         120
        .size:           4
        .value_kind:     by_value
      - .offset:         128
        .size:           8
        .value_kind:     by_value
      - .offset:         136
        .size:           4
        .value_kind:     by_value
    .group_segment_fixed_size: 256
    .kernarg_segment_align: 8
    .kernarg_segment_size: 140
    .language:       OpenCL C
    .language_version:
      - 2
      - 0
    .max_flat_workgroup_size: 1024
    .name:           _ZL32rocblas_gemvt_warp_reduce_kernelILb0ELi1024Ei16rocblas_bfloat16PKffEviiT3_lPKT2_lT1_lS6_lS7_lS3_lPT4_lS7_li
    .private_segment_fixed_size: 0
    .sgpr_count:     38
    .sgpr_spill_count: 0
    .symbol:         _ZL32rocblas_gemvt_warp_reduce_kernelILb0ELi1024Ei16rocblas_bfloat16PKffEviiT3_lPKT2_lT1_lS6_lS7_lS3_lPT4_lS7_li.kd
    .uniform_work_group_size: 1
    .uses_dynamic_stack: false
    .vgpr_count:     14
    .vgpr_spill_count: 0
    .wavefront_size: 64
  - .agpr_count:     0
    .args:
      - .offset:         0
        .size:           4
        .value_kind:     by_value
      - .offset:         4
        .size:           4
        .value_kind:     by_value
      - .address_space:  global
        .offset:         8
        .size:           8
        .value_kind:     global_buffer
      - .offset:         16
        .size:           8
        .value_kind:     by_value
      - .address_space:  global
        .offset:         24
        .size:           8
        .value_kind:     global_buffer
      - .offset:         32
        .size:           8
        .value_kind:     by_value
      - .offset:         40
        .size:           8
        .value_kind:     by_value
      - .offset:         48
        .size:           8
        .value_kind:     by_value
      - .address_space:  global
        .offset:         56
        .size:           8
        .value_kind:     global_buffer
      - .offset:         64
        .size:           8
        .value_kind:     by_value
      - .offset:         72
        .size:           8
        .value_kind:     by_value
      - .offset:         80
        .size:           8
        .value_kind:     by_value
      - .address_space:  global
        .offset:         88
        .size:           8
        .value_kind:     global_buffer
      - .offset:         96
        .size:           8
        .value_kind:     by_value
      - .address_space:  global
        .offset:         104
        .size:           8
        .value_kind:     global_buffer
      - .offset:         112
        .size:           8
        .value_kind:     by_value
      - .offset:         120
        .size:           8
        .value_kind:     by_value
      - .offset:         128
        .size:           8
        .value_kind:     by_value
      - .offset:         136
        .size:           4
        .value_kind:     by_value
    .group_segment_fixed_size: 256
    .kernarg_segment_align: 8
    .kernarg_segment_size: 140
    .language:       OpenCL C
    .language_version:
      - 2
      - 0
    .max_flat_workgroup_size: 1024
    .name:           _ZL32rocblas_gemvt_warp_reduce_kernelILb0ELi1024El16rocblas_bfloat16PKffEviiT3_lPKT2_lT1_lS6_lS7_lS3_lPT4_lS7_li
    .private_segment_fixed_size: 0
    .sgpr_count:     58
    .sgpr_spill_count: 0
    .symbol:         _ZL32rocblas_gemvt_warp_reduce_kernelILb0ELi1024El16rocblas_bfloat16PKffEviiT3_lPKT2_lT1_lS6_lS7_lS3_lPT4_lS7_li.kd
    .uniform_work_group_size: 1
    .uses_dynamic_stack: false
    .vgpr_count:     14
    .vgpr_spill_count: 0
    .wavefront_size: 64
  - .agpr_count:     0
    .args:
      - .offset:         0
        .size:           4
        .value_kind:     by_value
      - .offset:         4
        .size:           4
        .value_kind:     by_value
      - .offset:         8
        .size:           4
        .value_kind:     by_value
      - .offset:         16
        .size:           8
        .value_kind:     by_value
      - .address_space:  global
        .offset:         24
        .size:           8
        .value_kind:     global_buffer
      - .offset:         32
        .size:           8
        .value_kind:     by_value
      - .offset:         40
        .size:           4
        .value_kind:     by_value
      - .offset:         48
        .size:           8
        .value_kind:     by_value
      - .address_space:  global
        .offset:         56
        .size:           8
        .value_kind:     global_buffer
      - .offset:         64
        .size:           8
        .value_kind:     by_value
      - .offset:         72
        .size:           4
        .value_kind:     by_value
      - .offset:         80
        .size:           8
        .value_kind:     by_value
      - .offset:         88
        .size:           4
        .value_kind:     by_value
      - .offset:         96
        .size:           8
        .value_kind:     by_value
      - .address_space:  global
        .offset:         104
        .size:           8
        .value_kind:     global_buffer
      - .offset:         112
        .size:           8
        .value_kind:     by_value
      - .offset:         120
        .size:           4
        .value_kind:     by_value
      - .offset:         128
        .size:           8
        .value_kind:     by_value
      - .offset:         136
        .size:           4
        .value_kind:     by_value
    .group_segment_fixed_size: 256
    .kernarg_segment_align: 8
    .kernarg_segment_size: 140
    .language:       OpenCL C
    .language_version:
      - 2
      - 0
    .max_flat_workgroup_size: 1024
    .name:           _ZL32rocblas_gemvt_warp_reduce_kernelILb0ELi1024Ei16rocblas_bfloat16ffEviiT3_lPKT2_lT1_lS4_lS5_lS1_lPT4_lS5_li
    .private_segment_fixed_size: 0
    .sgpr_count:     32
    .sgpr_spill_count: 0
    .symbol:         _ZL32rocblas_gemvt_warp_reduce_kernelILb0ELi1024Ei16rocblas_bfloat16ffEviiT3_lPKT2_lT1_lS4_lS5_lS1_lPT4_lS5_li.kd
    .uniform_work_group_size: 1
    .uses_dynamic_stack: false
    .vgpr_count:     14
    .vgpr_spill_count: 0
    .wavefront_size: 64
  - .agpr_count:     0
    .args:
      - .offset:         0
        .size:           4
        .value_kind:     by_value
      - .offset:         4
        .size:           4
        .value_kind:     by_value
      - .offset:         8
        .size:           4
        .value_kind:     by_value
      - .offset:         16
        .size:           8
        .value_kind:     by_value
      - .address_space:  global
        .offset:         24
        .size:           8
        .value_kind:     global_buffer
      - .offset:         32
        .size:           8
        .value_kind:     by_value
      - .offset:         40
        .size:           8
        .value_kind:     by_value
      - .offset:         48
        .size:           8
        .value_kind:     by_value
      - .address_space:  global
        .offset:         56
        .size:           8
        .value_kind:     global_buffer
      - .offset:         64
        .size:           8
        .value_kind:     by_value
      - .offset:         72
        .size:           8
        .value_kind:     by_value
      - .offset:         80
        .size:           8
        .value_kind:     by_value
      - .offset:         88
        .size:           4
        .value_kind:     by_value
      - .offset:         96
        .size:           8
        .value_kind:     by_value
      - .address_space:  global
        .offset:         104
        .size:           8
        .value_kind:     global_buffer
      - .offset:         112
        .size:           8
        .value_kind:     by_value
      - .offset:         120
        .size:           8
        .value_kind:     by_value
      - .offset:         128
        .size:           8
        .value_kind:     by_value
      - .offset:         136
        .size:           4
        .value_kind:     by_value
    .group_segment_fixed_size: 256
    .kernarg_segment_align: 8
    .kernarg_segment_size: 140
    .language:       OpenCL C
    .language_version:
      - 2
      - 0
    .max_flat_workgroup_size: 1024
    .name:           _ZL32rocblas_gemvt_warp_reduce_kernelILb0ELi1024El16rocblas_bfloat16ffEviiT3_lPKT2_lT1_lS4_lS5_lS1_lPT4_lS5_li
    .private_segment_fixed_size: 0
    .sgpr_count:     38
    .sgpr_spill_count: 0
    .symbol:         _ZL32rocblas_gemvt_warp_reduce_kernelILb0ELi1024El16rocblas_bfloat16ffEviiT3_lPKT2_lT1_lS4_lS5_lS1_lPT4_lS5_li.kd
    .uniform_work_group_size: 1
    .uses_dynamic_stack: false
    .vgpr_count:     14
    .vgpr_spill_count: 0
    .wavefront_size: 64
  - .agpr_count:     0
    .args:
      - .offset:         0
        .size:           4
        .value_kind:     by_value
      - .offset:         4
        .size:           4
        .value_kind:     by_value
      - .address_space:  global
        .offset:         8
        .size:           8
        .value_kind:     global_buffer
      - .offset:         16
        .size:           8
        .value_kind:     by_value
      - .address_space:  global
        .offset:         24
        .size:           8
        .value_kind:     global_buffer
      - .offset:         32
        .size:           8
        .value_kind:     by_value
      - .offset:         40
        .size:           4
        .value_kind:     by_value
      - .offset:         48
        .size:           8
        .value_kind:     by_value
      - .address_space:  global
        .offset:         56
        .size:           8
        .value_kind:     global_buffer
      - .offset:         64
        .size:           8
        .value_kind:     by_value
      - .offset:         72
        .size:           4
        .value_kind:     by_value
      - .offset:         80
        .size:           8
        .value_kind:     by_value
      - .address_space:  global
        .offset:         88
        .size:           8
        .value_kind:     global_buffer
      - .offset:         96
        .size:           8
        .value_kind:     by_value
      - .address_space:  global
        .offset:         104
        .size:           8
        .value_kind:     global_buffer
      - .offset:         112
        .size:           8
        .value_kind:     by_value
      - .offset:         120
        .size:           4
        .value_kind:     by_value
      - .offset:         128
        .size:           8
        .value_kind:     by_value
    .group_segment_fixed_size: 256
    .kernarg_segment_align: 8
    .kernarg_segment_size: 136
    .language:       OpenCL C
    .language_version:
      - 2
      - 0
    .max_flat_workgroup_size: 256
    .name:           _ZL22rocblas_gemvtsm_kernelILb1ELi256E16rocblas_bfloat16PKffEviiT2_lPKT1_lilS6_lilS3_lPT3_lil
    .private_segment_fixed_size: 0
    .sgpr_count:     35
    .sgpr_spill_count: 0
    .symbol:         _ZL22rocblas_gemvtsm_kernelILb1ELi256E16rocblas_bfloat16PKffEviiT2_lPKT1_lilS6_lilS3_lPT3_lil.kd
    .uniform_work_group_size: 1
    .uses_dynamic_stack: false
    .vgpr_count:     16
    .vgpr_spill_count: 0
    .wavefront_size: 64
  - .agpr_count:     0
    .args:
      - .offset:         0
        .size:           4
        .value_kind:     by_value
      - .offset:         4
        .size:           4
        .value_kind:     by_value
      - .offset:         8
        .size:           4
        .value_kind:     by_value
      - .offset:         16
        .size:           8
        .value_kind:     by_value
      - .address_space:  global
        .offset:         24
        .size:           8
        .value_kind:     global_buffer
      - .offset:         32
        .size:           8
        .value_kind:     by_value
      - .offset:         40
        .size:           4
        .value_kind:     by_value
      - .offset:         48
        .size:           8
        .value_kind:     by_value
      - .address_space:  global
        .offset:         56
        .size:           8
        .value_kind:     global_buffer
      - .offset:         64
        .size:           8
        .value_kind:     by_value
      - .offset:         72
        .size:           4
        .value_kind:     by_value
      - .offset:         80
        .size:           8
        .value_kind:     by_value
      - .offset:         88
        .size:           4
        .value_kind:     by_value
      - .offset:         96
        .size:           8
        .value_kind:     by_value
      - .address_space:  global
        .offset:         104
        .size:           8
        .value_kind:     global_buffer
      - .offset:         112
        .size:           8
        .value_kind:     by_value
      - .offset:         120
        .size:           4
        .value_kind:     by_value
      - .offset:         128
        .size:           8
        .value_kind:     by_value
    .group_segment_fixed_size: 256
    .kernarg_segment_align: 8
    .kernarg_segment_size: 136
    .language:       OpenCL C
    .language_version:
      - 2
      - 0
    .max_flat_workgroup_size: 256
    .name:           _ZL22rocblas_gemvtsm_kernelILb1ELi256E16rocblas_bfloat16ffEviiT2_lPKT1_lilS4_lilS1_lPT3_lil
    .private_segment_fixed_size: 0
    .sgpr_count:     38
    .sgpr_spill_count: 0
    .symbol:         _ZL22rocblas_gemvtsm_kernelILb1ELi256E16rocblas_bfloat16ffEviiT2_lPKT1_lilS4_lilS1_lPT3_lil.kd
    .uniform_work_group_size: 1
    .uses_dynamic_stack: false
    .vgpr_count:     16
    .vgpr_spill_count: 0
    .wavefront_size: 64
  - .agpr_count:     0
    .args:
      - .offset:         0
        .size:           4
        .value_kind:     by_value
      - .offset:         4
        .size:           4
        .value_kind:     by_value
      - .address_space:  global
        .offset:         8
        .size:           8
        .value_kind:     global_buffer
      - .offset:         16
        .size:           8
        .value_kind:     by_value
      - .address_space:  global
        .offset:         24
        .size:           8
        .value_kind:     global_buffer
      - .offset:         32
        .size:           8
        .value_kind:     by_value
      - .offset:         40
        .size:           4
        .value_kind:     by_value
      - .offset:         48
        .size:           8
        .value_kind:     by_value
      - .address_space:  global
        .offset:         56
        .size:           8
        .value_kind:     global_buffer
      - .offset:         64
        .size:           8
        .value_kind:     by_value
      - .offset:         72
        .size:           4
        .value_kind:     by_value
      - .offset:         80
        .size:           8
        .value_kind:     by_value
      - .address_space:  global
        .offset:         88
        .size:           8
        .value_kind:     global_buffer
      - .offset:         96
        .size:           8
        .value_kind:     by_value
      - .address_space:  global
        .offset:         104
        .size:           8
        .value_kind:     global_buffer
      - .offset:         112
        .size:           8
        .value_kind:     by_value
      - .offset:         120
        .size:           4
        .value_kind:     by_value
      - .offset:         128
        .size:           8
        .value_kind:     by_value
      - .offset:         136
        .size:           4
        .value_kind:     by_value
    .group_segment_fixed_size: 1024
    .kernarg_segment_align: 8
    .kernarg_segment_size: 140
    .language:       OpenCL C
    .language_version:
      - 2
      - 0
    .max_flat_workgroup_size: 256
    .name:           _ZL20rocblas_gemvt_kernelILb1ELi256E16rocblas_bfloat16PKffEviiT2_lPKT1_lilS6_lilS3_lPT3_lili
    .private_segment_fixed_size: 0
    .sgpr_count:     32
    .sgpr_spill_count: 0
    .symbol:         _ZL20rocblas_gemvt_kernelILb1ELi256E16rocblas_bfloat16PKffEviiT2_lPKT1_lilS6_lilS3_lPT3_lili.kd
    .uniform_work_group_size: 1
    .uses_dynamic_stack: false
    .vgpr_count:     12
    .vgpr_spill_count: 0
    .wavefront_size: 64
  - .agpr_count:     0
    .args:
      - .offset:         0
        .size:           4
        .value_kind:     by_value
      - .offset:         4
        .size:           4
        .value_kind:     by_value
      - .offset:         8
        .size:           4
        .value_kind:     by_value
      - .offset:         16
        .size:           8
        .value_kind:     by_value
      - .address_space:  global
        .offset:         24
        .size:           8
        .value_kind:     global_buffer
      - .offset:         32
        .size:           8
        .value_kind:     by_value
      - .offset:         40
        .size:           4
        .value_kind:     by_value
      - .offset:         48
        .size:           8
        .value_kind:     by_value
      - .address_space:  global
        .offset:         56
        .size:           8
        .value_kind:     global_buffer
      - .offset:         64
        .size:           8
        .value_kind:     by_value
      - .offset:         72
        .size:           4
        .value_kind:     by_value
      - .offset:         80
        .size:           8
        .value_kind:     by_value
      - .offset:         88
        .size:           4
        .value_kind:     by_value
      - .offset:         96
        .size:           8
        .value_kind:     by_value
      - .address_space:  global
        .offset:         104
        .size:           8
        .value_kind:     global_buffer
      - .offset:         112
        .size:           8
        .value_kind:     by_value
      - .offset:         120
        .size:           4
        .value_kind:     by_value
      - .offset:         128
        .size:           8
        .value_kind:     by_value
      - .offset:         136
        .size:           4
        .value_kind:     by_value
    .group_segment_fixed_size: 1024
    .kernarg_segment_align: 8
    .kernarg_segment_size: 140
    .language:       OpenCL C
    .language_version:
      - 2
      - 0
    .max_flat_workgroup_size: 256
    .name:           _ZL20rocblas_gemvt_kernelILb1ELi256E16rocblas_bfloat16ffEviiT2_lPKT1_lilS4_lilS1_lPT3_lili
    .private_segment_fixed_size: 0
    .sgpr_count:     32
    .sgpr_spill_count: 0
    .symbol:         _ZL20rocblas_gemvt_kernelILb1ELi256E16rocblas_bfloat16ffEviiT2_lPKT1_lilS4_lilS1_lPT3_lili.kd
    .uniform_work_group_size: 1
    .uses_dynamic_stack: false
    .vgpr_count:     12
    .vgpr_spill_count: 0
    .wavefront_size: 64
  - .agpr_count:     0
    .args:
      - .offset:         0
        .size:           4
        .value_kind:     by_value
      - .offset:         4
        .size:           4
        .value_kind:     by_value
      - .address_space:  global
        .offset:         8
        .size:           8
        .value_kind:     global_buffer
      - .offset:         16
        .size:           8
        .value_kind:     by_value
      - .address_space:  global
        .offset:         24
        .size:           8
        .value_kind:     global_buffer
      - .offset:         32
        .size:           8
        .value_kind:     by_value
      - .offset:         40
        .size:           4
        .value_kind:     by_value
      - .offset:         48
        .size:           8
        .value_kind:     by_value
      - .address_space:  global
        .offset:         56
        .size:           8
        .value_kind:     global_buffer
      - .offset:         64
        .size:           8
        .value_kind:     by_value
      - .offset:         72
        .size:           4
        .value_kind:     by_value
      - .offset:         80
        .size:           8
        .value_kind:     by_value
      - .address_space:  global
        .offset:         88
        .size:           8
        .value_kind:     global_buffer
      - .offset:         96
        .size:           8
        .value_kind:     by_value
      - .address_space:  global
        .offset:         104
        .size:           8
        .value_kind:     global_buffer
      - .offset:         112
        .size:           8
        .value_kind:     by_value
      - .offset:         120
        .size:           4
        .value_kind:     by_value
      - .offset:         128
        .size:           8
        .value_kind:     by_value
      - .offset:         136
        .size:           4
        .value_kind:     by_value
    .group_segment_fixed_size: 256
    .kernarg_segment_align: 8
    .kernarg_segment_size: 140
    .language:       OpenCL C
    .language_version:
      - 2
      - 0
    .max_flat_workgroup_size: 1024
    .name:           _ZL32rocblas_gemvt_warp_reduce_kernelILb1ELi1024Ei16rocblas_bfloat16PKffEviiT3_lPKT2_lT1_lS6_lS7_lS3_lPT4_lS7_li
    .private_segment_fixed_size: 0
    .sgpr_count:     38
    .sgpr_spill_count: 0
    .symbol:         _ZL32rocblas_gemvt_warp_reduce_kernelILb1ELi1024Ei16rocblas_bfloat16PKffEviiT3_lPKT2_lT1_lS6_lS7_lS3_lPT4_lS7_li.kd
    .uniform_work_group_size: 1
    .uses_dynamic_stack: false
    .vgpr_count:     14
    .vgpr_spill_count: 0
    .wavefront_size: 64
  - .agpr_count:     0
    .args:
      - .offset:         0
        .size:           4
        .value_kind:     by_value
      - .offset:         4
        .size:           4
        .value_kind:     by_value
      - .address_space:  global
        .offset:         8
        .size:           8
        .value_kind:     global_buffer
      - .offset:         16
        .size:           8
        .value_kind:     by_value
      - .address_space:  global
        .offset:         24
        .size:           8
        .value_kind:     global_buffer
      - .offset:         32
        .size:           8
        .value_kind:     by_value
      - .offset:         40
        .size:           8
        .value_kind:     by_value
      - .offset:         48
        .size:           8
        .value_kind:     by_value
      - .address_space:  global
        .offset:         56
        .size:           8
        .value_kind:     global_buffer
      - .offset:         64
        .size:           8
        .value_kind:     by_value
      - .offset:         72
        .size:           8
        .value_kind:     by_value
      - .offset:         80
        .size:           8
        .value_kind:     by_value
      - .address_space:  global
        .offset:         88
        .size:           8
        .value_kind:     global_buffer
      - .offset:         96
        .size:           8
        .value_kind:     by_value
      - .address_space:  global
        .offset:         104
        .size:           8
        .value_kind:     global_buffer
      - .offset:         112
        .size:           8
        .value_kind:     by_value
      - .offset:         120
        .size:           8
        .value_kind:     by_value
      - .offset:         128
        .size:           8
        .value_kind:     by_value
      - .offset:         136
        .size:           4
        .value_kind:     by_value
    .group_segment_fixed_size: 256
    .kernarg_segment_align: 8
    .kernarg_segment_size: 140
    .language:       OpenCL C
    .language_version:
      - 2
      - 0
    .max_flat_workgroup_size: 1024
    .name:           _ZL32rocblas_gemvt_warp_reduce_kernelILb1ELi1024El16rocblas_bfloat16PKffEviiT3_lPKT2_lT1_lS6_lS7_lS3_lPT4_lS7_li
    .private_segment_fixed_size: 0
    .sgpr_count:     58
    .sgpr_spill_count: 0
    .symbol:         _ZL32rocblas_gemvt_warp_reduce_kernelILb1ELi1024El16rocblas_bfloat16PKffEviiT3_lPKT2_lT1_lS6_lS7_lS3_lPT4_lS7_li.kd
    .uniform_work_group_size: 1
    .uses_dynamic_stack: false
    .vgpr_count:     14
    .vgpr_spill_count: 0
    .wavefront_size: 64
  - .agpr_count:     0
    .args:
      - .offset:         0
        .size:           4
        .value_kind:     by_value
      - .offset:         4
        .size:           4
        .value_kind:     by_value
      - .offset:         8
        .size:           4
        .value_kind:     by_value
      - .offset:         16
        .size:           8
        .value_kind:     by_value
      - .address_space:  global
        .offset:         24
        .size:           8
        .value_kind:     global_buffer
      - .offset:         32
        .size:           8
        .value_kind:     by_value
      - .offset:         40
        .size:           4
        .value_kind:     by_value
      - .offset:         48
        .size:           8
        .value_kind:     by_value
      - .address_space:  global
        .offset:         56
        .size:           8
        .value_kind:     global_buffer
      - .offset:         64
        .size:           8
        .value_kind:     by_value
      - .offset:         72
        .size:           4
        .value_kind:     by_value
      - .offset:         80
        .size:           8
        .value_kind:     by_value
      - .offset:         88
        .size:           4
        .value_kind:     by_value
      - .offset:         96
        .size:           8
        .value_kind:     by_value
      - .address_space:  global
        .offset:         104
        .size:           8
        .value_kind:     global_buffer
      - .offset:         112
        .size:           8
        .value_kind:     by_value
      - .offset:         120
        .size:           4
        .value_kind:     by_value
      - .offset:         128
        .size:           8
        .value_kind:     by_value
      - .offset:         136
        .size:           4
        .value_kind:     by_value
    .group_segment_fixed_size: 256
    .kernarg_segment_align: 8
    .kernarg_segment_size: 140
    .language:       OpenCL C
    .language_version:
      - 2
      - 0
    .max_flat_workgroup_size: 1024
    .name:           _ZL32rocblas_gemvt_warp_reduce_kernelILb1ELi1024Ei16rocblas_bfloat16ffEviiT3_lPKT2_lT1_lS4_lS5_lS1_lPT4_lS5_li
    .private_segment_fixed_size: 0
    .sgpr_count:     32
    .sgpr_spill_count: 0
    .symbol:         _ZL32rocblas_gemvt_warp_reduce_kernelILb1ELi1024Ei16rocblas_bfloat16ffEviiT3_lPKT2_lT1_lS4_lS5_lS1_lPT4_lS5_li.kd
    .uniform_work_group_size: 1
    .uses_dynamic_stack: false
    .vgpr_count:     14
    .vgpr_spill_count: 0
    .wavefront_size: 64
  - .agpr_count:     0
    .args:
      - .offset:         0
        .size:           4
        .value_kind:     by_value
      - .offset:         4
        .size:           4
        .value_kind:     by_value
      - .offset:         8
        .size:           4
        .value_kind:     by_value
      - .offset:         16
        .size:           8
        .value_kind:     by_value
      - .address_space:  global
        .offset:         24
        .size:           8
        .value_kind:     global_buffer
      - .offset:         32
        .size:           8
        .value_kind:     by_value
      - .offset:         40
        .size:           8
        .value_kind:     by_value
      - .offset:         48
        .size:           8
        .value_kind:     by_value
      - .address_space:  global
        .offset:         56
        .size:           8
        .value_kind:     global_buffer
      - .offset:         64
        .size:           8
        .value_kind:     by_value
      - .offset:         72
        .size:           8
        .value_kind:     by_value
      - .offset:         80
        .size:           8
        .value_kind:     by_value
      - .offset:         88
        .size:           4
        .value_kind:     by_value
      - .offset:         96
        .size:           8
        .value_kind:     by_value
      - .address_space:  global
        .offset:         104
        .size:           8
        .value_kind:     global_buffer
      - .offset:         112
        .size:           8
        .value_kind:     by_value
      - .offset:         120
        .size:           8
        .value_kind:     by_value
      - .offset:         128
        .size:           8
        .value_kind:     by_value
      - .offset:         136
        .size:           4
        .value_kind:     by_value
    .group_segment_fixed_size: 256
    .kernarg_segment_align: 8
    .kernarg_segment_size: 140
    .language:       OpenCL C
    .language_version:
      - 2
      - 0
    .max_flat_workgroup_size: 1024
    .name:           _ZL32rocblas_gemvt_warp_reduce_kernelILb1ELi1024El16rocblas_bfloat16ffEviiT3_lPKT2_lT1_lS4_lS5_lS1_lPT4_lS5_li
    .private_segment_fixed_size: 0
    .sgpr_count:     38
    .sgpr_spill_count: 0
    .symbol:         _ZL32rocblas_gemvt_warp_reduce_kernelILb1ELi1024El16rocblas_bfloat16ffEviiT3_lPKT2_lT1_lS4_lS5_lS1_lPT4_lS5_li.kd
    .uniform_work_group_size: 1
    .uses_dynamic_stack: false
    .vgpr_count:     14
    .vgpr_spill_count: 0
    .wavefront_size: 64
  - .agpr_count:     0
    .args:
      - .offset:         0
        .size:           4
        .value_kind:     by_value
      - .offset:         4
        .size:           4
        .value_kind:     by_value
      - .address_space:  global
        .offset:         8
        .size:           8
        .value_kind:     global_buffer
      - .offset:         16
        .size:           8
        .value_kind:     by_value
      - .address_space:  global
        .offset:         24
        .size:           8
        .value_kind:     global_buffer
      - .offset:         32
        .size:           8
        .value_kind:     by_value
      - .offset:         40
        .size:           4
        .value_kind:     by_value
      - .offset:         48
        .size:           8
        .value_kind:     by_value
      - .address_space:  global
        .offset:         56
        .size:           8
        .value_kind:     global_buffer
      - .offset:         64
        .size:           8
        .value_kind:     by_value
      - .offset:         72
        .size:           4
        .value_kind:     by_value
      - .offset:         80
        .size:           8
        .value_kind:     by_value
      - .address_space:  global
        .offset:         88
        .size:           8
        .value_kind:     global_buffer
      - .offset:         96
        .size:           8
        .value_kind:     by_value
      - .address_space:  global
        .offset:         104
        .size:           8
        .value_kind:     global_buffer
      - .offset:         112
        .size:           8
        .value_kind:     by_value
      - .offset:         120
        .size:           4
        .value_kind:     by_value
      - .offset:         128
        .size:           8
        .value_kind:     by_value
      - .offset:         136
        .size:           4
        .value_kind:     by_value
      - .offset:         144
        .size:           4
        .value_kind:     hidden_block_count_x
      - .offset:         148
        .size:           4
        .value_kind:     hidden_block_count_y
      - .offset:         152
        .size:           4
        .value_kind:     hidden_block_count_z
      - .offset:         156
        .size:           2
        .value_kind:     hidden_group_size_x
      - .offset:         158
        .size:           2
        .value_kind:     hidden_group_size_y
      - .offset:         160
        .size:           2
        .value_kind:     hidden_group_size_z
      - .offset:         162
        .size:           2
        .value_kind:     hidden_remainder_x
      - .offset:         164
        .size:           2
        .value_kind:     hidden_remainder_y
      - .offset:         166
        .size:           2
        .value_kind:     hidden_remainder_z
      - .offset:         184
        .size:           8
        .value_kind:     hidden_global_offset_x
      - .offset:         192
        .size:           8
        .value_kind:     hidden_global_offset_y
      - .offset:         200
        .size:           8
        .value_kind:     hidden_global_offset_z
      - .offset:         208
        .size:           2
        .value_kind:     hidden_grid_dims
    .group_segment_fixed_size: 3072
    .kernarg_segment_align: 8
    .kernarg_segment_size: 400
    .language:       OpenCL C
    .language_version:
      - 2
      - 0
    .max_flat_workgroup_size: 768
    .name:           _ZL34rocblas_gemvn_sm_mn_batched_kernelILi32ELi24EPK16rocblas_bfloat16PKfKPfEviiT2_lPKT1_lilSA_lilS7_lPT3_lili
    .private_segment_fixed_size: 0
    .sgpr_count:     76
    .sgpr_spill_count: 0
    .symbol:         _ZL34rocblas_gemvn_sm_mn_batched_kernelILi32ELi24EPK16rocblas_bfloat16PKfKPfEviiT2_lPKT1_lilSA_lilS7_lPT3_lili.kd
    .uniform_work_group_size: 1
    .uses_dynamic_stack: false
    .vgpr_count:     42
    .vgpr_spill_count: 0
    .wavefront_size: 64
  - .agpr_count:     0
    .args:
      - .offset:         0
        .size:           4
        .value_kind:     by_value
      - .offset:         4
        .size:           4
        .value_kind:     by_value
      - .offset:         8
        .size:           4
        .value_kind:     by_value
      - .offset:         16
        .size:           8
        .value_kind:     by_value
      - .address_space:  global
        .offset:         24
        .size:           8
        .value_kind:     global_buffer
      - .offset:         32
        .size:           8
        .value_kind:     by_value
      - .offset:         40
        .size:           4
        .value_kind:     by_value
      - .offset:         48
        .size:           8
        .value_kind:     by_value
      - .address_space:  global
        .offset:         56
        .size:           8
        .value_kind:     global_buffer
      - .offset:         64
        .size:           8
        .value_kind:     by_value
      - .offset:         72
        .size:           4
        .value_kind:     by_value
      - .offset:         80
        .size:           8
        .value_kind:     by_value
      - .offset:         88
        .size:           4
        .value_kind:     by_value
      - .offset:         96
        .size:           8
        .value_kind:     by_value
      - .address_space:  global
        .offset:         104
        .size:           8
        .value_kind:     global_buffer
      - .offset:         112
        .size:           8
        .value_kind:     by_value
      - .offset:         120
        .size:           4
        .value_kind:     by_value
      - .offset:         128
        .size:           8
        .value_kind:     by_value
      - .offset:         136
        .size:           4
        .value_kind:     by_value
      - .offset:         144
        .size:           4
        .value_kind:     hidden_block_count_x
      - .offset:         148
        .size:           4
        .value_kind:     hidden_block_count_y
      - .offset:         152
        .size:           4
        .value_kind:     hidden_block_count_z
      - .offset:         156
        .size:           2
        .value_kind:     hidden_group_size_x
      - .offset:         158
        .size:           2
        .value_kind:     hidden_group_size_y
      - .offset:         160
        .size:           2
        .value_kind:     hidden_group_size_z
      - .offset:         162
        .size:           2
        .value_kind:     hidden_remainder_x
      - .offset:         164
        .size:           2
        .value_kind:     hidden_remainder_y
      - .offset:         166
        .size:           2
        .value_kind:     hidden_remainder_z
      - .offset:         184
        .size:           8
        .value_kind:     hidden_global_offset_x
      - .offset:         192
        .size:           8
        .value_kind:     hidden_global_offset_y
      - .offset:         200
        .size:           8
        .value_kind:     hidden_global_offset_z
      - .offset:         208
        .size:           2
        .value_kind:     hidden_grid_dims
    .group_segment_fixed_size: 3072
    .kernarg_segment_align: 8
    .kernarg_segment_size: 400
    .language:       OpenCL C
    .language_version:
      - 2
      - 0
    .max_flat_workgroup_size: 768
    .name:           _ZL34rocblas_gemvn_sm_mn_batched_kernelILi32ELi24EPK16rocblas_bfloat16fKPfEviiT2_lPKT1_lilS8_lilS5_lPT3_lili
    .private_segment_fixed_size: 0
    .sgpr_count:     76
    .sgpr_spill_count: 0
    .symbol:         _ZL34rocblas_gemvn_sm_mn_batched_kernelILi32ELi24EPK16rocblas_bfloat16fKPfEviiT2_lPKT1_lilS8_lilS5_lPT3_lili.kd
    .uniform_work_group_size: 1
    .uses_dynamic_stack: false
    .vgpr_count:     42
    .vgpr_spill_count: 0
    .wavefront_size: 64
  - .agpr_count:     0
    .args:
      - .offset:         0
        .size:           4
        .value_kind:     by_value
      - .offset:         4
        .size:           4
        .value_kind:     by_value
      - .address_space:  global
        .offset:         8
        .size:           8
        .value_kind:     global_buffer
      - .offset:         16
        .size:           8
        .value_kind:     by_value
      - .address_space:  global
        .offset:         24
        .size:           8
        .value_kind:     global_buffer
      - .offset:         32
        .size:           8
        .value_kind:     by_value
      - .offset:         40
        .size:           4
        .value_kind:     by_value
      - .offset:         48
        .size:           8
        .value_kind:     by_value
      - .address_space:  global
        .offset:         56
        .size:           8
        .value_kind:     global_buffer
      - .offset:         64
        .size:           8
        .value_kind:     by_value
      - .offset:         72
        .size:           4
        .value_kind:     by_value
      - .offset:         80
        .size:           8
        .value_kind:     by_value
      - .address_space:  global
        .offset:         88
        .size:           8
        .value_kind:     global_buffer
      - .offset:         96
        .size:           8
        .value_kind:     by_value
      - .address_space:  global
        .offset:         104
        .size:           8
        .value_kind:     global_buffer
      - .offset:         112
        .size:           8
        .value_kind:     by_value
      - .offset:         120
        .size:           4
        .value_kind:     by_value
      - .offset:         128
        .size:           8
        .value_kind:     by_value
      - .offset:         136
        .size:           4
        .value_kind:     by_value
      - .offset:         144
        .size:           4
        .value_kind:     hidden_block_count_x
      - .offset:         148
        .size:           4
        .value_kind:     hidden_block_count_y
      - .offset:         152
        .size:           4
        .value_kind:     hidden_block_count_z
      - .offset:         156
        .size:           2
        .value_kind:     hidden_group_size_x
      - .offset:         158
        .size:           2
        .value_kind:     hidden_group_size_y
      - .offset:         160
        .size:           2
        .value_kind:     hidden_group_size_z
      - .offset:         162
        .size:           2
        .value_kind:     hidden_remainder_x
      - .offset:         164
        .size:           2
        .value_kind:     hidden_remainder_y
      - .offset:         166
        .size:           2
        .value_kind:     hidden_remainder_z
      - .offset:         184
        .size:           8
        .value_kind:     hidden_global_offset_x
      - .offset:         192
        .size:           8
        .value_kind:     hidden_global_offset_y
      - .offset:         200
        .size:           8
        .value_kind:     hidden_global_offset_z
      - .offset:         208
        .size:           2
        .value_kind:     hidden_grid_dims
    .group_segment_fixed_size: 4096
    .kernarg_segment_align: 8
    .kernarg_segment_size: 400
    .language:       OpenCL C
    .language_version:
      - 2
      - 0
    .max_flat_workgroup_size: 256
    .name:           _ZL20rocblas_gemvn_kernelILi64ELi4EiPK16rocblas_bfloat16PKfKPfEviiT3_lPKT2_lT1_lSA_lSB_lS7_lPT4_lSB_li
    .private_segment_fixed_size: 0
    .sgpr_count:     45
    .sgpr_spill_count: 0
    .symbol:         _ZL20rocblas_gemvn_kernelILi64ELi4EiPK16rocblas_bfloat16PKfKPfEviiT3_lPKT2_lT1_lSA_lSB_lS7_lPT4_lSB_li.kd
    .uniform_work_group_size: 1
    .uses_dynamic_stack: false
    .vgpr_count:     45
    .vgpr_spill_count: 0
    .wavefront_size: 64
  - .agpr_count:     0
    .args:
      - .offset:         0
        .size:           4
        .value_kind:     by_value
      - .offset:         4
        .size:           4
        .value_kind:     by_value
      - .address_space:  global
        .offset:         8
        .size:           8
        .value_kind:     global_buffer
      - .offset:         16
        .size:           8
        .value_kind:     by_value
      - .address_space:  global
        .offset:         24
        .size:           8
        .value_kind:     global_buffer
      - .offset:         32
        .size:           8
        .value_kind:     by_value
      - .offset:         40
        .size:           8
        .value_kind:     by_value
      - .offset:         48
        .size:           8
        .value_kind:     by_value
      - .address_space:  global
        .offset:         56
        .size:           8
        .value_kind:     global_buffer
      - .offset:         64
        .size:           8
        .value_kind:     by_value
      - .offset:         72
        .size:           8
        .value_kind:     by_value
      - .offset:         80
        .size:           8
        .value_kind:     by_value
      - .address_space:  global
        .offset:         88
        .size:           8
        .value_kind:     global_buffer
      - .offset:         96
        .size:           8
        .value_kind:     by_value
      - .address_space:  global
        .offset:         104
        .size:           8
        .value_kind:     global_buffer
      - .offset:         112
        .size:           8
        .value_kind:     by_value
      - .offset:         120
        .size:           8
        .value_kind:     by_value
      - .offset:         128
        .size:           8
        .value_kind:     by_value
      - .offset:         136
        .size:           4
        .value_kind:     by_value
      - .offset:         144
        .size:           4
        .value_kind:     hidden_block_count_x
      - .offset:         148
        .size:           4
        .value_kind:     hidden_block_count_y
      - .offset:         152
        .size:           4
        .value_kind:     hidden_block_count_z
      - .offset:         156
        .size:           2
        .value_kind:     hidden_group_size_x
      - .offset:         158
        .size:           2
        .value_kind:     hidden_group_size_y
      - .offset:         160
        .size:           2
        .value_kind:     hidden_group_size_z
      - .offset:         162
        .size:           2
        .value_kind:     hidden_remainder_x
      - .offset:         164
        .size:           2
        .value_kind:     hidden_remainder_y
      - .offset:         166
        .size:           2
        .value_kind:     hidden_remainder_z
      - .offset:         184
        .size:           8
        .value_kind:     hidden_global_offset_x
      - .offset:         192
        .size:           8
        .value_kind:     hidden_global_offset_y
      - .offset:         200
        .size:           8
        .value_kind:     hidden_global_offset_z
      - .offset:         208
        .size:           2
        .value_kind:     hidden_grid_dims
    .group_segment_fixed_size: 4096
    .kernarg_segment_align: 8
    .kernarg_segment_size: 400
    .language:       OpenCL C
    .language_version:
      - 2
      - 0
    .max_flat_workgroup_size: 256
    .name:           _ZL20rocblas_gemvn_kernelILi64ELi4ElPK16rocblas_bfloat16PKfKPfEviiT3_lPKT2_lT1_lSA_lSB_lS7_lPT4_lSB_li
    .private_segment_fixed_size: 0
    .sgpr_count:     51
    .sgpr_spill_count: 0
    .symbol:         _ZL20rocblas_gemvn_kernelILi64ELi4ElPK16rocblas_bfloat16PKfKPfEviiT3_lPKT2_lT1_lSA_lSB_lS7_lPT4_lSB_li.kd
    .uniform_work_group_size: 1
    .uses_dynamic_stack: false
    .vgpr_count:     55
    .vgpr_spill_count: 0
    .wavefront_size: 64
  - .agpr_count:     0
    .args:
      - .offset:         0
        .size:           4
        .value_kind:     by_value
      - .offset:         4
        .size:           4
        .value_kind:     by_value
      - .offset:         8
        .size:           4
        .value_kind:     by_value
      - .offset:         16
        .size:           8
        .value_kind:     by_value
      - .address_space:  global
        .offset:         24
        .size:           8
        .value_kind:     global_buffer
      - .offset:         32
        .size:           8
        .value_kind:     by_value
      - .offset:         40
        .size:           4
        .value_kind:     by_value
      - .offset:         48
        .size:           8
        .value_kind:     by_value
      - .address_space:  global
        .offset:         56
        .size:           8
        .value_kind:     global_buffer
      - .offset:         64
        .size:           8
        .value_kind:     by_value
      - .offset:         72
        .size:           4
        .value_kind:     by_value
      - .offset:         80
        .size:           8
        .value_kind:     by_value
      - .offset:         88
        .size:           4
        .value_kind:     by_value
      - .offset:         96
        .size:           8
        .value_kind:     by_value
      - .address_space:  global
        .offset:         104
        .size:           8
        .value_kind:     global_buffer
      - .offset:         112
        .size:           8
        .value_kind:     by_value
      - .offset:         120
        .size:           4
        .value_kind:     by_value
      - .offset:         128
        .size:           8
        .value_kind:     by_value
      - .offset:         136
        .size:           4
        .value_kind:     by_value
      - .offset:         144
        .size:           4
        .value_kind:     hidden_block_count_x
      - .offset:         148
        .size:           4
        .value_kind:     hidden_block_count_y
      - .offset:         152
        .size:           4
        .value_kind:     hidden_block_count_z
      - .offset:         156
        .size:           2
        .value_kind:     hidden_group_size_x
      - .offset:         158
        .size:           2
        .value_kind:     hidden_group_size_y
      - .offset:         160
        .size:           2
        .value_kind:     hidden_group_size_z
      - .offset:         162
        .size:           2
        .value_kind:     hidden_remainder_x
      - .offset:         164
        .size:           2
        .value_kind:     hidden_remainder_y
      - .offset:         166
        .size:           2
        .value_kind:     hidden_remainder_z
      - .offset:         184
        .size:           8
        .value_kind:     hidden_global_offset_x
      - .offset:         192
        .size:           8
        .value_kind:     hidden_global_offset_y
      - .offset:         200
        .size:           8
        .value_kind:     hidden_global_offset_z
      - .offset:         208
        .size:           2
        .value_kind:     hidden_grid_dims
    .group_segment_fixed_size: 4096
    .kernarg_segment_align: 8
    .kernarg_segment_size: 400
    .language:       OpenCL C
    .language_version:
      - 2
      - 0
    .max_flat_workgroup_size: 256
    .name:           _ZL20rocblas_gemvn_kernelILi64ELi4EiPK16rocblas_bfloat16fKPfEviiT3_lPKT2_lT1_lS8_lS9_lS5_lPT4_lS9_li
    .private_segment_fixed_size: 0
    .sgpr_count:     45
    .sgpr_spill_count: 0
    .symbol:         _ZL20rocblas_gemvn_kernelILi64ELi4EiPK16rocblas_bfloat16fKPfEviiT3_lPKT2_lT1_lS8_lS9_lS5_lPT4_lS9_li.kd
    .uniform_work_group_size: 1
    .uses_dynamic_stack: false
    .vgpr_count:     45
    .vgpr_spill_count: 0
    .wavefront_size: 64
  - .agpr_count:     0
    .args:
      - .offset:         0
        .size:           4
        .value_kind:     by_value
      - .offset:         4
        .size:           4
        .value_kind:     by_value
      - .offset:         8
        .size:           4
        .value_kind:     by_value
      - .offset:         16
        .size:           8
        .value_kind:     by_value
      - .address_space:  global
        .offset:         24
        .size:           8
        .value_kind:     global_buffer
      - .offset:         32
        .size:           8
        .value_kind:     by_value
      - .offset:         40
        .size:           8
        .value_kind:     by_value
      - .offset:         48
        .size:           8
        .value_kind:     by_value
      - .address_space:  global
        .offset:         56
        .size:           8
        .value_kind:     global_buffer
      - .offset:         64
        .size:           8
        .value_kind:     by_value
      - .offset:         72
        .size:           8
        .value_kind:     by_value
      - .offset:         80
        .size:           8
        .value_kind:     by_value
      - .offset:         88
        .size:           4
        .value_kind:     by_value
      - .offset:         96
        .size:           8
        .value_kind:     by_value
      - .address_space:  global
        .offset:         104
        .size:           8
        .value_kind:     global_buffer
      - .offset:         112
        .size:           8
        .value_kind:     by_value
      - .offset:         120
        .size:           8
        .value_kind:     by_value
      - .offset:         128
        .size:           8
        .value_kind:     by_value
      - .offset:         136
        .size:           4
        .value_kind:     by_value
      - .offset:         144
        .size:           4
        .value_kind:     hidden_block_count_x
      - .offset:         148
        .size:           4
        .value_kind:     hidden_block_count_y
      - .offset:         152
        .size:           4
        .value_kind:     hidden_block_count_z
      - .offset:         156
        .size:           2
        .value_kind:     hidden_group_size_x
      - .offset:         158
        .size:           2
        .value_kind:     hidden_group_size_y
      - .offset:         160
        .size:           2
        .value_kind:     hidden_group_size_z
      - .offset:         162
        .size:           2
        .value_kind:     hidden_remainder_x
      - .offset:         164
        .size:           2
        .value_kind:     hidden_remainder_y
      - .offset:         166
        .size:           2
        .value_kind:     hidden_remainder_z
      - .offset:         184
        .size:           8
        .value_kind:     hidden_global_offset_x
      - .offset:         192
        .size:           8
        .value_kind:     hidden_global_offset_y
      - .offset:         200
        .size:           8
        .value_kind:     hidden_global_offset_z
      - .offset:         208
        .size:           2
        .value_kind:     hidden_grid_dims
    .group_segment_fixed_size: 4096
    .kernarg_segment_align: 8
    .kernarg_segment_size: 400
    .language:       OpenCL C
    .language_version:
      - 2
      - 0
    .max_flat_workgroup_size: 256
    .name:           _ZL20rocblas_gemvn_kernelILi64ELi4ElPK16rocblas_bfloat16fKPfEviiT3_lPKT2_lT1_lS8_lS9_lS5_lPT4_lS9_li
    .private_segment_fixed_size: 0
    .sgpr_count:     51
    .sgpr_spill_count: 0
    .symbol:         _ZL20rocblas_gemvn_kernelILi64ELi4ElPK16rocblas_bfloat16fKPfEviiT3_lPKT2_lT1_lS8_lS9_lS5_lPT4_lS9_li.kd
    .uniform_work_group_size: 1
    .uses_dynamic_stack: false
    .vgpr_count:     55
    .vgpr_spill_count: 0
    .wavefront_size: 64
  - .agpr_count:     0
    .args:
      - .offset:         0
        .size:           4
        .value_kind:     by_value
      - .offset:         4
        .size:           4
        .value_kind:     by_value
      - .address_space:  global
        .offset:         8
        .size:           8
        .value_kind:     global_buffer
      - .offset:         16
        .size:           8
        .value_kind:     by_value
      - .address_space:  global
        .offset:         24
        .size:           8
        .value_kind:     global_buffer
      - .offset:         32
        .size:           8
        .value_kind:     by_value
      - .offset:         40
        .size:           4
        .value_kind:     by_value
      - .offset:         48
        .size:           8
        .value_kind:     by_value
      - .address_space:  global
        .offset:         56
        .size:           8
        .value_kind:     global_buffer
      - .offset:         64
        .size:           8
        .value_kind:     by_value
      - .offset:         72
        .size:           4
        .value_kind:     by_value
      - .offset:         80
        .size:           8
        .value_kind:     by_value
      - .address_space:  global
        .offset:         88
        .size:           8
        .value_kind:     global_buffer
      - .offset:         96
        .size:           8
        .value_kind:     by_value
      - .address_space:  global
        .offset:         104
        .size:           8
        .value_kind:     global_buffer
      - .offset:         112
        .size:           8
        .value_kind:     by_value
      - .offset:         120
        .size:           4
        .value_kind:     by_value
      - .offset:         128
        .size:           8
        .value_kind:     by_value
      - .offset:         136
        .size:           4
        .value_kind:     by_value
      - .offset:         144
        .size:           4
        .value_kind:     hidden_block_count_x
      - .offset:         148
        .size:           4
        .value_kind:     hidden_block_count_y
      - .offset:         152
        .size:           4
        .value_kind:     hidden_block_count_z
      - .offset:         156
        .size:           2
        .value_kind:     hidden_group_size_x
      - .offset:         158
        .size:           2
        .value_kind:     hidden_group_size_y
      - .offset:         160
        .size:           2
        .value_kind:     hidden_group_size_z
      - .offset:         162
        .size:           2
        .value_kind:     hidden_remainder_x
      - .offset:         164
        .size:           2
        .value_kind:     hidden_remainder_y
      - .offset:         166
        .size:           2
        .value_kind:     hidden_remainder_z
      - .offset:         184
        .size:           8
        .value_kind:     hidden_global_offset_x
      - .offset:         192
        .size:           8
        .value_kind:     hidden_global_offset_y
      - .offset:         200
        .size:           8
        .value_kind:     hidden_global_offset_z
      - .offset:         208
        .size:           2
        .value_kind:     hidden_grid_dims
    .group_segment_fixed_size: 8192
    .kernarg_segment_align: 8
    .kernarg_segment_size: 400
    .language:       OpenCL C
    .language_version:
      - 2
      - 0
    .max_flat_workgroup_size: 512
    .name:           _ZL20rocblas_gemvn_kernelILi32ELi16EiPK16rocblas_bfloat16PKfKPfEviiT3_lPKT2_lT1_lSA_lSB_lS7_lPT4_lSB_li
    .private_segment_fixed_size: 0
    .sgpr_count:     45
    .sgpr_spill_count: 0
    .symbol:         _ZL20rocblas_gemvn_kernelILi32ELi16EiPK16rocblas_bfloat16PKfKPfEviiT3_lPKT2_lT1_lSA_lSB_lS7_lPT4_lSB_li.kd
    .uniform_work_group_size: 1
    .uses_dynamic_stack: false
    .vgpr_count:     45
    .vgpr_spill_count: 0
    .wavefront_size: 64
  - .agpr_count:     0
    .args:
      - .offset:         0
        .size:           4
        .value_kind:     by_value
      - .offset:         4
        .size:           4
        .value_kind:     by_value
      - .address_space:  global
        .offset:         8
        .size:           8
        .value_kind:     global_buffer
      - .offset:         16
        .size:           8
        .value_kind:     by_value
      - .address_space:  global
        .offset:         24
        .size:           8
        .value_kind:     global_buffer
      - .offset:         32
        .size:           8
        .value_kind:     by_value
      - .offset:         40
        .size:           8
        .value_kind:     by_value
      - .offset:         48
        .size:           8
        .value_kind:     by_value
      - .address_space:  global
        .offset:         56
        .size:           8
        .value_kind:     global_buffer
      - .offset:         64
        .size:           8
        .value_kind:     by_value
      - .offset:         72
        .size:           8
        .value_kind:     by_value
      - .offset:         80
        .size:           8
        .value_kind:     by_value
      - .address_space:  global
        .offset:         88
        .size:           8
        .value_kind:     global_buffer
      - .offset:         96
        .size:           8
        .value_kind:     by_value
      - .address_space:  global
        .offset:         104
        .size:           8
        .value_kind:     global_buffer
      - .offset:         112
        .size:           8
        .value_kind:     by_value
      - .offset:         120
        .size:           8
        .value_kind:     by_value
      - .offset:         128
        .size:           8
        .value_kind:     by_value
      - .offset:         136
        .size:           4
        .value_kind:     by_value
      - .offset:         144
        .size:           4
        .value_kind:     hidden_block_count_x
      - .offset:         148
        .size:           4
        .value_kind:     hidden_block_count_y
      - .offset:         152
        .size:           4
        .value_kind:     hidden_block_count_z
      - .offset:         156
        .size:           2
        .value_kind:     hidden_group_size_x
      - .offset:         158
        .size:           2
        .value_kind:     hidden_group_size_y
      - .offset:         160
        .size:           2
        .value_kind:     hidden_group_size_z
      - .offset:         162
        .size:           2
        .value_kind:     hidden_remainder_x
      - .offset:         164
        .size:           2
        .value_kind:     hidden_remainder_y
      - .offset:         166
        .size:           2
        .value_kind:     hidden_remainder_z
      - .offset:         184
        .size:           8
        .value_kind:     hidden_global_offset_x
      - .offset:         192
        .size:           8
        .value_kind:     hidden_global_offset_y
      - .offset:         200
        .size:           8
        .value_kind:     hidden_global_offset_z
      - .offset:         208
        .size:           2
        .value_kind:     hidden_grid_dims
    .group_segment_fixed_size: 8192
    .kernarg_segment_align: 8
    .kernarg_segment_size: 400
    .language:       OpenCL C
    .language_version:
      - 2
      - 0
    .max_flat_workgroup_size: 512
    .name:           _ZL20rocblas_gemvn_kernelILi32ELi16ElPK16rocblas_bfloat16PKfKPfEviiT3_lPKT2_lT1_lSA_lSB_lS7_lPT4_lSB_li
    .private_segment_fixed_size: 0
    .sgpr_count:     51
    .sgpr_spill_count: 0
    .symbol:         _ZL20rocblas_gemvn_kernelILi32ELi16ElPK16rocblas_bfloat16PKfKPfEviiT3_lPKT2_lT1_lSA_lSB_lS7_lPT4_lSB_li.kd
    .uniform_work_group_size: 1
    .uses_dynamic_stack: false
    .vgpr_count:     55
    .vgpr_spill_count: 0
    .wavefront_size: 64
  - .agpr_count:     0
    .args:
      - .offset:         0
        .size:           4
        .value_kind:     by_value
      - .offset:         4
        .size:           4
        .value_kind:     by_value
      - .offset:         8
        .size:           4
        .value_kind:     by_value
      - .offset:         16
        .size:           8
        .value_kind:     by_value
      - .address_space:  global
        .offset:         24
        .size:           8
        .value_kind:     global_buffer
      - .offset:         32
        .size:           8
        .value_kind:     by_value
      - .offset:         40
        .size:           4
        .value_kind:     by_value
      - .offset:         48
        .size:           8
        .value_kind:     by_value
      - .address_space:  global
        .offset:         56
        .size:           8
        .value_kind:     global_buffer
      - .offset:         64
        .size:           8
        .value_kind:     by_value
      - .offset:         72
        .size:           4
        .value_kind:     by_value
      - .offset:         80
        .size:           8
        .value_kind:     by_value
      - .offset:         88
        .size:           4
        .value_kind:     by_value
      - .offset:         96
        .size:           8
        .value_kind:     by_value
      - .address_space:  global
        .offset:         104
        .size:           8
        .value_kind:     global_buffer
      - .offset:         112
        .size:           8
        .value_kind:     by_value
      - .offset:         120
        .size:           4
        .value_kind:     by_value
      - .offset:         128
        .size:           8
        .value_kind:     by_value
      - .offset:         136
        .size:           4
        .value_kind:     by_value
      - .offset:         144
        .size:           4
        .value_kind:     hidden_block_count_x
      - .offset:         148
        .size:           4
        .value_kind:     hidden_block_count_y
      - .offset:         152
        .size:           4
        .value_kind:     hidden_block_count_z
      - .offset:         156
        .size:           2
        .value_kind:     hidden_group_size_x
      - .offset:         158
        .size:           2
        .value_kind:     hidden_group_size_y
      - .offset:         160
        .size:           2
        .value_kind:     hidden_group_size_z
      - .offset:         162
        .size:           2
        .value_kind:     hidden_remainder_x
      - .offset:         164
        .size:           2
        .value_kind:     hidden_remainder_y
      - .offset:         166
        .size:           2
        .value_kind:     hidden_remainder_z
      - .offset:         184
        .size:           8
        .value_kind:     hidden_global_offset_x
      - .offset:         192
        .size:           8
        .value_kind:     hidden_global_offset_y
      - .offset:         200
        .size:           8
        .value_kind:     hidden_global_offset_z
      - .offset:         208
        .size:           2
        .value_kind:     hidden_grid_dims
    .group_segment_fixed_size: 8192
    .kernarg_segment_align: 8
    .kernarg_segment_size: 400
    .language:       OpenCL C
    .language_version:
      - 2
      - 0
    .max_flat_workgroup_size: 512
    .name:           _ZL20rocblas_gemvn_kernelILi32ELi16EiPK16rocblas_bfloat16fKPfEviiT3_lPKT2_lT1_lS8_lS9_lS5_lPT4_lS9_li
    .private_segment_fixed_size: 0
    .sgpr_count:     45
    .sgpr_spill_count: 0
    .symbol:         _ZL20rocblas_gemvn_kernelILi32ELi16EiPK16rocblas_bfloat16fKPfEviiT3_lPKT2_lT1_lS8_lS9_lS5_lPT4_lS9_li.kd
    .uniform_work_group_size: 1
    .uses_dynamic_stack: false
    .vgpr_count:     45
    .vgpr_spill_count: 0
    .wavefront_size: 64
  - .agpr_count:     0
    .args:
      - .offset:         0
        .size:           4
        .value_kind:     by_value
      - .offset:         4
        .size:           4
        .value_kind:     by_value
      - .offset:         8
        .size:           4
        .value_kind:     by_value
      - .offset:         16
        .size:           8
        .value_kind:     by_value
      - .address_space:  global
        .offset:         24
        .size:           8
        .value_kind:     global_buffer
      - .offset:         32
        .size:           8
        .value_kind:     by_value
      - .offset:         40
        .size:           8
        .value_kind:     by_value
      - .offset:         48
        .size:           8
        .value_kind:     by_value
      - .address_space:  global
        .offset:         56
        .size:           8
        .value_kind:     global_buffer
      - .offset:         64
        .size:           8
        .value_kind:     by_value
      - .offset:         72
        .size:           8
        .value_kind:     by_value
      - .offset:         80
        .size:           8
        .value_kind:     by_value
      - .offset:         88
        .size:           4
        .value_kind:     by_value
      - .offset:         96
        .size:           8
        .value_kind:     by_value
      - .address_space:  global
        .offset:         104
        .size:           8
        .value_kind:     global_buffer
      - .offset:         112
        .size:           8
        .value_kind:     by_value
      - .offset:         120
        .size:           8
        .value_kind:     by_value
      - .offset:         128
        .size:           8
        .value_kind:     by_value
      - .offset:         136
        .size:           4
        .value_kind:     by_value
      - .offset:         144
        .size:           4
        .value_kind:     hidden_block_count_x
      - .offset:         148
        .size:           4
        .value_kind:     hidden_block_count_y
      - .offset:         152
        .size:           4
        .value_kind:     hidden_block_count_z
      - .offset:         156
        .size:           2
        .value_kind:     hidden_group_size_x
      - .offset:         158
        .size:           2
        .value_kind:     hidden_group_size_y
      - .offset:         160
        .size:           2
        .value_kind:     hidden_group_size_z
      - .offset:         162
        .size:           2
        .value_kind:     hidden_remainder_x
      - .offset:         164
        .size:           2
        .value_kind:     hidden_remainder_y
      - .offset:         166
        .size:           2
        .value_kind:     hidden_remainder_z
      - .offset:         184
        .size:           8
        .value_kind:     hidden_global_offset_x
      - .offset:         192
        .size:           8
        .value_kind:     hidden_global_offset_y
      - .offset:         200
        .size:           8
        .value_kind:     hidden_global_offset_z
      - .offset:         208
        .size:           2
        .value_kind:     hidden_grid_dims
    .group_segment_fixed_size: 8192
    .kernarg_segment_align: 8
    .kernarg_segment_size: 400
    .language:       OpenCL C
    .language_version:
      - 2
      - 0
    .max_flat_workgroup_size: 512
    .name:           _ZL20rocblas_gemvn_kernelILi32ELi16ElPK16rocblas_bfloat16fKPfEviiT3_lPKT2_lT1_lS8_lS9_lS5_lPT4_lS9_li
    .private_segment_fixed_size: 0
    .sgpr_count:     51
    .sgpr_spill_count: 0
    .symbol:         _ZL20rocblas_gemvn_kernelILi32ELi16ElPK16rocblas_bfloat16fKPfEviiT3_lPKT2_lT1_lS8_lS9_lS5_lPT4_lS9_li.kd
    .uniform_work_group_size: 1
    .uses_dynamic_stack: false
    .vgpr_count:     55
    .vgpr_spill_count: 0
    .wavefront_size: 64
  - .agpr_count:     0
    .args:
      - .offset:         0
        .size:           4
        .value_kind:     by_value
      - .offset:         4
        .size:           4
        .value_kind:     by_value
      - .address_space:  global
        .offset:         8
        .size:           8
        .value_kind:     global_buffer
      - .offset:         16
        .size:           8
        .value_kind:     by_value
      - .address_space:  global
        .offset:         24
        .size:           8
        .value_kind:     global_buffer
      - .offset:         32
        .size:           8
        .value_kind:     by_value
      - .offset:         40
        .size:           4
        .value_kind:     by_value
      - .offset:         48
        .size:           8
        .value_kind:     by_value
      - .address_space:  global
        .offset:         56
        .size:           8
        .value_kind:     global_buffer
      - .offset:         64
        .size:           8
        .value_kind:     by_value
      - .offset:         72
        .size:           4
        .value_kind:     by_value
      - .offset:         80
        .size:           8
        .value_kind:     by_value
      - .address_space:  global
        .offset:         88
        .size:           8
        .value_kind:     global_buffer
      - .offset:         96
        .size:           8
        .value_kind:     by_value
      - .address_space:  global
        .offset:         104
        .size:           8
        .value_kind:     global_buffer
      - .offset:         112
        .size:           8
        .value_kind:     by_value
      - .offset:         120
        .size:           4
        .value_kind:     by_value
      - .offset:         128
        .size:           8
        .value_kind:     by_value
      - .offset:         136
        .size:           4
        .value_kind:     by_value
      - .offset:         144
        .size:           4
        .value_kind:     hidden_block_count_x
      - .offset:         148
        .size:           4
        .value_kind:     hidden_block_count_y
      - .offset:         152
        .size:           4
        .value_kind:     hidden_block_count_z
      - .offset:         156
        .size:           2
        .value_kind:     hidden_group_size_x
      - .offset:         158
        .size:           2
        .value_kind:     hidden_group_size_y
      - .offset:         160
        .size:           2
        .value_kind:     hidden_group_size_z
      - .offset:         162
        .size:           2
        .value_kind:     hidden_remainder_x
      - .offset:         164
        .size:           2
        .value_kind:     hidden_remainder_y
      - .offset:         166
        .size:           2
        .value_kind:     hidden_remainder_z
      - .offset:         184
        .size:           8
        .value_kind:     hidden_global_offset_x
      - .offset:         192
        .size:           8
        .value_kind:     hidden_global_offset_y
      - .offset:         200
        .size:           8
        .value_kind:     hidden_global_offset_z
      - .offset:         208
        .size:           2
        .value_kind:     hidden_grid_dims
    .group_segment_fixed_size: 16384
    .kernarg_segment_align: 8
    .kernarg_segment_size: 400
    .language:       OpenCL C
    .language_version:
      - 2
      - 0
    .max_flat_workgroup_size: 1024
    .name:           _ZL20rocblas_gemvn_kernelILi64ELi16EiPK16rocblas_bfloat16PKfKPfEviiT3_lPKT2_lT1_lSA_lSB_lS7_lPT4_lSB_li
    .private_segment_fixed_size: 0
    .sgpr_count:     45
    .sgpr_spill_count: 0
    .symbol:         _ZL20rocblas_gemvn_kernelILi64ELi16EiPK16rocblas_bfloat16PKfKPfEviiT3_lPKT2_lT1_lSA_lSB_lS7_lPT4_lSB_li.kd
    .uniform_work_group_size: 1
    .uses_dynamic_stack: false
    .vgpr_count:     45
    .vgpr_spill_count: 0
    .wavefront_size: 64
  - .agpr_count:     0
    .args:
      - .offset:         0
        .size:           4
        .value_kind:     by_value
      - .offset:         4
        .size:           4
        .value_kind:     by_value
      - .address_space:  global
        .offset:         8
        .size:           8
        .value_kind:     global_buffer
      - .offset:         16
        .size:           8
        .value_kind:     by_value
      - .address_space:  global
        .offset:         24
        .size:           8
        .value_kind:     global_buffer
      - .offset:         32
        .size:           8
        .value_kind:     by_value
      - .offset:         40
        .size:           8
        .value_kind:     by_value
      - .offset:         48
        .size:           8
        .value_kind:     by_value
      - .address_space:  global
        .offset:         56
        .size:           8
        .value_kind:     global_buffer
      - .offset:         64
        .size:           8
        .value_kind:     by_value
      - .offset:         72
        .size:           8
        .value_kind:     by_value
      - .offset:         80
        .size:           8
        .value_kind:     by_value
      - .address_space:  global
        .offset:         88
        .size:           8
        .value_kind:     global_buffer
      - .offset:         96
        .size:           8
        .value_kind:     by_value
      - .address_space:  global
        .offset:         104
        .size:           8
        .value_kind:     global_buffer
      - .offset:         112
        .size:           8
        .value_kind:     by_value
      - .offset:         120
        .size:           8
        .value_kind:     by_value
      - .offset:         128
        .size:           8
        .value_kind:     by_value
      - .offset:         136
        .size:           4
        .value_kind:     by_value
      - .offset:         144
        .size:           4
        .value_kind:     hidden_block_count_x
      - .offset:         148
        .size:           4
        .value_kind:     hidden_block_count_y
      - .offset:         152
        .size:           4
        .value_kind:     hidden_block_count_z
      - .offset:         156
        .size:           2
        .value_kind:     hidden_group_size_x
      - .offset:         158
        .size:           2
        .value_kind:     hidden_group_size_y
      - .offset:         160
        .size:           2
        .value_kind:     hidden_group_size_z
      - .offset:         162
        .size:           2
        .value_kind:     hidden_remainder_x
      - .offset:         164
        .size:           2
        .value_kind:     hidden_remainder_y
      - .offset:         166
        .size:           2
        .value_kind:     hidden_remainder_z
      - .offset:         184
        .size:           8
        .value_kind:     hidden_global_offset_x
      - .offset:         192
        .size:           8
        .value_kind:     hidden_global_offset_y
      - .offset:         200
        .size:           8
        .value_kind:     hidden_global_offset_z
      - .offset:         208
        .size:           2
        .value_kind:     hidden_grid_dims
    .group_segment_fixed_size: 16384
    .kernarg_segment_align: 8
    .kernarg_segment_size: 400
    .language:       OpenCL C
    .language_version:
      - 2
      - 0
    .max_flat_workgroup_size: 1024
    .name:           _ZL20rocblas_gemvn_kernelILi64ELi16ElPK16rocblas_bfloat16PKfKPfEviiT3_lPKT2_lT1_lSA_lSB_lS7_lPT4_lSB_li
    .private_segment_fixed_size: 0
    .sgpr_count:     51
    .sgpr_spill_count: 0
    .symbol:         _ZL20rocblas_gemvn_kernelILi64ELi16ElPK16rocblas_bfloat16PKfKPfEviiT3_lPKT2_lT1_lSA_lSB_lS7_lPT4_lSB_li.kd
    .uniform_work_group_size: 1
    .uses_dynamic_stack: false
    .vgpr_count:     55
    .vgpr_spill_count: 0
    .wavefront_size: 64
  - .agpr_count:     0
    .args:
      - .offset:         0
        .size:           4
        .value_kind:     by_value
      - .offset:         4
        .size:           4
        .value_kind:     by_value
      - .offset:         8
        .size:           4
        .value_kind:     by_value
      - .offset:         16
        .size:           8
        .value_kind:     by_value
      - .address_space:  global
        .offset:         24
        .size:           8
        .value_kind:     global_buffer
      - .offset:         32
        .size:           8
        .value_kind:     by_value
      - .offset:         40
        .size:           4
        .value_kind:     by_value
      - .offset:         48
        .size:           8
        .value_kind:     by_value
      - .address_space:  global
        .offset:         56
        .size:           8
        .value_kind:     global_buffer
      - .offset:         64
        .size:           8
        .value_kind:     by_value
      - .offset:         72
        .size:           4
        .value_kind:     by_value
      - .offset:         80
        .size:           8
        .value_kind:     by_value
      - .offset:         88
        .size:           4
        .value_kind:     by_value
      - .offset:         96
        .size:           8
        .value_kind:     by_value
      - .address_space:  global
        .offset:         104
        .size:           8
        .value_kind:     global_buffer
      - .offset:         112
        .size:           8
        .value_kind:     by_value
      - .offset:         120
        .size:           4
        .value_kind:     by_value
      - .offset:         128
        .size:           8
        .value_kind:     by_value
      - .offset:         136
        .size:           4
        .value_kind:     by_value
      - .offset:         144
        .size:           4
        .value_kind:     hidden_block_count_x
      - .offset:         148
        .size:           4
        .value_kind:     hidden_block_count_y
      - .offset:         152
        .size:           4
        .value_kind:     hidden_block_count_z
      - .offset:         156
        .size:           2
        .value_kind:     hidden_group_size_x
      - .offset:         158
        .size:           2
        .value_kind:     hidden_group_size_y
      - .offset:         160
        .size:           2
        .value_kind:     hidden_group_size_z
      - .offset:         162
        .size:           2
        .value_kind:     hidden_remainder_x
      - .offset:         164
        .size:           2
        .value_kind:     hidden_remainder_y
      - .offset:         166
        .size:           2
        .value_kind:     hidden_remainder_z
      - .offset:         184
        .size:           8
        .value_kind:     hidden_global_offset_x
      - .offset:         192
        .size:           8
        .value_kind:     hidden_global_offset_y
      - .offset:         200
        .size:           8
        .value_kind:     hidden_global_offset_z
      - .offset:         208
        .size:           2
        .value_kind:     hidden_grid_dims
    .group_segment_fixed_size: 16384
    .kernarg_segment_align: 8
    .kernarg_segment_size: 400
    .language:       OpenCL C
    .language_version:
      - 2
      - 0
    .max_flat_workgroup_size: 1024
    .name:           _ZL20rocblas_gemvn_kernelILi64ELi16EiPK16rocblas_bfloat16fKPfEviiT3_lPKT2_lT1_lS8_lS9_lS5_lPT4_lS9_li
    .private_segment_fixed_size: 0
    .sgpr_count:     45
    .sgpr_spill_count: 0
    .symbol:         _ZL20rocblas_gemvn_kernelILi64ELi16EiPK16rocblas_bfloat16fKPfEviiT3_lPKT2_lT1_lS8_lS9_lS5_lPT4_lS9_li.kd
    .uniform_work_group_size: 1
    .uses_dynamic_stack: false
    .vgpr_count:     45
    .vgpr_spill_count: 0
    .wavefront_size: 64
  - .agpr_count:     0
    .args:
      - .offset:         0
        .size:           4
        .value_kind:     by_value
      - .offset:         4
        .size:           4
        .value_kind:     by_value
      - .offset:         8
        .size:           4
        .value_kind:     by_value
      - .offset:         16
        .size:           8
        .value_kind:     by_value
      - .address_space:  global
        .offset:         24
        .size:           8
        .value_kind:     global_buffer
      - .offset:         32
        .size:           8
        .value_kind:     by_value
      - .offset:         40
        .size:           8
        .value_kind:     by_value
      - .offset:         48
        .size:           8
        .value_kind:     by_value
      - .address_space:  global
        .offset:         56
        .size:           8
        .value_kind:     global_buffer
      - .offset:         64
        .size:           8
        .value_kind:     by_value
      - .offset:         72
        .size:           8
        .value_kind:     by_value
      - .offset:         80
        .size:           8
        .value_kind:     by_value
      - .offset:         88
        .size:           4
        .value_kind:     by_value
      - .offset:         96
        .size:           8
        .value_kind:     by_value
      - .address_space:  global
        .offset:         104
        .size:           8
        .value_kind:     global_buffer
      - .offset:         112
        .size:           8
        .value_kind:     by_value
      - .offset:         120
        .size:           8
        .value_kind:     by_value
      - .offset:         128
        .size:           8
        .value_kind:     by_value
      - .offset:         136
        .size:           4
        .value_kind:     by_value
      - .offset:         144
        .size:           4
        .value_kind:     hidden_block_count_x
      - .offset:         148
        .size:           4
        .value_kind:     hidden_block_count_y
      - .offset:         152
        .size:           4
        .value_kind:     hidden_block_count_z
      - .offset:         156
        .size:           2
        .value_kind:     hidden_group_size_x
      - .offset:         158
        .size:           2
        .value_kind:     hidden_group_size_y
      - .offset:         160
        .size:           2
        .value_kind:     hidden_group_size_z
      - .offset:         162
        .size:           2
        .value_kind:     hidden_remainder_x
      - .offset:         164
        .size:           2
        .value_kind:     hidden_remainder_y
      - .offset:         166
        .size:           2
        .value_kind:     hidden_remainder_z
      - .offset:         184
        .size:           8
        .value_kind:     hidden_global_offset_x
      - .offset:         192
        .size:           8
        .value_kind:     hidden_global_offset_y
      - .offset:         200
        .size:           8
        .value_kind:     hidden_global_offset_z
      - .offset:         208
        .size:           2
        .value_kind:     hidden_grid_dims
    .group_segment_fixed_size: 16384
    .kernarg_segment_align: 8
    .kernarg_segment_size: 400
    .language:       OpenCL C
    .language_version:
      - 2
      - 0
    .max_flat_workgroup_size: 1024
    .name:           _ZL20rocblas_gemvn_kernelILi64ELi16ElPK16rocblas_bfloat16fKPfEviiT3_lPKT2_lT1_lS8_lS9_lS5_lPT4_lS9_li
    .private_segment_fixed_size: 0
    .sgpr_count:     51
    .sgpr_spill_count: 0
    .symbol:         _ZL20rocblas_gemvn_kernelILi64ELi16ElPK16rocblas_bfloat16fKPfEviiT3_lPKT2_lT1_lS8_lS9_lS5_lPT4_lS9_li.kd
    .uniform_work_group_size: 1
    .uses_dynamic_stack: false
    .vgpr_count:     55
    .vgpr_spill_count: 0
    .wavefront_size: 64
  - .agpr_count:     0
    .args:
      - .offset:         0
        .size:           4
        .value_kind:     by_value
      - .offset:         4
        .size:           4
        .value_kind:     by_value
      - .address_space:  global
        .offset:         8
        .size:           8
        .value_kind:     global_buffer
      - .offset:         16
        .size:           8
        .value_kind:     by_value
      - .address_space:  global
        .offset:         24
        .size:           8
        .value_kind:     global_buffer
      - .offset:         32
        .size:           8
        .value_kind:     by_value
      - .offset:         40
        .size:           4
        .value_kind:     by_value
      - .offset:         48
        .size:           8
        .value_kind:     by_value
      - .address_space:  global
        .offset:         56
        .size:           8
        .value_kind:     global_buffer
      - .offset:         64
        .size:           8
        .value_kind:     by_value
      - .offset:         72
        .size:           4
        .value_kind:     by_value
      - .offset:         80
        .size:           8
        .value_kind:     by_value
      - .address_space:  global
        .offset:         88
        .size:           8
        .value_kind:     global_buffer
      - .offset:         96
        .size:           8
        .value_kind:     by_value
      - .address_space:  global
        .offset:         104
        .size:           8
        .value_kind:     global_buffer
      - .offset:         112
        .size:           8
        .value_kind:     by_value
      - .offset:         120
        .size:           4
        .value_kind:     by_value
      - .offset:         128
        .size:           8
        .value_kind:     by_value
    .group_segment_fixed_size: 256
    .kernarg_segment_align: 8
    .kernarg_segment_size: 136
    .language:       OpenCL C
    .language_version:
      - 2
      - 0
    .max_flat_workgroup_size: 256
    .name:           _ZL22rocblas_gemvtsm_kernelILb0ELi256EPK16rocblas_bfloat16PKfKPfEviiT2_lPKT1_lilSA_lilS7_lPT3_lil
    .private_segment_fixed_size: 0
    .sgpr_count:     34
    .sgpr_spill_count: 0
    .symbol:         _ZL22rocblas_gemvtsm_kernelILb0ELi256EPK16rocblas_bfloat16PKfKPfEviiT2_lPKT1_lilSA_lilS7_lPT3_lil.kd
    .uniform_work_group_size: 1
    .uses_dynamic_stack: false
    .vgpr_count:     14
    .vgpr_spill_count: 0
    .wavefront_size: 64
  - .agpr_count:     0
    .args:
      - .offset:         0
        .size:           4
        .value_kind:     by_value
      - .offset:         4
        .size:           4
        .value_kind:     by_value
      - .offset:         8
        .size:           4
        .value_kind:     by_value
      - .offset:         16
        .size:           8
        .value_kind:     by_value
      - .address_space:  global
        .offset:         24
        .size:           8
        .value_kind:     global_buffer
      - .offset:         32
        .size:           8
        .value_kind:     by_value
      - .offset:         40
        .size:           4
        .value_kind:     by_value
      - .offset:         48
        .size:           8
        .value_kind:     by_value
      - .address_space:  global
        .offset:         56
        .size:           8
        .value_kind:     global_buffer
      - .offset:         64
        .size:           8
        .value_kind:     by_value
      - .offset:         72
        .size:           4
        .value_kind:     by_value
      - .offset:         80
        .size:           8
        .value_kind:     by_value
      - .offset:         88
        .size:           4
        .value_kind:     by_value
      - .offset:         96
        .size:           8
        .value_kind:     by_value
      - .address_space:  global
        .offset:         104
        .size:           8
        .value_kind:     global_buffer
      - .offset:         112
        .size:           8
        .value_kind:     by_value
      - .offset:         120
        .size:           4
        .value_kind:     by_value
      - .offset:         128
        .size:           8
        .value_kind:     by_value
    .group_segment_fixed_size: 256
    .kernarg_segment_align: 8
    .kernarg_segment_size: 136
    .language:       OpenCL C
    .language_version:
      - 2
      - 0
    .max_flat_workgroup_size: 256
    .name:           _ZL22rocblas_gemvtsm_kernelILb0ELi256EPK16rocblas_bfloat16fKPfEviiT2_lPKT1_lilS8_lilS5_lPT3_lil
    .private_segment_fixed_size: 0
    .sgpr_count:     34
    .sgpr_spill_count: 0
    .symbol:         _ZL22rocblas_gemvtsm_kernelILb0ELi256EPK16rocblas_bfloat16fKPfEviiT2_lPKT1_lilS8_lilS5_lPT3_lil.kd
    .uniform_work_group_size: 1
    .uses_dynamic_stack: false
    .vgpr_count:     14
    .vgpr_spill_count: 0
    .wavefront_size: 64
  - .agpr_count:     0
    .args:
      - .offset:         0
        .size:           4
        .value_kind:     by_value
      - .offset:         4
        .size:           4
        .value_kind:     by_value
      - .address_space:  global
        .offset:         8
        .size:           8
        .value_kind:     global_buffer
      - .offset:         16
        .size:           8
        .value_kind:     by_value
      - .address_space:  global
        .offset:         24
        .size:           8
        .value_kind:     global_buffer
      - .offset:         32
        .size:           8
        .value_kind:     by_value
      - .offset:         40
        .size:           4
        .value_kind:     by_value
      - .offset:         48
        .size:           8
        .value_kind:     by_value
      - .address_space:  global
        .offset:         56
        .size:           8
        .value_kind:     global_buffer
      - .offset:         64
        .size:           8
        .value_kind:     by_value
      - .offset:         72
        .size:           4
        .value_kind:     by_value
      - .offset:         80
        .size:           8
        .value_kind:     by_value
      - .address_space:  global
        .offset:         88
        .size:           8
        .value_kind:     global_buffer
      - .offset:         96
        .size:           8
        .value_kind:     by_value
      - .address_space:  global
        .offset:         104
        .size:           8
        .value_kind:     global_buffer
      - .offset:         112
        .size:           8
        .value_kind:     by_value
      - .offset:         120
        .size:           4
        .value_kind:     by_value
      - .offset:         128
        .size:           8
        .value_kind:     by_value
      - .offset:         136
        .size:           4
        .value_kind:     by_value
    .group_segment_fixed_size: 256
    .kernarg_segment_align: 8
    .kernarg_segment_size: 140
    .language:       OpenCL C
    .language_version:
      - 2
      - 0
    .max_flat_workgroup_size: 256
    .name:           _ZL32rocblas_gemvt_warp_reduce_kernelILb0ELi256EiPK16rocblas_bfloat16PKfKPfEviiT3_lPKT2_lT1_lSA_lSB_lS7_lPT4_lSB_li
    .private_segment_fixed_size: 0
    .sgpr_count:     30
    .sgpr_spill_count: 0
    .symbol:         _ZL32rocblas_gemvt_warp_reduce_kernelILb0ELi256EiPK16rocblas_bfloat16PKfKPfEviiT3_lPKT2_lT1_lSA_lSB_lS7_lPT4_lSB_li.kd
    .uniform_work_group_size: 1
    .uses_dynamic_stack: false
    .vgpr_count:     14
    .vgpr_spill_count: 0
    .wavefront_size: 64
  - .agpr_count:     0
    .args:
      - .offset:         0
        .size:           4
        .value_kind:     by_value
      - .offset:         4
        .size:           4
        .value_kind:     by_value
      - .address_space:  global
        .offset:         8
        .size:           8
        .value_kind:     global_buffer
      - .offset:         16
        .size:           8
        .value_kind:     by_value
      - .address_space:  global
        .offset:         24
        .size:           8
        .value_kind:     global_buffer
      - .offset:         32
        .size:           8
        .value_kind:     by_value
      - .offset:         40
        .size:           8
        .value_kind:     by_value
      - .offset:         48
        .size:           8
        .value_kind:     by_value
      - .address_space:  global
        .offset:         56
        .size:           8
        .value_kind:     global_buffer
      - .offset:         64
        .size:           8
        .value_kind:     by_value
      - .offset:         72
        .size:           8
        .value_kind:     by_value
      - .offset:         80
        .size:           8
        .value_kind:     by_value
      - .address_space:  global
        .offset:         88
        .size:           8
        .value_kind:     global_buffer
      - .offset:         96
        .size:           8
        .value_kind:     by_value
      - .address_space:  global
        .offset:         104
        .size:           8
        .value_kind:     global_buffer
      - .offset:         112
        .size:           8
        .value_kind:     by_value
      - .offset:         120
        .size:           8
        .value_kind:     by_value
      - .offset:         128
        .size:           8
        .value_kind:     by_value
      - .offset:         136
        .size:           4
        .value_kind:     by_value
    .group_segment_fixed_size: 256
    .kernarg_segment_align: 8
    .kernarg_segment_size: 140
    .language:       OpenCL C
    .language_version:
      - 2
      - 0
    .max_flat_workgroup_size: 256
    .name:           _ZL32rocblas_gemvt_warp_reduce_kernelILb0ELi256ElPK16rocblas_bfloat16PKfKPfEviiT3_lPKT2_lT1_lSA_lSB_lS7_lPT4_lSB_li
    .private_segment_fixed_size: 0
    .sgpr_count:     37
    .sgpr_spill_count: 0
    .symbol:         _ZL32rocblas_gemvt_warp_reduce_kernelILb0ELi256ElPK16rocblas_bfloat16PKfKPfEviiT3_lPKT2_lT1_lSA_lSB_lS7_lPT4_lSB_li.kd
    .uniform_work_group_size: 1
    .uses_dynamic_stack: false
    .vgpr_count:     14
    .vgpr_spill_count: 0
    .wavefront_size: 64
  - .agpr_count:     0
    .args:
      - .offset:         0
        .size:           4
        .value_kind:     by_value
      - .offset:         4
        .size:           4
        .value_kind:     by_value
      - .offset:         8
        .size:           4
        .value_kind:     by_value
      - .offset:         16
        .size:           8
        .value_kind:     by_value
      - .address_space:  global
        .offset:         24
        .size:           8
        .value_kind:     global_buffer
      - .offset:         32
        .size:           8
        .value_kind:     by_value
      - .offset:         40
        .size:           4
        .value_kind:     by_value
      - .offset:         48
        .size:           8
        .value_kind:     by_value
      - .address_space:  global
        .offset:         56
        .size:           8
        .value_kind:     global_buffer
      - .offset:         64
        .size:           8
        .value_kind:     by_value
      - .offset:         72
        .size:           4
        .value_kind:     by_value
      - .offset:         80
        .size:           8
        .value_kind:     by_value
      - .offset:         88
        .size:           4
        .value_kind:     by_value
      - .offset:         96
        .size:           8
        .value_kind:     by_value
      - .address_space:  global
        .offset:         104
        .size:           8
        .value_kind:     global_buffer
      - .offset:         112
        .size:           8
        .value_kind:     by_value
      - .offset:         120
        .size:           4
        .value_kind:     by_value
      - .offset:         128
        .size:           8
        .value_kind:     by_value
      - .offset:         136
        .size:           4
        .value_kind:     by_value
    .group_segment_fixed_size: 256
    .kernarg_segment_align: 8
    .kernarg_segment_size: 140
    .language:       OpenCL C
    .language_version:
      - 2
      - 0
    .max_flat_workgroup_size: 256
    .name:           _ZL32rocblas_gemvt_warp_reduce_kernelILb0ELi256EiPK16rocblas_bfloat16fKPfEviiT3_lPKT2_lT1_lS8_lS9_lS5_lPT4_lS9_li
    .private_segment_fixed_size: 0
    .sgpr_count:     34
    .sgpr_spill_count: 0
    .symbol:         _ZL32rocblas_gemvt_warp_reduce_kernelILb0ELi256EiPK16rocblas_bfloat16fKPfEviiT3_lPKT2_lT1_lS8_lS9_lS5_lPT4_lS9_li.kd
    .uniform_work_group_size: 1
    .uses_dynamic_stack: false
    .vgpr_count:     14
    .vgpr_spill_count: 0
    .wavefront_size: 64
  - .agpr_count:     0
    .args:
      - .offset:         0
        .size:           4
        .value_kind:     by_value
      - .offset:         4
        .size:           4
        .value_kind:     by_value
      - .offset:         8
        .size:           4
        .value_kind:     by_value
      - .offset:         16
        .size:           8
        .value_kind:     by_value
      - .address_space:  global
        .offset:         24
        .size:           8
        .value_kind:     global_buffer
      - .offset:         32
        .size:           8
        .value_kind:     by_value
      - .offset:         40
        .size:           8
        .value_kind:     by_value
      - .offset:         48
        .size:           8
        .value_kind:     by_value
      - .address_space:  global
        .offset:         56
        .size:           8
        .value_kind:     global_buffer
      - .offset:         64
        .size:           8
        .value_kind:     by_value
      - .offset:         72
        .size:           8
        .value_kind:     by_value
      - .offset:         80
        .size:           8
        .value_kind:     by_value
      - .offset:         88
        .size:           4
        .value_kind:     by_value
      - .offset:         96
        .size:           8
        .value_kind:     by_value
      - .address_space:  global
        .offset:         104
        .size:           8
        .value_kind:     global_buffer
      - .offset:         112
        .size:           8
        .value_kind:     by_value
      - .offset:         120
        .size:           8
        .value_kind:     by_value
      - .offset:         128
        .size:           8
        .value_kind:     by_value
      - .offset:         136
        .size:           4
        .value_kind:     by_value
    .group_segment_fixed_size: 256
    .kernarg_segment_align: 8
    .kernarg_segment_size: 140
    .language:       OpenCL C
    .language_version:
      - 2
      - 0
    .max_flat_workgroup_size: 256
    .name:           _ZL32rocblas_gemvt_warp_reduce_kernelILb0ELi256ElPK16rocblas_bfloat16fKPfEviiT3_lPKT2_lT1_lS8_lS9_lS5_lPT4_lS9_li
    .private_segment_fixed_size: 0
    .sgpr_count:     38
    .sgpr_spill_count: 0
    .symbol:         _ZL32rocblas_gemvt_warp_reduce_kernelILb0ELi256ElPK16rocblas_bfloat16fKPfEviiT3_lPKT2_lT1_lS8_lS9_lS5_lPT4_lS9_li.kd
    .uniform_work_group_size: 1
    .uses_dynamic_stack: false
    .vgpr_count:     14
    .vgpr_spill_count: 0
    .wavefront_size: 64
  - .agpr_count:     0
    .args:
      - .offset:         0
        .size:           4
        .value_kind:     by_value
      - .offset:         4
        .size:           4
        .value_kind:     by_value
      - .address_space:  global
        .offset:         8
        .size:           8
        .value_kind:     global_buffer
      - .offset:         16
        .size:           8
        .value_kind:     by_value
      - .address_space:  global
        .offset:         24
        .size:           8
        .value_kind:     global_buffer
      - .offset:         32
        .size:           8
        .value_kind:     by_value
      - .offset:         40
        .size:           4
        .value_kind:     by_value
      - .offset:         48
        .size:           8
        .value_kind:     by_value
      - .address_space:  global
        .offset:         56
        .size:           8
        .value_kind:     global_buffer
      - .offset:         64
        .size:           8
        .value_kind:     by_value
      - .offset:         72
        .size:           4
        .value_kind:     by_value
      - .offset:         80
        .size:           8
        .value_kind:     by_value
      - .address_space:  global
        .offset:         88
        .size:           8
        .value_kind:     global_buffer
      - .offset:         96
        .size:           8
        .value_kind:     by_value
      - .address_space:  global
        .offset:         104
        .size:           8
        .value_kind:     global_buffer
      - .offset:         112
        .size:           8
        .value_kind:     by_value
      - .offset:         120
        .size:           4
        .value_kind:     by_value
      - .offset:         128
        .size:           8
        .value_kind:     by_value
      - .offset:         136
        .size:           4
        .value_kind:     by_value
    .group_segment_fixed_size: 1024
    .kernarg_segment_align: 8
    .kernarg_segment_size: 140
    .language:       OpenCL C
    .language_version:
      - 2
      - 0
    .max_flat_workgroup_size: 256
    .name:           _ZL20rocblas_gemvt_kernelILb0ELi256EPK16rocblas_bfloat16PKfKPfEviiT2_lPKT1_lilSA_lilS7_lPT3_lili
    .private_segment_fixed_size: 0
    .sgpr_count:     29
    .sgpr_spill_count: 0
    .symbol:         _ZL20rocblas_gemvt_kernelILb0ELi256EPK16rocblas_bfloat16PKfKPfEviiT2_lPKT1_lilSA_lilS7_lPT3_lili.kd
    .uniform_work_group_size: 1
    .uses_dynamic_stack: false
    .vgpr_count:     12
    .vgpr_spill_count: 0
    .wavefront_size: 64
  - .agpr_count:     0
    .args:
      - .offset:         0
        .size:           4
        .value_kind:     by_value
      - .offset:         4
        .size:           4
        .value_kind:     by_value
      - .offset:         8
        .size:           4
        .value_kind:     by_value
      - .offset:         16
        .size:           8
        .value_kind:     by_value
      - .address_space:  global
        .offset:         24
        .size:           8
        .value_kind:     global_buffer
      - .offset:         32
        .size:           8
        .value_kind:     by_value
      - .offset:         40
        .size:           4
        .value_kind:     by_value
      - .offset:         48
        .size:           8
        .value_kind:     by_value
      - .address_space:  global
        .offset:         56
        .size:           8
        .value_kind:     global_buffer
      - .offset:         64
        .size:           8
        .value_kind:     by_value
      - .offset:         72
        .size:           4
        .value_kind:     by_value
      - .offset:         80
        .size:           8
        .value_kind:     by_value
      - .offset:         88
        .size:           4
        .value_kind:     by_value
      - .offset:         96
        .size:           8
        .value_kind:     by_value
      - .address_space:  global
        .offset:         104
        .size:           8
        .value_kind:     global_buffer
      - .offset:         112
        .size:           8
        .value_kind:     by_value
      - .offset:         120
        .size:           4
        .value_kind:     by_value
      - .offset:         128
        .size:           8
        .value_kind:     by_value
      - .offset:         136
        .size:           4
        .value_kind:     by_value
    .group_segment_fixed_size: 1024
    .kernarg_segment_align: 8
    .kernarg_segment_size: 140
    .language:       OpenCL C
    .language_version:
      - 2
      - 0
    .max_flat_workgroup_size: 256
    .name:           _ZL20rocblas_gemvt_kernelILb0ELi256EPK16rocblas_bfloat16fKPfEviiT2_lPKT1_lilS8_lilS5_lPT3_lili
    .private_segment_fixed_size: 0
    .sgpr_count:     34
    .sgpr_spill_count: 0
    .symbol:         _ZL20rocblas_gemvt_kernelILb0ELi256EPK16rocblas_bfloat16fKPfEviiT2_lPKT1_lilS8_lilS5_lPT3_lili.kd
    .uniform_work_group_size: 1
    .uses_dynamic_stack: false
    .vgpr_count:     12
    .vgpr_spill_count: 0
    .wavefront_size: 64
  - .agpr_count:     0
    .args:
      - .offset:         0
        .size:           4
        .value_kind:     by_value
      - .offset:         4
        .size:           4
        .value_kind:     by_value
      - .address_space:  global
        .offset:         8
        .size:           8
        .value_kind:     global_buffer
      - .offset:         16
        .size:           8
        .value_kind:     by_value
      - .address_space:  global
        .offset:         24
        .size:           8
        .value_kind:     global_buffer
      - .offset:         32
        .size:           8
        .value_kind:     by_value
      - .offset:         40
        .size:           4
        .value_kind:     by_value
      - .offset:         48
        .size:           8
        .value_kind:     by_value
      - .address_space:  global
        .offset:         56
        .size:           8
        .value_kind:     global_buffer
      - .offset:         64
        .size:           8
        .value_kind:     by_value
      - .offset:         72
        .size:           4
        .value_kind:     by_value
      - .offset:         80
        .size:           8
        .value_kind:     by_value
      - .address_space:  global
        .offset:         88
        .size:           8
        .value_kind:     global_buffer
      - .offset:         96
        .size:           8
        .value_kind:     by_value
      - .address_space:  global
        .offset:         104
        .size:           8
        .value_kind:     global_buffer
      - .offset:         112
        .size:           8
        .value_kind:     by_value
      - .offset:         120
        .size:           4
        .value_kind:     by_value
      - .offset:         128
        .size:           8
        .value_kind:     by_value
      - .offset:         136
        .size:           4
        .value_kind:     by_value
    .group_segment_fixed_size: 256
    .kernarg_segment_align: 8
    .kernarg_segment_size: 140
    .language:       OpenCL C
    .language_version:
      - 2
      - 0
    .max_flat_workgroup_size: 1024
    .name:           _ZL32rocblas_gemvt_warp_reduce_kernelILb0ELi1024EiPK16rocblas_bfloat16PKfKPfEviiT3_lPKT2_lT1_lSA_lSB_lS7_lPT4_lSB_li
    .private_segment_fixed_size: 0
    .sgpr_count:     30
    .sgpr_spill_count: 0
    .symbol:         _ZL32rocblas_gemvt_warp_reduce_kernelILb0ELi1024EiPK16rocblas_bfloat16PKfKPfEviiT3_lPKT2_lT1_lSA_lSB_lS7_lPT4_lSB_li.kd
    .uniform_work_group_size: 1
    .uses_dynamic_stack: false
    .vgpr_count:     14
    .vgpr_spill_count: 0
    .wavefront_size: 64
  - .agpr_count:     0
    .args:
      - .offset:         0
        .size:           4
        .value_kind:     by_value
      - .offset:         4
        .size:           4
        .value_kind:     by_value
      - .address_space:  global
        .offset:         8
        .size:           8
        .value_kind:     global_buffer
      - .offset:         16
        .size:           8
        .value_kind:     by_value
      - .address_space:  global
        .offset:         24
        .size:           8
        .value_kind:     global_buffer
      - .offset:         32
        .size:           8
        .value_kind:     by_value
      - .offset:         40
        .size:           8
        .value_kind:     by_value
      - .offset:         48
        .size:           8
        .value_kind:     by_value
      - .address_space:  global
        .offset:         56
        .size:           8
        .value_kind:     global_buffer
      - .offset:         64
        .size:           8
        .value_kind:     by_value
      - .offset:         72
        .size:           8
        .value_kind:     by_value
      - .offset:         80
        .size:           8
        .value_kind:     by_value
      - .address_space:  global
        .offset:         88
        .size:           8
        .value_kind:     global_buffer
      - .offset:         96
        .size:           8
        .value_kind:     by_value
      - .address_space:  global
        .offset:         104
        .size:           8
        .value_kind:     global_buffer
      - .offset:         112
        .size:           8
        .value_kind:     by_value
      - .offset:         120
        .size:           8
        .value_kind:     by_value
      - .offset:         128
        .size:           8
        .value_kind:     by_value
      - .offset:         136
        .size:           4
        .value_kind:     by_value
    .group_segment_fixed_size: 256
    .kernarg_segment_align: 8
    .kernarg_segment_size: 140
    .language:       OpenCL C
    .language_version:
      - 2
      - 0
    .max_flat_workgroup_size: 1024
    .name:           _ZL32rocblas_gemvt_warp_reduce_kernelILb0ELi1024ElPK16rocblas_bfloat16PKfKPfEviiT3_lPKT2_lT1_lSA_lSB_lS7_lPT4_lSB_li
    .private_segment_fixed_size: 0
    .sgpr_count:     37
    .sgpr_spill_count: 0
    .symbol:         _ZL32rocblas_gemvt_warp_reduce_kernelILb0ELi1024ElPK16rocblas_bfloat16PKfKPfEviiT3_lPKT2_lT1_lSA_lSB_lS7_lPT4_lSB_li.kd
    .uniform_work_group_size: 1
    .uses_dynamic_stack: false
    .vgpr_count:     14
    .vgpr_spill_count: 0
    .wavefront_size: 64
  - .agpr_count:     0
    .args:
      - .offset:         0
        .size:           4
        .value_kind:     by_value
      - .offset:         4
        .size:           4
        .value_kind:     by_value
      - .offset:         8
        .size:           4
        .value_kind:     by_value
      - .offset:         16
        .size:           8
        .value_kind:     by_value
      - .address_space:  global
        .offset:         24
        .size:           8
        .value_kind:     global_buffer
      - .offset:         32
        .size:           8
        .value_kind:     by_value
      - .offset:         40
        .size:           4
        .value_kind:     by_value
      - .offset:         48
        .size:           8
        .value_kind:     by_value
      - .address_space:  global
        .offset:         56
        .size:           8
        .value_kind:     global_buffer
      - .offset:         64
        .size:           8
        .value_kind:     by_value
      - .offset:         72
        .size:           4
        .value_kind:     by_value
      - .offset:         80
        .size:           8
        .value_kind:     by_value
      - .offset:         88
        .size:           4
        .value_kind:     by_value
      - .offset:         96
        .size:           8
        .value_kind:     by_value
      - .address_space:  global
        .offset:         104
        .size:           8
        .value_kind:     global_buffer
      - .offset:         112
        .size:           8
        .value_kind:     by_value
      - .offset:         120
        .size:           4
        .value_kind:     by_value
      - .offset:         128
        .size:           8
        .value_kind:     by_value
      - .offset:         136
        .size:           4
        .value_kind:     by_value
    .group_segment_fixed_size: 256
    .kernarg_segment_align: 8
    .kernarg_segment_size: 140
    .language:       OpenCL C
    .language_version:
      - 2
      - 0
    .max_flat_workgroup_size: 1024
    .name:           _ZL32rocblas_gemvt_warp_reduce_kernelILb0ELi1024EiPK16rocblas_bfloat16fKPfEviiT3_lPKT2_lT1_lS8_lS9_lS5_lPT4_lS9_li
    .private_segment_fixed_size: 0
    .sgpr_count:     34
    .sgpr_spill_count: 0
    .symbol:         _ZL32rocblas_gemvt_warp_reduce_kernelILb0ELi1024EiPK16rocblas_bfloat16fKPfEviiT3_lPKT2_lT1_lS8_lS9_lS5_lPT4_lS9_li.kd
    .uniform_work_group_size: 1
    .uses_dynamic_stack: false
    .vgpr_count:     14
    .vgpr_spill_count: 0
    .wavefront_size: 64
  - .agpr_count:     0
    .args:
      - .offset:         0
        .size:           4
        .value_kind:     by_value
      - .offset:         4
        .size:           4
        .value_kind:     by_value
      - .offset:         8
        .size:           4
        .value_kind:     by_value
      - .offset:         16
        .size:           8
        .value_kind:     by_value
      - .address_space:  global
        .offset:         24
        .size:           8
        .value_kind:     global_buffer
      - .offset:         32
        .size:           8
        .value_kind:     by_value
      - .offset:         40
        .size:           8
        .value_kind:     by_value
      - .offset:         48
        .size:           8
        .value_kind:     by_value
      - .address_space:  global
        .offset:         56
        .size:           8
        .value_kind:     global_buffer
      - .offset:         64
        .size:           8
        .value_kind:     by_value
      - .offset:         72
        .size:           8
        .value_kind:     by_value
      - .offset:         80
        .size:           8
        .value_kind:     by_value
      - .offset:         88
        .size:           4
        .value_kind:     by_value
      - .offset:         96
        .size:           8
        .value_kind:     by_value
      - .address_space:  global
        .offset:         104
        .size:           8
        .value_kind:     global_buffer
      - .offset:         112
        .size:           8
        .value_kind:     by_value
      - .offset:         120
        .size:           8
        .value_kind:     by_value
      - .offset:         128
        .size:           8
        .value_kind:     by_value
      - .offset:         136
        .size:           4
        .value_kind:     by_value
    .group_segment_fixed_size: 256
    .kernarg_segment_align: 8
    .kernarg_segment_size: 140
    .language:       OpenCL C
    .language_version:
      - 2
      - 0
    .max_flat_workgroup_size: 1024
    .name:           _ZL32rocblas_gemvt_warp_reduce_kernelILb0ELi1024ElPK16rocblas_bfloat16fKPfEviiT3_lPKT2_lT1_lS8_lS9_lS5_lPT4_lS9_li
    .private_segment_fixed_size: 0
    .sgpr_count:     38
    .sgpr_spill_count: 0
    .symbol:         _ZL32rocblas_gemvt_warp_reduce_kernelILb0ELi1024ElPK16rocblas_bfloat16fKPfEviiT3_lPKT2_lT1_lS8_lS9_lS5_lPT4_lS9_li.kd
    .uniform_work_group_size: 1
    .uses_dynamic_stack: false
    .vgpr_count:     14
    .vgpr_spill_count: 0
    .wavefront_size: 64
  - .agpr_count:     0
    .args:
      - .offset:         0
        .size:           4
        .value_kind:     by_value
      - .offset:         4
        .size:           4
        .value_kind:     by_value
      - .address_space:  global
        .offset:         8
        .size:           8
        .value_kind:     global_buffer
      - .offset:         16
        .size:           8
        .value_kind:     by_value
      - .address_space:  global
        .offset:         24
        .size:           8
        .value_kind:     global_buffer
      - .offset:         32
        .size:           8
        .value_kind:     by_value
      - .offset:         40
        .size:           4
        .value_kind:     by_value
      - .offset:         48
        .size:           8
        .value_kind:     by_value
      - .address_space:  global
        .offset:         56
        .size:           8
        .value_kind:     global_buffer
      - .offset:         64
        .size:           8
        .value_kind:     by_value
      - .offset:         72
        .size:           4
        .value_kind:     by_value
      - .offset:         80
        .size:           8
        .value_kind:     by_value
      - .address_space:  global
        .offset:         88
        .size:           8
        .value_kind:     global_buffer
      - .offset:         96
        .size:           8
        .value_kind:     by_value
      - .address_space:  global
        .offset:         104
        .size:           8
        .value_kind:     global_buffer
      - .offset:         112
        .size:           8
        .value_kind:     by_value
      - .offset:         120
        .size:           4
        .value_kind:     by_value
      - .offset:         128
        .size:           8
        .value_kind:     by_value
    .group_segment_fixed_size: 256
    .kernarg_segment_align: 8
    .kernarg_segment_size: 136
    .language:       OpenCL C
    .language_version:
      - 2
      - 0
    .max_flat_workgroup_size: 256
    .name:           _ZL22rocblas_gemvtsm_kernelILb1ELi256EPK16rocblas_bfloat16PKfKPfEviiT2_lPKT1_lilSA_lilS7_lPT3_lil
    .private_segment_fixed_size: 0
    .sgpr_count:     34
    .sgpr_spill_count: 0
    .symbol:         _ZL22rocblas_gemvtsm_kernelILb1ELi256EPK16rocblas_bfloat16PKfKPfEviiT2_lPKT1_lilSA_lilS7_lPT3_lil.kd
    .uniform_work_group_size: 1
    .uses_dynamic_stack: false
    .vgpr_count:     14
    .vgpr_spill_count: 0
    .wavefront_size: 64
  - .agpr_count:     0
    .args:
      - .offset:         0
        .size:           4
        .value_kind:     by_value
      - .offset:         4
        .size:           4
        .value_kind:     by_value
      - .offset:         8
        .size:           4
        .value_kind:     by_value
      - .offset:         16
        .size:           8
        .value_kind:     by_value
      - .address_space:  global
        .offset:         24
        .size:           8
        .value_kind:     global_buffer
      - .offset:         32
        .size:           8
        .value_kind:     by_value
      - .offset:         40
        .size:           4
        .value_kind:     by_value
      - .offset:         48
        .size:           8
        .value_kind:     by_value
      - .address_space:  global
        .offset:         56
        .size:           8
        .value_kind:     global_buffer
      - .offset:         64
        .size:           8
        .value_kind:     by_value
      - .offset:         72
        .size:           4
        .value_kind:     by_value
      - .offset:         80
        .size:           8
        .value_kind:     by_value
      - .offset:         88
        .size:           4
        .value_kind:     by_value
      - .offset:         96
        .size:           8
        .value_kind:     by_value
      - .address_space:  global
        .offset:         104
        .size:           8
        .value_kind:     global_buffer
      - .offset:         112
        .size:           8
        .value_kind:     by_value
      - .offset:         120
        .size:           4
        .value_kind:     by_value
      - .offset:         128
        .size:           8
        .value_kind:     by_value
    .group_segment_fixed_size: 256
    .kernarg_segment_align: 8
    .kernarg_segment_size: 136
    .language:       OpenCL C
    .language_version:
      - 2
      - 0
    .max_flat_workgroup_size: 256
    .name:           _ZL22rocblas_gemvtsm_kernelILb1ELi256EPK16rocblas_bfloat16fKPfEviiT2_lPKT1_lilS8_lilS5_lPT3_lil
    .private_segment_fixed_size: 0
    .sgpr_count:     34
    .sgpr_spill_count: 0
    .symbol:         _ZL22rocblas_gemvtsm_kernelILb1ELi256EPK16rocblas_bfloat16fKPfEviiT2_lPKT1_lilS8_lilS5_lPT3_lil.kd
    .uniform_work_group_size: 1
    .uses_dynamic_stack: false
    .vgpr_count:     14
    .vgpr_spill_count: 0
    .wavefront_size: 64
  - .agpr_count:     0
    .args:
      - .offset:         0
        .size:           4
        .value_kind:     by_value
      - .offset:         4
        .size:           4
        .value_kind:     by_value
      - .address_space:  global
        .offset:         8
        .size:           8
        .value_kind:     global_buffer
      - .offset:         16
        .size:           8
        .value_kind:     by_value
      - .address_space:  global
        .offset:         24
        .size:           8
        .value_kind:     global_buffer
      - .offset:         32
        .size:           8
        .value_kind:     by_value
      - .offset:         40
        .size:           4
        .value_kind:     by_value
      - .offset:         48
        .size:           8
        .value_kind:     by_value
      - .address_space:  global
        .offset:         56
        .size:           8
        .value_kind:     global_buffer
      - .offset:         64
        .size:           8
        .value_kind:     by_value
      - .offset:         72
        .size:           4
        .value_kind:     by_value
      - .offset:         80
        .size:           8
        .value_kind:     by_value
      - .address_space:  global
        .offset:         88
        .size:           8
        .value_kind:     global_buffer
      - .offset:         96
        .size:           8
        .value_kind:     by_value
      - .address_space:  global
        .offset:         104
        .size:           8
        .value_kind:     global_buffer
      - .offset:         112
        .size:           8
        .value_kind:     by_value
      - .offset:         120
        .size:           4
        .value_kind:     by_value
      - .offset:         128
        .size:           8
        .value_kind:     by_value
      - .offset:         136
        .size:           4
        .value_kind:     by_value
    .group_segment_fixed_size: 1024
    .kernarg_segment_align: 8
    .kernarg_segment_size: 140
    .language:       OpenCL C
    .language_version:
      - 2
      - 0
    .max_flat_workgroup_size: 256
    .name:           _ZL20rocblas_gemvt_kernelILb1ELi256EPK16rocblas_bfloat16PKfKPfEviiT2_lPKT1_lilSA_lilS7_lPT3_lili
    .private_segment_fixed_size: 0
    .sgpr_count:     29
    .sgpr_spill_count: 0
    .symbol:         _ZL20rocblas_gemvt_kernelILb1ELi256EPK16rocblas_bfloat16PKfKPfEviiT2_lPKT1_lilSA_lilS7_lPT3_lili.kd
    .uniform_work_group_size: 1
    .uses_dynamic_stack: false
    .vgpr_count:     12
    .vgpr_spill_count: 0
    .wavefront_size: 64
  - .agpr_count:     0
    .args:
      - .offset:         0
        .size:           4
        .value_kind:     by_value
      - .offset:         4
        .size:           4
        .value_kind:     by_value
      - .offset:         8
        .size:           4
        .value_kind:     by_value
      - .offset:         16
        .size:           8
        .value_kind:     by_value
      - .address_space:  global
        .offset:         24
        .size:           8
        .value_kind:     global_buffer
      - .offset:         32
        .size:           8
        .value_kind:     by_value
      - .offset:         40
        .size:           4
        .value_kind:     by_value
      - .offset:         48
        .size:           8
        .value_kind:     by_value
      - .address_space:  global
        .offset:         56
        .size:           8
        .value_kind:     global_buffer
      - .offset:         64
        .size:           8
        .value_kind:     by_value
      - .offset:         72
        .size:           4
        .value_kind:     by_value
      - .offset:         80
        .size:           8
        .value_kind:     by_value
      - .offset:         88
        .size:           4
        .value_kind:     by_value
      - .offset:         96
        .size:           8
        .value_kind:     by_value
      - .address_space:  global
        .offset:         104
        .size:           8
        .value_kind:     global_buffer
      - .offset:         112
        .size:           8
        .value_kind:     by_value
      - .offset:         120
        .size:           4
        .value_kind:     by_value
      - .offset:         128
        .size:           8
        .value_kind:     by_value
      - .offset:         136
        .size:           4
        .value_kind:     by_value
    .group_segment_fixed_size: 1024
    .kernarg_segment_align: 8
    .kernarg_segment_size: 140
    .language:       OpenCL C
    .language_version:
      - 2
      - 0
    .max_flat_workgroup_size: 256
    .name:           _ZL20rocblas_gemvt_kernelILb1ELi256EPK16rocblas_bfloat16fKPfEviiT2_lPKT1_lilS8_lilS5_lPT3_lili
    .private_segment_fixed_size: 0
    .sgpr_count:     34
    .sgpr_spill_count: 0
    .symbol:         _ZL20rocblas_gemvt_kernelILb1ELi256EPK16rocblas_bfloat16fKPfEviiT2_lPKT1_lilS8_lilS5_lPT3_lili.kd
    .uniform_work_group_size: 1
    .uses_dynamic_stack: false
    .vgpr_count:     12
    .vgpr_spill_count: 0
    .wavefront_size: 64
  - .agpr_count:     0
    .args:
      - .offset:         0
        .size:           4
        .value_kind:     by_value
      - .offset:         4
        .size:           4
        .value_kind:     by_value
      - .address_space:  global
        .offset:         8
        .size:           8
        .value_kind:     global_buffer
      - .offset:         16
        .size:           8
        .value_kind:     by_value
      - .address_space:  global
        .offset:         24
        .size:           8
        .value_kind:     global_buffer
      - .offset:         32
        .size:           8
        .value_kind:     by_value
      - .offset:         40
        .size:           4
        .value_kind:     by_value
      - .offset:         48
        .size:           8
        .value_kind:     by_value
      - .address_space:  global
        .offset:         56
        .size:           8
        .value_kind:     global_buffer
      - .offset:         64
        .size:           8
        .value_kind:     by_value
      - .offset:         72
        .size:           4
        .value_kind:     by_value
      - .offset:         80
        .size:           8
        .value_kind:     by_value
      - .address_space:  global
        .offset:         88
        .size:           8
        .value_kind:     global_buffer
      - .offset:         96
        .size:           8
        .value_kind:     by_value
      - .address_space:  global
        .offset:         104
        .size:           8
        .value_kind:     global_buffer
      - .offset:         112
        .size:           8
        .value_kind:     by_value
      - .offset:         120
        .size:           4
        .value_kind:     by_value
      - .offset:         128
        .size:           8
        .value_kind:     by_value
      - .offset:         136
        .size:           4
        .value_kind:     by_value
    .group_segment_fixed_size: 256
    .kernarg_segment_align: 8
    .kernarg_segment_size: 140
    .language:       OpenCL C
    .language_version:
      - 2
      - 0
    .max_flat_workgroup_size: 1024
    .name:           _ZL32rocblas_gemvt_warp_reduce_kernelILb1ELi1024EiPK16rocblas_bfloat16PKfKPfEviiT3_lPKT2_lT1_lSA_lSB_lS7_lPT4_lSB_li
    .private_segment_fixed_size: 0
    .sgpr_count:     30
    .sgpr_spill_count: 0
    .symbol:         _ZL32rocblas_gemvt_warp_reduce_kernelILb1ELi1024EiPK16rocblas_bfloat16PKfKPfEviiT3_lPKT2_lT1_lSA_lSB_lS7_lPT4_lSB_li.kd
    .uniform_work_group_size: 1
    .uses_dynamic_stack: false
    .vgpr_count:     14
    .vgpr_spill_count: 0
    .wavefront_size: 64
  - .agpr_count:     0
    .args:
      - .offset:         0
        .size:           4
        .value_kind:     by_value
      - .offset:         4
        .size:           4
        .value_kind:     by_value
      - .address_space:  global
        .offset:         8
        .size:           8
        .value_kind:     global_buffer
      - .offset:         16
        .size:           8
        .value_kind:     by_value
      - .address_space:  global
        .offset:         24
        .size:           8
        .value_kind:     global_buffer
      - .offset:         32
        .size:           8
        .value_kind:     by_value
      - .offset:         40
        .size:           8
        .value_kind:     by_value
      - .offset:         48
        .size:           8
        .value_kind:     by_value
      - .address_space:  global
        .offset:         56
        .size:           8
        .value_kind:     global_buffer
      - .offset:         64
        .size:           8
        .value_kind:     by_value
      - .offset:         72
        .size:           8
        .value_kind:     by_value
      - .offset:         80
        .size:           8
        .value_kind:     by_value
      - .address_space:  global
        .offset:         88
        .size:           8
        .value_kind:     global_buffer
      - .offset:         96
        .size:           8
        .value_kind:     by_value
      - .address_space:  global
        .offset:         104
        .size:           8
        .value_kind:     global_buffer
      - .offset:         112
        .size:           8
        .value_kind:     by_value
      - .offset:         120
        .size:           8
        .value_kind:     by_value
      - .offset:         128
        .size:           8
        .value_kind:     by_value
      - .offset:         136
        .size:           4
        .value_kind:     by_value
    .group_segment_fixed_size: 256
    .kernarg_segment_align: 8
    .kernarg_segment_size: 140
    .language:       OpenCL C
    .language_version:
      - 2
      - 0
    .max_flat_workgroup_size: 1024
    .name:           _ZL32rocblas_gemvt_warp_reduce_kernelILb1ELi1024ElPK16rocblas_bfloat16PKfKPfEviiT3_lPKT2_lT1_lSA_lSB_lS7_lPT4_lSB_li
    .private_segment_fixed_size: 0
    .sgpr_count:     37
    .sgpr_spill_count: 0
    .symbol:         _ZL32rocblas_gemvt_warp_reduce_kernelILb1ELi1024ElPK16rocblas_bfloat16PKfKPfEviiT3_lPKT2_lT1_lSA_lSB_lS7_lPT4_lSB_li.kd
    .uniform_work_group_size: 1
    .uses_dynamic_stack: false
    .vgpr_count:     14
    .vgpr_spill_count: 0
    .wavefront_size: 64
  - .agpr_count:     0
    .args:
      - .offset:         0
        .size:           4
        .value_kind:     by_value
      - .offset:         4
        .size:           4
        .value_kind:     by_value
      - .offset:         8
        .size:           4
        .value_kind:     by_value
      - .offset:         16
        .size:           8
        .value_kind:     by_value
      - .address_space:  global
        .offset:         24
        .size:           8
        .value_kind:     global_buffer
      - .offset:         32
        .size:           8
        .value_kind:     by_value
      - .offset:         40
        .size:           4
        .value_kind:     by_value
      - .offset:         48
        .size:           8
        .value_kind:     by_value
      - .address_space:  global
        .offset:         56
        .size:           8
        .value_kind:     global_buffer
      - .offset:         64
        .size:           8
        .value_kind:     by_value
      - .offset:         72
        .size:           4
        .value_kind:     by_value
      - .offset:         80
        .size:           8
        .value_kind:     by_value
      - .offset:         88
        .size:           4
        .value_kind:     by_value
      - .offset:         96
        .size:           8
        .value_kind:     by_value
      - .address_space:  global
        .offset:         104
        .size:           8
        .value_kind:     global_buffer
      - .offset:         112
        .size:           8
        .value_kind:     by_value
      - .offset:         120
        .size:           4
        .value_kind:     by_value
      - .offset:         128
        .size:           8
        .value_kind:     by_value
      - .offset:         136
        .size:           4
        .value_kind:     by_value
    .group_segment_fixed_size: 256
    .kernarg_segment_align: 8
    .kernarg_segment_size: 140
    .language:       OpenCL C
    .language_version:
      - 2
      - 0
    .max_flat_workgroup_size: 1024
    .name:           _ZL32rocblas_gemvt_warp_reduce_kernelILb1ELi1024EiPK16rocblas_bfloat16fKPfEviiT3_lPKT2_lT1_lS8_lS9_lS5_lPT4_lS9_li
    .private_segment_fixed_size: 0
    .sgpr_count:     34
    .sgpr_spill_count: 0
    .symbol:         _ZL32rocblas_gemvt_warp_reduce_kernelILb1ELi1024EiPK16rocblas_bfloat16fKPfEviiT3_lPKT2_lT1_lS8_lS9_lS5_lPT4_lS9_li.kd
    .uniform_work_group_size: 1
    .uses_dynamic_stack: false
    .vgpr_count:     14
    .vgpr_spill_count: 0
    .wavefront_size: 64
  - .agpr_count:     0
    .args:
      - .offset:         0
        .size:           4
        .value_kind:     by_value
      - .offset:         4
        .size:           4
        .value_kind:     by_value
      - .offset:         8
        .size:           4
        .value_kind:     by_value
      - .offset:         16
        .size:           8
        .value_kind:     by_value
      - .address_space:  global
        .offset:         24
        .size:           8
        .value_kind:     global_buffer
      - .offset:         32
        .size:           8
        .value_kind:     by_value
      - .offset:         40
        .size:           8
        .value_kind:     by_value
      - .offset:         48
        .size:           8
        .value_kind:     by_value
      - .address_space:  global
        .offset:         56
        .size:           8
        .value_kind:     global_buffer
      - .offset:         64
        .size:           8
        .value_kind:     by_value
      - .offset:         72
        .size:           8
        .value_kind:     by_value
      - .offset:         80
        .size:           8
        .value_kind:     by_value
      - .offset:         88
        .size:           4
        .value_kind:     by_value
      - .offset:         96
        .size:           8
        .value_kind:     by_value
      - .address_space:  global
        .offset:         104
        .size:           8
        .value_kind:     global_buffer
      - .offset:         112
        .size:           8
        .value_kind:     by_value
      - .offset:         120
        .size:           8
        .value_kind:     by_value
      - .offset:         128
        .size:           8
        .value_kind:     by_value
      - .offset:         136
        .size:           4
        .value_kind:     by_value
    .group_segment_fixed_size: 256
    .kernarg_segment_align: 8
    .kernarg_segment_size: 140
    .language:       OpenCL C
    .language_version:
      - 2
      - 0
    .max_flat_workgroup_size: 1024
    .name:           _ZL32rocblas_gemvt_warp_reduce_kernelILb1ELi1024ElPK16rocblas_bfloat16fKPfEviiT3_lPKT2_lT1_lS8_lS9_lS5_lPT4_lS9_li
    .private_segment_fixed_size: 0
    .sgpr_count:     38
    .sgpr_spill_count: 0
    .symbol:         _ZL32rocblas_gemvt_warp_reduce_kernelILb1ELi1024ElPK16rocblas_bfloat16fKPfEviiT3_lPKT2_lT1_lS8_lS9_lS5_lPT4_lS9_li.kd
    .uniform_work_group_size: 1
    .uses_dynamic_stack: false
    .vgpr_count:     14
    .vgpr_spill_count: 0
    .wavefront_size: 64
amdhsa.target:   amdgcn-amd-amdhsa--gfx942
amdhsa.version:
  - 1
  - 2
...

	.end_amdgpu_metadata
